;; amdgpu-corpus repo=ROCm/composable_kernel kind=compiled arch=gfx90a opt=O3
	.text
	.amdgcn_target "amdgcn-amd-amdhsa--gfx90a"
	.amdhsa_code_object_version 6
	.section	.text._ZN2ckL12flush_icacheEv,"axG",@progbits,_ZN2ckL12flush_icacheEv,comdat
	.globl	_ZN2ckL12flush_icacheEv         ; -- Begin function _ZN2ckL12flush_icacheEv
	.p2align	8
	.type	_ZN2ckL12flush_icacheEv,@function
_ZN2ckL12flush_icacheEv:                ; @_ZN2ckL12flush_icacheEv
; %bb.0:
	;;#ASMSTART
	s_icache_inv 
	s_nop 0 
	s_nop 0 
	;; [unrolled: 1-line block ×16, first 2 shown]
	
	;;#ASMEND
	s_endpgm
	.section	.rodata,"a",@progbits
	.p2align	6, 0x0
	.amdhsa_kernel _ZN2ckL12flush_icacheEv
		.amdhsa_group_segment_fixed_size 0
		.amdhsa_private_segment_fixed_size 0
		.amdhsa_kernarg_size 0
		.amdhsa_user_sgpr_count 4
		.amdhsa_user_sgpr_private_segment_buffer 1
		.amdhsa_user_sgpr_dispatch_ptr 0
		.amdhsa_user_sgpr_queue_ptr 0
		.amdhsa_user_sgpr_kernarg_segment_ptr 0
		.amdhsa_user_sgpr_dispatch_id 0
		.amdhsa_user_sgpr_flat_scratch_init 0
		.amdhsa_user_sgpr_kernarg_preload_length 0
		.amdhsa_user_sgpr_kernarg_preload_offset 0
		.amdhsa_user_sgpr_private_segment_size 0
		.amdhsa_uses_dynamic_stack 0
		.amdhsa_system_sgpr_private_segment_wavefront_offset 0
		.amdhsa_system_sgpr_workgroup_id_x 1
		.amdhsa_system_sgpr_workgroup_id_y 0
		.amdhsa_system_sgpr_workgroup_id_z 0
		.amdhsa_system_sgpr_workgroup_info 0
		.amdhsa_system_vgpr_workitem_id 0
		.amdhsa_next_free_vgpr 1
		.amdhsa_next_free_sgpr 0
		.amdhsa_accum_offset 4
		.amdhsa_reserve_vcc 0
		.amdhsa_reserve_flat_scratch 0
		.amdhsa_float_round_mode_32 0
		.amdhsa_float_round_mode_16_64 0
		.amdhsa_float_denorm_mode_32 3
		.amdhsa_float_denorm_mode_16_64 3
		.amdhsa_dx10_clamp 1
		.amdhsa_ieee_mode 1
		.amdhsa_fp16_overflow 0
		.amdhsa_tg_split 0
		.amdhsa_exception_fp_ieee_invalid_op 0
		.amdhsa_exception_fp_denorm_src 0
		.amdhsa_exception_fp_ieee_div_zero 0
		.amdhsa_exception_fp_ieee_overflow 0
		.amdhsa_exception_fp_ieee_underflow 0
		.amdhsa_exception_fp_ieee_inexact 0
		.amdhsa_exception_int_div_zero 0
	.end_amdhsa_kernel
	.section	.text._ZN2ckL12flush_icacheEv,"axG",@progbits,_ZN2ckL12flush_icacheEv,comdat
.Lfunc_end0:
	.size	_ZN2ckL12flush_icacheEv, .Lfunc_end0-_ZN2ckL12flush_icacheEv
                                        ; -- End function
	.section	.AMDGPU.csdata,"",@progbits
; Kernel info:
; codeLenInByte = 140
; NumSgprs: 4
; NumVgprs: 0
; NumAgprs: 0
; TotalNumVgprs: 0
; ScratchSize: 0
; MemoryBound: 0
; FloatMode: 240
; IeeeMode: 1
; LDSByteSize: 0 bytes/workgroup (compile time only)
; SGPRBlocks: 0
; VGPRBlocks: 0
; NumSGPRsForWavesPerEU: 4
; NumVGPRsForWavesPerEU: 1
; AccumOffset: 4
; Occupancy: 8
; WaveLimiterHint : 0
; COMPUTE_PGM_RSRC2:SCRATCH_EN: 0
; COMPUTE_PGM_RSRC2:USER_SGPR: 4
; COMPUTE_PGM_RSRC2:TRAP_HANDLER: 0
; COMPUTE_PGM_RSRC2:TGID_X_EN: 1
; COMPUTE_PGM_RSRC2:TGID_Y_EN: 0
; COMPUTE_PGM_RSRC2:TGID_Z_EN: 0
; COMPUTE_PGM_RSRC2:TIDIG_COMP_CNT: 0
; COMPUTE_PGM_RSRC3_GFX90A:ACCUM_OFFSET: 0
; COMPUTE_PGM_RSRC3_GFX90A:TG_SPLIT: 0
	.text
	.p2align	2                               ; -- Begin function _ZNK2ck6detail7applierIiJLi0ELi1ELi2ELi3ELi4ELi5ELi6ELi7ELi8ELi9ELi10ELi11ELi12ELi13ELi14ELi15EEEclIZNKS_11static_fordINS_8SequenceIJLi4ELi4EEEENS5_IJLi0ELi1EEEEEclIZZZZNKS_31BlockwiseGemmXdlops_pipeline_v2ILNS_26BlockGemmPipelineSchedulerE1ELi256ENS_9f8_fnuz_tENS_7pk_i4_tESC_fNS_16TensorDescriptorINS_5TupleIJNS_5EmbedINSF_IJNS_17integral_constantIiLi8EEENSH_IiLi128EEENSH_IiLi16EEEEEENSF_IJSK_SJ_NSH_IiLi1EEEEEELb0EEENS_3XorINSF_IJSJ_SI_EEELb1EEENS_11PassThroughISK_EENS_7UnMergeINSF_IJSI_SM_EEELb0EEENSS_ISJ_EEST_NSS_ISI_EENS_21Merge_v3_division_modINSF_IJSJ_SM_EEEEEST_EEENSF_IJNS5_IJLi0EEEENS5_IJLi2ELi1EEEENS5_IJLi3EEEENS5_IJLi5EEEENS5_IJLi4EEEENS5_IJLi6EEEENS5_IJLi7EEEENS5_IJLi9ELi8EEEENS5_IJLi10EEEEEEENSF_IJNS5_IJLi1ELi2ELi3EEEENS5_IJLi4ELi5EEEES18_NS5_IJLi7ELi8EEEENS5_IJLi9EEEES1B_NS5_IJLi11EEEENS5_IJLi12EEEENS5_IJLi13EEEEEEENS5_IJLi11ELi12ELi13EEEENSH_IlLl16384EEEEENSE_INSF_IJNSG_INSF_IJSK_NSH_IiLi64EEESK_EEENSF_IJSK_NSH_IiLi256EEESM_EEELb0EEENSP_INSF_IJS1O_SK_EEELb1EEEST_NSU_INSF_IJSI_NSH_IiLi2EEEEEELb0EEENSS_IS1O_EEST_SY_NSZ_INSF_IJS1O_S1V_EEEEEST_EEES1C_S1K_S1L_S1M_EENSE_INSF_IJSO_SR_ST_SW_SX_ST_SY_S11_ST_NSZ_INSF_IJSI_SK_EEEEENSU_INSF_IJNSH_IiLi4EEES1V_SK_EEELb0EEEEEENSF_IJS13_S14_S15_S16_S17_S18_S19_S1A_S1B_NS5_IJLi11ELi13EEEES1I_EEENSF_IJS1D_S1E_S18_S1F_S1G_S1B_S1H_S1I_S1J_NS5_IJLi14EEEENS5_IJLi15ELi16ELi17EEEEEEENS5_IJLi15ELi16ELi17ELi14EEEES1M_EENSE_INSF_IJS1S_S1U_ST_S1X_S1Y_ST_SY_S20_ST_S24_S27_EEES2A_S2D_S2E_S1M_EELi16ELi16ELi128ELi128ELi128ELi16ELi16ELi4ELi4ELi16ELb0EE3RunILb1ELNS_10TailNumberE2ENSE_INSF_IJNSG_INSF_IJiiEEENSF_IJiSM_EEELb0EEENSU_IS2L_Lb0EEENSS_IiEEEEENSF_IJS13_NS5_IJLi2EEEENS5_IJLi1EEEEEEENSF_IJNS5_IJLi1ELi2EEEENS5_IJLi3ELi4EEEES16_EEENS5_IJLi3ELi5ELi4EEEElEES1N_NS_35ThreadGroupTensorSliceTransfer_v4r1INS_15ThisThreadBlockILi256EEENS_16tensor_operation12element_wise11PassThroughES34_LNS_25InMemoryDataOperationEnumE0ENS5_IJLi8ELi128ELi16EEEENS5_IJLi8ELi32ELi1EEEENS5_IJLi1ELi0ELi2EEEESC_SC_RKS2Y_KS1N_S38_NS5_IJLi0ELi1ELi2EEEELi2ELi2ELi16ELi16ELi1ELi1ELb0ELb1ELi2EiEENS_13DynamicBufferILNS_16AddressSpaceEnumE1EKSC_lLb1ELNS_22AmdBufferCoherenceEnumE0EiEENS3E_ILS3F_2ESC_S1M_Lb1ELS3H_0EiEENSF_IJiiiEEENSE_INSF_IJNSU_INSF_IJiiiiEEELb0EEENS_23Merge_v2_magic_divisionIS2L_EENSS_INSF_IJiEEEEES2P_EEENSF_IJS13_NS5_IJLi1ELi3EEEES2R_S17_EEENSF_IJNS5_IJLi1ELi2ELi3ELi4EEEES16_S18_S19_EEENS5_IJLi5ELi6ELi7EEEElEES22_NS2Z_IS31_S34_S34_LS35_0ES36_NS5_IJLi4ELi64ELi1EEEES38_SD_SD_RKS3X_KS22_S38_S3C_Li2ELi2ELi16ELi16ELi1ELi1ELb0ELb1ELi2EiEENS3E_ILS3F_1EKSD_lLb1ELS3H_0EiEENS3E_ILS3F_2ESD_S1M_Lb1ELS3H_0EiEES3K_NS_25StaticBufferTupleOfVectorILS3F_4EfLi16ELi4ELb1ELb0EEEEEvRKT1_RKT2_RT3_RKT4_RT5_RKT6_RKT7_RKT8_RT9_RKT10_RT11_RKT12_RT13_iENKUlT_E0_clINSH_IiLi0EEEEEDaS56_ENKUlS56_E_clIS59_EEDaS56_ENKUlS56_E1_clIS59_EEDaS56_EUlS56_E_EEvS56_EUlS56_E_EEvS56_
	.type	_ZNK2ck6detail7applierIiJLi0ELi1ELi2ELi3ELi4ELi5ELi6ELi7ELi8ELi9ELi10ELi11ELi12ELi13ELi14ELi15EEEclIZNKS_11static_fordINS_8SequenceIJLi4ELi4EEEENS5_IJLi0ELi1EEEEEclIZZZZNKS_31BlockwiseGemmXdlops_pipeline_v2ILNS_26BlockGemmPipelineSchedulerE1ELi256ENS_9f8_fnuz_tENS_7pk_i4_tESC_fNS_16TensorDescriptorINS_5TupleIJNS_5EmbedINSF_IJNS_17integral_constantIiLi8EEENSH_IiLi128EEENSH_IiLi16EEEEEENSF_IJSK_SJ_NSH_IiLi1EEEEEELb0EEENS_3XorINSF_IJSJ_SI_EEELb1EEENS_11PassThroughISK_EENS_7UnMergeINSF_IJSI_SM_EEELb0EEENSS_ISJ_EEST_NSS_ISI_EENS_21Merge_v3_division_modINSF_IJSJ_SM_EEEEEST_EEENSF_IJNS5_IJLi0EEEENS5_IJLi2ELi1EEEENS5_IJLi3EEEENS5_IJLi5EEEENS5_IJLi4EEEENS5_IJLi6EEEENS5_IJLi7EEEENS5_IJLi9ELi8EEEENS5_IJLi10EEEEEEENSF_IJNS5_IJLi1ELi2ELi3EEEENS5_IJLi4ELi5EEEES18_NS5_IJLi7ELi8EEEENS5_IJLi9EEEES1B_NS5_IJLi11EEEENS5_IJLi12EEEENS5_IJLi13EEEEEEENS5_IJLi11ELi12ELi13EEEENSH_IlLl16384EEEEENSE_INSF_IJNSG_INSF_IJSK_NSH_IiLi64EEESK_EEENSF_IJSK_NSH_IiLi256EEESM_EEELb0EEENSP_INSF_IJS1O_SK_EEELb1EEEST_NSU_INSF_IJSI_NSH_IiLi2EEEEEELb0EEENSS_IS1O_EEST_SY_NSZ_INSF_IJS1O_S1V_EEEEEST_EEES1C_S1K_S1L_S1M_EENSE_INSF_IJSO_SR_ST_SW_SX_ST_SY_S11_ST_NSZ_INSF_IJSI_SK_EEEEENSU_INSF_IJNSH_IiLi4EEES1V_SK_EEELb0EEEEEENSF_IJS13_S14_S15_S16_S17_S18_S19_S1A_S1B_NS5_IJLi11ELi13EEEES1I_EEENSF_IJS1D_S1E_S18_S1F_S1G_S1B_S1H_S1I_S1J_NS5_IJLi14EEEENS5_IJLi15ELi16ELi17EEEEEEENS5_IJLi15ELi16ELi17ELi14EEEES1M_EENSE_INSF_IJS1S_S1U_ST_S1X_S1Y_ST_SY_S20_ST_S24_S27_EEES2A_S2D_S2E_S1M_EELi16ELi16ELi128ELi128ELi128ELi16ELi16ELi4ELi4ELi16ELb0EE3RunILb1ELNS_10TailNumberE2ENSE_INSF_IJNSG_INSF_IJiiEEENSF_IJiSM_EEELb0EEENSU_IS2L_Lb0EEENSS_IiEEEEENSF_IJS13_NS5_IJLi2EEEENS5_IJLi1EEEEEEENSF_IJNS5_IJLi1ELi2EEEENS5_IJLi3ELi4EEEES16_EEENS5_IJLi3ELi5ELi4EEEElEES1N_NS_35ThreadGroupTensorSliceTransfer_v4r1INS_15ThisThreadBlockILi256EEENS_16tensor_operation12element_wise11PassThroughES34_LNS_25InMemoryDataOperationEnumE0ENS5_IJLi8ELi128ELi16EEEENS5_IJLi8ELi32ELi1EEEENS5_IJLi1ELi0ELi2EEEESC_SC_RKS2Y_KS1N_S38_NS5_IJLi0ELi1ELi2EEEELi2ELi2ELi16ELi16ELi1ELi1ELb0ELb1ELi2EiEENS_13DynamicBufferILNS_16AddressSpaceEnumE1EKSC_lLb1ELNS_22AmdBufferCoherenceEnumE0EiEENS3E_ILS3F_2ESC_S1M_Lb1ELS3H_0EiEENSF_IJiiiEEENSE_INSF_IJNSU_INSF_IJiiiiEEELb0EEENS_23Merge_v2_magic_divisionIS2L_EENSS_INSF_IJiEEEEES2P_EEENSF_IJS13_NS5_IJLi1ELi3EEEES2R_S17_EEENSF_IJNS5_IJLi1ELi2ELi3ELi4EEEES16_S18_S19_EEENS5_IJLi5ELi6ELi7EEEElEES22_NS2Z_IS31_S34_S34_LS35_0ES36_NS5_IJLi4ELi64ELi1EEEES38_SD_SD_RKS3X_KS22_S38_S3C_Li2ELi2ELi16ELi16ELi1ELi1ELb0ELb1ELi2EiEENS3E_ILS3F_1EKSD_lLb1ELS3H_0EiEENS3E_ILS3F_2ESD_S1M_Lb1ELS3H_0EiEES3K_NS_25StaticBufferTupleOfVectorILS3F_4EfLi16ELi4ELb1ELb0EEEEEvRKT1_RKT2_RT3_RKT4_RT5_RKT6_RKT7_RKT8_RT9_RKT10_RT11_RKT12_RT13_iENKUlT_E0_clINSH_IiLi0EEEEEDaS56_ENKUlS56_E_clIS59_EEDaS56_ENKUlS56_E1_clIS59_EEDaS56_EUlS56_E_EEvS56_EUlS56_E_EEvS56_,@function
_ZNK2ck6detail7applierIiJLi0ELi1ELi2ELi3ELi4ELi5ELi6ELi7ELi8ELi9ELi10ELi11ELi12ELi13ELi14ELi15EEEclIZNKS_11static_fordINS_8SequenceIJLi4ELi4EEEENS5_IJLi0ELi1EEEEEclIZZZZNKS_31BlockwiseGemmXdlops_pipeline_v2ILNS_26BlockGemmPipelineSchedulerE1ELi256ENS_9f8_fnuz_tENS_7pk_i4_tESC_fNS_16TensorDescriptorINS_5TupleIJNS_5EmbedINSF_IJNS_17integral_constantIiLi8EEENSH_IiLi128EEENSH_IiLi16EEEEEENSF_IJSK_SJ_NSH_IiLi1EEEEEELb0EEENS_3XorINSF_IJSJ_SI_EEELb1EEENS_11PassThroughISK_EENS_7UnMergeINSF_IJSI_SM_EEELb0EEENSS_ISJ_EEST_NSS_ISI_EENS_21Merge_v3_division_modINSF_IJSJ_SM_EEEEEST_EEENSF_IJNS5_IJLi0EEEENS5_IJLi2ELi1EEEENS5_IJLi3EEEENS5_IJLi5EEEENS5_IJLi4EEEENS5_IJLi6EEEENS5_IJLi7EEEENS5_IJLi9ELi8EEEENS5_IJLi10EEEEEEENSF_IJNS5_IJLi1ELi2ELi3EEEENS5_IJLi4ELi5EEEES18_NS5_IJLi7ELi8EEEENS5_IJLi9EEEES1B_NS5_IJLi11EEEENS5_IJLi12EEEENS5_IJLi13EEEEEEENS5_IJLi11ELi12ELi13EEEENSH_IlLl16384EEEEENSE_INSF_IJNSG_INSF_IJSK_NSH_IiLi64EEESK_EEENSF_IJSK_NSH_IiLi256EEESM_EEELb0EEENSP_INSF_IJS1O_SK_EEELb1EEEST_NSU_INSF_IJSI_NSH_IiLi2EEEEEELb0EEENSS_IS1O_EEST_SY_NSZ_INSF_IJS1O_S1V_EEEEEST_EEES1C_S1K_S1L_S1M_EENSE_INSF_IJSO_SR_ST_SW_SX_ST_SY_S11_ST_NSZ_INSF_IJSI_SK_EEEEENSU_INSF_IJNSH_IiLi4EEES1V_SK_EEELb0EEEEEENSF_IJS13_S14_S15_S16_S17_S18_S19_S1A_S1B_NS5_IJLi11ELi13EEEES1I_EEENSF_IJS1D_S1E_S18_S1F_S1G_S1B_S1H_S1I_S1J_NS5_IJLi14EEEENS5_IJLi15ELi16ELi17EEEEEEENS5_IJLi15ELi16ELi17ELi14EEEES1M_EENSE_INSF_IJS1S_S1U_ST_S1X_S1Y_ST_SY_S20_ST_S24_S27_EEES2A_S2D_S2E_S1M_EELi16ELi16ELi128ELi128ELi128ELi16ELi16ELi4ELi4ELi16ELb0EE3RunILb1ELNS_10TailNumberE2ENSE_INSF_IJNSG_INSF_IJiiEEENSF_IJiSM_EEELb0EEENSU_IS2L_Lb0EEENSS_IiEEEEENSF_IJS13_NS5_IJLi2EEEENS5_IJLi1EEEEEEENSF_IJNS5_IJLi1ELi2EEEENS5_IJLi3ELi4EEEES16_EEENS5_IJLi3ELi5ELi4EEEElEES1N_NS_35ThreadGroupTensorSliceTransfer_v4r1INS_15ThisThreadBlockILi256EEENS_16tensor_operation12element_wise11PassThroughES34_LNS_25InMemoryDataOperationEnumE0ENS5_IJLi8ELi128ELi16EEEENS5_IJLi8ELi32ELi1EEEENS5_IJLi1ELi0ELi2EEEESC_SC_RKS2Y_KS1N_S38_NS5_IJLi0ELi1ELi2EEEELi2ELi2ELi16ELi16ELi1ELi1ELb0ELb1ELi2EiEENS_13DynamicBufferILNS_16AddressSpaceEnumE1EKSC_lLb1ELNS_22AmdBufferCoherenceEnumE0EiEENS3E_ILS3F_2ESC_S1M_Lb1ELS3H_0EiEENSF_IJiiiEEENSE_INSF_IJNSU_INSF_IJiiiiEEELb0EEENS_23Merge_v2_magic_divisionIS2L_EENSS_INSF_IJiEEEEES2P_EEENSF_IJS13_NS5_IJLi1ELi3EEEES2R_S17_EEENSF_IJNS5_IJLi1ELi2ELi3ELi4EEEES16_S18_S19_EEENS5_IJLi5ELi6ELi7EEEElEES22_NS2Z_IS31_S34_S34_LS35_0ES36_NS5_IJLi4ELi64ELi1EEEES38_SD_SD_RKS3X_KS22_S38_S3C_Li2ELi2ELi16ELi16ELi1ELi1ELb0ELb1ELi2EiEENS3E_ILS3F_1EKSD_lLb1ELS3H_0EiEENS3E_ILS3F_2ESD_S1M_Lb1ELS3H_0EiEES3K_NS_25StaticBufferTupleOfVectorILS3F_4EfLi16ELi4ELb1ELb0EEEEEvRKT1_RKT2_RT3_RKT4_RT5_RKT6_RKT7_RKT8_RT9_RKT10_RT11_RKT12_RT13_iENKUlT_E0_clINSH_IiLi0EEEEEDaS56_ENKUlS56_E_clIS59_EEDaS56_ENKUlS56_E1_clIS59_EEDaS56_EUlS56_E_EEvS56_EUlS56_E_EEvS56_: ; @_ZNK2ck6detail7applierIiJLi0ELi1ELi2ELi3ELi4ELi5ELi6ELi7ELi8ELi9ELi10ELi11ELi12ELi13ELi14ELi15EEEclIZNKS_11static_fordINS_8SequenceIJLi4ELi4EEEENS5_IJLi0ELi1EEEEEclIZZZZNKS_31BlockwiseGemmXdlops_pipeline_v2ILNS_26BlockGemmPipelineSchedulerE1ELi256ENS_9f8_fnuz_tENS_7pk_i4_tESC_fNS_16TensorDescriptorINS_5TupleIJNS_5EmbedINSF_IJNS_17integral_constantIiLi8EEENSH_IiLi128EEENSH_IiLi16EEEEEENSF_IJSK_SJ_NSH_IiLi1EEEEEELb0EEENS_3XorINSF_IJSJ_SI_EEELb1EEENS_11PassThroughISK_EENS_7UnMergeINSF_IJSI_SM_EEELb0EEENSS_ISJ_EEST_NSS_ISI_EENS_21Merge_v3_division_modINSF_IJSJ_SM_EEEEEST_EEENSF_IJNS5_IJLi0EEEENS5_IJLi2ELi1EEEENS5_IJLi3EEEENS5_IJLi5EEEENS5_IJLi4EEEENS5_IJLi6EEEENS5_IJLi7EEEENS5_IJLi9ELi8EEEENS5_IJLi10EEEEEEENSF_IJNS5_IJLi1ELi2ELi3EEEENS5_IJLi4ELi5EEEES18_NS5_IJLi7ELi8EEEENS5_IJLi9EEEES1B_NS5_IJLi11EEEENS5_IJLi12EEEENS5_IJLi13EEEEEEENS5_IJLi11ELi12ELi13EEEENSH_IlLl16384EEEEENSE_INSF_IJNSG_INSF_IJSK_NSH_IiLi64EEESK_EEENSF_IJSK_NSH_IiLi256EEESM_EEELb0EEENSP_INSF_IJS1O_SK_EEELb1EEEST_NSU_INSF_IJSI_NSH_IiLi2EEEEEELb0EEENSS_IS1O_EEST_SY_NSZ_INSF_IJS1O_S1V_EEEEEST_EEES1C_S1K_S1L_S1M_EENSE_INSF_IJSO_SR_ST_SW_SX_ST_SY_S11_ST_NSZ_INSF_IJSI_SK_EEEEENSU_INSF_IJNSH_IiLi4EEES1V_SK_EEELb0EEEEEENSF_IJS13_S14_S15_S16_S17_S18_S19_S1A_S1B_NS5_IJLi11ELi13EEEES1I_EEENSF_IJS1D_S1E_S18_S1F_S1G_S1B_S1H_S1I_S1J_NS5_IJLi14EEEENS5_IJLi15ELi16ELi17EEEEEEENS5_IJLi15ELi16ELi17ELi14EEEES1M_EENSE_INSF_IJS1S_S1U_ST_S1X_S1Y_ST_SY_S20_ST_S24_S27_EEES2A_S2D_S2E_S1M_EELi16ELi16ELi128ELi128ELi128ELi16ELi16ELi4ELi4ELi16ELb0EE3RunILb1ELNS_10TailNumberE2ENSE_INSF_IJNSG_INSF_IJiiEEENSF_IJiSM_EEELb0EEENSU_IS2L_Lb0EEENSS_IiEEEEENSF_IJS13_NS5_IJLi2EEEENS5_IJLi1EEEEEEENSF_IJNS5_IJLi1ELi2EEEENS5_IJLi3ELi4EEEES16_EEENS5_IJLi3ELi5ELi4EEEElEES1N_NS_35ThreadGroupTensorSliceTransfer_v4r1INS_15ThisThreadBlockILi256EEENS_16tensor_operation12element_wise11PassThroughES34_LNS_25InMemoryDataOperationEnumE0ENS5_IJLi8ELi128ELi16EEEENS5_IJLi8ELi32ELi1EEEENS5_IJLi1ELi0ELi2EEEESC_SC_RKS2Y_KS1N_S38_NS5_IJLi0ELi1ELi2EEEELi2ELi2ELi16ELi16ELi1ELi1ELb0ELb1ELi2EiEENS_13DynamicBufferILNS_16AddressSpaceEnumE1EKSC_lLb1ELNS_22AmdBufferCoherenceEnumE0EiEENS3E_ILS3F_2ESC_S1M_Lb1ELS3H_0EiEENSF_IJiiiEEENSE_INSF_IJNSU_INSF_IJiiiiEEELb0EEENS_23Merge_v2_magic_divisionIS2L_EENSS_INSF_IJiEEEEES2P_EEENSF_IJS13_NS5_IJLi1ELi3EEEES2R_S17_EEENSF_IJNS5_IJLi1ELi2ELi3ELi4EEEES16_S18_S19_EEENS5_IJLi5ELi6ELi7EEEElEES22_NS2Z_IS31_S34_S34_LS35_0ES36_NS5_IJLi4ELi64ELi1EEEES38_SD_SD_RKS3X_KS22_S38_S3C_Li2ELi2ELi16ELi16ELi1ELi1ELb0ELb1ELi2EiEENS3E_ILS3F_1EKSD_lLb1ELS3H_0EiEENS3E_ILS3F_2ESD_S1M_Lb1ELS3H_0EiEES3K_NS_25StaticBufferTupleOfVectorILS3F_4EfLi16ELi4ELb1ELb0EEEEEvRKT1_RKT2_RT3_RKT4_RT5_RKT6_RKT7_RKT8_RT9_RKT10_RT11_RKT12_RT13_iENKUlT_E0_clINSH_IiLi0EEEEEDaS56_ENKUlS56_E_clIS59_EEDaS56_ENKUlS56_E1_clIS59_EEDaS56_EUlS56_E_EEvS56_EUlS56_E_EEvS56_
; %bb.0:
	s_waitcnt vmcnt(0) expcnt(0) lgkmcnt(0)
	flat_load_dwordx4 v[12:15], v[0:1] offset:8
	flat_load_dwordx2 v[10:11], v[0:1] offset:32
	s_movk_i32 s4, 0x7f
                                        ; implicit-def: $sgpr10
	s_waitcnt vmcnt(0) lgkmcnt(0)
	flat_load_dwordx4 v[6:9], v[12:13]
	flat_load_dwordx4 v[2:5], v[14:15]
	s_waitcnt vmcnt(0) lgkmcnt(0)
	v_cmp_gt_i16_sdwa s[6:7], v6, s4 src0_sel:BYTE_0 src1_sel:DWORD
	s_mov_b64 s[4:5], 0
	s_and_saveexec_b64 s[8:9], s[6:7]
	s_xor_b64 s[6:7], exec, s[8:9]
	s_cbranch_execnz .LBB1_2049
; %bb.1:
	s_or_saveexec_b64 s[6:7], s[6:7]
	v_mov_b32_e32 v12, s10
	s_xor_b64 exec, exec, s[6:7]
	s_cbranch_execnz .LBB1_2052
.LBB1_2:
	s_or_b64 exec, exec, s[6:7]
	s_and_saveexec_b64 s[6:7], s[4:5]
	s_cbranch_execz .LBB1_4
.LBB1_3:
	v_and_b32_e32 v12, 7, v6
	v_ffbh_u32_e32 v14, v12
	v_min_u32_e32 v14, 32, v14
	v_lshrrev_b16_e32 v13, 3, v6
	v_subrev_u32_e32 v15, 28, v14
	v_and_b32_e32 v13, 15, v13
	v_lshlrev_b32_e32 v15, v15, v6
	v_sub_u32_e32 v14, 29, v14
	v_and_b32_e32 v15, 7, v15
	v_cmp_eq_u16_e32 vcc, 0, v13
	v_cndmask_b32_e32 v12, v12, v15, vcc
	v_cndmask_b32_e32 v13, v13, v14, vcc
	v_lshlrev_b32_e32 v14, 24, v6
	v_mov_b32_e32 v15, 0x3b800000
	v_lshlrev_b32_e32 v12, 20, v12
	v_and_b32_e32 v14, 0x80000000, v14
	v_lshl_add_u32 v13, v13, 23, v15
	v_or3_b32 v12, v14, v13, v12
.LBB1_4:
	s_or_b64 exec, exec, s[6:7]
	s_movk_i32 s4, 0x7f
	v_cmp_gt_i16_sdwa s[6:7], v2, s4 src0_sel:BYTE_0 src1_sel:DWORD
	s_mov_b64 s[4:5], 0
                                        ; implicit-def: $sgpr10
	s_and_saveexec_b64 s[8:9], s[6:7]
	s_xor_b64 s[6:7], exec, s[8:9]
	s_cbranch_execnz .LBB1_2053
; %bb.5:
	s_or_saveexec_b64 s[6:7], s[6:7]
	v_mov_b32_e32 v13, s10
	s_xor_b64 exec, exec, s[6:7]
	s_cbranch_execnz .LBB1_2056
.LBB1_6:
	s_or_b64 exec, exec, s[6:7]
	s_and_saveexec_b64 s[6:7], s[4:5]
	s_cbranch_execz .LBB1_8
.LBB1_7:
	v_and_b32_e32 v13, 7, v2
	v_ffbh_u32_e32 v15, v13
	v_min_u32_e32 v15, 32, v15
	v_lshrrev_b16_e32 v14, 3, v2
	v_subrev_u32_e32 v16, 28, v15
	v_and_b32_e32 v14, 15, v14
	v_lshlrev_b32_e32 v16, v16, v2
	v_sub_u32_e32 v15, 29, v15
	v_and_b32_e32 v16, 7, v16
	v_cmp_eq_u16_e32 vcc, 0, v14
	v_cndmask_b32_e32 v13, v13, v16, vcc
	v_cndmask_b32_e32 v14, v14, v15, vcc
	v_lshlrev_b32_e32 v15, 24, v2
	v_mov_b32_e32 v16, 0x3b800000
	v_lshlrev_b32_e32 v13, 20, v13
	v_and_b32_e32 v15, 0x80000000, v15
	v_lshl_add_u32 v14, v14, 23, v16
	v_or3_b32 v13, v15, v14, v13
.LBB1_8:
	s_or_b64 exec, exec, s[6:7]
	flat_load_dwordx4 a[0:3], v[10:11]
	s_movk_i32 s4, 0x7f
                                        ; implicit-def: $sgpr10
	s_waitcnt vmcnt(0) lgkmcnt(0)
	v_mfma_f32_16x16x4f32 a[0:3], v12, v13, a[0:3]
	v_lshrrev_b32_e32 v13, 8, v6
	v_cmp_gt_i16_sdwa s[6:7], v13, s4 src0_sel:BYTE_0 src1_sel:DWORD
	s_mov_b64 s[4:5], 0
	s_and_saveexec_b64 s[8:9], s[6:7]
	s_xor_b64 s[6:7], exec, s[8:9]
	s_cbranch_execnz .LBB1_2057
; %bb.9:
	s_or_saveexec_b64 s[6:7], s[6:7]
	v_mov_b32_e32 v12, s10
	s_xor_b64 exec, exec, s[6:7]
	s_cbranch_execnz .LBB1_2060
.LBB1_10:
	s_or_b64 exec, exec, s[6:7]
	s_and_saveexec_b64 s[6:7], s[4:5]
	s_cbranch_execz .LBB1_12
.LBB1_11:
	v_bfe_u32 v12, v6, 8, 3
	v_ffbh_u32_e32 v15, v12
	v_min_u32_e32 v15, 32, v15
	v_lshrrev_b16_e32 v14, 3, v13
	v_subrev_u32_e32 v16, 28, v15
	v_and_b32_e32 v14, 15, v14
	v_lshlrev_b32_e32 v13, v16, v13
	v_sub_u32_e32 v15, 29, v15
	v_and_b32_e32 v13, 7, v13
	v_cmp_eq_u16_e32 vcc, 0, v14
	v_cndmask_b32_e32 v12, v12, v13, vcc
	v_cndmask_b32_e32 v13, v14, v15, vcc
	v_lshlrev_b32_e32 v14, 16, v6
	v_mov_b32_e32 v15, 0x3b800000
	v_lshlrev_b32_e32 v12, 20, v12
	v_and_b32_e32 v14, 0x80000000, v14
	v_lshl_add_u32 v13, v13, 23, v15
	v_or3_b32 v12, v14, v13, v12
.LBB1_12:
	s_or_b64 exec, exec, s[6:7]
	v_lshrrev_b32_e32 v13, 8, v2
	s_movk_i32 s4, 0x7f
	v_cmp_gt_i16_sdwa s[6:7], v13, s4 src0_sel:BYTE_0 src1_sel:DWORD
	s_mov_b64 s[4:5], 0
                                        ; implicit-def: $sgpr10
	s_and_saveexec_b64 s[8:9], s[6:7]
	s_xor_b64 s[6:7], exec, s[8:9]
	s_cbranch_execnz .LBB1_2061
; %bb.13:
	s_or_saveexec_b64 s[6:7], s[6:7]
	v_mov_b32_e32 v14, s10
	s_xor_b64 exec, exec, s[6:7]
	s_cbranch_execnz .LBB1_2064
.LBB1_14:
	s_or_b64 exec, exec, s[6:7]
	s_and_saveexec_b64 s[6:7], s[4:5]
	s_cbranch_execz .LBB1_16
.LBB1_15:
	v_bfe_u32 v14, v2, 8, 3
	v_ffbh_u32_e32 v16, v14
	v_min_u32_e32 v16, 32, v16
	v_lshrrev_b16_e32 v15, 3, v13
	v_subrev_u32_e32 v17, 28, v16
	v_and_b32_e32 v15, 15, v15
	v_lshlrev_b32_e32 v13, v17, v13
	v_sub_u32_e32 v16, 29, v16
	v_and_b32_e32 v13, 7, v13
	v_cmp_eq_u16_e32 vcc, 0, v15
	v_cndmask_b32_e32 v13, v14, v13, vcc
	v_cndmask_b32_e32 v14, v15, v16, vcc
	v_lshlrev_b32_e32 v15, 16, v2
	v_mov_b32_e32 v16, 0x3b800000
	v_lshlrev_b32_e32 v13, 20, v13
	v_and_b32_e32 v15, 0x80000000, v15
	v_lshl_add_u32 v14, v14, 23, v16
	v_or3_b32 v14, v15, v14, v13
.LBB1_16:
	s_or_b64 exec, exec, s[6:7]
	s_nop 0
	v_mfma_f32_16x16x4f32 a[0:3], v12, v14, a[0:3]
	s_movk_i32 s4, 0xff
	v_and_b32_sdwa v13, v6, s4 dst_sel:DWORD dst_unused:UNUSED_PAD src0_sel:WORD_1 src1_sel:DWORD
	s_movk_i32 s4, 0x7f
	v_cmp_lt_i16_e32 vcc, s4, v13
	s_mov_b64 s[4:5], 0
                                        ; implicit-def: $sgpr10
	s_and_saveexec_b64 s[6:7], vcc
	s_xor_b64 s[6:7], exec, s[6:7]
	s_cbranch_execnz .LBB1_2065
; %bb.17:
	s_or_saveexec_b64 s[6:7], s[6:7]
	v_mov_b32_e32 v12, s10
	s_xor_b64 exec, exec, s[6:7]
	s_cbranch_execnz .LBB1_2068
.LBB1_18:
	s_or_b64 exec, exec, s[6:7]
	s_and_saveexec_b64 s[6:7], s[4:5]
	s_cbranch_execz .LBB1_20
.LBB1_19:
	v_bfe_u32 v12, v6, 16, 3
	v_ffbh_u32_e32 v15, v12
	v_min_u32_e32 v15, 32, v15
	v_lshrrev_b32_e32 v13, 19, v6
	v_subrev_u32_e32 v16, 28, v15
	v_and_b32_e32 v13, 15, v13
	v_lshlrev_b32_sdwa v16, v16, v6 dst_sel:DWORD dst_unused:UNUSED_PAD src0_sel:DWORD src1_sel:WORD_1
	v_bfe_u32 v14, v6, 19, 4
	v_sub_u32_e32 v15, 29, v15
	v_and_b32_e32 v16, 7, v16
	v_cmp_eq_u16_e32 vcc, 0, v13
	v_cndmask_b32_e32 v12, v12, v16, vcc
	v_cndmask_b32_e32 v13, v14, v15, vcc
	v_lshlrev_b32_e32 v14, 8, v6
	v_mov_b32_e32 v15, 0x3b800000
	v_lshlrev_b32_e32 v12, 20, v12
	v_and_b32_e32 v14, 0x80000000, v14
	v_lshl_add_u32 v13, v13, 23, v15
	v_or3_b32 v12, v14, v13, v12
.LBB1_20:
	s_or_b64 exec, exec, s[6:7]
	s_movk_i32 s4, 0xff
	v_and_b32_sdwa v13, v2, s4 dst_sel:DWORD dst_unused:UNUSED_PAD src0_sel:WORD_1 src1_sel:DWORD
	s_movk_i32 s4, 0x7f
	v_cmp_lt_i16_e32 vcc, s4, v13
	s_mov_b64 s[4:5], 0
                                        ; implicit-def: $sgpr10
	s_and_saveexec_b64 s[6:7], vcc
	s_xor_b64 s[6:7], exec, s[6:7]
	s_cbranch_execnz .LBB1_2069
; %bb.21:
	s_or_saveexec_b64 s[6:7], s[6:7]
	v_mov_b32_e32 v14, s10
	s_xor_b64 exec, exec, s[6:7]
	s_cbranch_execnz .LBB1_2072
.LBB1_22:
	s_or_b64 exec, exec, s[6:7]
	s_and_saveexec_b64 s[6:7], s[4:5]
	s_cbranch_execz .LBB1_24
.LBB1_23:
	v_bfe_u32 v13, v2, 16, 3
	v_ffbh_u32_e32 v16, v13
	v_min_u32_e32 v16, 32, v16
	v_lshrrev_b32_e32 v14, 19, v2
	v_subrev_u32_e32 v17, 28, v16
	v_and_b32_e32 v14, 15, v14
	v_lshlrev_b32_sdwa v17, v17, v2 dst_sel:DWORD dst_unused:UNUSED_PAD src0_sel:DWORD src1_sel:WORD_1
	v_bfe_u32 v15, v2, 19, 4
	v_sub_u32_e32 v16, 29, v16
	v_and_b32_e32 v17, 7, v17
	v_cmp_eq_u16_e32 vcc, 0, v14
	v_cndmask_b32_e32 v13, v13, v17, vcc
	v_cndmask_b32_e32 v14, v15, v16, vcc
	v_lshlrev_b32_e32 v15, 8, v2
	v_mov_b32_e32 v16, 0x3b800000
	v_lshlrev_b32_e32 v13, 20, v13
	v_and_b32_e32 v15, 0x80000000, v15
	v_lshl_add_u32 v14, v14, 23, v16
	v_or3_b32 v14, v15, v14, v13
.LBB1_24:
	s_or_b64 exec, exec, s[6:7]
	s_nop 0
	v_mfma_f32_16x16x4f32 a[0:3], v12, v14, a[0:3]
	s_movk_i32 s4, 0x7f
	v_cmp_gt_i16_sdwa s[6:7], v6, s4 src0_sel:BYTE_3 src1_sel:DWORD
	s_mov_b64 s[4:5], 0
                                        ; implicit-def: $sgpr10
	s_and_saveexec_b64 s[8:9], s[6:7]
	s_xor_b64 s[6:7], exec, s[8:9]
	s_cbranch_execnz .LBB1_2073
; %bb.25:
	s_or_saveexec_b64 s[6:7], s[6:7]
	v_mov_b32_e32 v12, s10
	s_xor_b64 exec, exec, s[6:7]
	s_cbranch_execnz .LBB1_2076
.LBB1_26:
	s_or_b64 exec, exec, s[6:7]
	s_and_saveexec_b64 s[6:7], s[4:5]
	s_cbranch_execz .LBB1_28
.LBB1_27:
	v_bfe_u32 v12, v6, 24, 3
	v_ffbh_u32_e32 v16, v12
	v_min_u32_e32 v16, 32, v16
	v_lshrrev_b32_e32 v14, 27, v6
	v_subrev_u32_e32 v17, 28, v16
	v_and_b32_e32 v13, 0x80000000, v6
	v_and_b32_e32 v14, 15, v14
	v_bfe_u32 v15, v6, 27, 4
	v_lshlrev_b32_sdwa v6, v17, v6 dst_sel:DWORD dst_unused:UNUSED_PAD src0_sel:DWORD src1_sel:BYTE_3
	v_sub_u32_e32 v16, 29, v16
	v_and_b32_e32 v6, 7, v6
	v_cmp_eq_u16_e32 vcc, 0, v14
	v_cndmask_b32_e32 v6, v12, v6, vcc
	v_cndmask_b32_e32 v12, v15, v16, vcc
	v_mov_b32_e32 v14, 0x3b800000
	v_lshlrev_b32_e32 v6, 20, v6
	v_lshl_add_u32 v12, v12, 23, v14
	v_or3_b32 v12, v13, v12, v6
.LBB1_28:
	s_or_b64 exec, exec, s[6:7]
	s_movk_i32 s4, 0x7f
	v_cmp_gt_i16_sdwa s[6:7], v2, s4 src0_sel:BYTE_3 src1_sel:DWORD
	s_mov_b64 s[4:5], 0
                                        ; implicit-def: $sgpr10
	s_and_saveexec_b64 s[8:9], s[6:7]
	s_xor_b64 s[6:7], exec, s[8:9]
	s_cbranch_execnz .LBB1_2077
; %bb.29:
	s_or_saveexec_b64 s[6:7], s[6:7]
	v_mov_b32_e32 v6, s10
	s_xor_b64 exec, exec, s[6:7]
	s_cbranch_execnz .LBB1_2080
.LBB1_30:
	s_or_b64 exec, exec, s[6:7]
	s_and_saveexec_b64 s[6:7], s[4:5]
	s_cbranch_execz .LBB1_32
.LBB1_31:
	v_bfe_u32 v6, v2, 24, 3
	v_ffbh_u32_e32 v16, v6
	v_min_u32_e32 v16, 32, v16
	v_lshrrev_b32_e32 v14, 27, v2
	v_subrev_u32_e32 v17, 28, v16
	v_and_b32_e32 v13, 0x80000000, v2
	v_and_b32_e32 v14, 15, v14
	v_bfe_u32 v15, v2, 27, 4
	v_lshlrev_b32_sdwa v2, v17, v2 dst_sel:DWORD dst_unused:UNUSED_PAD src0_sel:DWORD src1_sel:BYTE_3
	v_sub_u32_e32 v16, 29, v16
	v_and_b32_e32 v2, 7, v2
	v_cmp_eq_u16_e32 vcc, 0, v14
	v_cndmask_b32_e32 v2, v6, v2, vcc
	v_cndmask_b32_e32 v6, v15, v16, vcc
	v_mov_b32_e32 v14, 0x3b800000
	v_lshlrev_b32_e32 v2, 20, v2
	v_lshl_add_u32 v6, v6, 23, v14
	v_or3_b32 v6, v13, v6, v2
.LBB1_32:
	s_or_b64 exec, exec, s[6:7]
	s_nop 0
	v_mfma_f32_16x16x4f32 a[0:3], v12, v6, a[0:3]
	s_movk_i32 s4, 0x7f
	v_cmp_gt_i16_sdwa s[6:7], v7, s4 src0_sel:BYTE_0 src1_sel:DWORD
	s_mov_b64 s[4:5], 0
                                        ; implicit-def: $sgpr10
	s_and_saveexec_b64 s[8:9], s[6:7]
	s_xor_b64 s[6:7], exec, s[8:9]
	s_cbranch_execnz .LBB1_2081
; %bb.33:
	s_or_saveexec_b64 s[6:7], s[6:7]
	v_mov_b32_e32 v2, s10
	s_xor_b64 exec, exec, s[6:7]
	s_cbranch_execnz .LBB1_2084
.LBB1_34:
	s_or_b64 exec, exec, s[6:7]
	s_and_saveexec_b64 s[6:7], s[4:5]
	s_cbranch_execz .LBB1_36
.LBB1_35:
	v_and_b32_e32 v2, 7, v7
	v_ffbh_u32_e32 v12, v2
	v_min_u32_e32 v12, 32, v12
	v_lshrrev_b16_e32 v6, 3, v7
	v_subrev_u32_e32 v13, 28, v12
	v_and_b32_e32 v6, 15, v6
	v_lshlrev_b32_e32 v13, v13, v7
	v_sub_u32_e32 v12, 29, v12
	v_and_b32_e32 v13, 7, v13
	v_cmp_eq_u16_e32 vcc, 0, v6
	v_cndmask_b32_e32 v2, v2, v13, vcc
	v_cndmask_b32_e32 v6, v6, v12, vcc
	v_lshlrev_b32_e32 v12, 24, v7
	v_mov_b32_e32 v13, 0x3b800000
	v_lshlrev_b32_e32 v2, 20, v2
	v_and_b32_e32 v12, 0x80000000, v12
	v_lshl_add_u32 v6, v6, 23, v13
	v_or3_b32 v2, v12, v6, v2
.LBB1_36:
	s_or_b64 exec, exec, s[6:7]
	s_movk_i32 s4, 0x7f
	v_cmp_gt_i16_sdwa s[6:7], v3, s4 src0_sel:BYTE_0 src1_sel:DWORD
	s_mov_b64 s[4:5], 0
                                        ; implicit-def: $sgpr10
	s_and_saveexec_b64 s[8:9], s[6:7]
	s_xor_b64 s[6:7], exec, s[8:9]
	s_cbranch_execnz .LBB1_2085
; %bb.37:
	s_or_saveexec_b64 s[6:7], s[6:7]
	v_mov_b32_e32 v6, s10
	s_xor_b64 exec, exec, s[6:7]
	s_cbranch_execnz .LBB1_2088
.LBB1_38:
	s_or_b64 exec, exec, s[6:7]
	s_and_saveexec_b64 s[6:7], s[4:5]
	s_cbranch_execz .LBB1_40
.LBB1_39:
	v_and_b32_e32 v6, 7, v3
	v_ffbh_u32_e32 v13, v6
	v_min_u32_e32 v13, 32, v13
	v_lshrrev_b16_e32 v12, 3, v3
	v_subrev_u32_e32 v14, 28, v13
	v_and_b32_e32 v12, 15, v12
	v_lshlrev_b32_e32 v14, v14, v3
	v_sub_u32_e32 v13, 29, v13
	v_and_b32_e32 v14, 7, v14
	v_cmp_eq_u16_e32 vcc, 0, v12
	v_cndmask_b32_e32 v6, v6, v14, vcc
	v_cndmask_b32_e32 v12, v12, v13, vcc
	v_lshlrev_b32_e32 v13, 24, v3
	v_mov_b32_e32 v14, 0x3b800000
	v_lshlrev_b32_e32 v6, 20, v6
	v_and_b32_e32 v13, 0x80000000, v13
	v_lshl_add_u32 v12, v12, 23, v14
	v_or3_b32 v6, v13, v12, v6
.LBB1_40:
	s_or_b64 exec, exec, s[6:7]
	s_nop 0
	v_mfma_f32_16x16x4f32 a[0:3], v2, v6, a[0:3]
	v_lshrrev_b32_e32 v6, 8, v7
	s_movk_i32 s4, 0x7f
	v_cmp_gt_i16_sdwa s[6:7], v6, s4 src0_sel:BYTE_0 src1_sel:DWORD
	s_mov_b64 s[4:5], 0
                                        ; implicit-def: $sgpr10
	s_and_saveexec_b64 s[8:9], s[6:7]
	s_xor_b64 s[6:7], exec, s[8:9]
	s_cbranch_execnz .LBB1_2089
; %bb.41:
	s_or_saveexec_b64 s[6:7], s[6:7]
	v_mov_b32_e32 v2, s10
	s_xor_b64 exec, exec, s[6:7]
	s_cbranch_execnz .LBB1_2092
.LBB1_42:
	s_or_b64 exec, exec, s[6:7]
	s_and_saveexec_b64 s[6:7], s[4:5]
	s_cbranch_execz .LBB1_44
.LBB1_43:
	v_bfe_u32 v2, v7, 8, 3
	v_ffbh_u32_e32 v13, v2
	v_min_u32_e32 v13, 32, v13
	v_lshrrev_b16_e32 v12, 3, v6
	v_subrev_u32_e32 v14, 28, v13
	v_and_b32_e32 v12, 15, v12
	v_lshlrev_b32_e32 v6, v14, v6
	v_sub_u32_e32 v13, 29, v13
	v_and_b32_e32 v6, 7, v6
	v_cmp_eq_u16_e32 vcc, 0, v12
	v_cndmask_b32_e32 v2, v2, v6, vcc
	v_cndmask_b32_e32 v6, v12, v13, vcc
	v_lshlrev_b32_e32 v12, 16, v7
	v_mov_b32_e32 v13, 0x3b800000
	v_lshlrev_b32_e32 v2, 20, v2
	v_and_b32_e32 v12, 0x80000000, v12
	v_lshl_add_u32 v6, v6, 23, v13
	v_or3_b32 v2, v12, v6, v2
.LBB1_44:
	s_or_b64 exec, exec, s[6:7]
	v_lshrrev_b32_e32 v6, 8, v3
	s_movk_i32 s4, 0x7f
	v_cmp_gt_i16_sdwa s[6:7], v6, s4 src0_sel:BYTE_0 src1_sel:DWORD
	s_mov_b64 s[4:5], 0
                                        ; implicit-def: $sgpr10
	s_and_saveexec_b64 s[8:9], s[6:7]
	s_xor_b64 s[6:7], exec, s[8:9]
	s_cbranch_execnz .LBB1_2093
; %bb.45:
	s_or_saveexec_b64 s[6:7], s[6:7]
	v_mov_b32_e32 v12, s10
	s_xor_b64 exec, exec, s[6:7]
	s_cbranch_execnz .LBB1_2096
.LBB1_46:
	s_or_b64 exec, exec, s[6:7]
	s_and_saveexec_b64 s[6:7], s[4:5]
	s_cbranch_execz .LBB1_48
.LBB1_47:
	v_bfe_u32 v12, v3, 8, 3
	v_ffbh_u32_e32 v14, v12
	v_min_u32_e32 v14, 32, v14
	v_lshrrev_b16_e32 v13, 3, v6
	v_subrev_u32_e32 v15, 28, v14
	v_and_b32_e32 v13, 15, v13
	v_lshlrev_b32_e32 v6, v15, v6
	v_sub_u32_e32 v14, 29, v14
	v_and_b32_e32 v6, 7, v6
	v_cmp_eq_u16_e32 vcc, 0, v13
	v_cndmask_b32_e32 v6, v12, v6, vcc
	v_cndmask_b32_e32 v12, v13, v14, vcc
	v_lshlrev_b32_e32 v13, 16, v3
	v_mov_b32_e32 v14, 0x3b800000
	v_lshlrev_b32_e32 v6, 20, v6
	v_and_b32_e32 v13, 0x80000000, v13
	v_lshl_add_u32 v12, v12, 23, v14
	v_or3_b32 v12, v13, v12, v6
.LBB1_48:
	s_or_b64 exec, exec, s[6:7]
	s_nop 0
	v_mfma_f32_16x16x4f32 a[0:3], v2, v12, a[0:3]
	s_movk_i32 s4, 0xff
	v_and_b32_sdwa v6, v7, s4 dst_sel:DWORD dst_unused:UNUSED_PAD src0_sel:WORD_1 src1_sel:DWORD
	s_movk_i32 s4, 0x7f
	v_cmp_lt_i16_e32 vcc, s4, v6
	s_mov_b64 s[4:5], 0
                                        ; implicit-def: $sgpr10
	s_and_saveexec_b64 s[6:7], vcc
	s_xor_b64 s[6:7], exec, s[6:7]
	s_cbranch_execnz .LBB1_2097
; %bb.49:
	s_or_saveexec_b64 s[6:7], s[6:7]
	v_mov_b32_e32 v2, s10
	s_xor_b64 exec, exec, s[6:7]
	s_cbranch_execnz .LBB1_2100
.LBB1_50:
	s_or_b64 exec, exec, s[6:7]
	s_and_saveexec_b64 s[6:7], s[4:5]
	s_cbranch_execz .LBB1_52
.LBB1_51:
	v_bfe_u32 v2, v7, 16, 3
	v_ffbh_u32_e32 v13, v2
	v_min_u32_e32 v13, 32, v13
	v_lshrrev_b32_e32 v6, 19, v7
	v_subrev_u32_e32 v14, 28, v13
	v_and_b32_e32 v6, 15, v6
	v_lshlrev_b32_sdwa v14, v14, v7 dst_sel:DWORD dst_unused:UNUSED_PAD src0_sel:DWORD src1_sel:WORD_1
	v_bfe_u32 v12, v7, 19, 4
	v_sub_u32_e32 v13, 29, v13
	v_and_b32_e32 v14, 7, v14
	v_cmp_eq_u16_e32 vcc, 0, v6
	v_cndmask_b32_e32 v2, v2, v14, vcc
	v_cndmask_b32_e32 v6, v12, v13, vcc
	v_lshlrev_b32_e32 v12, 8, v7
	v_mov_b32_e32 v13, 0x3b800000
	v_lshlrev_b32_e32 v2, 20, v2
	v_and_b32_e32 v12, 0x80000000, v12
	v_lshl_add_u32 v6, v6, 23, v13
	v_or3_b32 v2, v12, v6, v2
.LBB1_52:
	s_or_b64 exec, exec, s[6:7]
	s_movk_i32 s4, 0xff
	v_and_b32_sdwa v6, v3, s4 dst_sel:DWORD dst_unused:UNUSED_PAD src0_sel:WORD_1 src1_sel:DWORD
	s_movk_i32 s4, 0x7f
	v_cmp_lt_i16_e32 vcc, s4, v6
	s_mov_b64 s[4:5], 0
                                        ; implicit-def: $sgpr10
	s_and_saveexec_b64 s[6:7], vcc
	s_xor_b64 s[6:7], exec, s[6:7]
	s_cbranch_execnz .LBB1_2101
; %bb.53:
	s_or_saveexec_b64 s[6:7], s[6:7]
	v_mov_b32_e32 v12, s10
	s_xor_b64 exec, exec, s[6:7]
	s_cbranch_execnz .LBB1_2104
.LBB1_54:
	s_or_b64 exec, exec, s[6:7]
	s_and_saveexec_b64 s[6:7], s[4:5]
	s_cbranch_execz .LBB1_56
.LBB1_55:
	v_bfe_u32 v6, v3, 16, 3
	v_ffbh_u32_e32 v14, v6
	v_min_u32_e32 v14, 32, v14
	v_lshrrev_b32_e32 v12, 19, v3
	v_subrev_u32_e32 v15, 28, v14
	v_and_b32_e32 v12, 15, v12
	v_lshlrev_b32_sdwa v15, v15, v3 dst_sel:DWORD dst_unused:UNUSED_PAD src0_sel:DWORD src1_sel:WORD_1
	v_bfe_u32 v13, v3, 19, 4
	v_sub_u32_e32 v14, 29, v14
	v_and_b32_e32 v15, 7, v15
	v_cmp_eq_u16_e32 vcc, 0, v12
	v_cndmask_b32_e32 v6, v6, v15, vcc
	v_cndmask_b32_e32 v12, v13, v14, vcc
	v_lshlrev_b32_e32 v13, 8, v3
	v_mov_b32_e32 v14, 0x3b800000
	v_lshlrev_b32_e32 v6, 20, v6
	v_and_b32_e32 v13, 0x80000000, v13
	v_lshl_add_u32 v12, v12, 23, v14
	v_or3_b32 v12, v13, v12, v6
.LBB1_56:
	s_or_b64 exec, exec, s[6:7]
	s_nop 0
	v_mfma_f32_16x16x4f32 a[0:3], v2, v12, a[0:3]
	s_movk_i32 s4, 0x7f
	v_cmp_gt_i16_sdwa s[6:7], v7, s4 src0_sel:BYTE_3 src1_sel:DWORD
	s_mov_b64 s[4:5], 0
                                        ; implicit-def: $sgpr10
	s_and_saveexec_b64 s[8:9], s[6:7]
	s_xor_b64 s[6:7], exec, s[8:9]
	s_cbranch_execnz .LBB1_2105
; %bb.57:
	s_or_saveexec_b64 s[6:7], s[6:7]
	v_mov_b32_e32 v2, s10
	s_xor_b64 exec, exec, s[6:7]
	s_cbranch_execnz .LBB1_2108
.LBB1_58:
	s_or_b64 exec, exec, s[6:7]
	s_and_saveexec_b64 s[6:7], s[4:5]
	s_cbranch_execz .LBB1_60
.LBB1_59:
	v_bfe_u32 v2, v7, 24, 3
	v_ffbh_u32_e32 v14, v2
	v_min_u32_e32 v14, 32, v14
	v_lshrrev_b32_e32 v12, 27, v7
	v_subrev_u32_e32 v15, 28, v14
	v_and_b32_e32 v6, 0x80000000, v7
	v_and_b32_e32 v12, 15, v12
	v_bfe_u32 v13, v7, 27, 4
	v_lshlrev_b32_sdwa v7, v15, v7 dst_sel:DWORD dst_unused:UNUSED_PAD src0_sel:DWORD src1_sel:BYTE_3
	v_sub_u32_e32 v14, 29, v14
	v_and_b32_e32 v7, 7, v7
	v_cmp_eq_u16_e32 vcc, 0, v12
	v_cndmask_b32_e32 v2, v2, v7, vcc
	v_cndmask_b32_e32 v7, v13, v14, vcc
	v_mov_b32_e32 v12, 0x3b800000
	v_lshlrev_b32_e32 v2, 20, v2
	v_lshl_add_u32 v7, v7, 23, v12
	v_or3_b32 v2, v6, v7, v2
.LBB1_60:
	s_or_b64 exec, exec, s[6:7]
	s_movk_i32 s4, 0x7f
	v_cmp_gt_i16_sdwa s[6:7], v3, s4 src0_sel:BYTE_3 src1_sel:DWORD
	s_mov_b64 s[4:5], 0
                                        ; implicit-def: $sgpr10
	s_and_saveexec_b64 s[8:9], s[6:7]
	s_xor_b64 s[6:7], exec, s[8:9]
	s_cbranch_execnz .LBB1_2109
; %bb.61:
	s_or_saveexec_b64 s[6:7], s[6:7]
	v_mov_b32_e32 v6, s10
	s_xor_b64 exec, exec, s[6:7]
	s_cbranch_execnz .LBB1_2112
.LBB1_62:
	s_or_b64 exec, exec, s[6:7]
	s_and_saveexec_b64 s[6:7], s[4:5]
	s_cbranch_execz .LBB1_64
.LBB1_63:
	v_bfe_u32 v6, v3, 24, 3
	v_ffbh_u32_e32 v14, v6
	v_min_u32_e32 v14, 32, v14
	v_lshrrev_b32_e32 v12, 27, v3
	v_subrev_u32_e32 v15, 28, v14
	v_and_b32_e32 v7, 0x80000000, v3
	v_and_b32_e32 v12, 15, v12
	v_bfe_u32 v13, v3, 27, 4
	v_lshlrev_b32_sdwa v3, v15, v3 dst_sel:DWORD dst_unused:UNUSED_PAD src0_sel:DWORD src1_sel:BYTE_3
	v_sub_u32_e32 v14, 29, v14
	v_and_b32_e32 v3, 7, v3
	v_cmp_eq_u16_e32 vcc, 0, v12
	v_cndmask_b32_e32 v3, v6, v3, vcc
	v_cndmask_b32_e32 v6, v13, v14, vcc
	v_mov_b32_e32 v12, 0x3b800000
	v_lshlrev_b32_e32 v3, 20, v3
	v_lshl_add_u32 v6, v6, 23, v12
	v_or3_b32 v6, v7, v6, v3
.LBB1_64:
	s_or_b64 exec, exec, s[6:7]
	s_nop 0
	v_mfma_f32_16x16x4f32 a[0:3], v2, v6, a[0:3]
	s_movk_i32 s4, 0x7f
	v_cmp_gt_i16_sdwa s[6:7], v8, s4 src0_sel:BYTE_0 src1_sel:DWORD
	s_mov_b64 s[4:5], 0
                                        ; implicit-def: $sgpr10
	s_and_saveexec_b64 s[8:9], s[6:7]
	s_xor_b64 s[6:7], exec, s[8:9]
	s_cbranch_execnz .LBB1_2113
; %bb.65:
	s_or_saveexec_b64 s[6:7], s[6:7]
	v_mov_b32_e32 v2, s10
	s_xor_b64 exec, exec, s[6:7]
	s_cbranch_execnz .LBB1_2116
.LBB1_66:
	s_or_b64 exec, exec, s[6:7]
	s_and_saveexec_b64 s[6:7], s[4:5]
	s_cbranch_execz .LBB1_68
.LBB1_67:
	v_and_b32_e32 v2, 7, v8
	v_ffbh_u32_e32 v6, v2
	v_min_u32_e32 v6, 32, v6
	v_lshrrev_b16_e32 v3, 3, v8
	v_subrev_u32_e32 v7, 28, v6
	v_and_b32_e32 v3, 15, v3
	v_lshlrev_b32_e32 v7, v7, v8
	v_sub_u32_e32 v6, 29, v6
	v_and_b32_e32 v7, 7, v7
	v_cmp_eq_u16_e32 vcc, 0, v3
	v_cndmask_b32_e32 v2, v2, v7, vcc
	v_cndmask_b32_e32 v3, v3, v6, vcc
	v_lshlrev_b32_e32 v6, 24, v8
	v_mov_b32_e32 v7, 0x3b800000
	v_lshlrev_b32_e32 v2, 20, v2
	v_and_b32_e32 v6, 0x80000000, v6
	v_lshl_add_u32 v3, v3, 23, v7
	v_or3_b32 v2, v6, v3, v2
.LBB1_68:
	s_or_b64 exec, exec, s[6:7]
	s_movk_i32 s4, 0x7f
	v_cmp_gt_i16_sdwa s[6:7], v4, s4 src0_sel:BYTE_0 src1_sel:DWORD
	s_mov_b64 s[4:5], 0
                                        ; implicit-def: $sgpr10
	s_and_saveexec_b64 s[8:9], s[6:7]
	s_xor_b64 s[6:7], exec, s[8:9]
	s_cbranch_execnz .LBB1_2117
; %bb.69:
	s_or_saveexec_b64 s[6:7], s[6:7]
	v_mov_b32_e32 v3, s10
	s_xor_b64 exec, exec, s[6:7]
	s_cbranch_execnz .LBB1_2120
.LBB1_70:
	s_or_b64 exec, exec, s[6:7]
	s_and_saveexec_b64 s[6:7], s[4:5]
	s_cbranch_execz .LBB1_72
.LBB1_71:
	v_and_b32_e32 v3, 7, v4
	v_ffbh_u32_e32 v7, v3
	v_min_u32_e32 v7, 32, v7
	v_lshrrev_b16_e32 v6, 3, v4
	v_subrev_u32_e32 v12, 28, v7
	v_and_b32_e32 v6, 15, v6
	v_lshlrev_b32_e32 v12, v12, v4
	v_sub_u32_e32 v7, 29, v7
	v_and_b32_e32 v12, 7, v12
	v_cmp_eq_u16_e32 vcc, 0, v6
	v_cndmask_b32_e32 v3, v3, v12, vcc
	v_cndmask_b32_e32 v6, v6, v7, vcc
	v_lshlrev_b32_e32 v7, 24, v4
	v_mov_b32_e32 v12, 0x3b800000
	v_lshlrev_b32_e32 v3, 20, v3
	v_and_b32_e32 v7, 0x80000000, v7
	v_lshl_add_u32 v6, v6, 23, v12
	v_or3_b32 v3, v7, v6, v3
.LBB1_72:
	s_or_b64 exec, exec, s[6:7]
	s_nop 0
	v_mfma_f32_16x16x4f32 a[0:3], v2, v3, a[0:3]
	v_lshrrev_b32_e32 v3, 8, v8
	s_movk_i32 s4, 0x7f
	v_cmp_gt_i16_sdwa s[6:7], v3, s4 src0_sel:BYTE_0 src1_sel:DWORD
	s_mov_b64 s[4:5], 0
                                        ; implicit-def: $sgpr10
	s_and_saveexec_b64 s[8:9], s[6:7]
	s_xor_b64 s[6:7], exec, s[8:9]
	s_cbranch_execnz .LBB1_2121
; %bb.73:
	s_or_saveexec_b64 s[6:7], s[6:7]
	v_mov_b32_e32 v2, s10
	s_xor_b64 exec, exec, s[6:7]
	s_cbranch_execnz .LBB1_2124
.LBB1_74:
	s_or_b64 exec, exec, s[6:7]
	s_and_saveexec_b64 s[6:7], s[4:5]
	s_cbranch_execz .LBB1_76
.LBB1_75:
	v_bfe_u32 v2, v8, 8, 3
	v_ffbh_u32_e32 v7, v2
	v_min_u32_e32 v7, 32, v7
	v_lshrrev_b16_e32 v6, 3, v3
	v_subrev_u32_e32 v12, 28, v7
	v_and_b32_e32 v6, 15, v6
	v_lshlrev_b32_e32 v3, v12, v3
	v_sub_u32_e32 v7, 29, v7
	v_and_b32_e32 v3, 7, v3
	v_cmp_eq_u16_e32 vcc, 0, v6
	v_cndmask_b32_e32 v2, v2, v3, vcc
	v_cndmask_b32_e32 v3, v6, v7, vcc
	v_lshlrev_b32_e32 v6, 16, v8
	v_mov_b32_e32 v7, 0x3b800000
	v_lshlrev_b32_e32 v2, 20, v2
	v_and_b32_e32 v6, 0x80000000, v6
	v_lshl_add_u32 v3, v3, 23, v7
	v_or3_b32 v2, v6, v3, v2
.LBB1_76:
	s_or_b64 exec, exec, s[6:7]
	v_lshrrev_b32_e32 v3, 8, v4
	s_movk_i32 s4, 0x7f
	v_cmp_gt_i16_sdwa s[6:7], v3, s4 src0_sel:BYTE_0 src1_sel:DWORD
	s_mov_b64 s[4:5], 0
                                        ; implicit-def: $sgpr10
	s_and_saveexec_b64 s[8:9], s[6:7]
	s_xor_b64 s[6:7], exec, s[8:9]
	s_cbranch_execnz .LBB1_2125
; %bb.77:
	s_or_saveexec_b64 s[6:7], s[6:7]
	v_mov_b32_e32 v6, s10
	s_xor_b64 exec, exec, s[6:7]
	s_cbranch_execnz .LBB1_2128
.LBB1_78:
	s_or_b64 exec, exec, s[6:7]
	s_and_saveexec_b64 s[6:7], s[4:5]
	s_cbranch_execz .LBB1_80
.LBB1_79:
	v_bfe_u32 v6, v4, 8, 3
	v_ffbh_u32_e32 v12, v6
	v_min_u32_e32 v12, 32, v12
	v_lshrrev_b16_e32 v7, 3, v3
	v_subrev_u32_e32 v13, 28, v12
	v_and_b32_e32 v7, 15, v7
	v_lshlrev_b32_e32 v3, v13, v3
	v_sub_u32_e32 v12, 29, v12
	v_and_b32_e32 v3, 7, v3
	v_cmp_eq_u16_e32 vcc, 0, v7
	v_cndmask_b32_e32 v3, v6, v3, vcc
	v_cndmask_b32_e32 v6, v7, v12, vcc
	v_lshlrev_b32_e32 v7, 16, v4
	v_mov_b32_e32 v12, 0x3b800000
	v_lshlrev_b32_e32 v3, 20, v3
	v_and_b32_e32 v7, 0x80000000, v7
	v_lshl_add_u32 v6, v6, 23, v12
	v_or3_b32 v6, v7, v6, v3
.LBB1_80:
	s_or_b64 exec, exec, s[6:7]
	s_nop 0
	v_mfma_f32_16x16x4f32 a[0:3], v2, v6, a[0:3]
	s_movk_i32 s4, 0xff
	v_and_b32_sdwa v3, v8, s4 dst_sel:DWORD dst_unused:UNUSED_PAD src0_sel:WORD_1 src1_sel:DWORD
	s_movk_i32 s4, 0x7f
	v_cmp_lt_i16_e32 vcc, s4, v3
	s_mov_b64 s[4:5], 0
                                        ; implicit-def: $sgpr10
	s_and_saveexec_b64 s[6:7], vcc
	s_xor_b64 s[6:7], exec, s[6:7]
	s_cbranch_execnz .LBB1_2129
; %bb.81:
	s_or_saveexec_b64 s[6:7], s[6:7]
	v_mov_b32_e32 v2, s10
	s_xor_b64 exec, exec, s[6:7]
	s_cbranch_execnz .LBB1_2132
.LBB1_82:
	s_or_b64 exec, exec, s[6:7]
	s_and_saveexec_b64 s[6:7], s[4:5]
	s_cbranch_execz .LBB1_84
.LBB1_83:
	v_bfe_u32 v2, v8, 16, 3
	v_ffbh_u32_e32 v7, v2
	v_min_u32_e32 v7, 32, v7
	v_lshrrev_b32_e32 v3, 19, v8
	v_subrev_u32_e32 v12, 28, v7
	v_and_b32_e32 v3, 15, v3
	v_lshlrev_b32_sdwa v12, v12, v8 dst_sel:DWORD dst_unused:UNUSED_PAD src0_sel:DWORD src1_sel:WORD_1
	v_bfe_u32 v6, v8, 19, 4
	v_sub_u32_e32 v7, 29, v7
	v_and_b32_e32 v12, 7, v12
	v_cmp_eq_u16_e32 vcc, 0, v3
	v_cndmask_b32_e32 v2, v2, v12, vcc
	v_cndmask_b32_e32 v3, v6, v7, vcc
	v_lshlrev_b32_e32 v6, 8, v8
	v_mov_b32_e32 v7, 0x3b800000
	v_lshlrev_b32_e32 v2, 20, v2
	v_and_b32_e32 v6, 0x80000000, v6
	v_lshl_add_u32 v3, v3, 23, v7
	v_or3_b32 v2, v6, v3, v2
.LBB1_84:
	s_or_b64 exec, exec, s[6:7]
	s_movk_i32 s4, 0xff
	v_and_b32_sdwa v3, v4, s4 dst_sel:DWORD dst_unused:UNUSED_PAD src0_sel:WORD_1 src1_sel:DWORD
	s_movk_i32 s4, 0x7f
	v_cmp_lt_i16_e32 vcc, s4, v3
	s_mov_b64 s[4:5], 0
                                        ; implicit-def: $sgpr10
	s_and_saveexec_b64 s[6:7], vcc
	s_xor_b64 s[6:7], exec, s[6:7]
	s_cbranch_execnz .LBB1_2133
; %bb.85:
	s_or_saveexec_b64 s[6:7], s[6:7]
	v_mov_b32_e32 v6, s10
	s_xor_b64 exec, exec, s[6:7]
	s_cbranch_execnz .LBB1_2136
.LBB1_86:
	s_or_b64 exec, exec, s[6:7]
	s_and_saveexec_b64 s[6:7], s[4:5]
	s_cbranch_execz .LBB1_88
.LBB1_87:
	v_bfe_u32 v3, v4, 16, 3
	v_ffbh_u32_e32 v12, v3
	v_min_u32_e32 v12, 32, v12
	v_lshrrev_b32_e32 v6, 19, v4
	v_subrev_u32_e32 v13, 28, v12
	v_and_b32_e32 v6, 15, v6
	v_lshlrev_b32_sdwa v13, v13, v4 dst_sel:DWORD dst_unused:UNUSED_PAD src0_sel:DWORD src1_sel:WORD_1
	v_bfe_u32 v7, v4, 19, 4
	v_sub_u32_e32 v12, 29, v12
	v_and_b32_e32 v13, 7, v13
	v_cmp_eq_u16_e32 vcc, 0, v6
	v_cndmask_b32_e32 v3, v3, v13, vcc
	v_cndmask_b32_e32 v6, v7, v12, vcc
	v_lshlrev_b32_e32 v7, 8, v4
	v_mov_b32_e32 v12, 0x3b800000
	v_lshlrev_b32_e32 v3, 20, v3
	v_and_b32_e32 v7, 0x80000000, v7
	v_lshl_add_u32 v6, v6, 23, v12
	v_or3_b32 v6, v7, v6, v3
.LBB1_88:
	s_or_b64 exec, exec, s[6:7]
	s_nop 0
	v_mfma_f32_16x16x4f32 a[0:3], v2, v6, a[0:3]
	s_movk_i32 s4, 0x7f
	v_cmp_gt_i16_sdwa s[6:7], v8, s4 src0_sel:BYTE_3 src1_sel:DWORD
	s_mov_b64 s[4:5], 0
                                        ; implicit-def: $sgpr10
	s_and_saveexec_b64 s[8:9], s[6:7]
	s_xor_b64 s[6:7], exec, s[8:9]
	s_cbranch_execnz .LBB1_2137
; %bb.89:
	s_or_saveexec_b64 s[6:7], s[6:7]
	v_mov_b32_e32 v2, s10
	s_xor_b64 exec, exec, s[6:7]
	s_cbranch_execnz .LBB1_2140
.LBB1_90:
	s_or_b64 exec, exec, s[6:7]
	s_and_saveexec_b64 s[6:7], s[4:5]
	s_cbranch_execz .LBB1_92
.LBB1_91:
	v_bfe_u32 v2, v8, 24, 3
	v_ffbh_u32_e32 v12, v2
	v_min_u32_e32 v12, 32, v12
	v_lshrrev_b32_e32 v6, 27, v8
	v_subrev_u32_e32 v13, 28, v12
	v_and_b32_e32 v3, 0x80000000, v8
	v_and_b32_e32 v6, 15, v6
	v_bfe_u32 v7, v8, 27, 4
	v_lshlrev_b32_sdwa v8, v13, v8 dst_sel:DWORD dst_unused:UNUSED_PAD src0_sel:DWORD src1_sel:BYTE_3
	v_sub_u32_e32 v12, 29, v12
	v_and_b32_e32 v8, 7, v8
	v_cmp_eq_u16_e32 vcc, 0, v6
	v_cndmask_b32_e32 v2, v2, v8, vcc
	v_cndmask_b32_e32 v6, v7, v12, vcc
	v_mov_b32_e32 v7, 0x3b800000
	v_lshlrev_b32_e32 v2, 20, v2
	v_lshl_add_u32 v6, v6, 23, v7
	v_or3_b32 v2, v3, v6, v2
.LBB1_92:
	s_or_b64 exec, exec, s[6:7]
	s_movk_i32 s4, 0x7f
	v_cmp_gt_i16_sdwa s[6:7], v4, s4 src0_sel:BYTE_3 src1_sel:DWORD
	s_mov_b64 s[4:5], 0
                                        ; implicit-def: $sgpr10
	s_and_saveexec_b64 s[8:9], s[6:7]
	s_xor_b64 s[6:7], exec, s[8:9]
	s_cbranch_execnz .LBB1_2141
; %bb.93:
	s_or_saveexec_b64 s[6:7], s[6:7]
	v_mov_b32_e32 v3, s10
	s_xor_b64 exec, exec, s[6:7]
	s_cbranch_execnz .LBB1_2144
.LBB1_94:
	s_or_b64 exec, exec, s[6:7]
	s_and_saveexec_b64 s[6:7], s[4:5]
	s_cbranch_execz .LBB1_96
.LBB1_95:
	v_bfe_u32 v3, v4, 24, 3
	v_ffbh_u32_e32 v12, v3
	v_min_u32_e32 v12, 32, v12
	v_lshrrev_b32_e32 v7, 27, v4
	v_subrev_u32_e32 v13, 28, v12
	v_and_b32_e32 v6, 0x80000000, v4
	v_and_b32_e32 v7, 15, v7
	v_bfe_u32 v8, v4, 27, 4
	v_lshlrev_b32_sdwa v4, v13, v4 dst_sel:DWORD dst_unused:UNUSED_PAD src0_sel:DWORD src1_sel:BYTE_3
	v_sub_u32_e32 v12, 29, v12
	v_and_b32_e32 v4, 7, v4
	v_cmp_eq_u16_e32 vcc, 0, v7
	v_cndmask_b32_e32 v3, v3, v4, vcc
	v_cndmask_b32_e32 v4, v8, v12, vcc
	v_mov_b32_e32 v7, 0x3b800000
	v_lshlrev_b32_e32 v3, 20, v3
	v_lshl_add_u32 v4, v4, 23, v7
	v_or3_b32 v3, v6, v4, v3
.LBB1_96:
	s_or_b64 exec, exec, s[6:7]
	s_nop 0
	v_mfma_f32_16x16x4f32 a[0:3], v2, v3, a[0:3]
	s_movk_i32 s4, 0x7f
	v_cmp_gt_i16_sdwa s[6:7], v9, s4 src0_sel:BYTE_0 src1_sel:DWORD
	s_mov_b64 s[4:5], 0
                                        ; implicit-def: $sgpr10
	s_and_saveexec_b64 s[8:9], s[6:7]
	s_xor_b64 s[6:7], exec, s[8:9]
	s_cbranch_execnz .LBB1_2145
; %bb.97:
	s_or_saveexec_b64 s[6:7], s[6:7]
	v_mov_b32_e32 v2, s10
	s_xor_b64 exec, exec, s[6:7]
	s_cbranch_execnz .LBB1_2148
.LBB1_98:
	s_or_b64 exec, exec, s[6:7]
	s_and_saveexec_b64 s[6:7], s[4:5]
	s_cbranch_execz .LBB1_100
.LBB1_99:
	v_mov_b32_e32 v2, 8
	v_and_b32_e32 v3, 7, v9
	v_lshrrev_b32_sdwa v2, v2, v9 dst_sel:BYTE_1 dst_unused:UNUSED_PAD src0_sel:DWORD src1_sel:DWORD
	v_ffbh_u32_e32 v4, v3
	v_or_b32_sdwa v2, v9, v2 dst_sel:DWORD dst_unused:UNUSED_PAD src0_sel:BYTE_0 src1_sel:DWORD
	v_min_u32_e32 v4, 32, v4
	v_lshrrev_b16_e32 v2, 3, v2
	v_subrev_u32_e32 v6, 28, v4
	v_and_b32_e32 v2, 15, v2
	v_lshlrev_b32_e32 v6, v6, v9
	v_sub_u32_e32 v4, 29, v4
	v_and_b32_e32 v6, 7, v6
	v_cmp_eq_u16_e32 vcc, 0, v2
	v_cndmask_b32_e32 v3, v3, v6, vcc
	v_cndmask_b32_e32 v2, v2, v4, vcc
	v_lshlrev_b32_e32 v4, 24, v9
	v_mov_b32_e32 v6, 0x3b800000
	v_lshlrev_b32_e32 v3, 20, v3
	v_and_b32_e32 v4, 0x80000000, v4
	v_lshl_add_u32 v2, v2, 23, v6
	v_or3_b32 v2, v4, v2, v3
.LBB1_100:
	s_or_b64 exec, exec, s[6:7]
	s_movk_i32 s4, 0x7f
	v_cmp_gt_i16_sdwa s[6:7], v5, s4 src0_sel:BYTE_0 src1_sel:DWORD
	s_mov_b64 s[4:5], 0
                                        ; implicit-def: $sgpr10
	s_and_saveexec_b64 s[8:9], s[6:7]
	s_xor_b64 s[6:7], exec, s[8:9]
	s_cbranch_execnz .LBB1_2149
; %bb.101:
	s_or_saveexec_b64 s[6:7], s[6:7]
	v_mov_b32_e32 v3, s10
	s_xor_b64 exec, exec, s[6:7]
	s_cbranch_execnz .LBB1_2152
.LBB1_102:
	s_or_b64 exec, exec, s[6:7]
	s_and_saveexec_b64 s[6:7], s[4:5]
	s_cbranch_execz .LBB1_104
.LBB1_103:
	v_mov_b32_e32 v3, 8
	v_and_b32_e32 v4, 7, v5
	v_lshrrev_b32_sdwa v3, v3, v5 dst_sel:BYTE_1 dst_unused:UNUSED_PAD src0_sel:DWORD src1_sel:DWORD
	v_ffbh_u32_e32 v6, v4
	v_or_b32_sdwa v3, v5, v3 dst_sel:DWORD dst_unused:UNUSED_PAD src0_sel:BYTE_0 src1_sel:DWORD
	v_min_u32_e32 v6, 32, v6
	v_lshrrev_b16_e32 v3, 3, v3
	v_subrev_u32_e32 v7, 28, v6
	v_and_b32_e32 v3, 15, v3
	v_lshlrev_b32_e32 v7, v7, v5
	v_sub_u32_e32 v6, 29, v6
	v_and_b32_e32 v7, 7, v7
	v_cmp_eq_u16_e32 vcc, 0, v3
	v_cndmask_b32_e32 v4, v4, v7, vcc
	v_cndmask_b32_e32 v3, v3, v6, vcc
	v_lshlrev_b32_e32 v6, 24, v5
	v_mov_b32_e32 v7, 0x3b800000
	v_lshlrev_b32_e32 v4, 20, v4
	v_and_b32_e32 v6, 0x80000000, v6
	v_lshl_add_u32 v3, v3, 23, v7
	v_or3_b32 v3, v6, v3, v4
.LBB1_104:
	s_or_b64 exec, exec, s[6:7]
	s_nop 0
	v_mfma_f32_16x16x4f32 a[0:3], v2, v3, a[0:3]
	v_lshrrev_b32_e32 v3, 8, v9
	s_movk_i32 s4, 0x7f
	v_cmp_gt_i16_sdwa s[6:7], v3, s4 src0_sel:BYTE_0 src1_sel:DWORD
	s_mov_b64 s[4:5], 0
                                        ; implicit-def: $sgpr10
	s_and_saveexec_b64 s[8:9], s[6:7]
	s_xor_b64 s[6:7], exec, s[8:9]
	s_cbranch_execnz .LBB1_2153
; %bb.105:
	s_or_saveexec_b64 s[6:7], s[6:7]
	v_mov_b32_e32 v2, s10
	s_xor_b64 exec, exec, s[6:7]
	s_cbranch_execnz .LBB1_2156
.LBB1_106:
	s_or_b64 exec, exec, s[6:7]
	s_and_saveexec_b64 s[6:7], s[4:5]
	s_cbranch_execz .LBB1_108
.LBB1_107:
	v_bfe_u32 v2, v9, 8, 3
	v_ffbh_u32_e32 v6, v2
	v_min_u32_e32 v6, 32, v6
	v_lshrrev_b16_e32 v4, 3, v3
	v_subrev_u32_e32 v7, 28, v6
	v_and_b32_e32 v4, 15, v4
	v_lshlrev_b32_e32 v3, v7, v3
	v_sub_u32_e32 v6, 29, v6
	v_and_b32_e32 v3, 7, v3
	v_cmp_eq_u16_e32 vcc, 0, v4
	v_cndmask_b32_e32 v2, v2, v3, vcc
	v_cndmask_b32_e32 v3, v4, v6, vcc
	v_lshlrev_b32_e32 v4, 16, v9
	v_mov_b32_e32 v6, 0x3b800000
	v_lshlrev_b32_e32 v2, 20, v2
	v_and_b32_e32 v4, 0x80000000, v4
	v_lshl_add_u32 v3, v3, 23, v6
	v_or3_b32 v2, v4, v3, v2
.LBB1_108:
	s_or_b64 exec, exec, s[6:7]
	v_lshrrev_b32_e32 v3, 8, v5
	s_movk_i32 s4, 0x7f
	v_cmp_gt_i16_sdwa s[6:7], v3, s4 src0_sel:BYTE_0 src1_sel:DWORD
	s_mov_b64 s[4:5], 0
                                        ; implicit-def: $sgpr10
	s_and_saveexec_b64 s[8:9], s[6:7]
	s_xor_b64 s[6:7], exec, s[8:9]
	s_cbranch_execnz .LBB1_2157
; %bb.109:
	s_or_saveexec_b64 s[6:7], s[6:7]
	v_mov_b32_e32 v4, s10
	s_xor_b64 exec, exec, s[6:7]
	s_cbranch_execnz .LBB1_2160
.LBB1_110:
	s_or_b64 exec, exec, s[6:7]
	s_and_saveexec_b64 s[6:7], s[4:5]
	s_cbranch_execz .LBB1_112
.LBB1_111:
	v_bfe_u32 v4, v5, 8, 3
	v_ffbh_u32_e32 v7, v4
	v_min_u32_e32 v7, 32, v7
	v_lshrrev_b16_e32 v6, 3, v3
	v_subrev_u32_e32 v8, 28, v7
	v_and_b32_e32 v6, 15, v6
	v_lshlrev_b32_e32 v3, v8, v3
	v_sub_u32_e32 v7, 29, v7
	v_and_b32_e32 v3, 7, v3
	v_cmp_eq_u16_e32 vcc, 0, v6
	v_cndmask_b32_e32 v3, v4, v3, vcc
	v_cndmask_b32_e32 v4, v6, v7, vcc
	v_lshlrev_b32_e32 v6, 16, v5
	v_mov_b32_e32 v7, 0x3b800000
	v_lshlrev_b32_e32 v3, 20, v3
	v_and_b32_e32 v6, 0x80000000, v6
	v_lshl_add_u32 v4, v4, 23, v7
	v_or3_b32 v4, v6, v4, v3
.LBB1_112:
	s_or_b64 exec, exec, s[6:7]
	s_nop 0
	v_mfma_f32_16x16x4f32 a[0:3], v2, v4, a[0:3]
	s_movk_i32 s4, 0xff
	v_and_b32_sdwa v3, v9, s4 dst_sel:DWORD dst_unused:UNUSED_PAD src0_sel:WORD_1 src1_sel:DWORD
	s_movk_i32 s4, 0x7f
	v_cmp_lt_i16_e32 vcc, s4, v3
	s_mov_b64 s[4:5], 0
                                        ; implicit-def: $sgpr10
	s_and_saveexec_b64 s[6:7], vcc
	s_xor_b64 s[6:7], exec, s[6:7]
	s_cbranch_execnz .LBB1_2161
; %bb.113:
	s_or_saveexec_b64 s[6:7], s[6:7]
	v_mov_b32_e32 v2, s10
	s_xor_b64 exec, exec, s[6:7]
	s_cbranch_execnz .LBB1_2164
.LBB1_114:
	s_or_b64 exec, exec, s[6:7]
	s_and_saveexec_b64 s[6:7], s[4:5]
	s_cbranch_execz .LBB1_116
.LBB1_115:
	v_bfe_u32 v2, v9, 16, 3
	v_ffbh_u32_e32 v6, v2
	v_min_u32_e32 v6, 32, v6
	v_lshrrev_b32_e32 v3, 19, v9
	v_subrev_u32_e32 v7, 28, v6
	v_and_b32_e32 v3, 15, v3
	v_lshlrev_b32_sdwa v7, v7, v9 dst_sel:DWORD dst_unused:UNUSED_PAD src0_sel:DWORD src1_sel:WORD_1
	v_bfe_u32 v4, v9, 19, 4
	v_sub_u32_e32 v6, 29, v6
	v_and_b32_e32 v7, 7, v7
	v_cmp_eq_u16_e32 vcc, 0, v3
	v_cndmask_b32_e32 v2, v2, v7, vcc
	v_cndmask_b32_e32 v3, v4, v6, vcc
	v_lshlrev_b32_e32 v4, 8, v9
	v_mov_b32_e32 v6, 0x3b800000
	v_lshlrev_b32_e32 v2, 20, v2
	v_and_b32_e32 v4, 0x80000000, v4
	v_lshl_add_u32 v3, v3, 23, v6
	v_or3_b32 v2, v4, v3, v2
.LBB1_116:
	s_or_b64 exec, exec, s[6:7]
	s_movk_i32 s4, 0xff
	v_and_b32_sdwa v3, v5, s4 dst_sel:DWORD dst_unused:UNUSED_PAD src0_sel:WORD_1 src1_sel:DWORD
	s_movk_i32 s4, 0x7f
	v_cmp_lt_i16_e32 vcc, s4, v3
	s_mov_b64 s[4:5], 0
                                        ; implicit-def: $sgpr10
	s_and_saveexec_b64 s[6:7], vcc
	s_xor_b64 s[6:7], exec, s[6:7]
	s_cbranch_execnz .LBB1_2165
; %bb.117:
	s_or_saveexec_b64 s[6:7], s[6:7]
	v_mov_b32_e32 v4, s10
	s_xor_b64 exec, exec, s[6:7]
	s_cbranch_execnz .LBB1_2168
.LBB1_118:
	s_or_b64 exec, exec, s[6:7]
	s_and_saveexec_b64 s[6:7], s[4:5]
	s_cbranch_execz .LBB1_120
.LBB1_119:
	v_bfe_u32 v3, v5, 16, 3
	v_ffbh_u32_e32 v7, v3
	v_min_u32_e32 v7, 32, v7
	v_lshrrev_b32_e32 v4, 19, v5
	v_subrev_u32_e32 v8, 28, v7
	v_and_b32_e32 v4, 15, v4
	v_lshlrev_b32_sdwa v8, v8, v5 dst_sel:DWORD dst_unused:UNUSED_PAD src0_sel:DWORD src1_sel:WORD_1
	v_bfe_u32 v6, v5, 19, 4
	v_sub_u32_e32 v7, 29, v7
	v_and_b32_e32 v8, 7, v8
	v_cmp_eq_u16_e32 vcc, 0, v4
	v_cndmask_b32_e32 v3, v3, v8, vcc
	v_cndmask_b32_e32 v4, v6, v7, vcc
	v_lshlrev_b32_e32 v6, 8, v5
	v_mov_b32_e32 v7, 0x3b800000
	v_lshlrev_b32_e32 v3, 20, v3
	v_and_b32_e32 v6, 0x80000000, v6
	v_lshl_add_u32 v4, v4, 23, v7
	v_or3_b32 v4, v6, v4, v3
.LBB1_120:
	s_or_b64 exec, exec, s[6:7]
	s_nop 0
	v_mfma_f32_16x16x4f32 a[0:3], v2, v4, a[0:3]
	s_movk_i32 s4, 0x7f
	v_cmp_gt_i16_sdwa s[6:7], v9, s4 src0_sel:BYTE_3 src1_sel:DWORD
	s_mov_b64 s[4:5], 0
                                        ; implicit-def: $sgpr10
	s_and_saveexec_b64 s[8:9], s[6:7]
	s_xor_b64 s[6:7], exec, s[8:9]
	s_cbranch_execnz .LBB1_2169
; %bb.121:
	s_or_saveexec_b64 s[6:7], s[6:7]
	v_mov_b32_e32 v2, s10
	s_xor_b64 exec, exec, s[6:7]
	s_cbranch_execnz .LBB1_2172
.LBB1_122:
	s_or_b64 exec, exec, s[6:7]
	s_and_saveexec_b64 s[6:7], s[4:5]
	s_cbranch_execz .LBB1_124
.LBB1_123:
	v_bfe_u32 v2, v9, 24, 3
	v_ffbh_u32_e32 v7, v2
	v_min_u32_e32 v7, 32, v7
	v_lshrrev_b32_e32 v4, 27, v9
	v_subrev_u32_e32 v8, 28, v7
	v_and_b32_e32 v4, 15, v4
	v_lshlrev_b32_sdwa v8, v8, v9 dst_sel:DWORD dst_unused:UNUSED_PAD src0_sel:DWORD src1_sel:BYTE_3
	v_bfe_u32 v6, v9, 27, 4
	v_sub_u32_e32 v7, 29, v7
	v_and_b32_e32 v8, 7, v8
	v_cmp_eq_u16_e32 vcc, 0, v4
	v_cndmask_b32_e32 v2, v2, v8, vcc
	v_cndmask_b32_e32 v4, v6, v7, vcc
	v_mov_b32_e32 v6, 0x3b800000
	v_and_b32_e32 v3, 0x80000000, v9
	v_lshlrev_b32_e32 v2, 20, v2
	v_lshl_add_u32 v4, v4, 23, v6
	v_or3_b32 v2, v3, v4, v2
.LBB1_124:
	s_or_b64 exec, exec, s[6:7]
	s_movk_i32 s4, 0x7f
	v_cmp_gt_i16_sdwa s[6:7], v5, s4 src0_sel:BYTE_3 src1_sel:DWORD
	s_mov_b64 s[4:5], 0
                                        ; implicit-def: $sgpr10
	s_and_saveexec_b64 s[8:9], s[6:7]
	s_xor_b64 s[6:7], exec, s[8:9]
	s_cbranch_execnz .LBB1_2173
; %bb.125:
	s_or_saveexec_b64 s[6:7], s[6:7]
	v_mov_b32_e32 v3, s10
	s_xor_b64 exec, exec, s[6:7]
	s_cbranch_execnz .LBB1_2176
.LBB1_126:
	s_or_b64 exec, exec, s[6:7]
	s_and_saveexec_b64 s[6:7], s[4:5]
	s_cbranch_execz .LBB1_128
.LBB1_127:
	v_bfe_u32 v3, v5, 24, 3
	v_ffbh_u32_e32 v8, v3
	v_min_u32_e32 v8, 32, v8
	v_lshrrev_b32_e32 v6, 27, v5
	v_subrev_u32_e32 v9, 28, v8
	v_and_b32_e32 v4, 0x80000000, v5
	v_and_b32_e32 v6, 15, v6
	v_bfe_u32 v7, v5, 27, 4
	v_lshlrev_b32_sdwa v5, v9, v5 dst_sel:DWORD dst_unused:UNUSED_PAD src0_sel:DWORD src1_sel:BYTE_3
	v_sub_u32_e32 v8, 29, v8
	v_and_b32_e32 v5, 7, v5
	v_cmp_eq_u16_e32 vcc, 0, v6
	v_cndmask_b32_e32 v3, v3, v5, vcc
	v_cndmask_b32_e32 v5, v7, v8, vcc
	v_mov_b32_e32 v6, 0x3b800000
	v_lshlrev_b32_e32 v3, 20, v3
	v_lshl_add_u32 v5, v5, 23, v6
	v_or3_b32 v3, v4, v5, v3
.LBB1_128:
	s_or_b64 exec, exec, s[6:7]
	s_nop 0
	v_mfma_f32_16x16x4f32 a[0:3], v2, v3, a[0:3]
	s_nop 7
	s_nop 2
	flat_store_dwordx4 v[10:11], a[0:3]
	; sched_barrier mask(0x00000000)
	s_setprio 1
	; sched_barrier mask(0x00000000)
	flat_load_dwordx4 v[12:15], v[0:1] offset:8
	flat_load_dwordx2 v[10:11], v[0:1] offset:32
	s_movk_i32 s4, 0x7f
                                        ; implicit-def: $sgpr10
	s_waitcnt vmcnt(0) lgkmcnt(0)
	flat_load_dwordx4 v[6:9], v[12:13]
	flat_load_dwordx4 v[2:5], v[14:15] offset:32
	s_waitcnt vmcnt(0) lgkmcnt(0)
	v_cmp_gt_i16_sdwa s[6:7], v6, s4 src0_sel:BYTE_0 src1_sel:DWORD
	s_mov_b64 s[4:5], 0
	s_and_saveexec_b64 s[8:9], s[6:7]
	s_xor_b64 s[6:7], exec, s[8:9]
	s_cbranch_execnz .LBB1_2177
; %bb.129:
	s_or_saveexec_b64 s[6:7], s[6:7]
	v_mov_b32_e32 v12, s10
	s_xor_b64 exec, exec, s[6:7]
	s_cbranch_execnz .LBB1_2180
.LBB1_130:
	s_or_b64 exec, exec, s[6:7]
	s_and_saveexec_b64 s[6:7], s[4:5]
	s_cbranch_execz .LBB1_132
.LBB1_131:
	v_and_b32_e32 v12, 7, v6
	v_ffbh_u32_e32 v14, v12
	v_min_u32_e32 v14, 32, v14
	v_lshrrev_b16_e32 v13, 3, v6
	v_subrev_u32_e32 v15, 28, v14
	v_and_b32_e32 v13, 15, v13
	v_lshlrev_b32_e32 v15, v15, v6
	v_sub_u32_e32 v14, 29, v14
	v_and_b32_e32 v15, 7, v15
	v_cmp_eq_u16_e32 vcc, 0, v13
	v_cndmask_b32_e32 v12, v12, v15, vcc
	v_cndmask_b32_e32 v13, v13, v14, vcc
	v_lshlrev_b32_e32 v14, 24, v6
	v_mov_b32_e32 v15, 0x3b800000
	v_lshlrev_b32_e32 v12, 20, v12
	v_and_b32_e32 v14, 0x80000000, v14
	v_lshl_add_u32 v13, v13, 23, v15
	v_or3_b32 v12, v14, v13, v12
.LBB1_132:
	s_or_b64 exec, exec, s[6:7]
	s_movk_i32 s4, 0x7f
	v_cmp_gt_i16_sdwa s[6:7], v2, s4 src0_sel:BYTE_0 src1_sel:DWORD
	s_mov_b64 s[4:5], 0
                                        ; implicit-def: $sgpr10
	s_and_saveexec_b64 s[8:9], s[6:7]
	s_xor_b64 s[6:7], exec, s[8:9]
	s_cbranch_execnz .LBB1_2181
; %bb.133:
	s_or_saveexec_b64 s[6:7], s[6:7]
	v_mov_b32_e32 v13, s10
	s_xor_b64 exec, exec, s[6:7]
	s_cbranch_execnz .LBB1_2184
.LBB1_134:
	s_or_b64 exec, exec, s[6:7]
	s_and_saveexec_b64 s[6:7], s[4:5]
	s_cbranch_execz .LBB1_136
.LBB1_135:
	v_and_b32_e32 v13, 7, v2
	v_ffbh_u32_e32 v15, v13
	v_min_u32_e32 v15, 32, v15
	v_lshrrev_b16_e32 v14, 3, v2
	v_subrev_u32_e32 v16, 28, v15
	v_and_b32_e32 v14, 15, v14
	v_lshlrev_b32_e32 v16, v16, v2
	v_sub_u32_e32 v15, 29, v15
	v_and_b32_e32 v16, 7, v16
	v_cmp_eq_u16_e32 vcc, 0, v14
	v_cndmask_b32_e32 v13, v13, v16, vcc
	v_cndmask_b32_e32 v14, v14, v15, vcc
	v_lshlrev_b32_e32 v15, 24, v2
	v_mov_b32_e32 v16, 0x3b800000
	v_lshlrev_b32_e32 v13, 20, v13
	v_and_b32_e32 v15, 0x80000000, v15
	v_lshl_add_u32 v14, v14, 23, v16
	v_or3_b32 v13, v15, v14, v13
.LBB1_136:
	s_or_b64 exec, exec, s[6:7]
	flat_load_dwordx4 a[0:3], v[10:11] offset:16
	s_movk_i32 s4, 0x7f
                                        ; implicit-def: $sgpr10
	s_waitcnt vmcnt(0) lgkmcnt(0)
	v_mfma_f32_16x16x4f32 a[0:3], v12, v13, a[0:3]
	v_lshrrev_b32_e32 v13, 8, v6
	v_cmp_gt_i16_sdwa s[6:7], v13, s4 src0_sel:BYTE_0 src1_sel:DWORD
	s_mov_b64 s[4:5], 0
	s_and_saveexec_b64 s[8:9], s[6:7]
	s_xor_b64 s[6:7], exec, s[8:9]
	s_cbranch_execnz .LBB1_2185
; %bb.137:
	s_or_saveexec_b64 s[6:7], s[6:7]
	v_mov_b32_e32 v12, s10
	s_xor_b64 exec, exec, s[6:7]
	s_cbranch_execnz .LBB1_2188
.LBB1_138:
	s_or_b64 exec, exec, s[6:7]
	s_and_saveexec_b64 s[6:7], s[4:5]
	s_cbranch_execz .LBB1_140
.LBB1_139:
	v_bfe_u32 v12, v6, 8, 3
	v_ffbh_u32_e32 v15, v12
	v_min_u32_e32 v15, 32, v15
	v_lshrrev_b16_e32 v14, 3, v13
	v_subrev_u32_e32 v16, 28, v15
	v_and_b32_e32 v14, 15, v14
	v_lshlrev_b32_e32 v13, v16, v13
	v_sub_u32_e32 v15, 29, v15
	v_and_b32_e32 v13, 7, v13
	v_cmp_eq_u16_e32 vcc, 0, v14
	v_cndmask_b32_e32 v12, v12, v13, vcc
	v_cndmask_b32_e32 v13, v14, v15, vcc
	v_lshlrev_b32_e32 v14, 16, v6
	v_mov_b32_e32 v15, 0x3b800000
	v_lshlrev_b32_e32 v12, 20, v12
	v_and_b32_e32 v14, 0x80000000, v14
	v_lshl_add_u32 v13, v13, 23, v15
	v_or3_b32 v12, v14, v13, v12
.LBB1_140:
	s_or_b64 exec, exec, s[6:7]
	v_lshrrev_b32_e32 v13, 8, v2
	s_movk_i32 s4, 0x7f
	v_cmp_gt_i16_sdwa s[6:7], v13, s4 src0_sel:BYTE_0 src1_sel:DWORD
	s_mov_b64 s[4:5], 0
                                        ; implicit-def: $sgpr10
	s_and_saveexec_b64 s[8:9], s[6:7]
	s_xor_b64 s[6:7], exec, s[8:9]
	s_cbranch_execnz .LBB1_2189
; %bb.141:
	s_or_saveexec_b64 s[6:7], s[6:7]
	v_mov_b32_e32 v14, s10
	s_xor_b64 exec, exec, s[6:7]
	s_cbranch_execnz .LBB1_2192
.LBB1_142:
	s_or_b64 exec, exec, s[6:7]
	s_and_saveexec_b64 s[6:7], s[4:5]
	s_cbranch_execz .LBB1_144
.LBB1_143:
	v_bfe_u32 v14, v2, 8, 3
	v_ffbh_u32_e32 v16, v14
	v_min_u32_e32 v16, 32, v16
	v_lshrrev_b16_e32 v15, 3, v13
	v_subrev_u32_e32 v17, 28, v16
	v_and_b32_e32 v15, 15, v15
	v_lshlrev_b32_e32 v13, v17, v13
	v_sub_u32_e32 v16, 29, v16
	v_and_b32_e32 v13, 7, v13
	v_cmp_eq_u16_e32 vcc, 0, v15
	v_cndmask_b32_e32 v13, v14, v13, vcc
	v_cndmask_b32_e32 v14, v15, v16, vcc
	v_lshlrev_b32_e32 v15, 16, v2
	v_mov_b32_e32 v16, 0x3b800000
	v_lshlrev_b32_e32 v13, 20, v13
	v_and_b32_e32 v15, 0x80000000, v15
	v_lshl_add_u32 v14, v14, 23, v16
	v_or3_b32 v14, v15, v14, v13
.LBB1_144:
	s_or_b64 exec, exec, s[6:7]
	s_nop 0
	v_mfma_f32_16x16x4f32 a[0:3], v12, v14, a[0:3]
	s_movk_i32 s4, 0xff
	v_and_b32_sdwa v13, v6, s4 dst_sel:DWORD dst_unused:UNUSED_PAD src0_sel:WORD_1 src1_sel:DWORD
	s_movk_i32 s4, 0x7f
	v_cmp_lt_i16_e32 vcc, s4, v13
	s_mov_b64 s[4:5], 0
                                        ; implicit-def: $sgpr10
	s_and_saveexec_b64 s[6:7], vcc
	s_xor_b64 s[6:7], exec, s[6:7]
	s_cbranch_execnz .LBB1_2193
; %bb.145:
	s_or_saveexec_b64 s[6:7], s[6:7]
	v_mov_b32_e32 v12, s10
	s_xor_b64 exec, exec, s[6:7]
	s_cbranch_execnz .LBB1_2196
.LBB1_146:
	s_or_b64 exec, exec, s[6:7]
	s_and_saveexec_b64 s[6:7], s[4:5]
	s_cbranch_execz .LBB1_148
.LBB1_147:
	v_bfe_u32 v12, v6, 16, 3
	v_ffbh_u32_e32 v15, v12
	v_min_u32_e32 v15, 32, v15
	v_lshrrev_b32_e32 v13, 19, v6
	v_subrev_u32_e32 v16, 28, v15
	v_and_b32_e32 v13, 15, v13
	v_lshlrev_b32_sdwa v16, v16, v6 dst_sel:DWORD dst_unused:UNUSED_PAD src0_sel:DWORD src1_sel:WORD_1
	v_bfe_u32 v14, v6, 19, 4
	v_sub_u32_e32 v15, 29, v15
	v_and_b32_e32 v16, 7, v16
	v_cmp_eq_u16_e32 vcc, 0, v13
	v_cndmask_b32_e32 v12, v12, v16, vcc
	v_cndmask_b32_e32 v13, v14, v15, vcc
	v_lshlrev_b32_e32 v14, 8, v6
	v_mov_b32_e32 v15, 0x3b800000
	v_lshlrev_b32_e32 v12, 20, v12
	v_and_b32_e32 v14, 0x80000000, v14
	v_lshl_add_u32 v13, v13, 23, v15
	v_or3_b32 v12, v14, v13, v12
.LBB1_148:
	s_or_b64 exec, exec, s[6:7]
	s_movk_i32 s4, 0xff
	v_and_b32_sdwa v13, v2, s4 dst_sel:DWORD dst_unused:UNUSED_PAD src0_sel:WORD_1 src1_sel:DWORD
	s_movk_i32 s4, 0x7f
	v_cmp_lt_i16_e32 vcc, s4, v13
	s_mov_b64 s[4:5], 0
                                        ; implicit-def: $sgpr10
	s_and_saveexec_b64 s[6:7], vcc
	s_xor_b64 s[6:7], exec, s[6:7]
	s_cbranch_execnz .LBB1_2197
; %bb.149:
	s_or_saveexec_b64 s[6:7], s[6:7]
	v_mov_b32_e32 v14, s10
	s_xor_b64 exec, exec, s[6:7]
	s_cbranch_execnz .LBB1_2200
.LBB1_150:
	s_or_b64 exec, exec, s[6:7]
	s_and_saveexec_b64 s[6:7], s[4:5]
	s_cbranch_execz .LBB1_152
.LBB1_151:
	v_bfe_u32 v13, v2, 16, 3
	v_ffbh_u32_e32 v16, v13
	v_min_u32_e32 v16, 32, v16
	v_lshrrev_b32_e32 v14, 19, v2
	v_subrev_u32_e32 v17, 28, v16
	v_and_b32_e32 v14, 15, v14
	v_lshlrev_b32_sdwa v17, v17, v2 dst_sel:DWORD dst_unused:UNUSED_PAD src0_sel:DWORD src1_sel:WORD_1
	v_bfe_u32 v15, v2, 19, 4
	v_sub_u32_e32 v16, 29, v16
	v_and_b32_e32 v17, 7, v17
	v_cmp_eq_u16_e32 vcc, 0, v14
	v_cndmask_b32_e32 v13, v13, v17, vcc
	v_cndmask_b32_e32 v14, v15, v16, vcc
	v_lshlrev_b32_e32 v15, 8, v2
	v_mov_b32_e32 v16, 0x3b800000
	v_lshlrev_b32_e32 v13, 20, v13
	v_and_b32_e32 v15, 0x80000000, v15
	v_lshl_add_u32 v14, v14, 23, v16
	v_or3_b32 v14, v15, v14, v13
.LBB1_152:
	s_or_b64 exec, exec, s[6:7]
	s_nop 0
	v_mfma_f32_16x16x4f32 a[0:3], v12, v14, a[0:3]
	s_movk_i32 s4, 0x7f
	v_cmp_gt_i16_sdwa s[6:7], v6, s4 src0_sel:BYTE_3 src1_sel:DWORD
	s_mov_b64 s[4:5], 0
                                        ; implicit-def: $sgpr10
	s_and_saveexec_b64 s[8:9], s[6:7]
	s_xor_b64 s[6:7], exec, s[8:9]
	s_cbranch_execnz .LBB1_2201
; %bb.153:
	s_or_saveexec_b64 s[6:7], s[6:7]
	v_mov_b32_e32 v12, s10
	s_xor_b64 exec, exec, s[6:7]
	s_cbranch_execnz .LBB1_2204
.LBB1_154:
	s_or_b64 exec, exec, s[6:7]
	s_and_saveexec_b64 s[6:7], s[4:5]
	s_cbranch_execz .LBB1_156
.LBB1_155:
	v_bfe_u32 v12, v6, 24, 3
	v_ffbh_u32_e32 v16, v12
	v_min_u32_e32 v16, 32, v16
	v_lshrrev_b32_e32 v14, 27, v6
	v_subrev_u32_e32 v17, 28, v16
	v_and_b32_e32 v13, 0x80000000, v6
	v_and_b32_e32 v14, 15, v14
	v_bfe_u32 v15, v6, 27, 4
	v_lshlrev_b32_sdwa v6, v17, v6 dst_sel:DWORD dst_unused:UNUSED_PAD src0_sel:DWORD src1_sel:BYTE_3
	v_sub_u32_e32 v16, 29, v16
	v_and_b32_e32 v6, 7, v6
	v_cmp_eq_u16_e32 vcc, 0, v14
	v_cndmask_b32_e32 v6, v12, v6, vcc
	v_cndmask_b32_e32 v12, v15, v16, vcc
	v_mov_b32_e32 v14, 0x3b800000
	v_lshlrev_b32_e32 v6, 20, v6
	v_lshl_add_u32 v12, v12, 23, v14
	v_or3_b32 v12, v13, v12, v6
.LBB1_156:
	s_or_b64 exec, exec, s[6:7]
	s_movk_i32 s4, 0x7f
	v_cmp_gt_i16_sdwa s[6:7], v2, s4 src0_sel:BYTE_3 src1_sel:DWORD
	s_mov_b64 s[4:5], 0
                                        ; implicit-def: $sgpr10
	s_and_saveexec_b64 s[8:9], s[6:7]
	s_xor_b64 s[6:7], exec, s[8:9]
	s_cbranch_execnz .LBB1_2205
; %bb.157:
	s_or_saveexec_b64 s[6:7], s[6:7]
	v_mov_b32_e32 v6, s10
	s_xor_b64 exec, exec, s[6:7]
	s_cbranch_execnz .LBB1_2208
.LBB1_158:
	s_or_b64 exec, exec, s[6:7]
	s_and_saveexec_b64 s[6:7], s[4:5]
	s_cbranch_execz .LBB1_160
.LBB1_159:
	v_bfe_u32 v6, v2, 24, 3
	v_ffbh_u32_e32 v16, v6
	v_min_u32_e32 v16, 32, v16
	v_lshrrev_b32_e32 v14, 27, v2
	v_subrev_u32_e32 v17, 28, v16
	v_and_b32_e32 v13, 0x80000000, v2
	v_and_b32_e32 v14, 15, v14
	v_bfe_u32 v15, v2, 27, 4
	v_lshlrev_b32_sdwa v2, v17, v2 dst_sel:DWORD dst_unused:UNUSED_PAD src0_sel:DWORD src1_sel:BYTE_3
	v_sub_u32_e32 v16, 29, v16
	v_and_b32_e32 v2, 7, v2
	v_cmp_eq_u16_e32 vcc, 0, v14
	v_cndmask_b32_e32 v2, v6, v2, vcc
	v_cndmask_b32_e32 v6, v15, v16, vcc
	v_mov_b32_e32 v14, 0x3b800000
	v_lshlrev_b32_e32 v2, 20, v2
	v_lshl_add_u32 v6, v6, 23, v14
	v_or3_b32 v6, v13, v6, v2
.LBB1_160:
	s_or_b64 exec, exec, s[6:7]
	s_nop 0
	v_mfma_f32_16x16x4f32 a[0:3], v12, v6, a[0:3]
	s_movk_i32 s4, 0x7f
	v_cmp_gt_i16_sdwa s[6:7], v7, s4 src0_sel:BYTE_0 src1_sel:DWORD
	s_mov_b64 s[4:5], 0
                                        ; implicit-def: $sgpr10
	s_and_saveexec_b64 s[8:9], s[6:7]
	s_xor_b64 s[6:7], exec, s[8:9]
	s_cbranch_execnz .LBB1_2209
; %bb.161:
	s_or_saveexec_b64 s[6:7], s[6:7]
	v_mov_b32_e32 v2, s10
	s_xor_b64 exec, exec, s[6:7]
	s_cbranch_execnz .LBB1_2212
.LBB1_162:
	s_or_b64 exec, exec, s[6:7]
	s_and_saveexec_b64 s[6:7], s[4:5]
	s_cbranch_execz .LBB1_164
.LBB1_163:
	v_and_b32_e32 v2, 7, v7
	v_ffbh_u32_e32 v12, v2
	v_min_u32_e32 v12, 32, v12
	v_lshrrev_b16_e32 v6, 3, v7
	v_subrev_u32_e32 v13, 28, v12
	v_and_b32_e32 v6, 15, v6
	v_lshlrev_b32_e32 v13, v13, v7
	v_sub_u32_e32 v12, 29, v12
	v_and_b32_e32 v13, 7, v13
	v_cmp_eq_u16_e32 vcc, 0, v6
	v_cndmask_b32_e32 v2, v2, v13, vcc
	v_cndmask_b32_e32 v6, v6, v12, vcc
	v_lshlrev_b32_e32 v12, 24, v7
	v_mov_b32_e32 v13, 0x3b800000
	v_lshlrev_b32_e32 v2, 20, v2
	v_and_b32_e32 v12, 0x80000000, v12
	v_lshl_add_u32 v6, v6, 23, v13
	v_or3_b32 v2, v12, v6, v2
.LBB1_164:
	s_or_b64 exec, exec, s[6:7]
	s_movk_i32 s4, 0x7f
	v_cmp_gt_i16_sdwa s[6:7], v3, s4 src0_sel:BYTE_0 src1_sel:DWORD
	s_mov_b64 s[4:5], 0
                                        ; implicit-def: $sgpr10
	s_and_saveexec_b64 s[8:9], s[6:7]
	s_xor_b64 s[6:7], exec, s[8:9]
	s_cbranch_execnz .LBB1_2213
; %bb.165:
	s_or_saveexec_b64 s[6:7], s[6:7]
	v_mov_b32_e32 v6, s10
	s_xor_b64 exec, exec, s[6:7]
	s_cbranch_execnz .LBB1_2216
.LBB1_166:
	s_or_b64 exec, exec, s[6:7]
	s_and_saveexec_b64 s[6:7], s[4:5]
	s_cbranch_execz .LBB1_168
.LBB1_167:
	v_and_b32_e32 v6, 7, v3
	v_ffbh_u32_e32 v13, v6
	v_min_u32_e32 v13, 32, v13
	v_lshrrev_b16_e32 v12, 3, v3
	v_subrev_u32_e32 v14, 28, v13
	v_and_b32_e32 v12, 15, v12
	v_lshlrev_b32_e32 v14, v14, v3
	v_sub_u32_e32 v13, 29, v13
	v_and_b32_e32 v14, 7, v14
	v_cmp_eq_u16_e32 vcc, 0, v12
	v_cndmask_b32_e32 v6, v6, v14, vcc
	v_cndmask_b32_e32 v12, v12, v13, vcc
	v_lshlrev_b32_e32 v13, 24, v3
	v_mov_b32_e32 v14, 0x3b800000
	v_lshlrev_b32_e32 v6, 20, v6
	v_and_b32_e32 v13, 0x80000000, v13
	v_lshl_add_u32 v12, v12, 23, v14
	v_or3_b32 v6, v13, v12, v6
.LBB1_168:
	s_or_b64 exec, exec, s[6:7]
	s_nop 0
	v_mfma_f32_16x16x4f32 a[0:3], v2, v6, a[0:3]
	v_lshrrev_b32_e32 v6, 8, v7
	s_movk_i32 s4, 0x7f
	v_cmp_gt_i16_sdwa s[6:7], v6, s4 src0_sel:BYTE_0 src1_sel:DWORD
	s_mov_b64 s[4:5], 0
                                        ; implicit-def: $sgpr10
	s_and_saveexec_b64 s[8:9], s[6:7]
	s_xor_b64 s[6:7], exec, s[8:9]
	s_cbranch_execnz .LBB1_2217
; %bb.169:
	s_or_saveexec_b64 s[6:7], s[6:7]
	v_mov_b32_e32 v2, s10
	s_xor_b64 exec, exec, s[6:7]
	s_cbranch_execnz .LBB1_2220
.LBB1_170:
	s_or_b64 exec, exec, s[6:7]
	s_and_saveexec_b64 s[6:7], s[4:5]
	s_cbranch_execz .LBB1_172
.LBB1_171:
	v_bfe_u32 v2, v7, 8, 3
	v_ffbh_u32_e32 v13, v2
	v_min_u32_e32 v13, 32, v13
	v_lshrrev_b16_e32 v12, 3, v6
	v_subrev_u32_e32 v14, 28, v13
	v_and_b32_e32 v12, 15, v12
	v_lshlrev_b32_e32 v6, v14, v6
	v_sub_u32_e32 v13, 29, v13
	v_and_b32_e32 v6, 7, v6
	v_cmp_eq_u16_e32 vcc, 0, v12
	v_cndmask_b32_e32 v2, v2, v6, vcc
	v_cndmask_b32_e32 v6, v12, v13, vcc
	v_lshlrev_b32_e32 v12, 16, v7
	v_mov_b32_e32 v13, 0x3b800000
	v_lshlrev_b32_e32 v2, 20, v2
	v_and_b32_e32 v12, 0x80000000, v12
	v_lshl_add_u32 v6, v6, 23, v13
	v_or3_b32 v2, v12, v6, v2
.LBB1_172:
	s_or_b64 exec, exec, s[6:7]
	v_lshrrev_b32_e32 v6, 8, v3
	s_movk_i32 s4, 0x7f
	v_cmp_gt_i16_sdwa s[6:7], v6, s4 src0_sel:BYTE_0 src1_sel:DWORD
	s_mov_b64 s[4:5], 0
                                        ; implicit-def: $sgpr10
	s_and_saveexec_b64 s[8:9], s[6:7]
	s_xor_b64 s[6:7], exec, s[8:9]
	s_cbranch_execnz .LBB1_2221
; %bb.173:
	s_or_saveexec_b64 s[6:7], s[6:7]
	v_mov_b32_e32 v12, s10
	s_xor_b64 exec, exec, s[6:7]
	s_cbranch_execnz .LBB1_2224
.LBB1_174:
	s_or_b64 exec, exec, s[6:7]
	s_and_saveexec_b64 s[6:7], s[4:5]
	s_cbranch_execz .LBB1_176
.LBB1_175:
	v_bfe_u32 v12, v3, 8, 3
	v_ffbh_u32_e32 v14, v12
	v_min_u32_e32 v14, 32, v14
	v_lshrrev_b16_e32 v13, 3, v6
	v_subrev_u32_e32 v15, 28, v14
	v_and_b32_e32 v13, 15, v13
	v_lshlrev_b32_e32 v6, v15, v6
	v_sub_u32_e32 v14, 29, v14
	v_and_b32_e32 v6, 7, v6
	v_cmp_eq_u16_e32 vcc, 0, v13
	v_cndmask_b32_e32 v6, v12, v6, vcc
	v_cndmask_b32_e32 v12, v13, v14, vcc
	v_lshlrev_b32_e32 v13, 16, v3
	v_mov_b32_e32 v14, 0x3b800000
	v_lshlrev_b32_e32 v6, 20, v6
	v_and_b32_e32 v13, 0x80000000, v13
	v_lshl_add_u32 v12, v12, 23, v14
	v_or3_b32 v12, v13, v12, v6
.LBB1_176:
	s_or_b64 exec, exec, s[6:7]
	s_nop 0
	v_mfma_f32_16x16x4f32 a[0:3], v2, v12, a[0:3]
	s_movk_i32 s4, 0xff
	v_and_b32_sdwa v6, v7, s4 dst_sel:DWORD dst_unused:UNUSED_PAD src0_sel:WORD_1 src1_sel:DWORD
	s_movk_i32 s4, 0x7f
	v_cmp_lt_i16_e32 vcc, s4, v6
	s_mov_b64 s[4:5], 0
                                        ; implicit-def: $sgpr10
	s_and_saveexec_b64 s[6:7], vcc
	s_xor_b64 s[6:7], exec, s[6:7]
	s_cbranch_execnz .LBB1_2225
; %bb.177:
	s_or_saveexec_b64 s[6:7], s[6:7]
	v_mov_b32_e32 v2, s10
	s_xor_b64 exec, exec, s[6:7]
	s_cbranch_execnz .LBB1_2228
.LBB1_178:
	s_or_b64 exec, exec, s[6:7]
	s_and_saveexec_b64 s[6:7], s[4:5]
	s_cbranch_execz .LBB1_180
.LBB1_179:
	v_bfe_u32 v2, v7, 16, 3
	v_ffbh_u32_e32 v13, v2
	v_min_u32_e32 v13, 32, v13
	v_lshrrev_b32_e32 v6, 19, v7
	v_subrev_u32_e32 v14, 28, v13
	v_and_b32_e32 v6, 15, v6
	v_lshlrev_b32_sdwa v14, v14, v7 dst_sel:DWORD dst_unused:UNUSED_PAD src0_sel:DWORD src1_sel:WORD_1
	v_bfe_u32 v12, v7, 19, 4
	v_sub_u32_e32 v13, 29, v13
	v_and_b32_e32 v14, 7, v14
	v_cmp_eq_u16_e32 vcc, 0, v6
	v_cndmask_b32_e32 v2, v2, v14, vcc
	v_cndmask_b32_e32 v6, v12, v13, vcc
	v_lshlrev_b32_e32 v12, 8, v7
	v_mov_b32_e32 v13, 0x3b800000
	v_lshlrev_b32_e32 v2, 20, v2
	v_and_b32_e32 v12, 0x80000000, v12
	v_lshl_add_u32 v6, v6, 23, v13
	v_or3_b32 v2, v12, v6, v2
.LBB1_180:
	s_or_b64 exec, exec, s[6:7]
	s_movk_i32 s4, 0xff
	v_and_b32_sdwa v6, v3, s4 dst_sel:DWORD dst_unused:UNUSED_PAD src0_sel:WORD_1 src1_sel:DWORD
	s_movk_i32 s4, 0x7f
	v_cmp_lt_i16_e32 vcc, s4, v6
	s_mov_b64 s[4:5], 0
                                        ; implicit-def: $sgpr10
	s_and_saveexec_b64 s[6:7], vcc
	s_xor_b64 s[6:7], exec, s[6:7]
	s_cbranch_execnz .LBB1_2229
; %bb.181:
	s_or_saveexec_b64 s[6:7], s[6:7]
	v_mov_b32_e32 v12, s10
	s_xor_b64 exec, exec, s[6:7]
	s_cbranch_execnz .LBB1_2232
.LBB1_182:
	s_or_b64 exec, exec, s[6:7]
	s_and_saveexec_b64 s[6:7], s[4:5]
	s_cbranch_execz .LBB1_184
.LBB1_183:
	v_bfe_u32 v6, v3, 16, 3
	v_ffbh_u32_e32 v14, v6
	v_min_u32_e32 v14, 32, v14
	v_lshrrev_b32_e32 v12, 19, v3
	v_subrev_u32_e32 v15, 28, v14
	v_and_b32_e32 v12, 15, v12
	v_lshlrev_b32_sdwa v15, v15, v3 dst_sel:DWORD dst_unused:UNUSED_PAD src0_sel:DWORD src1_sel:WORD_1
	v_bfe_u32 v13, v3, 19, 4
	v_sub_u32_e32 v14, 29, v14
	v_and_b32_e32 v15, 7, v15
	v_cmp_eq_u16_e32 vcc, 0, v12
	v_cndmask_b32_e32 v6, v6, v15, vcc
	v_cndmask_b32_e32 v12, v13, v14, vcc
	v_lshlrev_b32_e32 v13, 8, v3
	v_mov_b32_e32 v14, 0x3b800000
	v_lshlrev_b32_e32 v6, 20, v6
	v_and_b32_e32 v13, 0x80000000, v13
	v_lshl_add_u32 v12, v12, 23, v14
	v_or3_b32 v12, v13, v12, v6
.LBB1_184:
	s_or_b64 exec, exec, s[6:7]
	s_nop 0
	v_mfma_f32_16x16x4f32 a[0:3], v2, v12, a[0:3]
	s_movk_i32 s4, 0x7f
	v_cmp_gt_i16_sdwa s[6:7], v7, s4 src0_sel:BYTE_3 src1_sel:DWORD
	s_mov_b64 s[4:5], 0
                                        ; implicit-def: $sgpr10
	s_and_saveexec_b64 s[8:9], s[6:7]
	s_xor_b64 s[6:7], exec, s[8:9]
	s_cbranch_execnz .LBB1_2233
; %bb.185:
	s_or_saveexec_b64 s[6:7], s[6:7]
	v_mov_b32_e32 v2, s10
	s_xor_b64 exec, exec, s[6:7]
	s_cbranch_execnz .LBB1_2236
.LBB1_186:
	s_or_b64 exec, exec, s[6:7]
	s_and_saveexec_b64 s[6:7], s[4:5]
	s_cbranch_execz .LBB1_188
.LBB1_187:
	v_bfe_u32 v2, v7, 24, 3
	v_ffbh_u32_e32 v14, v2
	v_min_u32_e32 v14, 32, v14
	v_lshrrev_b32_e32 v12, 27, v7
	v_subrev_u32_e32 v15, 28, v14
	v_and_b32_e32 v6, 0x80000000, v7
	v_and_b32_e32 v12, 15, v12
	v_bfe_u32 v13, v7, 27, 4
	v_lshlrev_b32_sdwa v7, v15, v7 dst_sel:DWORD dst_unused:UNUSED_PAD src0_sel:DWORD src1_sel:BYTE_3
	v_sub_u32_e32 v14, 29, v14
	v_and_b32_e32 v7, 7, v7
	v_cmp_eq_u16_e32 vcc, 0, v12
	v_cndmask_b32_e32 v2, v2, v7, vcc
	v_cndmask_b32_e32 v7, v13, v14, vcc
	v_mov_b32_e32 v12, 0x3b800000
	v_lshlrev_b32_e32 v2, 20, v2
	v_lshl_add_u32 v7, v7, 23, v12
	v_or3_b32 v2, v6, v7, v2
.LBB1_188:
	s_or_b64 exec, exec, s[6:7]
	s_movk_i32 s4, 0x7f
	v_cmp_gt_i16_sdwa s[6:7], v3, s4 src0_sel:BYTE_3 src1_sel:DWORD
	s_mov_b64 s[4:5], 0
                                        ; implicit-def: $sgpr10
	s_and_saveexec_b64 s[8:9], s[6:7]
	s_xor_b64 s[6:7], exec, s[8:9]
	s_cbranch_execnz .LBB1_2237
; %bb.189:
	s_or_saveexec_b64 s[6:7], s[6:7]
	v_mov_b32_e32 v6, s10
	s_xor_b64 exec, exec, s[6:7]
	s_cbranch_execnz .LBB1_2240
.LBB1_190:
	s_or_b64 exec, exec, s[6:7]
	s_and_saveexec_b64 s[6:7], s[4:5]
	s_cbranch_execz .LBB1_192
.LBB1_191:
	v_bfe_u32 v6, v3, 24, 3
	v_ffbh_u32_e32 v14, v6
	v_min_u32_e32 v14, 32, v14
	v_lshrrev_b32_e32 v12, 27, v3
	v_subrev_u32_e32 v15, 28, v14
	v_and_b32_e32 v7, 0x80000000, v3
	v_and_b32_e32 v12, 15, v12
	v_bfe_u32 v13, v3, 27, 4
	v_lshlrev_b32_sdwa v3, v15, v3 dst_sel:DWORD dst_unused:UNUSED_PAD src0_sel:DWORD src1_sel:BYTE_3
	v_sub_u32_e32 v14, 29, v14
	v_and_b32_e32 v3, 7, v3
	v_cmp_eq_u16_e32 vcc, 0, v12
	v_cndmask_b32_e32 v3, v6, v3, vcc
	v_cndmask_b32_e32 v6, v13, v14, vcc
	v_mov_b32_e32 v12, 0x3b800000
	v_lshlrev_b32_e32 v3, 20, v3
	v_lshl_add_u32 v6, v6, 23, v12
	v_or3_b32 v6, v7, v6, v3
.LBB1_192:
	s_or_b64 exec, exec, s[6:7]
	s_nop 0
	v_mfma_f32_16x16x4f32 a[0:3], v2, v6, a[0:3]
	s_movk_i32 s4, 0x7f
	v_cmp_gt_i16_sdwa s[6:7], v8, s4 src0_sel:BYTE_0 src1_sel:DWORD
	s_mov_b64 s[4:5], 0
                                        ; implicit-def: $sgpr10
	s_and_saveexec_b64 s[8:9], s[6:7]
	s_xor_b64 s[6:7], exec, s[8:9]
	s_cbranch_execnz .LBB1_2241
; %bb.193:
	s_or_saveexec_b64 s[6:7], s[6:7]
	v_mov_b32_e32 v2, s10
	s_xor_b64 exec, exec, s[6:7]
	s_cbranch_execnz .LBB1_2244
.LBB1_194:
	s_or_b64 exec, exec, s[6:7]
	s_and_saveexec_b64 s[6:7], s[4:5]
	s_cbranch_execz .LBB1_196
.LBB1_195:
	v_and_b32_e32 v2, 7, v8
	v_ffbh_u32_e32 v6, v2
	v_min_u32_e32 v6, 32, v6
	v_lshrrev_b16_e32 v3, 3, v8
	v_subrev_u32_e32 v7, 28, v6
	v_and_b32_e32 v3, 15, v3
	v_lshlrev_b32_e32 v7, v7, v8
	v_sub_u32_e32 v6, 29, v6
	v_and_b32_e32 v7, 7, v7
	v_cmp_eq_u16_e32 vcc, 0, v3
	v_cndmask_b32_e32 v2, v2, v7, vcc
	v_cndmask_b32_e32 v3, v3, v6, vcc
	v_lshlrev_b32_e32 v6, 24, v8
	v_mov_b32_e32 v7, 0x3b800000
	v_lshlrev_b32_e32 v2, 20, v2
	v_and_b32_e32 v6, 0x80000000, v6
	v_lshl_add_u32 v3, v3, 23, v7
	v_or3_b32 v2, v6, v3, v2
.LBB1_196:
	s_or_b64 exec, exec, s[6:7]
	s_movk_i32 s4, 0x7f
	v_cmp_gt_i16_sdwa s[6:7], v4, s4 src0_sel:BYTE_0 src1_sel:DWORD
	s_mov_b64 s[4:5], 0
                                        ; implicit-def: $sgpr10
	s_and_saveexec_b64 s[8:9], s[6:7]
	s_xor_b64 s[6:7], exec, s[8:9]
	s_cbranch_execnz .LBB1_2245
; %bb.197:
	s_or_saveexec_b64 s[6:7], s[6:7]
	v_mov_b32_e32 v3, s10
	s_xor_b64 exec, exec, s[6:7]
	s_cbranch_execnz .LBB1_2248
.LBB1_198:
	s_or_b64 exec, exec, s[6:7]
	s_and_saveexec_b64 s[6:7], s[4:5]
	s_cbranch_execz .LBB1_200
.LBB1_199:
	v_and_b32_e32 v3, 7, v4
	v_ffbh_u32_e32 v7, v3
	v_min_u32_e32 v7, 32, v7
	v_lshrrev_b16_e32 v6, 3, v4
	v_subrev_u32_e32 v12, 28, v7
	v_and_b32_e32 v6, 15, v6
	v_lshlrev_b32_e32 v12, v12, v4
	v_sub_u32_e32 v7, 29, v7
	v_and_b32_e32 v12, 7, v12
	v_cmp_eq_u16_e32 vcc, 0, v6
	v_cndmask_b32_e32 v3, v3, v12, vcc
	v_cndmask_b32_e32 v6, v6, v7, vcc
	v_lshlrev_b32_e32 v7, 24, v4
	v_mov_b32_e32 v12, 0x3b800000
	v_lshlrev_b32_e32 v3, 20, v3
	v_and_b32_e32 v7, 0x80000000, v7
	v_lshl_add_u32 v6, v6, 23, v12
	v_or3_b32 v3, v7, v6, v3
.LBB1_200:
	s_or_b64 exec, exec, s[6:7]
	s_nop 0
	v_mfma_f32_16x16x4f32 a[0:3], v2, v3, a[0:3]
	v_lshrrev_b32_e32 v3, 8, v8
	s_movk_i32 s4, 0x7f
	v_cmp_gt_i16_sdwa s[6:7], v3, s4 src0_sel:BYTE_0 src1_sel:DWORD
	s_mov_b64 s[4:5], 0
                                        ; implicit-def: $sgpr10
	s_and_saveexec_b64 s[8:9], s[6:7]
	s_xor_b64 s[6:7], exec, s[8:9]
	s_cbranch_execnz .LBB1_2249
; %bb.201:
	s_or_saveexec_b64 s[6:7], s[6:7]
	v_mov_b32_e32 v2, s10
	s_xor_b64 exec, exec, s[6:7]
	s_cbranch_execnz .LBB1_2252
.LBB1_202:
	s_or_b64 exec, exec, s[6:7]
	s_and_saveexec_b64 s[6:7], s[4:5]
	s_cbranch_execz .LBB1_204
.LBB1_203:
	v_bfe_u32 v2, v8, 8, 3
	v_ffbh_u32_e32 v7, v2
	v_min_u32_e32 v7, 32, v7
	v_lshrrev_b16_e32 v6, 3, v3
	v_subrev_u32_e32 v12, 28, v7
	v_and_b32_e32 v6, 15, v6
	v_lshlrev_b32_e32 v3, v12, v3
	v_sub_u32_e32 v7, 29, v7
	v_and_b32_e32 v3, 7, v3
	v_cmp_eq_u16_e32 vcc, 0, v6
	v_cndmask_b32_e32 v2, v2, v3, vcc
	v_cndmask_b32_e32 v3, v6, v7, vcc
	v_lshlrev_b32_e32 v6, 16, v8
	v_mov_b32_e32 v7, 0x3b800000
	v_lshlrev_b32_e32 v2, 20, v2
	v_and_b32_e32 v6, 0x80000000, v6
	v_lshl_add_u32 v3, v3, 23, v7
	v_or3_b32 v2, v6, v3, v2
.LBB1_204:
	s_or_b64 exec, exec, s[6:7]
	v_lshrrev_b32_e32 v3, 8, v4
	s_movk_i32 s4, 0x7f
	v_cmp_gt_i16_sdwa s[6:7], v3, s4 src0_sel:BYTE_0 src1_sel:DWORD
	s_mov_b64 s[4:5], 0
                                        ; implicit-def: $sgpr10
	s_and_saveexec_b64 s[8:9], s[6:7]
	s_xor_b64 s[6:7], exec, s[8:9]
	s_cbranch_execnz .LBB1_2253
; %bb.205:
	s_or_saveexec_b64 s[6:7], s[6:7]
	v_mov_b32_e32 v6, s10
	s_xor_b64 exec, exec, s[6:7]
	s_cbranch_execnz .LBB1_2256
.LBB1_206:
	s_or_b64 exec, exec, s[6:7]
	s_and_saveexec_b64 s[6:7], s[4:5]
	s_cbranch_execz .LBB1_208
.LBB1_207:
	v_bfe_u32 v6, v4, 8, 3
	v_ffbh_u32_e32 v12, v6
	v_min_u32_e32 v12, 32, v12
	v_lshrrev_b16_e32 v7, 3, v3
	v_subrev_u32_e32 v13, 28, v12
	v_and_b32_e32 v7, 15, v7
	v_lshlrev_b32_e32 v3, v13, v3
	v_sub_u32_e32 v12, 29, v12
	v_and_b32_e32 v3, 7, v3
	v_cmp_eq_u16_e32 vcc, 0, v7
	v_cndmask_b32_e32 v3, v6, v3, vcc
	v_cndmask_b32_e32 v6, v7, v12, vcc
	v_lshlrev_b32_e32 v7, 16, v4
	v_mov_b32_e32 v12, 0x3b800000
	v_lshlrev_b32_e32 v3, 20, v3
	v_and_b32_e32 v7, 0x80000000, v7
	v_lshl_add_u32 v6, v6, 23, v12
	v_or3_b32 v6, v7, v6, v3
.LBB1_208:
	s_or_b64 exec, exec, s[6:7]
	s_nop 0
	v_mfma_f32_16x16x4f32 a[0:3], v2, v6, a[0:3]
	s_movk_i32 s4, 0xff
	v_and_b32_sdwa v3, v8, s4 dst_sel:DWORD dst_unused:UNUSED_PAD src0_sel:WORD_1 src1_sel:DWORD
	s_movk_i32 s4, 0x7f
	v_cmp_lt_i16_e32 vcc, s4, v3
	s_mov_b64 s[4:5], 0
                                        ; implicit-def: $sgpr10
	s_and_saveexec_b64 s[6:7], vcc
	s_xor_b64 s[6:7], exec, s[6:7]
	s_cbranch_execnz .LBB1_2257
; %bb.209:
	s_or_saveexec_b64 s[6:7], s[6:7]
	v_mov_b32_e32 v2, s10
	s_xor_b64 exec, exec, s[6:7]
	s_cbranch_execnz .LBB1_2260
.LBB1_210:
	s_or_b64 exec, exec, s[6:7]
	s_and_saveexec_b64 s[6:7], s[4:5]
	s_cbranch_execz .LBB1_212
.LBB1_211:
	v_bfe_u32 v2, v8, 16, 3
	v_ffbh_u32_e32 v7, v2
	v_min_u32_e32 v7, 32, v7
	v_lshrrev_b32_e32 v3, 19, v8
	v_subrev_u32_e32 v12, 28, v7
	v_and_b32_e32 v3, 15, v3
	v_lshlrev_b32_sdwa v12, v12, v8 dst_sel:DWORD dst_unused:UNUSED_PAD src0_sel:DWORD src1_sel:WORD_1
	v_bfe_u32 v6, v8, 19, 4
	v_sub_u32_e32 v7, 29, v7
	v_and_b32_e32 v12, 7, v12
	v_cmp_eq_u16_e32 vcc, 0, v3
	v_cndmask_b32_e32 v2, v2, v12, vcc
	v_cndmask_b32_e32 v3, v6, v7, vcc
	v_lshlrev_b32_e32 v6, 8, v8
	v_mov_b32_e32 v7, 0x3b800000
	v_lshlrev_b32_e32 v2, 20, v2
	v_and_b32_e32 v6, 0x80000000, v6
	v_lshl_add_u32 v3, v3, 23, v7
	v_or3_b32 v2, v6, v3, v2
.LBB1_212:
	s_or_b64 exec, exec, s[6:7]
	s_movk_i32 s4, 0xff
	v_and_b32_sdwa v3, v4, s4 dst_sel:DWORD dst_unused:UNUSED_PAD src0_sel:WORD_1 src1_sel:DWORD
	s_movk_i32 s4, 0x7f
	v_cmp_lt_i16_e32 vcc, s4, v3
	s_mov_b64 s[4:5], 0
                                        ; implicit-def: $sgpr10
	s_and_saveexec_b64 s[6:7], vcc
	s_xor_b64 s[6:7], exec, s[6:7]
	s_cbranch_execnz .LBB1_2261
; %bb.213:
	s_or_saveexec_b64 s[6:7], s[6:7]
	v_mov_b32_e32 v6, s10
	s_xor_b64 exec, exec, s[6:7]
	s_cbranch_execnz .LBB1_2264
.LBB1_214:
	s_or_b64 exec, exec, s[6:7]
	s_and_saveexec_b64 s[6:7], s[4:5]
	s_cbranch_execz .LBB1_216
.LBB1_215:
	v_bfe_u32 v3, v4, 16, 3
	v_ffbh_u32_e32 v12, v3
	v_min_u32_e32 v12, 32, v12
	v_lshrrev_b32_e32 v6, 19, v4
	v_subrev_u32_e32 v13, 28, v12
	v_and_b32_e32 v6, 15, v6
	v_lshlrev_b32_sdwa v13, v13, v4 dst_sel:DWORD dst_unused:UNUSED_PAD src0_sel:DWORD src1_sel:WORD_1
	v_bfe_u32 v7, v4, 19, 4
	v_sub_u32_e32 v12, 29, v12
	v_and_b32_e32 v13, 7, v13
	v_cmp_eq_u16_e32 vcc, 0, v6
	v_cndmask_b32_e32 v3, v3, v13, vcc
	v_cndmask_b32_e32 v6, v7, v12, vcc
	v_lshlrev_b32_e32 v7, 8, v4
	v_mov_b32_e32 v12, 0x3b800000
	v_lshlrev_b32_e32 v3, 20, v3
	v_and_b32_e32 v7, 0x80000000, v7
	v_lshl_add_u32 v6, v6, 23, v12
	v_or3_b32 v6, v7, v6, v3
.LBB1_216:
	s_or_b64 exec, exec, s[6:7]
	s_nop 0
	v_mfma_f32_16x16x4f32 a[0:3], v2, v6, a[0:3]
	s_movk_i32 s4, 0x7f
	v_cmp_gt_i16_sdwa s[6:7], v8, s4 src0_sel:BYTE_3 src1_sel:DWORD
	s_mov_b64 s[4:5], 0
                                        ; implicit-def: $sgpr10
	s_and_saveexec_b64 s[8:9], s[6:7]
	s_xor_b64 s[6:7], exec, s[8:9]
	s_cbranch_execnz .LBB1_2265
; %bb.217:
	s_or_saveexec_b64 s[6:7], s[6:7]
	v_mov_b32_e32 v2, s10
	s_xor_b64 exec, exec, s[6:7]
	s_cbranch_execnz .LBB1_2268
.LBB1_218:
	s_or_b64 exec, exec, s[6:7]
	s_and_saveexec_b64 s[6:7], s[4:5]
	s_cbranch_execz .LBB1_220
.LBB1_219:
	v_bfe_u32 v2, v8, 24, 3
	v_ffbh_u32_e32 v12, v2
	v_min_u32_e32 v12, 32, v12
	v_lshrrev_b32_e32 v6, 27, v8
	v_subrev_u32_e32 v13, 28, v12
	v_and_b32_e32 v3, 0x80000000, v8
	v_and_b32_e32 v6, 15, v6
	v_bfe_u32 v7, v8, 27, 4
	v_lshlrev_b32_sdwa v8, v13, v8 dst_sel:DWORD dst_unused:UNUSED_PAD src0_sel:DWORD src1_sel:BYTE_3
	v_sub_u32_e32 v12, 29, v12
	v_and_b32_e32 v8, 7, v8
	v_cmp_eq_u16_e32 vcc, 0, v6
	v_cndmask_b32_e32 v2, v2, v8, vcc
	v_cndmask_b32_e32 v6, v7, v12, vcc
	v_mov_b32_e32 v7, 0x3b800000
	v_lshlrev_b32_e32 v2, 20, v2
	v_lshl_add_u32 v6, v6, 23, v7
	v_or3_b32 v2, v3, v6, v2
.LBB1_220:
	s_or_b64 exec, exec, s[6:7]
	s_movk_i32 s4, 0x7f
	v_cmp_gt_i16_sdwa s[6:7], v4, s4 src0_sel:BYTE_3 src1_sel:DWORD
	s_mov_b64 s[4:5], 0
                                        ; implicit-def: $sgpr10
	s_and_saveexec_b64 s[8:9], s[6:7]
	s_xor_b64 s[6:7], exec, s[8:9]
	s_cbranch_execnz .LBB1_2269
; %bb.221:
	s_or_saveexec_b64 s[6:7], s[6:7]
	v_mov_b32_e32 v3, s10
	s_xor_b64 exec, exec, s[6:7]
	s_cbranch_execnz .LBB1_2272
.LBB1_222:
	s_or_b64 exec, exec, s[6:7]
	s_and_saveexec_b64 s[6:7], s[4:5]
	s_cbranch_execz .LBB1_224
.LBB1_223:
	v_bfe_u32 v3, v4, 24, 3
	v_ffbh_u32_e32 v12, v3
	v_min_u32_e32 v12, 32, v12
	v_lshrrev_b32_e32 v7, 27, v4
	v_subrev_u32_e32 v13, 28, v12
	v_and_b32_e32 v6, 0x80000000, v4
	v_and_b32_e32 v7, 15, v7
	v_bfe_u32 v8, v4, 27, 4
	v_lshlrev_b32_sdwa v4, v13, v4 dst_sel:DWORD dst_unused:UNUSED_PAD src0_sel:DWORD src1_sel:BYTE_3
	v_sub_u32_e32 v12, 29, v12
	v_and_b32_e32 v4, 7, v4
	v_cmp_eq_u16_e32 vcc, 0, v7
	v_cndmask_b32_e32 v3, v3, v4, vcc
	v_cndmask_b32_e32 v4, v8, v12, vcc
	v_mov_b32_e32 v7, 0x3b800000
	v_lshlrev_b32_e32 v3, 20, v3
	v_lshl_add_u32 v4, v4, 23, v7
	v_or3_b32 v3, v6, v4, v3
.LBB1_224:
	s_or_b64 exec, exec, s[6:7]
	s_nop 0
	v_mfma_f32_16x16x4f32 a[0:3], v2, v3, a[0:3]
	s_movk_i32 s4, 0x7f
	v_cmp_gt_i16_sdwa s[6:7], v9, s4 src0_sel:BYTE_0 src1_sel:DWORD
	s_mov_b64 s[4:5], 0
                                        ; implicit-def: $sgpr10
	s_and_saveexec_b64 s[8:9], s[6:7]
	s_xor_b64 s[6:7], exec, s[8:9]
	s_cbranch_execnz .LBB1_2273
; %bb.225:
	s_or_saveexec_b64 s[6:7], s[6:7]
	v_mov_b32_e32 v2, s10
	s_xor_b64 exec, exec, s[6:7]
	s_cbranch_execnz .LBB1_2276
.LBB1_226:
	s_or_b64 exec, exec, s[6:7]
	s_and_saveexec_b64 s[6:7], s[4:5]
	s_cbranch_execz .LBB1_228
.LBB1_227:
	v_mov_b32_e32 v2, 8
	v_and_b32_e32 v3, 7, v9
	v_lshrrev_b32_sdwa v2, v2, v9 dst_sel:BYTE_1 dst_unused:UNUSED_PAD src0_sel:DWORD src1_sel:DWORD
	v_ffbh_u32_e32 v4, v3
	v_or_b32_sdwa v2, v9, v2 dst_sel:DWORD dst_unused:UNUSED_PAD src0_sel:BYTE_0 src1_sel:DWORD
	v_min_u32_e32 v4, 32, v4
	v_lshrrev_b16_e32 v2, 3, v2
	v_subrev_u32_e32 v6, 28, v4
	v_and_b32_e32 v2, 15, v2
	v_lshlrev_b32_e32 v6, v6, v9
	v_sub_u32_e32 v4, 29, v4
	v_and_b32_e32 v6, 7, v6
	v_cmp_eq_u16_e32 vcc, 0, v2
	v_cndmask_b32_e32 v3, v3, v6, vcc
	v_cndmask_b32_e32 v2, v2, v4, vcc
	v_lshlrev_b32_e32 v4, 24, v9
	v_mov_b32_e32 v6, 0x3b800000
	v_lshlrev_b32_e32 v3, 20, v3
	v_and_b32_e32 v4, 0x80000000, v4
	v_lshl_add_u32 v2, v2, 23, v6
	v_or3_b32 v2, v4, v2, v3
.LBB1_228:
	s_or_b64 exec, exec, s[6:7]
	s_movk_i32 s4, 0x7f
	v_cmp_gt_i16_sdwa s[6:7], v5, s4 src0_sel:BYTE_0 src1_sel:DWORD
	s_mov_b64 s[4:5], 0
                                        ; implicit-def: $sgpr10
	s_and_saveexec_b64 s[8:9], s[6:7]
	s_xor_b64 s[6:7], exec, s[8:9]
	s_cbranch_execnz .LBB1_2277
; %bb.229:
	s_or_saveexec_b64 s[6:7], s[6:7]
	v_mov_b32_e32 v3, s10
	s_xor_b64 exec, exec, s[6:7]
	s_cbranch_execnz .LBB1_2280
.LBB1_230:
	s_or_b64 exec, exec, s[6:7]
	s_and_saveexec_b64 s[6:7], s[4:5]
	s_cbranch_execz .LBB1_232
.LBB1_231:
	v_mov_b32_e32 v3, 8
	v_and_b32_e32 v4, 7, v5
	v_lshrrev_b32_sdwa v3, v3, v5 dst_sel:BYTE_1 dst_unused:UNUSED_PAD src0_sel:DWORD src1_sel:DWORD
	v_ffbh_u32_e32 v6, v4
	v_or_b32_sdwa v3, v5, v3 dst_sel:DWORD dst_unused:UNUSED_PAD src0_sel:BYTE_0 src1_sel:DWORD
	v_min_u32_e32 v6, 32, v6
	v_lshrrev_b16_e32 v3, 3, v3
	v_subrev_u32_e32 v7, 28, v6
	v_and_b32_e32 v3, 15, v3
	v_lshlrev_b32_e32 v7, v7, v5
	v_sub_u32_e32 v6, 29, v6
	v_and_b32_e32 v7, 7, v7
	v_cmp_eq_u16_e32 vcc, 0, v3
	v_cndmask_b32_e32 v4, v4, v7, vcc
	v_cndmask_b32_e32 v3, v3, v6, vcc
	v_lshlrev_b32_e32 v6, 24, v5
	v_mov_b32_e32 v7, 0x3b800000
	v_lshlrev_b32_e32 v4, 20, v4
	v_and_b32_e32 v6, 0x80000000, v6
	v_lshl_add_u32 v3, v3, 23, v7
	v_or3_b32 v3, v6, v3, v4
.LBB1_232:
	s_or_b64 exec, exec, s[6:7]
	s_nop 0
	v_mfma_f32_16x16x4f32 a[0:3], v2, v3, a[0:3]
	v_lshrrev_b32_e32 v3, 8, v9
	s_movk_i32 s4, 0x7f
	v_cmp_gt_i16_sdwa s[6:7], v3, s4 src0_sel:BYTE_0 src1_sel:DWORD
	s_mov_b64 s[4:5], 0
                                        ; implicit-def: $sgpr10
	s_and_saveexec_b64 s[8:9], s[6:7]
	s_xor_b64 s[6:7], exec, s[8:9]
	s_cbranch_execnz .LBB1_2281
; %bb.233:
	s_or_saveexec_b64 s[6:7], s[6:7]
	v_mov_b32_e32 v2, s10
	s_xor_b64 exec, exec, s[6:7]
	s_cbranch_execnz .LBB1_2284
.LBB1_234:
	s_or_b64 exec, exec, s[6:7]
	s_and_saveexec_b64 s[6:7], s[4:5]
	s_cbranch_execz .LBB1_236
.LBB1_235:
	v_bfe_u32 v2, v9, 8, 3
	v_ffbh_u32_e32 v6, v2
	v_min_u32_e32 v6, 32, v6
	v_lshrrev_b16_e32 v4, 3, v3
	v_subrev_u32_e32 v7, 28, v6
	v_and_b32_e32 v4, 15, v4
	v_lshlrev_b32_e32 v3, v7, v3
	v_sub_u32_e32 v6, 29, v6
	v_and_b32_e32 v3, 7, v3
	v_cmp_eq_u16_e32 vcc, 0, v4
	v_cndmask_b32_e32 v2, v2, v3, vcc
	v_cndmask_b32_e32 v3, v4, v6, vcc
	v_lshlrev_b32_e32 v4, 16, v9
	v_mov_b32_e32 v6, 0x3b800000
	v_lshlrev_b32_e32 v2, 20, v2
	v_and_b32_e32 v4, 0x80000000, v4
	v_lshl_add_u32 v3, v3, 23, v6
	v_or3_b32 v2, v4, v3, v2
.LBB1_236:
	s_or_b64 exec, exec, s[6:7]
	v_lshrrev_b32_e32 v3, 8, v5
	s_movk_i32 s4, 0x7f
	v_cmp_gt_i16_sdwa s[6:7], v3, s4 src0_sel:BYTE_0 src1_sel:DWORD
	s_mov_b64 s[4:5], 0
                                        ; implicit-def: $sgpr10
	s_and_saveexec_b64 s[8:9], s[6:7]
	s_xor_b64 s[6:7], exec, s[8:9]
	s_cbranch_execnz .LBB1_2285
; %bb.237:
	s_or_saveexec_b64 s[6:7], s[6:7]
	v_mov_b32_e32 v4, s10
	s_xor_b64 exec, exec, s[6:7]
	s_cbranch_execnz .LBB1_2288
.LBB1_238:
	s_or_b64 exec, exec, s[6:7]
	s_and_saveexec_b64 s[6:7], s[4:5]
	s_cbranch_execz .LBB1_240
.LBB1_239:
	v_bfe_u32 v4, v5, 8, 3
	v_ffbh_u32_e32 v7, v4
	v_min_u32_e32 v7, 32, v7
	v_lshrrev_b16_e32 v6, 3, v3
	v_subrev_u32_e32 v8, 28, v7
	v_and_b32_e32 v6, 15, v6
	v_lshlrev_b32_e32 v3, v8, v3
	v_sub_u32_e32 v7, 29, v7
	v_and_b32_e32 v3, 7, v3
	v_cmp_eq_u16_e32 vcc, 0, v6
	v_cndmask_b32_e32 v3, v4, v3, vcc
	v_cndmask_b32_e32 v4, v6, v7, vcc
	v_lshlrev_b32_e32 v6, 16, v5
	v_mov_b32_e32 v7, 0x3b800000
	v_lshlrev_b32_e32 v3, 20, v3
	v_and_b32_e32 v6, 0x80000000, v6
	v_lshl_add_u32 v4, v4, 23, v7
	v_or3_b32 v4, v6, v4, v3
.LBB1_240:
	s_or_b64 exec, exec, s[6:7]
	s_nop 0
	v_mfma_f32_16x16x4f32 a[0:3], v2, v4, a[0:3]
	s_movk_i32 s4, 0xff
	v_and_b32_sdwa v3, v9, s4 dst_sel:DWORD dst_unused:UNUSED_PAD src0_sel:WORD_1 src1_sel:DWORD
	s_movk_i32 s4, 0x7f
	v_cmp_lt_i16_e32 vcc, s4, v3
	s_mov_b64 s[4:5], 0
                                        ; implicit-def: $sgpr10
	s_and_saveexec_b64 s[6:7], vcc
	s_xor_b64 s[6:7], exec, s[6:7]
	s_cbranch_execnz .LBB1_2289
; %bb.241:
	s_or_saveexec_b64 s[6:7], s[6:7]
	v_mov_b32_e32 v2, s10
	s_xor_b64 exec, exec, s[6:7]
	s_cbranch_execnz .LBB1_2292
.LBB1_242:
	s_or_b64 exec, exec, s[6:7]
	s_and_saveexec_b64 s[6:7], s[4:5]
	s_cbranch_execz .LBB1_244
.LBB1_243:
	v_bfe_u32 v2, v9, 16, 3
	v_ffbh_u32_e32 v6, v2
	v_min_u32_e32 v6, 32, v6
	v_lshrrev_b32_e32 v3, 19, v9
	v_subrev_u32_e32 v7, 28, v6
	v_and_b32_e32 v3, 15, v3
	v_lshlrev_b32_sdwa v7, v7, v9 dst_sel:DWORD dst_unused:UNUSED_PAD src0_sel:DWORD src1_sel:WORD_1
	v_bfe_u32 v4, v9, 19, 4
	v_sub_u32_e32 v6, 29, v6
	v_and_b32_e32 v7, 7, v7
	v_cmp_eq_u16_e32 vcc, 0, v3
	v_cndmask_b32_e32 v2, v2, v7, vcc
	v_cndmask_b32_e32 v3, v4, v6, vcc
	v_lshlrev_b32_e32 v4, 8, v9
	v_mov_b32_e32 v6, 0x3b800000
	v_lshlrev_b32_e32 v2, 20, v2
	v_and_b32_e32 v4, 0x80000000, v4
	v_lshl_add_u32 v3, v3, 23, v6
	v_or3_b32 v2, v4, v3, v2
.LBB1_244:
	s_or_b64 exec, exec, s[6:7]
	s_movk_i32 s4, 0xff
	v_and_b32_sdwa v3, v5, s4 dst_sel:DWORD dst_unused:UNUSED_PAD src0_sel:WORD_1 src1_sel:DWORD
	s_movk_i32 s4, 0x7f
	v_cmp_lt_i16_e32 vcc, s4, v3
	s_mov_b64 s[4:5], 0
                                        ; implicit-def: $sgpr10
	s_and_saveexec_b64 s[6:7], vcc
	s_xor_b64 s[6:7], exec, s[6:7]
	s_cbranch_execnz .LBB1_2293
; %bb.245:
	s_or_saveexec_b64 s[6:7], s[6:7]
	v_mov_b32_e32 v4, s10
	s_xor_b64 exec, exec, s[6:7]
	s_cbranch_execnz .LBB1_2296
.LBB1_246:
	s_or_b64 exec, exec, s[6:7]
	s_and_saveexec_b64 s[6:7], s[4:5]
	s_cbranch_execz .LBB1_248
.LBB1_247:
	v_bfe_u32 v3, v5, 16, 3
	v_ffbh_u32_e32 v7, v3
	v_min_u32_e32 v7, 32, v7
	v_lshrrev_b32_e32 v4, 19, v5
	v_subrev_u32_e32 v8, 28, v7
	v_and_b32_e32 v4, 15, v4
	v_lshlrev_b32_sdwa v8, v8, v5 dst_sel:DWORD dst_unused:UNUSED_PAD src0_sel:DWORD src1_sel:WORD_1
	v_bfe_u32 v6, v5, 19, 4
	v_sub_u32_e32 v7, 29, v7
	v_and_b32_e32 v8, 7, v8
	v_cmp_eq_u16_e32 vcc, 0, v4
	v_cndmask_b32_e32 v3, v3, v8, vcc
	v_cndmask_b32_e32 v4, v6, v7, vcc
	v_lshlrev_b32_e32 v6, 8, v5
	v_mov_b32_e32 v7, 0x3b800000
	v_lshlrev_b32_e32 v3, 20, v3
	v_and_b32_e32 v6, 0x80000000, v6
	v_lshl_add_u32 v4, v4, 23, v7
	v_or3_b32 v4, v6, v4, v3
.LBB1_248:
	s_or_b64 exec, exec, s[6:7]
	s_nop 0
	v_mfma_f32_16x16x4f32 a[0:3], v2, v4, a[0:3]
	s_movk_i32 s4, 0x7f
	v_cmp_gt_i16_sdwa s[6:7], v9, s4 src0_sel:BYTE_3 src1_sel:DWORD
	s_mov_b64 s[4:5], 0
                                        ; implicit-def: $sgpr10
	s_and_saveexec_b64 s[8:9], s[6:7]
	s_xor_b64 s[6:7], exec, s[8:9]
	s_cbranch_execnz .LBB1_2297
; %bb.249:
	s_or_saveexec_b64 s[6:7], s[6:7]
	v_mov_b32_e32 v2, s10
	s_xor_b64 exec, exec, s[6:7]
	s_cbranch_execnz .LBB1_2300
.LBB1_250:
	s_or_b64 exec, exec, s[6:7]
	s_and_saveexec_b64 s[6:7], s[4:5]
	s_cbranch_execz .LBB1_252
.LBB1_251:
	v_bfe_u32 v2, v9, 24, 3
	v_ffbh_u32_e32 v7, v2
	v_min_u32_e32 v7, 32, v7
	v_lshrrev_b32_e32 v4, 27, v9
	v_subrev_u32_e32 v8, 28, v7
	v_and_b32_e32 v4, 15, v4
	v_lshlrev_b32_sdwa v8, v8, v9 dst_sel:DWORD dst_unused:UNUSED_PAD src0_sel:DWORD src1_sel:BYTE_3
	v_bfe_u32 v6, v9, 27, 4
	v_sub_u32_e32 v7, 29, v7
	v_and_b32_e32 v8, 7, v8
	v_cmp_eq_u16_e32 vcc, 0, v4
	v_cndmask_b32_e32 v2, v2, v8, vcc
	v_cndmask_b32_e32 v4, v6, v7, vcc
	v_mov_b32_e32 v6, 0x3b800000
	v_and_b32_e32 v3, 0x80000000, v9
	v_lshlrev_b32_e32 v2, 20, v2
	v_lshl_add_u32 v4, v4, 23, v6
	v_or3_b32 v2, v3, v4, v2
.LBB1_252:
	s_or_b64 exec, exec, s[6:7]
	s_movk_i32 s4, 0x7f
	v_cmp_gt_i16_sdwa s[6:7], v5, s4 src0_sel:BYTE_3 src1_sel:DWORD
	s_mov_b64 s[4:5], 0
                                        ; implicit-def: $sgpr10
	s_and_saveexec_b64 s[8:9], s[6:7]
	s_xor_b64 s[6:7], exec, s[8:9]
	s_cbranch_execnz .LBB1_2301
; %bb.253:
	s_or_saveexec_b64 s[6:7], s[6:7]
	v_mov_b32_e32 v3, s10
	s_xor_b64 exec, exec, s[6:7]
	s_cbranch_execnz .LBB1_2304
.LBB1_254:
	s_or_b64 exec, exec, s[6:7]
	s_and_saveexec_b64 s[6:7], s[4:5]
	s_cbranch_execz .LBB1_256
.LBB1_255:
	v_bfe_u32 v3, v5, 24, 3
	v_ffbh_u32_e32 v8, v3
	v_min_u32_e32 v8, 32, v8
	v_lshrrev_b32_e32 v6, 27, v5
	v_subrev_u32_e32 v9, 28, v8
	v_and_b32_e32 v4, 0x80000000, v5
	v_and_b32_e32 v6, 15, v6
	v_bfe_u32 v7, v5, 27, 4
	v_lshlrev_b32_sdwa v5, v9, v5 dst_sel:DWORD dst_unused:UNUSED_PAD src0_sel:DWORD src1_sel:BYTE_3
	v_sub_u32_e32 v8, 29, v8
	v_and_b32_e32 v5, 7, v5
	v_cmp_eq_u16_e32 vcc, 0, v6
	v_cndmask_b32_e32 v3, v3, v5, vcc
	v_cndmask_b32_e32 v5, v7, v8, vcc
	v_mov_b32_e32 v6, 0x3b800000
	v_lshlrev_b32_e32 v3, 20, v3
	v_lshl_add_u32 v5, v5, 23, v6
	v_or3_b32 v3, v4, v5, v3
.LBB1_256:
	s_or_b64 exec, exec, s[6:7]
	s_nop 0
	v_mfma_f32_16x16x4f32 a[0:3], v2, v3, a[0:3]
	s_movk_i32 s4, 0x7f
                                        ; implicit-def: $sgpr10
	s_nop 7
	s_nop 1
	flat_store_dwordx4 v[10:11], a[0:3] offset:16
	flat_load_dwordx4 v[12:15], v[0:1] offset:8
	s_nop 0
	flat_load_dwordx2 v[10:11], v[0:1] offset:32
	s_waitcnt vmcnt(0) lgkmcnt(0)
	flat_load_dwordx4 v[6:9], v[12:13]
	flat_load_dwordx4 v[2:5], v[14:15] offset:64
	s_waitcnt vmcnt(0) lgkmcnt(0)
	v_cmp_gt_i16_sdwa s[6:7], v6, s4 src0_sel:BYTE_0 src1_sel:DWORD
	s_mov_b64 s[4:5], 0
	s_and_saveexec_b64 s[8:9], s[6:7]
	s_xor_b64 s[6:7], exec, s[8:9]
	s_cbranch_execnz .LBB1_2305
; %bb.257:
	s_or_saveexec_b64 s[6:7], s[6:7]
	v_mov_b32_e32 v12, s10
	s_xor_b64 exec, exec, s[6:7]
	s_cbranch_execnz .LBB1_2308
.LBB1_258:
	s_or_b64 exec, exec, s[6:7]
	s_and_saveexec_b64 s[6:7], s[4:5]
	s_cbranch_execz .LBB1_260
.LBB1_259:
	v_and_b32_e32 v12, 7, v6
	v_ffbh_u32_e32 v14, v12
	v_min_u32_e32 v14, 32, v14
	v_lshrrev_b16_e32 v13, 3, v6
	v_subrev_u32_e32 v15, 28, v14
	v_and_b32_e32 v13, 15, v13
	v_lshlrev_b32_e32 v15, v15, v6
	v_sub_u32_e32 v14, 29, v14
	v_and_b32_e32 v15, 7, v15
	v_cmp_eq_u16_e32 vcc, 0, v13
	v_cndmask_b32_e32 v12, v12, v15, vcc
	v_cndmask_b32_e32 v13, v13, v14, vcc
	v_lshlrev_b32_e32 v14, 24, v6
	v_mov_b32_e32 v15, 0x3b800000
	v_lshlrev_b32_e32 v12, 20, v12
	v_and_b32_e32 v14, 0x80000000, v14
	v_lshl_add_u32 v13, v13, 23, v15
	v_or3_b32 v12, v14, v13, v12
.LBB1_260:
	s_or_b64 exec, exec, s[6:7]
	s_movk_i32 s4, 0x7f
	v_cmp_gt_i16_sdwa s[6:7], v2, s4 src0_sel:BYTE_0 src1_sel:DWORD
	s_mov_b64 s[4:5], 0
                                        ; implicit-def: $sgpr10
	s_and_saveexec_b64 s[8:9], s[6:7]
	s_xor_b64 s[6:7], exec, s[8:9]
	s_cbranch_execnz .LBB1_2309
; %bb.261:
	s_or_saveexec_b64 s[6:7], s[6:7]
	v_mov_b32_e32 v13, s10
	s_xor_b64 exec, exec, s[6:7]
	s_cbranch_execnz .LBB1_2312
.LBB1_262:
	s_or_b64 exec, exec, s[6:7]
	s_and_saveexec_b64 s[6:7], s[4:5]
	s_cbranch_execz .LBB1_264
.LBB1_263:
	v_and_b32_e32 v13, 7, v2
	v_ffbh_u32_e32 v15, v13
	v_min_u32_e32 v15, 32, v15
	v_lshrrev_b16_e32 v14, 3, v2
	v_subrev_u32_e32 v16, 28, v15
	v_and_b32_e32 v14, 15, v14
	v_lshlrev_b32_e32 v16, v16, v2
	v_sub_u32_e32 v15, 29, v15
	v_and_b32_e32 v16, 7, v16
	v_cmp_eq_u16_e32 vcc, 0, v14
	v_cndmask_b32_e32 v13, v13, v16, vcc
	v_cndmask_b32_e32 v14, v14, v15, vcc
	v_lshlrev_b32_e32 v15, 24, v2
	v_mov_b32_e32 v16, 0x3b800000
	v_lshlrev_b32_e32 v13, 20, v13
	v_and_b32_e32 v15, 0x80000000, v15
	v_lshl_add_u32 v14, v14, 23, v16
	v_or3_b32 v13, v15, v14, v13
.LBB1_264:
	s_or_b64 exec, exec, s[6:7]
	flat_load_dwordx4 a[0:3], v[10:11] offset:32
	s_movk_i32 s4, 0x7f
                                        ; implicit-def: $sgpr10
	s_waitcnt vmcnt(0) lgkmcnt(0)
	v_mfma_f32_16x16x4f32 a[0:3], v12, v13, a[0:3]
	v_lshrrev_b32_e32 v13, 8, v6
	v_cmp_gt_i16_sdwa s[6:7], v13, s4 src0_sel:BYTE_0 src1_sel:DWORD
	s_mov_b64 s[4:5], 0
	s_and_saveexec_b64 s[8:9], s[6:7]
	s_xor_b64 s[6:7], exec, s[8:9]
	s_cbranch_execnz .LBB1_2313
; %bb.265:
	s_or_saveexec_b64 s[6:7], s[6:7]
	v_mov_b32_e32 v12, s10
	s_xor_b64 exec, exec, s[6:7]
	s_cbranch_execnz .LBB1_2316
.LBB1_266:
	s_or_b64 exec, exec, s[6:7]
	s_and_saveexec_b64 s[6:7], s[4:5]
	s_cbranch_execz .LBB1_268
.LBB1_267:
	v_bfe_u32 v12, v6, 8, 3
	v_ffbh_u32_e32 v15, v12
	v_min_u32_e32 v15, 32, v15
	v_lshrrev_b16_e32 v14, 3, v13
	v_subrev_u32_e32 v16, 28, v15
	v_and_b32_e32 v14, 15, v14
	v_lshlrev_b32_e32 v13, v16, v13
	v_sub_u32_e32 v15, 29, v15
	v_and_b32_e32 v13, 7, v13
	v_cmp_eq_u16_e32 vcc, 0, v14
	v_cndmask_b32_e32 v12, v12, v13, vcc
	v_cndmask_b32_e32 v13, v14, v15, vcc
	v_lshlrev_b32_e32 v14, 16, v6
	v_mov_b32_e32 v15, 0x3b800000
	v_lshlrev_b32_e32 v12, 20, v12
	v_and_b32_e32 v14, 0x80000000, v14
	v_lshl_add_u32 v13, v13, 23, v15
	v_or3_b32 v12, v14, v13, v12
.LBB1_268:
	s_or_b64 exec, exec, s[6:7]
	v_lshrrev_b32_e32 v13, 8, v2
	s_movk_i32 s4, 0x7f
	v_cmp_gt_i16_sdwa s[6:7], v13, s4 src0_sel:BYTE_0 src1_sel:DWORD
	s_mov_b64 s[4:5], 0
                                        ; implicit-def: $sgpr10
	s_and_saveexec_b64 s[8:9], s[6:7]
	s_xor_b64 s[6:7], exec, s[8:9]
	s_cbranch_execnz .LBB1_2317
; %bb.269:
	s_or_saveexec_b64 s[6:7], s[6:7]
	v_mov_b32_e32 v14, s10
	s_xor_b64 exec, exec, s[6:7]
	s_cbranch_execnz .LBB1_2320
.LBB1_270:
	s_or_b64 exec, exec, s[6:7]
	s_and_saveexec_b64 s[6:7], s[4:5]
	s_cbranch_execz .LBB1_272
.LBB1_271:
	v_bfe_u32 v14, v2, 8, 3
	v_ffbh_u32_e32 v16, v14
	v_min_u32_e32 v16, 32, v16
	v_lshrrev_b16_e32 v15, 3, v13
	v_subrev_u32_e32 v17, 28, v16
	v_and_b32_e32 v15, 15, v15
	v_lshlrev_b32_e32 v13, v17, v13
	v_sub_u32_e32 v16, 29, v16
	v_and_b32_e32 v13, 7, v13
	v_cmp_eq_u16_e32 vcc, 0, v15
	v_cndmask_b32_e32 v13, v14, v13, vcc
	v_cndmask_b32_e32 v14, v15, v16, vcc
	v_lshlrev_b32_e32 v15, 16, v2
	v_mov_b32_e32 v16, 0x3b800000
	v_lshlrev_b32_e32 v13, 20, v13
	v_and_b32_e32 v15, 0x80000000, v15
	v_lshl_add_u32 v14, v14, 23, v16
	v_or3_b32 v14, v15, v14, v13
.LBB1_272:
	s_or_b64 exec, exec, s[6:7]
	s_nop 0
	v_mfma_f32_16x16x4f32 a[0:3], v12, v14, a[0:3]
	s_movk_i32 s4, 0xff
	v_and_b32_sdwa v13, v6, s4 dst_sel:DWORD dst_unused:UNUSED_PAD src0_sel:WORD_1 src1_sel:DWORD
	s_movk_i32 s4, 0x7f
	v_cmp_lt_i16_e32 vcc, s4, v13
	s_mov_b64 s[4:5], 0
                                        ; implicit-def: $sgpr10
	s_and_saveexec_b64 s[6:7], vcc
	s_xor_b64 s[6:7], exec, s[6:7]
	s_cbranch_execnz .LBB1_2321
; %bb.273:
	s_or_saveexec_b64 s[6:7], s[6:7]
	v_mov_b32_e32 v12, s10
	s_xor_b64 exec, exec, s[6:7]
	s_cbranch_execnz .LBB1_2324
.LBB1_274:
	s_or_b64 exec, exec, s[6:7]
	s_and_saveexec_b64 s[6:7], s[4:5]
	s_cbranch_execz .LBB1_276
.LBB1_275:
	v_bfe_u32 v12, v6, 16, 3
	v_ffbh_u32_e32 v15, v12
	v_min_u32_e32 v15, 32, v15
	v_lshrrev_b32_e32 v13, 19, v6
	v_subrev_u32_e32 v16, 28, v15
	v_and_b32_e32 v13, 15, v13
	v_lshlrev_b32_sdwa v16, v16, v6 dst_sel:DWORD dst_unused:UNUSED_PAD src0_sel:DWORD src1_sel:WORD_1
	v_bfe_u32 v14, v6, 19, 4
	v_sub_u32_e32 v15, 29, v15
	v_and_b32_e32 v16, 7, v16
	v_cmp_eq_u16_e32 vcc, 0, v13
	v_cndmask_b32_e32 v12, v12, v16, vcc
	v_cndmask_b32_e32 v13, v14, v15, vcc
	v_lshlrev_b32_e32 v14, 8, v6
	v_mov_b32_e32 v15, 0x3b800000
	v_lshlrev_b32_e32 v12, 20, v12
	v_and_b32_e32 v14, 0x80000000, v14
	v_lshl_add_u32 v13, v13, 23, v15
	v_or3_b32 v12, v14, v13, v12
.LBB1_276:
	s_or_b64 exec, exec, s[6:7]
	s_movk_i32 s4, 0xff
	v_and_b32_sdwa v13, v2, s4 dst_sel:DWORD dst_unused:UNUSED_PAD src0_sel:WORD_1 src1_sel:DWORD
	s_movk_i32 s4, 0x7f
	v_cmp_lt_i16_e32 vcc, s4, v13
	s_mov_b64 s[4:5], 0
                                        ; implicit-def: $sgpr10
	s_and_saveexec_b64 s[6:7], vcc
	s_xor_b64 s[6:7], exec, s[6:7]
	s_cbranch_execnz .LBB1_2325
; %bb.277:
	s_or_saveexec_b64 s[6:7], s[6:7]
	v_mov_b32_e32 v14, s10
	s_xor_b64 exec, exec, s[6:7]
	s_cbranch_execnz .LBB1_2328
.LBB1_278:
	s_or_b64 exec, exec, s[6:7]
	s_and_saveexec_b64 s[6:7], s[4:5]
	s_cbranch_execz .LBB1_280
.LBB1_279:
	v_bfe_u32 v13, v2, 16, 3
	v_ffbh_u32_e32 v16, v13
	v_min_u32_e32 v16, 32, v16
	v_lshrrev_b32_e32 v14, 19, v2
	v_subrev_u32_e32 v17, 28, v16
	v_and_b32_e32 v14, 15, v14
	v_lshlrev_b32_sdwa v17, v17, v2 dst_sel:DWORD dst_unused:UNUSED_PAD src0_sel:DWORD src1_sel:WORD_1
	v_bfe_u32 v15, v2, 19, 4
	v_sub_u32_e32 v16, 29, v16
	v_and_b32_e32 v17, 7, v17
	v_cmp_eq_u16_e32 vcc, 0, v14
	v_cndmask_b32_e32 v13, v13, v17, vcc
	v_cndmask_b32_e32 v14, v15, v16, vcc
	v_lshlrev_b32_e32 v15, 8, v2
	v_mov_b32_e32 v16, 0x3b800000
	v_lshlrev_b32_e32 v13, 20, v13
	v_and_b32_e32 v15, 0x80000000, v15
	v_lshl_add_u32 v14, v14, 23, v16
	v_or3_b32 v14, v15, v14, v13
.LBB1_280:
	s_or_b64 exec, exec, s[6:7]
	s_nop 0
	v_mfma_f32_16x16x4f32 a[0:3], v12, v14, a[0:3]
	s_movk_i32 s4, 0x7f
	v_cmp_gt_i16_sdwa s[6:7], v6, s4 src0_sel:BYTE_3 src1_sel:DWORD
	s_mov_b64 s[4:5], 0
                                        ; implicit-def: $sgpr10
	s_and_saveexec_b64 s[8:9], s[6:7]
	s_xor_b64 s[6:7], exec, s[8:9]
	s_cbranch_execnz .LBB1_2329
; %bb.281:
	s_or_saveexec_b64 s[6:7], s[6:7]
	v_mov_b32_e32 v12, s10
	s_xor_b64 exec, exec, s[6:7]
	s_cbranch_execnz .LBB1_2332
.LBB1_282:
	s_or_b64 exec, exec, s[6:7]
	s_and_saveexec_b64 s[6:7], s[4:5]
	s_cbranch_execz .LBB1_284
.LBB1_283:
	v_bfe_u32 v12, v6, 24, 3
	v_ffbh_u32_e32 v16, v12
	v_min_u32_e32 v16, 32, v16
	v_lshrrev_b32_e32 v14, 27, v6
	v_subrev_u32_e32 v17, 28, v16
	v_and_b32_e32 v13, 0x80000000, v6
	v_and_b32_e32 v14, 15, v14
	v_bfe_u32 v15, v6, 27, 4
	v_lshlrev_b32_sdwa v6, v17, v6 dst_sel:DWORD dst_unused:UNUSED_PAD src0_sel:DWORD src1_sel:BYTE_3
	v_sub_u32_e32 v16, 29, v16
	v_and_b32_e32 v6, 7, v6
	v_cmp_eq_u16_e32 vcc, 0, v14
	v_cndmask_b32_e32 v6, v12, v6, vcc
	v_cndmask_b32_e32 v12, v15, v16, vcc
	v_mov_b32_e32 v14, 0x3b800000
	v_lshlrev_b32_e32 v6, 20, v6
	v_lshl_add_u32 v12, v12, 23, v14
	v_or3_b32 v12, v13, v12, v6
.LBB1_284:
	s_or_b64 exec, exec, s[6:7]
	s_movk_i32 s4, 0x7f
	v_cmp_gt_i16_sdwa s[6:7], v2, s4 src0_sel:BYTE_3 src1_sel:DWORD
	s_mov_b64 s[4:5], 0
                                        ; implicit-def: $sgpr10
	s_and_saveexec_b64 s[8:9], s[6:7]
	s_xor_b64 s[6:7], exec, s[8:9]
	s_cbranch_execnz .LBB1_2333
; %bb.285:
	s_or_saveexec_b64 s[6:7], s[6:7]
	v_mov_b32_e32 v6, s10
	s_xor_b64 exec, exec, s[6:7]
	s_cbranch_execnz .LBB1_2336
.LBB1_286:
	s_or_b64 exec, exec, s[6:7]
	s_and_saveexec_b64 s[6:7], s[4:5]
	s_cbranch_execz .LBB1_288
.LBB1_287:
	v_bfe_u32 v6, v2, 24, 3
	v_ffbh_u32_e32 v16, v6
	v_min_u32_e32 v16, 32, v16
	v_lshrrev_b32_e32 v14, 27, v2
	v_subrev_u32_e32 v17, 28, v16
	v_and_b32_e32 v13, 0x80000000, v2
	v_and_b32_e32 v14, 15, v14
	v_bfe_u32 v15, v2, 27, 4
	v_lshlrev_b32_sdwa v2, v17, v2 dst_sel:DWORD dst_unused:UNUSED_PAD src0_sel:DWORD src1_sel:BYTE_3
	v_sub_u32_e32 v16, 29, v16
	v_and_b32_e32 v2, 7, v2
	v_cmp_eq_u16_e32 vcc, 0, v14
	v_cndmask_b32_e32 v2, v6, v2, vcc
	v_cndmask_b32_e32 v6, v15, v16, vcc
	v_mov_b32_e32 v14, 0x3b800000
	v_lshlrev_b32_e32 v2, 20, v2
	v_lshl_add_u32 v6, v6, 23, v14
	v_or3_b32 v6, v13, v6, v2
.LBB1_288:
	s_or_b64 exec, exec, s[6:7]
	s_nop 0
	v_mfma_f32_16x16x4f32 a[0:3], v12, v6, a[0:3]
	s_movk_i32 s4, 0x7f
	v_cmp_gt_i16_sdwa s[6:7], v7, s4 src0_sel:BYTE_0 src1_sel:DWORD
	s_mov_b64 s[4:5], 0
                                        ; implicit-def: $sgpr10
	s_and_saveexec_b64 s[8:9], s[6:7]
	s_xor_b64 s[6:7], exec, s[8:9]
	s_cbranch_execnz .LBB1_2337
; %bb.289:
	s_or_saveexec_b64 s[6:7], s[6:7]
	v_mov_b32_e32 v2, s10
	s_xor_b64 exec, exec, s[6:7]
	s_cbranch_execnz .LBB1_2340
.LBB1_290:
	s_or_b64 exec, exec, s[6:7]
	s_and_saveexec_b64 s[6:7], s[4:5]
	s_cbranch_execz .LBB1_292
.LBB1_291:
	v_and_b32_e32 v2, 7, v7
	v_ffbh_u32_e32 v12, v2
	v_min_u32_e32 v12, 32, v12
	v_lshrrev_b16_e32 v6, 3, v7
	v_subrev_u32_e32 v13, 28, v12
	v_and_b32_e32 v6, 15, v6
	v_lshlrev_b32_e32 v13, v13, v7
	v_sub_u32_e32 v12, 29, v12
	v_and_b32_e32 v13, 7, v13
	v_cmp_eq_u16_e32 vcc, 0, v6
	v_cndmask_b32_e32 v2, v2, v13, vcc
	v_cndmask_b32_e32 v6, v6, v12, vcc
	v_lshlrev_b32_e32 v12, 24, v7
	v_mov_b32_e32 v13, 0x3b800000
	v_lshlrev_b32_e32 v2, 20, v2
	v_and_b32_e32 v12, 0x80000000, v12
	v_lshl_add_u32 v6, v6, 23, v13
	v_or3_b32 v2, v12, v6, v2
.LBB1_292:
	s_or_b64 exec, exec, s[6:7]
	s_movk_i32 s4, 0x7f
	v_cmp_gt_i16_sdwa s[6:7], v3, s4 src0_sel:BYTE_0 src1_sel:DWORD
	s_mov_b64 s[4:5], 0
                                        ; implicit-def: $sgpr10
	s_and_saveexec_b64 s[8:9], s[6:7]
	s_xor_b64 s[6:7], exec, s[8:9]
	s_cbranch_execnz .LBB1_2341
; %bb.293:
	s_or_saveexec_b64 s[6:7], s[6:7]
	v_mov_b32_e32 v6, s10
	s_xor_b64 exec, exec, s[6:7]
	s_cbranch_execnz .LBB1_2344
.LBB1_294:
	s_or_b64 exec, exec, s[6:7]
	s_and_saveexec_b64 s[6:7], s[4:5]
	s_cbranch_execz .LBB1_296
.LBB1_295:
	v_and_b32_e32 v6, 7, v3
	v_ffbh_u32_e32 v13, v6
	v_min_u32_e32 v13, 32, v13
	v_lshrrev_b16_e32 v12, 3, v3
	v_subrev_u32_e32 v14, 28, v13
	v_and_b32_e32 v12, 15, v12
	v_lshlrev_b32_e32 v14, v14, v3
	v_sub_u32_e32 v13, 29, v13
	v_and_b32_e32 v14, 7, v14
	v_cmp_eq_u16_e32 vcc, 0, v12
	v_cndmask_b32_e32 v6, v6, v14, vcc
	v_cndmask_b32_e32 v12, v12, v13, vcc
	v_lshlrev_b32_e32 v13, 24, v3
	v_mov_b32_e32 v14, 0x3b800000
	v_lshlrev_b32_e32 v6, 20, v6
	v_and_b32_e32 v13, 0x80000000, v13
	v_lshl_add_u32 v12, v12, 23, v14
	v_or3_b32 v6, v13, v12, v6
.LBB1_296:
	s_or_b64 exec, exec, s[6:7]
	s_nop 0
	v_mfma_f32_16x16x4f32 a[0:3], v2, v6, a[0:3]
	v_lshrrev_b32_e32 v6, 8, v7
	s_movk_i32 s4, 0x7f
	v_cmp_gt_i16_sdwa s[6:7], v6, s4 src0_sel:BYTE_0 src1_sel:DWORD
	s_mov_b64 s[4:5], 0
                                        ; implicit-def: $sgpr10
	s_and_saveexec_b64 s[8:9], s[6:7]
	s_xor_b64 s[6:7], exec, s[8:9]
	s_cbranch_execnz .LBB1_2345
; %bb.297:
	s_or_saveexec_b64 s[6:7], s[6:7]
	v_mov_b32_e32 v2, s10
	s_xor_b64 exec, exec, s[6:7]
	s_cbranch_execnz .LBB1_2348
.LBB1_298:
	s_or_b64 exec, exec, s[6:7]
	s_and_saveexec_b64 s[6:7], s[4:5]
	s_cbranch_execz .LBB1_300
.LBB1_299:
	v_bfe_u32 v2, v7, 8, 3
	v_ffbh_u32_e32 v13, v2
	v_min_u32_e32 v13, 32, v13
	v_lshrrev_b16_e32 v12, 3, v6
	v_subrev_u32_e32 v14, 28, v13
	v_and_b32_e32 v12, 15, v12
	v_lshlrev_b32_e32 v6, v14, v6
	v_sub_u32_e32 v13, 29, v13
	v_and_b32_e32 v6, 7, v6
	v_cmp_eq_u16_e32 vcc, 0, v12
	v_cndmask_b32_e32 v2, v2, v6, vcc
	v_cndmask_b32_e32 v6, v12, v13, vcc
	v_lshlrev_b32_e32 v12, 16, v7
	v_mov_b32_e32 v13, 0x3b800000
	v_lshlrev_b32_e32 v2, 20, v2
	v_and_b32_e32 v12, 0x80000000, v12
	v_lshl_add_u32 v6, v6, 23, v13
	v_or3_b32 v2, v12, v6, v2
.LBB1_300:
	s_or_b64 exec, exec, s[6:7]
	v_lshrrev_b32_e32 v6, 8, v3
	s_movk_i32 s4, 0x7f
	v_cmp_gt_i16_sdwa s[6:7], v6, s4 src0_sel:BYTE_0 src1_sel:DWORD
	s_mov_b64 s[4:5], 0
                                        ; implicit-def: $sgpr10
	s_and_saveexec_b64 s[8:9], s[6:7]
	s_xor_b64 s[6:7], exec, s[8:9]
	s_cbranch_execnz .LBB1_2349
; %bb.301:
	s_or_saveexec_b64 s[6:7], s[6:7]
	v_mov_b32_e32 v12, s10
	s_xor_b64 exec, exec, s[6:7]
	s_cbranch_execnz .LBB1_2352
.LBB1_302:
	s_or_b64 exec, exec, s[6:7]
	s_and_saveexec_b64 s[6:7], s[4:5]
	s_cbranch_execz .LBB1_304
.LBB1_303:
	v_bfe_u32 v12, v3, 8, 3
	v_ffbh_u32_e32 v14, v12
	v_min_u32_e32 v14, 32, v14
	v_lshrrev_b16_e32 v13, 3, v6
	v_subrev_u32_e32 v15, 28, v14
	v_and_b32_e32 v13, 15, v13
	v_lshlrev_b32_e32 v6, v15, v6
	v_sub_u32_e32 v14, 29, v14
	v_and_b32_e32 v6, 7, v6
	v_cmp_eq_u16_e32 vcc, 0, v13
	v_cndmask_b32_e32 v6, v12, v6, vcc
	v_cndmask_b32_e32 v12, v13, v14, vcc
	v_lshlrev_b32_e32 v13, 16, v3
	v_mov_b32_e32 v14, 0x3b800000
	v_lshlrev_b32_e32 v6, 20, v6
	v_and_b32_e32 v13, 0x80000000, v13
	v_lshl_add_u32 v12, v12, 23, v14
	v_or3_b32 v12, v13, v12, v6
.LBB1_304:
	s_or_b64 exec, exec, s[6:7]
	s_nop 0
	v_mfma_f32_16x16x4f32 a[0:3], v2, v12, a[0:3]
	s_movk_i32 s4, 0xff
	v_and_b32_sdwa v6, v7, s4 dst_sel:DWORD dst_unused:UNUSED_PAD src0_sel:WORD_1 src1_sel:DWORD
	s_movk_i32 s4, 0x7f
	v_cmp_lt_i16_e32 vcc, s4, v6
	s_mov_b64 s[4:5], 0
                                        ; implicit-def: $sgpr10
	s_and_saveexec_b64 s[6:7], vcc
	s_xor_b64 s[6:7], exec, s[6:7]
	s_cbranch_execnz .LBB1_2353
; %bb.305:
	s_or_saveexec_b64 s[6:7], s[6:7]
	v_mov_b32_e32 v2, s10
	s_xor_b64 exec, exec, s[6:7]
	s_cbranch_execnz .LBB1_2356
.LBB1_306:
	s_or_b64 exec, exec, s[6:7]
	s_and_saveexec_b64 s[6:7], s[4:5]
	s_cbranch_execz .LBB1_308
.LBB1_307:
	v_bfe_u32 v2, v7, 16, 3
	v_ffbh_u32_e32 v13, v2
	v_min_u32_e32 v13, 32, v13
	v_lshrrev_b32_e32 v6, 19, v7
	v_subrev_u32_e32 v14, 28, v13
	v_and_b32_e32 v6, 15, v6
	v_lshlrev_b32_sdwa v14, v14, v7 dst_sel:DWORD dst_unused:UNUSED_PAD src0_sel:DWORD src1_sel:WORD_1
	v_bfe_u32 v12, v7, 19, 4
	v_sub_u32_e32 v13, 29, v13
	v_and_b32_e32 v14, 7, v14
	v_cmp_eq_u16_e32 vcc, 0, v6
	v_cndmask_b32_e32 v2, v2, v14, vcc
	v_cndmask_b32_e32 v6, v12, v13, vcc
	v_lshlrev_b32_e32 v12, 8, v7
	v_mov_b32_e32 v13, 0x3b800000
	v_lshlrev_b32_e32 v2, 20, v2
	v_and_b32_e32 v12, 0x80000000, v12
	v_lshl_add_u32 v6, v6, 23, v13
	v_or3_b32 v2, v12, v6, v2
.LBB1_308:
	s_or_b64 exec, exec, s[6:7]
	s_movk_i32 s4, 0xff
	v_and_b32_sdwa v6, v3, s4 dst_sel:DWORD dst_unused:UNUSED_PAD src0_sel:WORD_1 src1_sel:DWORD
	s_movk_i32 s4, 0x7f
	v_cmp_lt_i16_e32 vcc, s4, v6
	s_mov_b64 s[4:5], 0
                                        ; implicit-def: $sgpr10
	s_and_saveexec_b64 s[6:7], vcc
	s_xor_b64 s[6:7], exec, s[6:7]
	s_cbranch_execnz .LBB1_2357
; %bb.309:
	s_or_saveexec_b64 s[6:7], s[6:7]
	v_mov_b32_e32 v12, s10
	s_xor_b64 exec, exec, s[6:7]
	s_cbranch_execnz .LBB1_2360
.LBB1_310:
	s_or_b64 exec, exec, s[6:7]
	s_and_saveexec_b64 s[6:7], s[4:5]
	s_cbranch_execz .LBB1_312
.LBB1_311:
	v_bfe_u32 v6, v3, 16, 3
	v_ffbh_u32_e32 v14, v6
	v_min_u32_e32 v14, 32, v14
	v_lshrrev_b32_e32 v12, 19, v3
	v_subrev_u32_e32 v15, 28, v14
	v_and_b32_e32 v12, 15, v12
	v_lshlrev_b32_sdwa v15, v15, v3 dst_sel:DWORD dst_unused:UNUSED_PAD src0_sel:DWORD src1_sel:WORD_1
	v_bfe_u32 v13, v3, 19, 4
	v_sub_u32_e32 v14, 29, v14
	v_and_b32_e32 v15, 7, v15
	v_cmp_eq_u16_e32 vcc, 0, v12
	v_cndmask_b32_e32 v6, v6, v15, vcc
	v_cndmask_b32_e32 v12, v13, v14, vcc
	v_lshlrev_b32_e32 v13, 8, v3
	v_mov_b32_e32 v14, 0x3b800000
	v_lshlrev_b32_e32 v6, 20, v6
	v_and_b32_e32 v13, 0x80000000, v13
	v_lshl_add_u32 v12, v12, 23, v14
	v_or3_b32 v12, v13, v12, v6
.LBB1_312:
	s_or_b64 exec, exec, s[6:7]
	s_nop 0
	v_mfma_f32_16x16x4f32 a[0:3], v2, v12, a[0:3]
	s_movk_i32 s4, 0x7f
	v_cmp_gt_i16_sdwa s[6:7], v7, s4 src0_sel:BYTE_3 src1_sel:DWORD
	s_mov_b64 s[4:5], 0
                                        ; implicit-def: $sgpr10
	s_and_saveexec_b64 s[8:9], s[6:7]
	s_xor_b64 s[6:7], exec, s[8:9]
	s_cbranch_execnz .LBB1_2361
; %bb.313:
	s_or_saveexec_b64 s[6:7], s[6:7]
	v_mov_b32_e32 v2, s10
	s_xor_b64 exec, exec, s[6:7]
	s_cbranch_execnz .LBB1_2364
.LBB1_314:
	s_or_b64 exec, exec, s[6:7]
	s_and_saveexec_b64 s[6:7], s[4:5]
	s_cbranch_execz .LBB1_316
.LBB1_315:
	v_bfe_u32 v2, v7, 24, 3
	v_ffbh_u32_e32 v14, v2
	v_min_u32_e32 v14, 32, v14
	v_lshrrev_b32_e32 v12, 27, v7
	v_subrev_u32_e32 v15, 28, v14
	v_and_b32_e32 v6, 0x80000000, v7
	v_and_b32_e32 v12, 15, v12
	v_bfe_u32 v13, v7, 27, 4
	v_lshlrev_b32_sdwa v7, v15, v7 dst_sel:DWORD dst_unused:UNUSED_PAD src0_sel:DWORD src1_sel:BYTE_3
	v_sub_u32_e32 v14, 29, v14
	v_and_b32_e32 v7, 7, v7
	v_cmp_eq_u16_e32 vcc, 0, v12
	v_cndmask_b32_e32 v2, v2, v7, vcc
	v_cndmask_b32_e32 v7, v13, v14, vcc
	v_mov_b32_e32 v12, 0x3b800000
	v_lshlrev_b32_e32 v2, 20, v2
	v_lshl_add_u32 v7, v7, 23, v12
	v_or3_b32 v2, v6, v7, v2
.LBB1_316:
	s_or_b64 exec, exec, s[6:7]
	s_movk_i32 s4, 0x7f
	v_cmp_gt_i16_sdwa s[6:7], v3, s4 src0_sel:BYTE_3 src1_sel:DWORD
	s_mov_b64 s[4:5], 0
                                        ; implicit-def: $sgpr10
	s_and_saveexec_b64 s[8:9], s[6:7]
	s_xor_b64 s[6:7], exec, s[8:9]
	s_cbranch_execnz .LBB1_2365
; %bb.317:
	s_or_saveexec_b64 s[6:7], s[6:7]
	v_mov_b32_e32 v6, s10
	s_xor_b64 exec, exec, s[6:7]
	s_cbranch_execnz .LBB1_2368
.LBB1_318:
	s_or_b64 exec, exec, s[6:7]
	s_and_saveexec_b64 s[6:7], s[4:5]
	s_cbranch_execz .LBB1_320
.LBB1_319:
	v_bfe_u32 v6, v3, 24, 3
	v_ffbh_u32_e32 v14, v6
	v_min_u32_e32 v14, 32, v14
	v_lshrrev_b32_e32 v12, 27, v3
	v_subrev_u32_e32 v15, 28, v14
	v_and_b32_e32 v7, 0x80000000, v3
	v_and_b32_e32 v12, 15, v12
	v_bfe_u32 v13, v3, 27, 4
	v_lshlrev_b32_sdwa v3, v15, v3 dst_sel:DWORD dst_unused:UNUSED_PAD src0_sel:DWORD src1_sel:BYTE_3
	v_sub_u32_e32 v14, 29, v14
	v_and_b32_e32 v3, 7, v3
	v_cmp_eq_u16_e32 vcc, 0, v12
	v_cndmask_b32_e32 v3, v6, v3, vcc
	v_cndmask_b32_e32 v6, v13, v14, vcc
	v_mov_b32_e32 v12, 0x3b800000
	v_lshlrev_b32_e32 v3, 20, v3
	v_lshl_add_u32 v6, v6, 23, v12
	v_or3_b32 v6, v7, v6, v3
.LBB1_320:
	s_or_b64 exec, exec, s[6:7]
	s_nop 0
	v_mfma_f32_16x16x4f32 a[0:3], v2, v6, a[0:3]
	s_movk_i32 s4, 0x7f
	v_cmp_gt_i16_sdwa s[6:7], v8, s4 src0_sel:BYTE_0 src1_sel:DWORD
	s_mov_b64 s[4:5], 0
                                        ; implicit-def: $sgpr10
	s_and_saveexec_b64 s[8:9], s[6:7]
	s_xor_b64 s[6:7], exec, s[8:9]
	s_cbranch_execnz .LBB1_2369
; %bb.321:
	s_or_saveexec_b64 s[6:7], s[6:7]
	v_mov_b32_e32 v2, s10
	s_xor_b64 exec, exec, s[6:7]
	s_cbranch_execnz .LBB1_2372
.LBB1_322:
	s_or_b64 exec, exec, s[6:7]
	s_and_saveexec_b64 s[6:7], s[4:5]
	s_cbranch_execz .LBB1_324
.LBB1_323:
	v_and_b32_e32 v2, 7, v8
	v_ffbh_u32_e32 v6, v2
	v_min_u32_e32 v6, 32, v6
	v_lshrrev_b16_e32 v3, 3, v8
	v_subrev_u32_e32 v7, 28, v6
	v_and_b32_e32 v3, 15, v3
	v_lshlrev_b32_e32 v7, v7, v8
	v_sub_u32_e32 v6, 29, v6
	v_and_b32_e32 v7, 7, v7
	v_cmp_eq_u16_e32 vcc, 0, v3
	v_cndmask_b32_e32 v2, v2, v7, vcc
	v_cndmask_b32_e32 v3, v3, v6, vcc
	v_lshlrev_b32_e32 v6, 24, v8
	v_mov_b32_e32 v7, 0x3b800000
	v_lshlrev_b32_e32 v2, 20, v2
	v_and_b32_e32 v6, 0x80000000, v6
	v_lshl_add_u32 v3, v3, 23, v7
	v_or3_b32 v2, v6, v3, v2
.LBB1_324:
	s_or_b64 exec, exec, s[6:7]
	s_movk_i32 s4, 0x7f
	v_cmp_gt_i16_sdwa s[6:7], v4, s4 src0_sel:BYTE_0 src1_sel:DWORD
	s_mov_b64 s[4:5], 0
                                        ; implicit-def: $sgpr10
	s_and_saveexec_b64 s[8:9], s[6:7]
	s_xor_b64 s[6:7], exec, s[8:9]
	s_cbranch_execnz .LBB1_2373
; %bb.325:
	s_or_saveexec_b64 s[6:7], s[6:7]
	v_mov_b32_e32 v3, s10
	s_xor_b64 exec, exec, s[6:7]
	s_cbranch_execnz .LBB1_2376
.LBB1_326:
	s_or_b64 exec, exec, s[6:7]
	s_and_saveexec_b64 s[6:7], s[4:5]
	s_cbranch_execz .LBB1_328
.LBB1_327:
	v_and_b32_e32 v3, 7, v4
	v_ffbh_u32_e32 v7, v3
	v_min_u32_e32 v7, 32, v7
	v_lshrrev_b16_e32 v6, 3, v4
	v_subrev_u32_e32 v12, 28, v7
	v_and_b32_e32 v6, 15, v6
	v_lshlrev_b32_e32 v12, v12, v4
	v_sub_u32_e32 v7, 29, v7
	v_and_b32_e32 v12, 7, v12
	v_cmp_eq_u16_e32 vcc, 0, v6
	v_cndmask_b32_e32 v3, v3, v12, vcc
	v_cndmask_b32_e32 v6, v6, v7, vcc
	v_lshlrev_b32_e32 v7, 24, v4
	v_mov_b32_e32 v12, 0x3b800000
	v_lshlrev_b32_e32 v3, 20, v3
	v_and_b32_e32 v7, 0x80000000, v7
	v_lshl_add_u32 v6, v6, 23, v12
	v_or3_b32 v3, v7, v6, v3
.LBB1_328:
	s_or_b64 exec, exec, s[6:7]
	s_nop 0
	v_mfma_f32_16x16x4f32 a[0:3], v2, v3, a[0:3]
	v_lshrrev_b32_e32 v3, 8, v8
	s_movk_i32 s4, 0x7f
	v_cmp_gt_i16_sdwa s[6:7], v3, s4 src0_sel:BYTE_0 src1_sel:DWORD
	s_mov_b64 s[4:5], 0
                                        ; implicit-def: $sgpr10
	s_and_saveexec_b64 s[8:9], s[6:7]
	s_xor_b64 s[6:7], exec, s[8:9]
	s_cbranch_execnz .LBB1_2377
; %bb.329:
	s_or_saveexec_b64 s[6:7], s[6:7]
	v_mov_b32_e32 v2, s10
	s_xor_b64 exec, exec, s[6:7]
	s_cbranch_execnz .LBB1_2380
.LBB1_330:
	s_or_b64 exec, exec, s[6:7]
	s_and_saveexec_b64 s[6:7], s[4:5]
	s_cbranch_execz .LBB1_332
.LBB1_331:
	v_bfe_u32 v2, v8, 8, 3
	v_ffbh_u32_e32 v7, v2
	v_min_u32_e32 v7, 32, v7
	v_lshrrev_b16_e32 v6, 3, v3
	v_subrev_u32_e32 v12, 28, v7
	v_and_b32_e32 v6, 15, v6
	v_lshlrev_b32_e32 v3, v12, v3
	v_sub_u32_e32 v7, 29, v7
	v_and_b32_e32 v3, 7, v3
	v_cmp_eq_u16_e32 vcc, 0, v6
	v_cndmask_b32_e32 v2, v2, v3, vcc
	v_cndmask_b32_e32 v3, v6, v7, vcc
	v_lshlrev_b32_e32 v6, 16, v8
	v_mov_b32_e32 v7, 0x3b800000
	v_lshlrev_b32_e32 v2, 20, v2
	v_and_b32_e32 v6, 0x80000000, v6
	v_lshl_add_u32 v3, v3, 23, v7
	v_or3_b32 v2, v6, v3, v2
.LBB1_332:
	s_or_b64 exec, exec, s[6:7]
	v_lshrrev_b32_e32 v3, 8, v4
	s_movk_i32 s4, 0x7f
	v_cmp_gt_i16_sdwa s[6:7], v3, s4 src0_sel:BYTE_0 src1_sel:DWORD
	s_mov_b64 s[4:5], 0
                                        ; implicit-def: $sgpr10
	s_and_saveexec_b64 s[8:9], s[6:7]
	s_xor_b64 s[6:7], exec, s[8:9]
	s_cbranch_execnz .LBB1_2381
; %bb.333:
	s_or_saveexec_b64 s[6:7], s[6:7]
	v_mov_b32_e32 v6, s10
	s_xor_b64 exec, exec, s[6:7]
	s_cbranch_execnz .LBB1_2384
.LBB1_334:
	s_or_b64 exec, exec, s[6:7]
	s_and_saveexec_b64 s[6:7], s[4:5]
	s_cbranch_execz .LBB1_336
.LBB1_335:
	v_bfe_u32 v6, v4, 8, 3
	v_ffbh_u32_e32 v12, v6
	v_min_u32_e32 v12, 32, v12
	v_lshrrev_b16_e32 v7, 3, v3
	v_subrev_u32_e32 v13, 28, v12
	v_and_b32_e32 v7, 15, v7
	v_lshlrev_b32_e32 v3, v13, v3
	v_sub_u32_e32 v12, 29, v12
	v_and_b32_e32 v3, 7, v3
	v_cmp_eq_u16_e32 vcc, 0, v7
	v_cndmask_b32_e32 v3, v6, v3, vcc
	v_cndmask_b32_e32 v6, v7, v12, vcc
	v_lshlrev_b32_e32 v7, 16, v4
	v_mov_b32_e32 v12, 0x3b800000
	v_lshlrev_b32_e32 v3, 20, v3
	v_and_b32_e32 v7, 0x80000000, v7
	v_lshl_add_u32 v6, v6, 23, v12
	v_or3_b32 v6, v7, v6, v3
.LBB1_336:
	s_or_b64 exec, exec, s[6:7]
	s_nop 0
	v_mfma_f32_16x16x4f32 a[0:3], v2, v6, a[0:3]
	s_movk_i32 s4, 0xff
	v_and_b32_sdwa v3, v8, s4 dst_sel:DWORD dst_unused:UNUSED_PAD src0_sel:WORD_1 src1_sel:DWORD
	s_movk_i32 s4, 0x7f
	v_cmp_lt_i16_e32 vcc, s4, v3
	s_mov_b64 s[4:5], 0
                                        ; implicit-def: $sgpr10
	s_and_saveexec_b64 s[6:7], vcc
	s_xor_b64 s[6:7], exec, s[6:7]
	s_cbranch_execnz .LBB1_2385
; %bb.337:
	s_or_saveexec_b64 s[6:7], s[6:7]
	v_mov_b32_e32 v2, s10
	s_xor_b64 exec, exec, s[6:7]
	s_cbranch_execnz .LBB1_2388
.LBB1_338:
	s_or_b64 exec, exec, s[6:7]
	s_and_saveexec_b64 s[6:7], s[4:5]
	s_cbranch_execz .LBB1_340
.LBB1_339:
	v_bfe_u32 v2, v8, 16, 3
	v_ffbh_u32_e32 v7, v2
	v_min_u32_e32 v7, 32, v7
	v_lshrrev_b32_e32 v3, 19, v8
	v_subrev_u32_e32 v12, 28, v7
	v_and_b32_e32 v3, 15, v3
	v_lshlrev_b32_sdwa v12, v12, v8 dst_sel:DWORD dst_unused:UNUSED_PAD src0_sel:DWORD src1_sel:WORD_1
	v_bfe_u32 v6, v8, 19, 4
	v_sub_u32_e32 v7, 29, v7
	v_and_b32_e32 v12, 7, v12
	v_cmp_eq_u16_e32 vcc, 0, v3
	v_cndmask_b32_e32 v2, v2, v12, vcc
	v_cndmask_b32_e32 v3, v6, v7, vcc
	v_lshlrev_b32_e32 v6, 8, v8
	v_mov_b32_e32 v7, 0x3b800000
	v_lshlrev_b32_e32 v2, 20, v2
	v_and_b32_e32 v6, 0x80000000, v6
	v_lshl_add_u32 v3, v3, 23, v7
	v_or3_b32 v2, v6, v3, v2
.LBB1_340:
	s_or_b64 exec, exec, s[6:7]
	s_movk_i32 s4, 0xff
	v_and_b32_sdwa v3, v4, s4 dst_sel:DWORD dst_unused:UNUSED_PAD src0_sel:WORD_1 src1_sel:DWORD
	s_movk_i32 s4, 0x7f
	v_cmp_lt_i16_e32 vcc, s4, v3
	s_mov_b64 s[4:5], 0
                                        ; implicit-def: $sgpr10
	s_and_saveexec_b64 s[6:7], vcc
	s_xor_b64 s[6:7], exec, s[6:7]
	s_cbranch_execnz .LBB1_2389
; %bb.341:
	s_or_saveexec_b64 s[6:7], s[6:7]
	v_mov_b32_e32 v6, s10
	s_xor_b64 exec, exec, s[6:7]
	s_cbranch_execnz .LBB1_2392
.LBB1_342:
	s_or_b64 exec, exec, s[6:7]
	s_and_saveexec_b64 s[6:7], s[4:5]
	s_cbranch_execz .LBB1_344
.LBB1_343:
	v_bfe_u32 v3, v4, 16, 3
	v_ffbh_u32_e32 v12, v3
	v_min_u32_e32 v12, 32, v12
	v_lshrrev_b32_e32 v6, 19, v4
	v_subrev_u32_e32 v13, 28, v12
	v_and_b32_e32 v6, 15, v6
	v_lshlrev_b32_sdwa v13, v13, v4 dst_sel:DWORD dst_unused:UNUSED_PAD src0_sel:DWORD src1_sel:WORD_1
	v_bfe_u32 v7, v4, 19, 4
	v_sub_u32_e32 v12, 29, v12
	v_and_b32_e32 v13, 7, v13
	v_cmp_eq_u16_e32 vcc, 0, v6
	v_cndmask_b32_e32 v3, v3, v13, vcc
	v_cndmask_b32_e32 v6, v7, v12, vcc
	v_lshlrev_b32_e32 v7, 8, v4
	v_mov_b32_e32 v12, 0x3b800000
	v_lshlrev_b32_e32 v3, 20, v3
	v_and_b32_e32 v7, 0x80000000, v7
	v_lshl_add_u32 v6, v6, 23, v12
	v_or3_b32 v6, v7, v6, v3
.LBB1_344:
	s_or_b64 exec, exec, s[6:7]
	s_nop 0
	v_mfma_f32_16x16x4f32 a[0:3], v2, v6, a[0:3]
	s_movk_i32 s4, 0x7f
	v_cmp_gt_i16_sdwa s[6:7], v8, s4 src0_sel:BYTE_3 src1_sel:DWORD
	s_mov_b64 s[4:5], 0
                                        ; implicit-def: $sgpr10
	s_and_saveexec_b64 s[8:9], s[6:7]
	s_xor_b64 s[6:7], exec, s[8:9]
	s_cbranch_execnz .LBB1_2393
; %bb.345:
	s_or_saveexec_b64 s[6:7], s[6:7]
	v_mov_b32_e32 v2, s10
	s_xor_b64 exec, exec, s[6:7]
	s_cbranch_execnz .LBB1_2396
.LBB1_346:
	s_or_b64 exec, exec, s[6:7]
	s_and_saveexec_b64 s[6:7], s[4:5]
	s_cbranch_execz .LBB1_348
.LBB1_347:
	v_bfe_u32 v2, v8, 24, 3
	v_ffbh_u32_e32 v12, v2
	v_min_u32_e32 v12, 32, v12
	v_lshrrev_b32_e32 v6, 27, v8
	v_subrev_u32_e32 v13, 28, v12
	v_and_b32_e32 v3, 0x80000000, v8
	v_and_b32_e32 v6, 15, v6
	v_bfe_u32 v7, v8, 27, 4
	v_lshlrev_b32_sdwa v8, v13, v8 dst_sel:DWORD dst_unused:UNUSED_PAD src0_sel:DWORD src1_sel:BYTE_3
	v_sub_u32_e32 v12, 29, v12
	v_and_b32_e32 v8, 7, v8
	v_cmp_eq_u16_e32 vcc, 0, v6
	v_cndmask_b32_e32 v2, v2, v8, vcc
	v_cndmask_b32_e32 v6, v7, v12, vcc
	v_mov_b32_e32 v7, 0x3b800000
	v_lshlrev_b32_e32 v2, 20, v2
	v_lshl_add_u32 v6, v6, 23, v7
	v_or3_b32 v2, v3, v6, v2
.LBB1_348:
	s_or_b64 exec, exec, s[6:7]
	s_movk_i32 s4, 0x7f
	v_cmp_gt_i16_sdwa s[6:7], v4, s4 src0_sel:BYTE_3 src1_sel:DWORD
	s_mov_b64 s[4:5], 0
                                        ; implicit-def: $sgpr10
	s_and_saveexec_b64 s[8:9], s[6:7]
	s_xor_b64 s[6:7], exec, s[8:9]
	s_cbranch_execnz .LBB1_2397
; %bb.349:
	s_or_saveexec_b64 s[6:7], s[6:7]
	v_mov_b32_e32 v3, s10
	s_xor_b64 exec, exec, s[6:7]
	s_cbranch_execnz .LBB1_2400
.LBB1_350:
	s_or_b64 exec, exec, s[6:7]
	s_and_saveexec_b64 s[6:7], s[4:5]
	s_cbranch_execz .LBB1_352
.LBB1_351:
	v_bfe_u32 v3, v4, 24, 3
	v_ffbh_u32_e32 v12, v3
	v_min_u32_e32 v12, 32, v12
	v_lshrrev_b32_e32 v7, 27, v4
	v_subrev_u32_e32 v13, 28, v12
	v_and_b32_e32 v6, 0x80000000, v4
	v_and_b32_e32 v7, 15, v7
	v_bfe_u32 v8, v4, 27, 4
	v_lshlrev_b32_sdwa v4, v13, v4 dst_sel:DWORD dst_unused:UNUSED_PAD src0_sel:DWORD src1_sel:BYTE_3
	v_sub_u32_e32 v12, 29, v12
	v_and_b32_e32 v4, 7, v4
	v_cmp_eq_u16_e32 vcc, 0, v7
	v_cndmask_b32_e32 v3, v3, v4, vcc
	v_cndmask_b32_e32 v4, v8, v12, vcc
	v_mov_b32_e32 v7, 0x3b800000
	v_lshlrev_b32_e32 v3, 20, v3
	v_lshl_add_u32 v4, v4, 23, v7
	v_or3_b32 v3, v6, v4, v3
.LBB1_352:
	s_or_b64 exec, exec, s[6:7]
	s_nop 0
	v_mfma_f32_16x16x4f32 a[0:3], v2, v3, a[0:3]
	s_movk_i32 s4, 0x7f
	v_cmp_gt_i16_sdwa s[6:7], v9, s4 src0_sel:BYTE_0 src1_sel:DWORD
	s_mov_b64 s[4:5], 0
                                        ; implicit-def: $sgpr10
	s_and_saveexec_b64 s[8:9], s[6:7]
	s_xor_b64 s[6:7], exec, s[8:9]
	s_cbranch_execnz .LBB1_2401
; %bb.353:
	s_or_saveexec_b64 s[6:7], s[6:7]
	v_mov_b32_e32 v2, s10
	s_xor_b64 exec, exec, s[6:7]
	s_cbranch_execnz .LBB1_2404
.LBB1_354:
	s_or_b64 exec, exec, s[6:7]
	s_and_saveexec_b64 s[6:7], s[4:5]
	s_cbranch_execz .LBB1_356
.LBB1_355:
	v_mov_b32_e32 v2, 8
	v_and_b32_e32 v3, 7, v9
	v_lshrrev_b32_sdwa v2, v2, v9 dst_sel:BYTE_1 dst_unused:UNUSED_PAD src0_sel:DWORD src1_sel:DWORD
	v_ffbh_u32_e32 v4, v3
	v_or_b32_sdwa v2, v9, v2 dst_sel:DWORD dst_unused:UNUSED_PAD src0_sel:BYTE_0 src1_sel:DWORD
	v_min_u32_e32 v4, 32, v4
	v_lshrrev_b16_e32 v2, 3, v2
	v_subrev_u32_e32 v6, 28, v4
	v_and_b32_e32 v2, 15, v2
	v_lshlrev_b32_e32 v6, v6, v9
	v_sub_u32_e32 v4, 29, v4
	v_and_b32_e32 v6, 7, v6
	v_cmp_eq_u16_e32 vcc, 0, v2
	v_cndmask_b32_e32 v3, v3, v6, vcc
	v_cndmask_b32_e32 v2, v2, v4, vcc
	v_lshlrev_b32_e32 v4, 24, v9
	v_mov_b32_e32 v6, 0x3b800000
	v_lshlrev_b32_e32 v3, 20, v3
	v_and_b32_e32 v4, 0x80000000, v4
	v_lshl_add_u32 v2, v2, 23, v6
	v_or3_b32 v2, v4, v2, v3
.LBB1_356:
	s_or_b64 exec, exec, s[6:7]
	s_movk_i32 s4, 0x7f
	v_cmp_gt_i16_sdwa s[6:7], v5, s4 src0_sel:BYTE_0 src1_sel:DWORD
	s_mov_b64 s[4:5], 0
                                        ; implicit-def: $sgpr10
	s_and_saveexec_b64 s[8:9], s[6:7]
	s_xor_b64 s[6:7], exec, s[8:9]
	s_cbranch_execnz .LBB1_2405
; %bb.357:
	s_or_saveexec_b64 s[6:7], s[6:7]
	v_mov_b32_e32 v3, s10
	s_xor_b64 exec, exec, s[6:7]
	s_cbranch_execnz .LBB1_2408
.LBB1_358:
	s_or_b64 exec, exec, s[6:7]
	s_and_saveexec_b64 s[6:7], s[4:5]
	s_cbranch_execz .LBB1_360
.LBB1_359:
	v_mov_b32_e32 v3, 8
	v_and_b32_e32 v4, 7, v5
	v_lshrrev_b32_sdwa v3, v3, v5 dst_sel:BYTE_1 dst_unused:UNUSED_PAD src0_sel:DWORD src1_sel:DWORD
	v_ffbh_u32_e32 v6, v4
	v_or_b32_sdwa v3, v5, v3 dst_sel:DWORD dst_unused:UNUSED_PAD src0_sel:BYTE_0 src1_sel:DWORD
	v_min_u32_e32 v6, 32, v6
	v_lshrrev_b16_e32 v3, 3, v3
	v_subrev_u32_e32 v7, 28, v6
	v_and_b32_e32 v3, 15, v3
	v_lshlrev_b32_e32 v7, v7, v5
	v_sub_u32_e32 v6, 29, v6
	v_and_b32_e32 v7, 7, v7
	v_cmp_eq_u16_e32 vcc, 0, v3
	v_cndmask_b32_e32 v4, v4, v7, vcc
	v_cndmask_b32_e32 v3, v3, v6, vcc
	v_lshlrev_b32_e32 v6, 24, v5
	v_mov_b32_e32 v7, 0x3b800000
	v_lshlrev_b32_e32 v4, 20, v4
	v_and_b32_e32 v6, 0x80000000, v6
	v_lshl_add_u32 v3, v3, 23, v7
	v_or3_b32 v3, v6, v3, v4
.LBB1_360:
	s_or_b64 exec, exec, s[6:7]
	s_nop 0
	v_mfma_f32_16x16x4f32 a[0:3], v2, v3, a[0:3]
	v_lshrrev_b32_e32 v3, 8, v9
	s_movk_i32 s4, 0x7f
	v_cmp_gt_i16_sdwa s[6:7], v3, s4 src0_sel:BYTE_0 src1_sel:DWORD
	s_mov_b64 s[4:5], 0
                                        ; implicit-def: $sgpr10
	s_and_saveexec_b64 s[8:9], s[6:7]
	s_xor_b64 s[6:7], exec, s[8:9]
	s_cbranch_execnz .LBB1_2409
; %bb.361:
	s_or_saveexec_b64 s[6:7], s[6:7]
	v_mov_b32_e32 v2, s10
	s_xor_b64 exec, exec, s[6:7]
	s_cbranch_execnz .LBB1_2412
.LBB1_362:
	s_or_b64 exec, exec, s[6:7]
	s_and_saveexec_b64 s[6:7], s[4:5]
	s_cbranch_execz .LBB1_364
.LBB1_363:
	v_bfe_u32 v2, v9, 8, 3
	v_ffbh_u32_e32 v6, v2
	v_min_u32_e32 v6, 32, v6
	v_lshrrev_b16_e32 v4, 3, v3
	v_subrev_u32_e32 v7, 28, v6
	v_and_b32_e32 v4, 15, v4
	v_lshlrev_b32_e32 v3, v7, v3
	v_sub_u32_e32 v6, 29, v6
	v_and_b32_e32 v3, 7, v3
	v_cmp_eq_u16_e32 vcc, 0, v4
	v_cndmask_b32_e32 v2, v2, v3, vcc
	v_cndmask_b32_e32 v3, v4, v6, vcc
	v_lshlrev_b32_e32 v4, 16, v9
	v_mov_b32_e32 v6, 0x3b800000
	v_lshlrev_b32_e32 v2, 20, v2
	v_and_b32_e32 v4, 0x80000000, v4
	v_lshl_add_u32 v3, v3, 23, v6
	v_or3_b32 v2, v4, v3, v2
.LBB1_364:
	s_or_b64 exec, exec, s[6:7]
	v_lshrrev_b32_e32 v3, 8, v5
	s_movk_i32 s4, 0x7f
	v_cmp_gt_i16_sdwa s[6:7], v3, s4 src0_sel:BYTE_0 src1_sel:DWORD
	s_mov_b64 s[4:5], 0
                                        ; implicit-def: $sgpr10
	s_and_saveexec_b64 s[8:9], s[6:7]
	s_xor_b64 s[6:7], exec, s[8:9]
	s_cbranch_execnz .LBB1_2413
; %bb.365:
	s_or_saveexec_b64 s[6:7], s[6:7]
	v_mov_b32_e32 v4, s10
	s_xor_b64 exec, exec, s[6:7]
	s_cbranch_execnz .LBB1_2416
.LBB1_366:
	s_or_b64 exec, exec, s[6:7]
	s_and_saveexec_b64 s[6:7], s[4:5]
	s_cbranch_execz .LBB1_368
.LBB1_367:
	v_bfe_u32 v4, v5, 8, 3
	v_ffbh_u32_e32 v7, v4
	v_min_u32_e32 v7, 32, v7
	v_lshrrev_b16_e32 v6, 3, v3
	v_subrev_u32_e32 v8, 28, v7
	v_and_b32_e32 v6, 15, v6
	v_lshlrev_b32_e32 v3, v8, v3
	v_sub_u32_e32 v7, 29, v7
	v_and_b32_e32 v3, 7, v3
	v_cmp_eq_u16_e32 vcc, 0, v6
	v_cndmask_b32_e32 v3, v4, v3, vcc
	v_cndmask_b32_e32 v4, v6, v7, vcc
	v_lshlrev_b32_e32 v6, 16, v5
	v_mov_b32_e32 v7, 0x3b800000
	v_lshlrev_b32_e32 v3, 20, v3
	v_and_b32_e32 v6, 0x80000000, v6
	v_lshl_add_u32 v4, v4, 23, v7
	v_or3_b32 v4, v6, v4, v3
.LBB1_368:
	s_or_b64 exec, exec, s[6:7]
	s_nop 0
	v_mfma_f32_16x16x4f32 a[0:3], v2, v4, a[0:3]
	s_movk_i32 s4, 0xff
	v_and_b32_sdwa v3, v9, s4 dst_sel:DWORD dst_unused:UNUSED_PAD src0_sel:WORD_1 src1_sel:DWORD
	s_movk_i32 s4, 0x7f
	v_cmp_lt_i16_e32 vcc, s4, v3
	s_mov_b64 s[4:5], 0
                                        ; implicit-def: $sgpr10
	s_and_saveexec_b64 s[6:7], vcc
	s_xor_b64 s[6:7], exec, s[6:7]
	s_cbranch_execnz .LBB1_2417
; %bb.369:
	s_or_saveexec_b64 s[6:7], s[6:7]
	v_mov_b32_e32 v2, s10
	s_xor_b64 exec, exec, s[6:7]
	s_cbranch_execnz .LBB1_2420
.LBB1_370:
	s_or_b64 exec, exec, s[6:7]
	s_and_saveexec_b64 s[6:7], s[4:5]
	s_cbranch_execz .LBB1_372
.LBB1_371:
	v_bfe_u32 v2, v9, 16, 3
	v_ffbh_u32_e32 v6, v2
	v_min_u32_e32 v6, 32, v6
	v_lshrrev_b32_e32 v3, 19, v9
	v_subrev_u32_e32 v7, 28, v6
	v_and_b32_e32 v3, 15, v3
	v_lshlrev_b32_sdwa v7, v7, v9 dst_sel:DWORD dst_unused:UNUSED_PAD src0_sel:DWORD src1_sel:WORD_1
	v_bfe_u32 v4, v9, 19, 4
	v_sub_u32_e32 v6, 29, v6
	v_and_b32_e32 v7, 7, v7
	v_cmp_eq_u16_e32 vcc, 0, v3
	v_cndmask_b32_e32 v2, v2, v7, vcc
	v_cndmask_b32_e32 v3, v4, v6, vcc
	v_lshlrev_b32_e32 v4, 8, v9
	v_mov_b32_e32 v6, 0x3b800000
	v_lshlrev_b32_e32 v2, 20, v2
	v_and_b32_e32 v4, 0x80000000, v4
	v_lshl_add_u32 v3, v3, 23, v6
	v_or3_b32 v2, v4, v3, v2
.LBB1_372:
	s_or_b64 exec, exec, s[6:7]
	s_movk_i32 s4, 0xff
	v_and_b32_sdwa v3, v5, s4 dst_sel:DWORD dst_unused:UNUSED_PAD src0_sel:WORD_1 src1_sel:DWORD
	s_movk_i32 s4, 0x7f
	v_cmp_lt_i16_e32 vcc, s4, v3
	s_mov_b64 s[4:5], 0
                                        ; implicit-def: $sgpr10
	s_and_saveexec_b64 s[6:7], vcc
	s_xor_b64 s[6:7], exec, s[6:7]
	s_cbranch_execnz .LBB1_2421
; %bb.373:
	s_or_saveexec_b64 s[6:7], s[6:7]
	v_mov_b32_e32 v4, s10
	s_xor_b64 exec, exec, s[6:7]
	s_cbranch_execnz .LBB1_2424
.LBB1_374:
	s_or_b64 exec, exec, s[6:7]
	s_and_saveexec_b64 s[6:7], s[4:5]
	s_cbranch_execz .LBB1_376
.LBB1_375:
	v_bfe_u32 v3, v5, 16, 3
	v_ffbh_u32_e32 v7, v3
	v_min_u32_e32 v7, 32, v7
	v_lshrrev_b32_e32 v4, 19, v5
	v_subrev_u32_e32 v8, 28, v7
	v_and_b32_e32 v4, 15, v4
	v_lshlrev_b32_sdwa v8, v8, v5 dst_sel:DWORD dst_unused:UNUSED_PAD src0_sel:DWORD src1_sel:WORD_1
	v_bfe_u32 v6, v5, 19, 4
	v_sub_u32_e32 v7, 29, v7
	v_and_b32_e32 v8, 7, v8
	v_cmp_eq_u16_e32 vcc, 0, v4
	v_cndmask_b32_e32 v3, v3, v8, vcc
	v_cndmask_b32_e32 v4, v6, v7, vcc
	v_lshlrev_b32_e32 v6, 8, v5
	v_mov_b32_e32 v7, 0x3b800000
	v_lshlrev_b32_e32 v3, 20, v3
	v_and_b32_e32 v6, 0x80000000, v6
	v_lshl_add_u32 v4, v4, 23, v7
	v_or3_b32 v4, v6, v4, v3
.LBB1_376:
	s_or_b64 exec, exec, s[6:7]
	s_nop 0
	v_mfma_f32_16x16x4f32 a[0:3], v2, v4, a[0:3]
	s_movk_i32 s4, 0x7f
	v_cmp_gt_i16_sdwa s[6:7], v9, s4 src0_sel:BYTE_3 src1_sel:DWORD
	s_mov_b64 s[4:5], 0
                                        ; implicit-def: $sgpr10
	s_and_saveexec_b64 s[8:9], s[6:7]
	s_xor_b64 s[6:7], exec, s[8:9]
	s_cbranch_execnz .LBB1_2425
; %bb.377:
	s_or_saveexec_b64 s[6:7], s[6:7]
	v_mov_b32_e32 v2, s10
	s_xor_b64 exec, exec, s[6:7]
	s_cbranch_execnz .LBB1_2428
.LBB1_378:
	s_or_b64 exec, exec, s[6:7]
	s_and_saveexec_b64 s[6:7], s[4:5]
	s_cbranch_execz .LBB1_380
.LBB1_379:
	v_bfe_u32 v2, v9, 24, 3
	v_ffbh_u32_e32 v7, v2
	v_min_u32_e32 v7, 32, v7
	v_lshrrev_b32_e32 v4, 27, v9
	v_subrev_u32_e32 v8, 28, v7
	v_and_b32_e32 v4, 15, v4
	v_lshlrev_b32_sdwa v8, v8, v9 dst_sel:DWORD dst_unused:UNUSED_PAD src0_sel:DWORD src1_sel:BYTE_3
	v_bfe_u32 v6, v9, 27, 4
	v_sub_u32_e32 v7, 29, v7
	v_and_b32_e32 v8, 7, v8
	v_cmp_eq_u16_e32 vcc, 0, v4
	v_cndmask_b32_e32 v2, v2, v8, vcc
	v_cndmask_b32_e32 v4, v6, v7, vcc
	v_mov_b32_e32 v6, 0x3b800000
	v_and_b32_e32 v3, 0x80000000, v9
	v_lshlrev_b32_e32 v2, 20, v2
	v_lshl_add_u32 v4, v4, 23, v6
	v_or3_b32 v2, v3, v4, v2
.LBB1_380:
	s_or_b64 exec, exec, s[6:7]
	s_movk_i32 s4, 0x7f
	v_cmp_gt_i16_sdwa s[6:7], v5, s4 src0_sel:BYTE_3 src1_sel:DWORD
	s_mov_b64 s[4:5], 0
                                        ; implicit-def: $sgpr10
	s_and_saveexec_b64 s[8:9], s[6:7]
	s_xor_b64 s[6:7], exec, s[8:9]
	s_cbranch_execnz .LBB1_2429
; %bb.381:
	s_or_saveexec_b64 s[6:7], s[6:7]
	v_mov_b32_e32 v3, s10
	s_xor_b64 exec, exec, s[6:7]
	s_cbranch_execnz .LBB1_2432
.LBB1_382:
	s_or_b64 exec, exec, s[6:7]
	s_and_saveexec_b64 s[6:7], s[4:5]
	s_cbranch_execz .LBB1_384
.LBB1_383:
	v_bfe_u32 v3, v5, 24, 3
	v_ffbh_u32_e32 v8, v3
	v_min_u32_e32 v8, 32, v8
	v_lshrrev_b32_e32 v6, 27, v5
	v_subrev_u32_e32 v9, 28, v8
	v_and_b32_e32 v4, 0x80000000, v5
	v_and_b32_e32 v6, 15, v6
	v_bfe_u32 v7, v5, 27, 4
	v_lshlrev_b32_sdwa v5, v9, v5 dst_sel:DWORD dst_unused:UNUSED_PAD src0_sel:DWORD src1_sel:BYTE_3
	v_sub_u32_e32 v8, 29, v8
	v_and_b32_e32 v5, 7, v5
	v_cmp_eq_u16_e32 vcc, 0, v6
	v_cndmask_b32_e32 v3, v3, v5, vcc
	v_cndmask_b32_e32 v5, v7, v8, vcc
	v_mov_b32_e32 v6, 0x3b800000
	v_lshlrev_b32_e32 v3, 20, v3
	v_lshl_add_u32 v5, v5, 23, v6
	v_or3_b32 v3, v4, v5, v3
.LBB1_384:
	s_or_b64 exec, exec, s[6:7]
	s_nop 0
	v_mfma_f32_16x16x4f32 a[0:3], v2, v3, a[0:3]
	s_movk_i32 s4, 0x7f
                                        ; implicit-def: $sgpr10
	s_nop 7
	s_nop 1
	flat_store_dwordx4 v[10:11], a[0:3] offset:32
	flat_load_dwordx4 v[12:15], v[0:1] offset:8
	s_nop 0
	flat_load_dwordx2 v[10:11], v[0:1] offset:32
	s_waitcnt vmcnt(0) lgkmcnt(0)
	flat_load_dwordx4 v[6:9], v[12:13]
	flat_load_dwordx4 v[2:5], v[14:15] offset:96
	s_waitcnt vmcnt(0) lgkmcnt(0)
	v_cmp_gt_i16_sdwa s[6:7], v6, s4 src0_sel:BYTE_0 src1_sel:DWORD
	s_mov_b64 s[4:5], 0
	s_and_saveexec_b64 s[8:9], s[6:7]
	s_xor_b64 s[6:7], exec, s[8:9]
	s_cbranch_execnz .LBB1_2433
; %bb.385:
	s_or_saveexec_b64 s[6:7], s[6:7]
	v_mov_b32_e32 v12, s10
	s_xor_b64 exec, exec, s[6:7]
	s_cbranch_execnz .LBB1_2436
.LBB1_386:
	s_or_b64 exec, exec, s[6:7]
	s_and_saveexec_b64 s[6:7], s[4:5]
	s_cbranch_execz .LBB1_388
.LBB1_387:
	v_and_b32_e32 v12, 7, v6
	v_ffbh_u32_e32 v14, v12
	v_min_u32_e32 v14, 32, v14
	v_lshrrev_b16_e32 v13, 3, v6
	v_subrev_u32_e32 v15, 28, v14
	v_and_b32_e32 v13, 15, v13
	v_lshlrev_b32_e32 v15, v15, v6
	v_sub_u32_e32 v14, 29, v14
	v_and_b32_e32 v15, 7, v15
	v_cmp_eq_u16_e32 vcc, 0, v13
	v_cndmask_b32_e32 v12, v12, v15, vcc
	v_cndmask_b32_e32 v13, v13, v14, vcc
	v_lshlrev_b32_e32 v14, 24, v6
	v_mov_b32_e32 v15, 0x3b800000
	v_lshlrev_b32_e32 v12, 20, v12
	v_and_b32_e32 v14, 0x80000000, v14
	v_lshl_add_u32 v13, v13, 23, v15
	v_or3_b32 v12, v14, v13, v12
.LBB1_388:
	s_or_b64 exec, exec, s[6:7]
	s_movk_i32 s4, 0x7f
	v_cmp_gt_i16_sdwa s[6:7], v2, s4 src0_sel:BYTE_0 src1_sel:DWORD
	s_mov_b64 s[4:5], 0
                                        ; implicit-def: $sgpr10
	s_and_saveexec_b64 s[8:9], s[6:7]
	s_xor_b64 s[6:7], exec, s[8:9]
	s_cbranch_execnz .LBB1_2437
; %bb.389:
	s_or_saveexec_b64 s[6:7], s[6:7]
	v_mov_b32_e32 v13, s10
	s_xor_b64 exec, exec, s[6:7]
	s_cbranch_execnz .LBB1_2440
.LBB1_390:
	s_or_b64 exec, exec, s[6:7]
	s_and_saveexec_b64 s[6:7], s[4:5]
	s_cbranch_execz .LBB1_392
.LBB1_391:
	v_and_b32_e32 v13, 7, v2
	v_ffbh_u32_e32 v15, v13
	v_min_u32_e32 v15, 32, v15
	v_lshrrev_b16_e32 v14, 3, v2
	v_subrev_u32_e32 v16, 28, v15
	v_and_b32_e32 v14, 15, v14
	v_lshlrev_b32_e32 v16, v16, v2
	v_sub_u32_e32 v15, 29, v15
	v_and_b32_e32 v16, 7, v16
	v_cmp_eq_u16_e32 vcc, 0, v14
	v_cndmask_b32_e32 v13, v13, v16, vcc
	v_cndmask_b32_e32 v14, v14, v15, vcc
	v_lshlrev_b32_e32 v15, 24, v2
	v_mov_b32_e32 v16, 0x3b800000
	v_lshlrev_b32_e32 v13, 20, v13
	v_and_b32_e32 v15, 0x80000000, v15
	v_lshl_add_u32 v14, v14, 23, v16
	v_or3_b32 v13, v15, v14, v13
.LBB1_392:
	s_or_b64 exec, exec, s[6:7]
	flat_load_dwordx4 a[0:3], v[10:11] offset:48
	s_movk_i32 s4, 0x7f
                                        ; implicit-def: $sgpr10
	s_waitcnt vmcnt(0) lgkmcnt(0)
	v_mfma_f32_16x16x4f32 a[0:3], v12, v13, a[0:3]
	v_lshrrev_b32_e32 v13, 8, v6
	v_cmp_gt_i16_sdwa s[6:7], v13, s4 src0_sel:BYTE_0 src1_sel:DWORD
	s_mov_b64 s[4:5], 0
	s_and_saveexec_b64 s[8:9], s[6:7]
	s_xor_b64 s[6:7], exec, s[8:9]
	s_cbranch_execnz .LBB1_2441
; %bb.393:
	s_or_saveexec_b64 s[6:7], s[6:7]
	v_mov_b32_e32 v12, s10
	s_xor_b64 exec, exec, s[6:7]
	s_cbranch_execnz .LBB1_2444
.LBB1_394:
	s_or_b64 exec, exec, s[6:7]
	s_and_saveexec_b64 s[6:7], s[4:5]
	s_cbranch_execz .LBB1_396
.LBB1_395:
	v_bfe_u32 v12, v6, 8, 3
	v_ffbh_u32_e32 v15, v12
	v_min_u32_e32 v15, 32, v15
	v_lshrrev_b16_e32 v14, 3, v13
	v_subrev_u32_e32 v16, 28, v15
	v_and_b32_e32 v14, 15, v14
	v_lshlrev_b32_e32 v13, v16, v13
	v_sub_u32_e32 v15, 29, v15
	v_and_b32_e32 v13, 7, v13
	v_cmp_eq_u16_e32 vcc, 0, v14
	v_cndmask_b32_e32 v12, v12, v13, vcc
	v_cndmask_b32_e32 v13, v14, v15, vcc
	v_lshlrev_b32_e32 v14, 16, v6
	v_mov_b32_e32 v15, 0x3b800000
	v_lshlrev_b32_e32 v12, 20, v12
	v_and_b32_e32 v14, 0x80000000, v14
	v_lshl_add_u32 v13, v13, 23, v15
	v_or3_b32 v12, v14, v13, v12
.LBB1_396:
	s_or_b64 exec, exec, s[6:7]
	v_lshrrev_b32_e32 v13, 8, v2
	s_movk_i32 s4, 0x7f
	v_cmp_gt_i16_sdwa s[6:7], v13, s4 src0_sel:BYTE_0 src1_sel:DWORD
	s_mov_b64 s[4:5], 0
                                        ; implicit-def: $sgpr10
	s_and_saveexec_b64 s[8:9], s[6:7]
	s_xor_b64 s[6:7], exec, s[8:9]
	s_cbranch_execnz .LBB1_2445
; %bb.397:
	s_or_saveexec_b64 s[6:7], s[6:7]
	v_mov_b32_e32 v14, s10
	s_xor_b64 exec, exec, s[6:7]
	s_cbranch_execnz .LBB1_2448
.LBB1_398:
	s_or_b64 exec, exec, s[6:7]
	s_and_saveexec_b64 s[6:7], s[4:5]
	s_cbranch_execz .LBB1_400
.LBB1_399:
	v_bfe_u32 v14, v2, 8, 3
	v_ffbh_u32_e32 v16, v14
	v_min_u32_e32 v16, 32, v16
	v_lshrrev_b16_e32 v15, 3, v13
	v_subrev_u32_e32 v17, 28, v16
	v_and_b32_e32 v15, 15, v15
	v_lshlrev_b32_e32 v13, v17, v13
	v_sub_u32_e32 v16, 29, v16
	v_and_b32_e32 v13, 7, v13
	v_cmp_eq_u16_e32 vcc, 0, v15
	v_cndmask_b32_e32 v13, v14, v13, vcc
	v_cndmask_b32_e32 v14, v15, v16, vcc
	v_lshlrev_b32_e32 v15, 16, v2
	v_mov_b32_e32 v16, 0x3b800000
	v_lshlrev_b32_e32 v13, 20, v13
	v_and_b32_e32 v15, 0x80000000, v15
	v_lshl_add_u32 v14, v14, 23, v16
	v_or3_b32 v14, v15, v14, v13
.LBB1_400:
	s_or_b64 exec, exec, s[6:7]
	s_nop 0
	v_mfma_f32_16x16x4f32 a[0:3], v12, v14, a[0:3]
	s_movk_i32 s4, 0xff
	v_and_b32_sdwa v13, v6, s4 dst_sel:DWORD dst_unused:UNUSED_PAD src0_sel:WORD_1 src1_sel:DWORD
	s_movk_i32 s4, 0x7f
	v_cmp_lt_i16_e32 vcc, s4, v13
	s_mov_b64 s[4:5], 0
                                        ; implicit-def: $sgpr10
	s_and_saveexec_b64 s[6:7], vcc
	s_xor_b64 s[6:7], exec, s[6:7]
	s_cbranch_execnz .LBB1_2449
; %bb.401:
	s_or_saveexec_b64 s[6:7], s[6:7]
	v_mov_b32_e32 v12, s10
	s_xor_b64 exec, exec, s[6:7]
	s_cbranch_execnz .LBB1_2452
.LBB1_402:
	s_or_b64 exec, exec, s[6:7]
	s_and_saveexec_b64 s[6:7], s[4:5]
	s_cbranch_execz .LBB1_404
.LBB1_403:
	v_bfe_u32 v12, v6, 16, 3
	v_ffbh_u32_e32 v15, v12
	v_min_u32_e32 v15, 32, v15
	v_lshrrev_b32_e32 v13, 19, v6
	v_subrev_u32_e32 v16, 28, v15
	v_and_b32_e32 v13, 15, v13
	v_lshlrev_b32_sdwa v16, v16, v6 dst_sel:DWORD dst_unused:UNUSED_PAD src0_sel:DWORD src1_sel:WORD_1
	v_bfe_u32 v14, v6, 19, 4
	v_sub_u32_e32 v15, 29, v15
	v_and_b32_e32 v16, 7, v16
	v_cmp_eq_u16_e32 vcc, 0, v13
	v_cndmask_b32_e32 v12, v12, v16, vcc
	v_cndmask_b32_e32 v13, v14, v15, vcc
	v_lshlrev_b32_e32 v14, 8, v6
	v_mov_b32_e32 v15, 0x3b800000
	v_lshlrev_b32_e32 v12, 20, v12
	v_and_b32_e32 v14, 0x80000000, v14
	v_lshl_add_u32 v13, v13, 23, v15
	v_or3_b32 v12, v14, v13, v12
.LBB1_404:
	s_or_b64 exec, exec, s[6:7]
	s_movk_i32 s4, 0xff
	v_and_b32_sdwa v13, v2, s4 dst_sel:DWORD dst_unused:UNUSED_PAD src0_sel:WORD_1 src1_sel:DWORD
	s_movk_i32 s4, 0x7f
	v_cmp_lt_i16_e32 vcc, s4, v13
	s_mov_b64 s[4:5], 0
                                        ; implicit-def: $sgpr10
	s_and_saveexec_b64 s[6:7], vcc
	s_xor_b64 s[6:7], exec, s[6:7]
	s_cbranch_execnz .LBB1_2453
; %bb.405:
	s_or_saveexec_b64 s[6:7], s[6:7]
	v_mov_b32_e32 v14, s10
	s_xor_b64 exec, exec, s[6:7]
	s_cbranch_execnz .LBB1_2456
.LBB1_406:
	s_or_b64 exec, exec, s[6:7]
	s_and_saveexec_b64 s[6:7], s[4:5]
	s_cbranch_execz .LBB1_408
.LBB1_407:
	v_bfe_u32 v13, v2, 16, 3
	v_ffbh_u32_e32 v16, v13
	v_min_u32_e32 v16, 32, v16
	v_lshrrev_b32_e32 v14, 19, v2
	v_subrev_u32_e32 v17, 28, v16
	v_and_b32_e32 v14, 15, v14
	v_lshlrev_b32_sdwa v17, v17, v2 dst_sel:DWORD dst_unused:UNUSED_PAD src0_sel:DWORD src1_sel:WORD_1
	v_bfe_u32 v15, v2, 19, 4
	v_sub_u32_e32 v16, 29, v16
	v_and_b32_e32 v17, 7, v17
	v_cmp_eq_u16_e32 vcc, 0, v14
	v_cndmask_b32_e32 v13, v13, v17, vcc
	v_cndmask_b32_e32 v14, v15, v16, vcc
	v_lshlrev_b32_e32 v15, 8, v2
	v_mov_b32_e32 v16, 0x3b800000
	v_lshlrev_b32_e32 v13, 20, v13
	v_and_b32_e32 v15, 0x80000000, v15
	v_lshl_add_u32 v14, v14, 23, v16
	v_or3_b32 v14, v15, v14, v13
.LBB1_408:
	s_or_b64 exec, exec, s[6:7]
	s_nop 0
	v_mfma_f32_16x16x4f32 a[0:3], v12, v14, a[0:3]
	s_movk_i32 s4, 0x7f
	v_cmp_gt_i16_sdwa s[6:7], v6, s4 src0_sel:BYTE_3 src1_sel:DWORD
	s_mov_b64 s[4:5], 0
                                        ; implicit-def: $sgpr10
	s_and_saveexec_b64 s[8:9], s[6:7]
	s_xor_b64 s[6:7], exec, s[8:9]
	s_cbranch_execnz .LBB1_2457
; %bb.409:
	s_or_saveexec_b64 s[6:7], s[6:7]
	v_mov_b32_e32 v12, s10
	s_xor_b64 exec, exec, s[6:7]
	s_cbranch_execnz .LBB1_2460
.LBB1_410:
	s_or_b64 exec, exec, s[6:7]
	s_and_saveexec_b64 s[6:7], s[4:5]
	s_cbranch_execz .LBB1_412
.LBB1_411:
	v_bfe_u32 v12, v6, 24, 3
	v_ffbh_u32_e32 v16, v12
	v_min_u32_e32 v16, 32, v16
	v_lshrrev_b32_e32 v14, 27, v6
	v_subrev_u32_e32 v17, 28, v16
	v_and_b32_e32 v13, 0x80000000, v6
	v_and_b32_e32 v14, 15, v14
	v_bfe_u32 v15, v6, 27, 4
	v_lshlrev_b32_sdwa v6, v17, v6 dst_sel:DWORD dst_unused:UNUSED_PAD src0_sel:DWORD src1_sel:BYTE_3
	v_sub_u32_e32 v16, 29, v16
	v_and_b32_e32 v6, 7, v6
	v_cmp_eq_u16_e32 vcc, 0, v14
	v_cndmask_b32_e32 v6, v12, v6, vcc
	v_cndmask_b32_e32 v12, v15, v16, vcc
	v_mov_b32_e32 v14, 0x3b800000
	v_lshlrev_b32_e32 v6, 20, v6
	v_lshl_add_u32 v12, v12, 23, v14
	v_or3_b32 v12, v13, v12, v6
.LBB1_412:
	s_or_b64 exec, exec, s[6:7]
	s_movk_i32 s4, 0x7f
	v_cmp_gt_i16_sdwa s[6:7], v2, s4 src0_sel:BYTE_3 src1_sel:DWORD
	s_mov_b64 s[4:5], 0
                                        ; implicit-def: $sgpr10
	s_and_saveexec_b64 s[8:9], s[6:7]
	s_xor_b64 s[6:7], exec, s[8:9]
	s_cbranch_execnz .LBB1_2461
; %bb.413:
	s_or_saveexec_b64 s[6:7], s[6:7]
	v_mov_b32_e32 v6, s10
	s_xor_b64 exec, exec, s[6:7]
	s_cbranch_execnz .LBB1_2464
.LBB1_414:
	s_or_b64 exec, exec, s[6:7]
	s_and_saveexec_b64 s[6:7], s[4:5]
	s_cbranch_execz .LBB1_416
.LBB1_415:
	v_bfe_u32 v6, v2, 24, 3
	v_ffbh_u32_e32 v16, v6
	v_min_u32_e32 v16, 32, v16
	v_lshrrev_b32_e32 v14, 27, v2
	v_subrev_u32_e32 v17, 28, v16
	v_and_b32_e32 v13, 0x80000000, v2
	v_and_b32_e32 v14, 15, v14
	v_bfe_u32 v15, v2, 27, 4
	v_lshlrev_b32_sdwa v2, v17, v2 dst_sel:DWORD dst_unused:UNUSED_PAD src0_sel:DWORD src1_sel:BYTE_3
	v_sub_u32_e32 v16, 29, v16
	v_and_b32_e32 v2, 7, v2
	v_cmp_eq_u16_e32 vcc, 0, v14
	v_cndmask_b32_e32 v2, v6, v2, vcc
	v_cndmask_b32_e32 v6, v15, v16, vcc
	v_mov_b32_e32 v14, 0x3b800000
	v_lshlrev_b32_e32 v2, 20, v2
	v_lshl_add_u32 v6, v6, 23, v14
	v_or3_b32 v6, v13, v6, v2
.LBB1_416:
	s_or_b64 exec, exec, s[6:7]
	s_nop 0
	v_mfma_f32_16x16x4f32 a[0:3], v12, v6, a[0:3]
	s_movk_i32 s4, 0x7f
	v_cmp_gt_i16_sdwa s[6:7], v7, s4 src0_sel:BYTE_0 src1_sel:DWORD
	s_mov_b64 s[4:5], 0
                                        ; implicit-def: $sgpr10
	s_and_saveexec_b64 s[8:9], s[6:7]
	s_xor_b64 s[6:7], exec, s[8:9]
	s_cbranch_execnz .LBB1_2465
; %bb.417:
	s_or_saveexec_b64 s[6:7], s[6:7]
	v_mov_b32_e32 v2, s10
	s_xor_b64 exec, exec, s[6:7]
	s_cbranch_execnz .LBB1_2468
.LBB1_418:
	s_or_b64 exec, exec, s[6:7]
	s_and_saveexec_b64 s[6:7], s[4:5]
	s_cbranch_execz .LBB1_420
.LBB1_419:
	v_and_b32_e32 v2, 7, v7
	v_ffbh_u32_e32 v12, v2
	v_min_u32_e32 v12, 32, v12
	v_lshrrev_b16_e32 v6, 3, v7
	v_subrev_u32_e32 v13, 28, v12
	v_and_b32_e32 v6, 15, v6
	v_lshlrev_b32_e32 v13, v13, v7
	v_sub_u32_e32 v12, 29, v12
	v_and_b32_e32 v13, 7, v13
	v_cmp_eq_u16_e32 vcc, 0, v6
	v_cndmask_b32_e32 v2, v2, v13, vcc
	v_cndmask_b32_e32 v6, v6, v12, vcc
	v_lshlrev_b32_e32 v12, 24, v7
	v_mov_b32_e32 v13, 0x3b800000
	v_lshlrev_b32_e32 v2, 20, v2
	v_and_b32_e32 v12, 0x80000000, v12
	v_lshl_add_u32 v6, v6, 23, v13
	v_or3_b32 v2, v12, v6, v2
.LBB1_420:
	s_or_b64 exec, exec, s[6:7]
	s_movk_i32 s4, 0x7f
	v_cmp_gt_i16_sdwa s[6:7], v3, s4 src0_sel:BYTE_0 src1_sel:DWORD
	s_mov_b64 s[4:5], 0
                                        ; implicit-def: $sgpr10
	s_and_saveexec_b64 s[8:9], s[6:7]
	s_xor_b64 s[6:7], exec, s[8:9]
	s_cbranch_execnz .LBB1_2469
; %bb.421:
	s_or_saveexec_b64 s[6:7], s[6:7]
	v_mov_b32_e32 v6, s10
	s_xor_b64 exec, exec, s[6:7]
	s_cbranch_execnz .LBB1_2472
.LBB1_422:
	s_or_b64 exec, exec, s[6:7]
	s_and_saveexec_b64 s[6:7], s[4:5]
	s_cbranch_execz .LBB1_424
.LBB1_423:
	v_and_b32_e32 v6, 7, v3
	v_ffbh_u32_e32 v13, v6
	v_min_u32_e32 v13, 32, v13
	v_lshrrev_b16_e32 v12, 3, v3
	v_subrev_u32_e32 v14, 28, v13
	v_and_b32_e32 v12, 15, v12
	v_lshlrev_b32_e32 v14, v14, v3
	v_sub_u32_e32 v13, 29, v13
	v_and_b32_e32 v14, 7, v14
	v_cmp_eq_u16_e32 vcc, 0, v12
	v_cndmask_b32_e32 v6, v6, v14, vcc
	v_cndmask_b32_e32 v12, v12, v13, vcc
	v_lshlrev_b32_e32 v13, 24, v3
	v_mov_b32_e32 v14, 0x3b800000
	v_lshlrev_b32_e32 v6, 20, v6
	v_and_b32_e32 v13, 0x80000000, v13
	v_lshl_add_u32 v12, v12, 23, v14
	v_or3_b32 v6, v13, v12, v6
.LBB1_424:
	s_or_b64 exec, exec, s[6:7]
	s_nop 0
	v_mfma_f32_16x16x4f32 a[0:3], v2, v6, a[0:3]
	v_lshrrev_b32_e32 v6, 8, v7
	s_movk_i32 s4, 0x7f
	v_cmp_gt_i16_sdwa s[6:7], v6, s4 src0_sel:BYTE_0 src1_sel:DWORD
	s_mov_b64 s[4:5], 0
                                        ; implicit-def: $sgpr10
	s_and_saveexec_b64 s[8:9], s[6:7]
	s_xor_b64 s[6:7], exec, s[8:9]
	s_cbranch_execnz .LBB1_2473
; %bb.425:
	s_or_saveexec_b64 s[6:7], s[6:7]
	v_mov_b32_e32 v2, s10
	s_xor_b64 exec, exec, s[6:7]
	s_cbranch_execnz .LBB1_2476
.LBB1_426:
	s_or_b64 exec, exec, s[6:7]
	s_and_saveexec_b64 s[6:7], s[4:5]
	s_cbranch_execz .LBB1_428
.LBB1_427:
	v_bfe_u32 v2, v7, 8, 3
	v_ffbh_u32_e32 v13, v2
	v_min_u32_e32 v13, 32, v13
	v_lshrrev_b16_e32 v12, 3, v6
	v_subrev_u32_e32 v14, 28, v13
	v_and_b32_e32 v12, 15, v12
	v_lshlrev_b32_e32 v6, v14, v6
	v_sub_u32_e32 v13, 29, v13
	v_and_b32_e32 v6, 7, v6
	v_cmp_eq_u16_e32 vcc, 0, v12
	v_cndmask_b32_e32 v2, v2, v6, vcc
	v_cndmask_b32_e32 v6, v12, v13, vcc
	v_lshlrev_b32_e32 v12, 16, v7
	v_mov_b32_e32 v13, 0x3b800000
	v_lshlrev_b32_e32 v2, 20, v2
	v_and_b32_e32 v12, 0x80000000, v12
	v_lshl_add_u32 v6, v6, 23, v13
	v_or3_b32 v2, v12, v6, v2
.LBB1_428:
	s_or_b64 exec, exec, s[6:7]
	v_lshrrev_b32_e32 v6, 8, v3
	s_movk_i32 s4, 0x7f
	v_cmp_gt_i16_sdwa s[6:7], v6, s4 src0_sel:BYTE_0 src1_sel:DWORD
	s_mov_b64 s[4:5], 0
                                        ; implicit-def: $sgpr10
	s_and_saveexec_b64 s[8:9], s[6:7]
	s_xor_b64 s[6:7], exec, s[8:9]
	s_cbranch_execnz .LBB1_2477
; %bb.429:
	s_or_saveexec_b64 s[6:7], s[6:7]
	v_mov_b32_e32 v12, s10
	s_xor_b64 exec, exec, s[6:7]
	s_cbranch_execnz .LBB1_2480
.LBB1_430:
	s_or_b64 exec, exec, s[6:7]
	s_and_saveexec_b64 s[6:7], s[4:5]
	s_cbranch_execz .LBB1_432
.LBB1_431:
	v_bfe_u32 v12, v3, 8, 3
	v_ffbh_u32_e32 v14, v12
	v_min_u32_e32 v14, 32, v14
	v_lshrrev_b16_e32 v13, 3, v6
	v_subrev_u32_e32 v15, 28, v14
	v_and_b32_e32 v13, 15, v13
	v_lshlrev_b32_e32 v6, v15, v6
	v_sub_u32_e32 v14, 29, v14
	v_and_b32_e32 v6, 7, v6
	v_cmp_eq_u16_e32 vcc, 0, v13
	v_cndmask_b32_e32 v6, v12, v6, vcc
	v_cndmask_b32_e32 v12, v13, v14, vcc
	v_lshlrev_b32_e32 v13, 16, v3
	v_mov_b32_e32 v14, 0x3b800000
	v_lshlrev_b32_e32 v6, 20, v6
	v_and_b32_e32 v13, 0x80000000, v13
	v_lshl_add_u32 v12, v12, 23, v14
	v_or3_b32 v12, v13, v12, v6
.LBB1_432:
	s_or_b64 exec, exec, s[6:7]
	s_nop 0
	v_mfma_f32_16x16x4f32 a[0:3], v2, v12, a[0:3]
	s_movk_i32 s4, 0xff
	v_and_b32_sdwa v6, v7, s4 dst_sel:DWORD dst_unused:UNUSED_PAD src0_sel:WORD_1 src1_sel:DWORD
	s_movk_i32 s4, 0x7f
	v_cmp_lt_i16_e32 vcc, s4, v6
	s_mov_b64 s[4:5], 0
                                        ; implicit-def: $sgpr10
	s_and_saveexec_b64 s[6:7], vcc
	s_xor_b64 s[6:7], exec, s[6:7]
	s_cbranch_execnz .LBB1_2481
; %bb.433:
	s_or_saveexec_b64 s[6:7], s[6:7]
	v_mov_b32_e32 v2, s10
	s_xor_b64 exec, exec, s[6:7]
	s_cbranch_execnz .LBB1_2484
.LBB1_434:
	s_or_b64 exec, exec, s[6:7]
	s_and_saveexec_b64 s[6:7], s[4:5]
	s_cbranch_execz .LBB1_436
.LBB1_435:
	v_bfe_u32 v2, v7, 16, 3
	v_ffbh_u32_e32 v13, v2
	v_min_u32_e32 v13, 32, v13
	v_lshrrev_b32_e32 v6, 19, v7
	v_subrev_u32_e32 v14, 28, v13
	v_and_b32_e32 v6, 15, v6
	v_lshlrev_b32_sdwa v14, v14, v7 dst_sel:DWORD dst_unused:UNUSED_PAD src0_sel:DWORD src1_sel:WORD_1
	v_bfe_u32 v12, v7, 19, 4
	v_sub_u32_e32 v13, 29, v13
	v_and_b32_e32 v14, 7, v14
	v_cmp_eq_u16_e32 vcc, 0, v6
	v_cndmask_b32_e32 v2, v2, v14, vcc
	v_cndmask_b32_e32 v6, v12, v13, vcc
	v_lshlrev_b32_e32 v12, 8, v7
	v_mov_b32_e32 v13, 0x3b800000
	v_lshlrev_b32_e32 v2, 20, v2
	v_and_b32_e32 v12, 0x80000000, v12
	v_lshl_add_u32 v6, v6, 23, v13
	v_or3_b32 v2, v12, v6, v2
.LBB1_436:
	s_or_b64 exec, exec, s[6:7]
	s_movk_i32 s4, 0xff
	v_and_b32_sdwa v6, v3, s4 dst_sel:DWORD dst_unused:UNUSED_PAD src0_sel:WORD_1 src1_sel:DWORD
	s_movk_i32 s4, 0x7f
	v_cmp_lt_i16_e32 vcc, s4, v6
	s_mov_b64 s[4:5], 0
                                        ; implicit-def: $sgpr10
	s_and_saveexec_b64 s[6:7], vcc
	s_xor_b64 s[6:7], exec, s[6:7]
	s_cbranch_execnz .LBB1_2485
; %bb.437:
	s_or_saveexec_b64 s[6:7], s[6:7]
	v_mov_b32_e32 v12, s10
	s_xor_b64 exec, exec, s[6:7]
	s_cbranch_execnz .LBB1_2488
.LBB1_438:
	s_or_b64 exec, exec, s[6:7]
	s_and_saveexec_b64 s[6:7], s[4:5]
	s_cbranch_execz .LBB1_440
.LBB1_439:
	v_bfe_u32 v6, v3, 16, 3
	v_ffbh_u32_e32 v14, v6
	v_min_u32_e32 v14, 32, v14
	v_lshrrev_b32_e32 v12, 19, v3
	v_subrev_u32_e32 v15, 28, v14
	v_and_b32_e32 v12, 15, v12
	v_lshlrev_b32_sdwa v15, v15, v3 dst_sel:DWORD dst_unused:UNUSED_PAD src0_sel:DWORD src1_sel:WORD_1
	v_bfe_u32 v13, v3, 19, 4
	v_sub_u32_e32 v14, 29, v14
	v_and_b32_e32 v15, 7, v15
	v_cmp_eq_u16_e32 vcc, 0, v12
	v_cndmask_b32_e32 v6, v6, v15, vcc
	v_cndmask_b32_e32 v12, v13, v14, vcc
	v_lshlrev_b32_e32 v13, 8, v3
	v_mov_b32_e32 v14, 0x3b800000
	v_lshlrev_b32_e32 v6, 20, v6
	v_and_b32_e32 v13, 0x80000000, v13
	v_lshl_add_u32 v12, v12, 23, v14
	v_or3_b32 v12, v13, v12, v6
.LBB1_440:
	s_or_b64 exec, exec, s[6:7]
	s_nop 0
	v_mfma_f32_16x16x4f32 a[0:3], v2, v12, a[0:3]
	s_movk_i32 s4, 0x7f
	v_cmp_gt_i16_sdwa s[6:7], v7, s4 src0_sel:BYTE_3 src1_sel:DWORD
	s_mov_b64 s[4:5], 0
                                        ; implicit-def: $sgpr10
	s_and_saveexec_b64 s[8:9], s[6:7]
	s_xor_b64 s[6:7], exec, s[8:9]
	s_cbranch_execnz .LBB1_2489
; %bb.441:
	s_or_saveexec_b64 s[6:7], s[6:7]
	v_mov_b32_e32 v2, s10
	s_xor_b64 exec, exec, s[6:7]
	s_cbranch_execnz .LBB1_2492
.LBB1_442:
	s_or_b64 exec, exec, s[6:7]
	s_and_saveexec_b64 s[6:7], s[4:5]
	s_cbranch_execz .LBB1_444
.LBB1_443:
	v_bfe_u32 v2, v7, 24, 3
	v_ffbh_u32_e32 v14, v2
	v_min_u32_e32 v14, 32, v14
	v_lshrrev_b32_e32 v12, 27, v7
	v_subrev_u32_e32 v15, 28, v14
	v_and_b32_e32 v6, 0x80000000, v7
	v_and_b32_e32 v12, 15, v12
	v_bfe_u32 v13, v7, 27, 4
	v_lshlrev_b32_sdwa v7, v15, v7 dst_sel:DWORD dst_unused:UNUSED_PAD src0_sel:DWORD src1_sel:BYTE_3
	v_sub_u32_e32 v14, 29, v14
	v_and_b32_e32 v7, 7, v7
	v_cmp_eq_u16_e32 vcc, 0, v12
	v_cndmask_b32_e32 v2, v2, v7, vcc
	v_cndmask_b32_e32 v7, v13, v14, vcc
	v_mov_b32_e32 v12, 0x3b800000
	v_lshlrev_b32_e32 v2, 20, v2
	v_lshl_add_u32 v7, v7, 23, v12
	v_or3_b32 v2, v6, v7, v2
.LBB1_444:
	s_or_b64 exec, exec, s[6:7]
	s_movk_i32 s4, 0x7f
	v_cmp_gt_i16_sdwa s[6:7], v3, s4 src0_sel:BYTE_3 src1_sel:DWORD
	s_mov_b64 s[4:5], 0
                                        ; implicit-def: $sgpr10
	s_and_saveexec_b64 s[8:9], s[6:7]
	s_xor_b64 s[6:7], exec, s[8:9]
	s_cbranch_execnz .LBB1_2493
; %bb.445:
	s_or_saveexec_b64 s[6:7], s[6:7]
	v_mov_b32_e32 v6, s10
	s_xor_b64 exec, exec, s[6:7]
	s_cbranch_execnz .LBB1_2496
.LBB1_446:
	s_or_b64 exec, exec, s[6:7]
	s_and_saveexec_b64 s[6:7], s[4:5]
	s_cbranch_execz .LBB1_448
.LBB1_447:
	v_bfe_u32 v6, v3, 24, 3
	v_ffbh_u32_e32 v14, v6
	v_min_u32_e32 v14, 32, v14
	v_lshrrev_b32_e32 v12, 27, v3
	v_subrev_u32_e32 v15, 28, v14
	v_and_b32_e32 v7, 0x80000000, v3
	v_and_b32_e32 v12, 15, v12
	v_bfe_u32 v13, v3, 27, 4
	v_lshlrev_b32_sdwa v3, v15, v3 dst_sel:DWORD dst_unused:UNUSED_PAD src0_sel:DWORD src1_sel:BYTE_3
	v_sub_u32_e32 v14, 29, v14
	v_and_b32_e32 v3, 7, v3
	v_cmp_eq_u16_e32 vcc, 0, v12
	v_cndmask_b32_e32 v3, v6, v3, vcc
	v_cndmask_b32_e32 v6, v13, v14, vcc
	v_mov_b32_e32 v12, 0x3b800000
	v_lshlrev_b32_e32 v3, 20, v3
	v_lshl_add_u32 v6, v6, 23, v12
	v_or3_b32 v6, v7, v6, v3
.LBB1_448:
	s_or_b64 exec, exec, s[6:7]
	s_nop 0
	v_mfma_f32_16x16x4f32 a[0:3], v2, v6, a[0:3]
	s_movk_i32 s4, 0x7f
	v_cmp_gt_i16_sdwa s[6:7], v8, s4 src0_sel:BYTE_0 src1_sel:DWORD
	s_mov_b64 s[4:5], 0
                                        ; implicit-def: $sgpr10
	s_and_saveexec_b64 s[8:9], s[6:7]
	s_xor_b64 s[6:7], exec, s[8:9]
	s_cbranch_execnz .LBB1_2497
; %bb.449:
	s_or_saveexec_b64 s[6:7], s[6:7]
	v_mov_b32_e32 v2, s10
	s_xor_b64 exec, exec, s[6:7]
	s_cbranch_execnz .LBB1_2500
.LBB1_450:
	s_or_b64 exec, exec, s[6:7]
	s_and_saveexec_b64 s[6:7], s[4:5]
	s_cbranch_execz .LBB1_452
.LBB1_451:
	v_and_b32_e32 v2, 7, v8
	v_ffbh_u32_e32 v6, v2
	v_min_u32_e32 v6, 32, v6
	v_lshrrev_b16_e32 v3, 3, v8
	v_subrev_u32_e32 v7, 28, v6
	v_and_b32_e32 v3, 15, v3
	v_lshlrev_b32_e32 v7, v7, v8
	v_sub_u32_e32 v6, 29, v6
	v_and_b32_e32 v7, 7, v7
	v_cmp_eq_u16_e32 vcc, 0, v3
	v_cndmask_b32_e32 v2, v2, v7, vcc
	v_cndmask_b32_e32 v3, v3, v6, vcc
	v_lshlrev_b32_e32 v6, 24, v8
	v_mov_b32_e32 v7, 0x3b800000
	v_lshlrev_b32_e32 v2, 20, v2
	v_and_b32_e32 v6, 0x80000000, v6
	v_lshl_add_u32 v3, v3, 23, v7
	v_or3_b32 v2, v6, v3, v2
.LBB1_452:
	s_or_b64 exec, exec, s[6:7]
	s_movk_i32 s4, 0x7f
	v_cmp_gt_i16_sdwa s[6:7], v4, s4 src0_sel:BYTE_0 src1_sel:DWORD
	s_mov_b64 s[4:5], 0
                                        ; implicit-def: $sgpr10
	s_and_saveexec_b64 s[8:9], s[6:7]
	s_xor_b64 s[6:7], exec, s[8:9]
	s_cbranch_execnz .LBB1_2501
; %bb.453:
	s_or_saveexec_b64 s[6:7], s[6:7]
	v_mov_b32_e32 v3, s10
	s_xor_b64 exec, exec, s[6:7]
	s_cbranch_execnz .LBB1_2504
.LBB1_454:
	s_or_b64 exec, exec, s[6:7]
	s_and_saveexec_b64 s[6:7], s[4:5]
	s_cbranch_execz .LBB1_456
.LBB1_455:
	v_and_b32_e32 v3, 7, v4
	v_ffbh_u32_e32 v7, v3
	v_min_u32_e32 v7, 32, v7
	v_lshrrev_b16_e32 v6, 3, v4
	v_subrev_u32_e32 v12, 28, v7
	v_and_b32_e32 v6, 15, v6
	v_lshlrev_b32_e32 v12, v12, v4
	v_sub_u32_e32 v7, 29, v7
	v_and_b32_e32 v12, 7, v12
	v_cmp_eq_u16_e32 vcc, 0, v6
	v_cndmask_b32_e32 v3, v3, v12, vcc
	v_cndmask_b32_e32 v6, v6, v7, vcc
	v_lshlrev_b32_e32 v7, 24, v4
	v_mov_b32_e32 v12, 0x3b800000
	v_lshlrev_b32_e32 v3, 20, v3
	v_and_b32_e32 v7, 0x80000000, v7
	v_lshl_add_u32 v6, v6, 23, v12
	v_or3_b32 v3, v7, v6, v3
.LBB1_456:
	s_or_b64 exec, exec, s[6:7]
	s_nop 0
	v_mfma_f32_16x16x4f32 a[0:3], v2, v3, a[0:3]
	v_lshrrev_b32_e32 v3, 8, v8
	s_movk_i32 s4, 0x7f
	v_cmp_gt_i16_sdwa s[6:7], v3, s4 src0_sel:BYTE_0 src1_sel:DWORD
	s_mov_b64 s[4:5], 0
                                        ; implicit-def: $sgpr10
	s_and_saveexec_b64 s[8:9], s[6:7]
	s_xor_b64 s[6:7], exec, s[8:9]
	s_cbranch_execnz .LBB1_2505
; %bb.457:
	s_or_saveexec_b64 s[6:7], s[6:7]
	v_mov_b32_e32 v2, s10
	s_xor_b64 exec, exec, s[6:7]
	s_cbranch_execnz .LBB1_2508
.LBB1_458:
	s_or_b64 exec, exec, s[6:7]
	s_and_saveexec_b64 s[6:7], s[4:5]
	s_cbranch_execz .LBB1_460
.LBB1_459:
	v_bfe_u32 v2, v8, 8, 3
	v_ffbh_u32_e32 v7, v2
	v_min_u32_e32 v7, 32, v7
	v_lshrrev_b16_e32 v6, 3, v3
	v_subrev_u32_e32 v12, 28, v7
	v_and_b32_e32 v6, 15, v6
	v_lshlrev_b32_e32 v3, v12, v3
	v_sub_u32_e32 v7, 29, v7
	v_and_b32_e32 v3, 7, v3
	v_cmp_eq_u16_e32 vcc, 0, v6
	v_cndmask_b32_e32 v2, v2, v3, vcc
	v_cndmask_b32_e32 v3, v6, v7, vcc
	v_lshlrev_b32_e32 v6, 16, v8
	v_mov_b32_e32 v7, 0x3b800000
	v_lshlrev_b32_e32 v2, 20, v2
	v_and_b32_e32 v6, 0x80000000, v6
	v_lshl_add_u32 v3, v3, 23, v7
	v_or3_b32 v2, v6, v3, v2
.LBB1_460:
	s_or_b64 exec, exec, s[6:7]
	v_lshrrev_b32_e32 v3, 8, v4
	s_movk_i32 s4, 0x7f
	v_cmp_gt_i16_sdwa s[6:7], v3, s4 src0_sel:BYTE_0 src1_sel:DWORD
	s_mov_b64 s[4:5], 0
                                        ; implicit-def: $sgpr10
	s_and_saveexec_b64 s[8:9], s[6:7]
	s_xor_b64 s[6:7], exec, s[8:9]
	s_cbranch_execnz .LBB1_2509
; %bb.461:
	s_or_saveexec_b64 s[6:7], s[6:7]
	v_mov_b32_e32 v6, s10
	s_xor_b64 exec, exec, s[6:7]
	s_cbranch_execnz .LBB1_2512
.LBB1_462:
	s_or_b64 exec, exec, s[6:7]
	s_and_saveexec_b64 s[6:7], s[4:5]
	s_cbranch_execz .LBB1_464
.LBB1_463:
	v_bfe_u32 v6, v4, 8, 3
	v_ffbh_u32_e32 v12, v6
	v_min_u32_e32 v12, 32, v12
	v_lshrrev_b16_e32 v7, 3, v3
	v_subrev_u32_e32 v13, 28, v12
	v_and_b32_e32 v7, 15, v7
	v_lshlrev_b32_e32 v3, v13, v3
	v_sub_u32_e32 v12, 29, v12
	v_and_b32_e32 v3, 7, v3
	v_cmp_eq_u16_e32 vcc, 0, v7
	v_cndmask_b32_e32 v3, v6, v3, vcc
	v_cndmask_b32_e32 v6, v7, v12, vcc
	v_lshlrev_b32_e32 v7, 16, v4
	v_mov_b32_e32 v12, 0x3b800000
	v_lshlrev_b32_e32 v3, 20, v3
	v_and_b32_e32 v7, 0x80000000, v7
	v_lshl_add_u32 v6, v6, 23, v12
	v_or3_b32 v6, v7, v6, v3
.LBB1_464:
	s_or_b64 exec, exec, s[6:7]
	s_nop 0
	v_mfma_f32_16x16x4f32 a[0:3], v2, v6, a[0:3]
	s_movk_i32 s4, 0xff
	v_and_b32_sdwa v3, v8, s4 dst_sel:DWORD dst_unused:UNUSED_PAD src0_sel:WORD_1 src1_sel:DWORD
	s_movk_i32 s4, 0x7f
	v_cmp_lt_i16_e32 vcc, s4, v3
	s_mov_b64 s[4:5], 0
                                        ; implicit-def: $sgpr10
	s_and_saveexec_b64 s[6:7], vcc
	s_xor_b64 s[6:7], exec, s[6:7]
	s_cbranch_execnz .LBB1_2513
; %bb.465:
	s_or_saveexec_b64 s[6:7], s[6:7]
	v_mov_b32_e32 v2, s10
	s_xor_b64 exec, exec, s[6:7]
	s_cbranch_execnz .LBB1_2516
.LBB1_466:
	s_or_b64 exec, exec, s[6:7]
	s_and_saveexec_b64 s[6:7], s[4:5]
	s_cbranch_execz .LBB1_468
.LBB1_467:
	v_bfe_u32 v2, v8, 16, 3
	v_ffbh_u32_e32 v7, v2
	v_min_u32_e32 v7, 32, v7
	v_lshrrev_b32_e32 v3, 19, v8
	v_subrev_u32_e32 v12, 28, v7
	v_and_b32_e32 v3, 15, v3
	v_lshlrev_b32_sdwa v12, v12, v8 dst_sel:DWORD dst_unused:UNUSED_PAD src0_sel:DWORD src1_sel:WORD_1
	v_bfe_u32 v6, v8, 19, 4
	v_sub_u32_e32 v7, 29, v7
	v_and_b32_e32 v12, 7, v12
	v_cmp_eq_u16_e32 vcc, 0, v3
	v_cndmask_b32_e32 v2, v2, v12, vcc
	v_cndmask_b32_e32 v3, v6, v7, vcc
	v_lshlrev_b32_e32 v6, 8, v8
	v_mov_b32_e32 v7, 0x3b800000
	v_lshlrev_b32_e32 v2, 20, v2
	v_and_b32_e32 v6, 0x80000000, v6
	v_lshl_add_u32 v3, v3, 23, v7
	v_or3_b32 v2, v6, v3, v2
.LBB1_468:
	s_or_b64 exec, exec, s[6:7]
	s_movk_i32 s4, 0xff
	v_and_b32_sdwa v3, v4, s4 dst_sel:DWORD dst_unused:UNUSED_PAD src0_sel:WORD_1 src1_sel:DWORD
	s_movk_i32 s4, 0x7f
	v_cmp_lt_i16_e32 vcc, s4, v3
	s_mov_b64 s[4:5], 0
                                        ; implicit-def: $sgpr10
	s_and_saveexec_b64 s[6:7], vcc
	s_xor_b64 s[6:7], exec, s[6:7]
	s_cbranch_execnz .LBB1_2517
; %bb.469:
	s_or_saveexec_b64 s[6:7], s[6:7]
	v_mov_b32_e32 v6, s10
	s_xor_b64 exec, exec, s[6:7]
	s_cbranch_execnz .LBB1_2520
.LBB1_470:
	s_or_b64 exec, exec, s[6:7]
	s_and_saveexec_b64 s[6:7], s[4:5]
	s_cbranch_execz .LBB1_472
.LBB1_471:
	v_bfe_u32 v3, v4, 16, 3
	v_ffbh_u32_e32 v12, v3
	v_min_u32_e32 v12, 32, v12
	v_lshrrev_b32_e32 v6, 19, v4
	v_subrev_u32_e32 v13, 28, v12
	v_and_b32_e32 v6, 15, v6
	v_lshlrev_b32_sdwa v13, v13, v4 dst_sel:DWORD dst_unused:UNUSED_PAD src0_sel:DWORD src1_sel:WORD_1
	v_bfe_u32 v7, v4, 19, 4
	v_sub_u32_e32 v12, 29, v12
	v_and_b32_e32 v13, 7, v13
	v_cmp_eq_u16_e32 vcc, 0, v6
	v_cndmask_b32_e32 v3, v3, v13, vcc
	v_cndmask_b32_e32 v6, v7, v12, vcc
	v_lshlrev_b32_e32 v7, 8, v4
	v_mov_b32_e32 v12, 0x3b800000
	v_lshlrev_b32_e32 v3, 20, v3
	v_and_b32_e32 v7, 0x80000000, v7
	v_lshl_add_u32 v6, v6, 23, v12
	v_or3_b32 v6, v7, v6, v3
.LBB1_472:
	s_or_b64 exec, exec, s[6:7]
	s_nop 0
	v_mfma_f32_16x16x4f32 a[0:3], v2, v6, a[0:3]
	s_movk_i32 s4, 0x7f
	v_cmp_gt_i16_sdwa s[6:7], v8, s4 src0_sel:BYTE_3 src1_sel:DWORD
	s_mov_b64 s[4:5], 0
                                        ; implicit-def: $sgpr10
	s_and_saveexec_b64 s[8:9], s[6:7]
	s_xor_b64 s[6:7], exec, s[8:9]
	s_cbranch_execnz .LBB1_2521
; %bb.473:
	s_or_saveexec_b64 s[6:7], s[6:7]
	v_mov_b32_e32 v2, s10
	s_xor_b64 exec, exec, s[6:7]
	s_cbranch_execnz .LBB1_2524
.LBB1_474:
	s_or_b64 exec, exec, s[6:7]
	s_and_saveexec_b64 s[6:7], s[4:5]
	s_cbranch_execz .LBB1_476
.LBB1_475:
	v_bfe_u32 v2, v8, 24, 3
	v_ffbh_u32_e32 v12, v2
	v_min_u32_e32 v12, 32, v12
	v_lshrrev_b32_e32 v6, 27, v8
	v_subrev_u32_e32 v13, 28, v12
	v_and_b32_e32 v3, 0x80000000, v8
	v_and_b32_e32 v6, 15, v6
	v_bfe_u32 v7, v8, 27, 4
	v_lshlrev_b32_sdwa v8, v13, v8 dst_sel:DWORD dst_unused:UNUSED_PAD src0_sel:DWORD src1_sel:BYTE_3
	v_sub_u32_e32 v12, 29, v12
	v_and_b32_e32 v8, 7, v8
	v_cmp_eq_u16_e32 vcc, 0, v6
	v_cndmask_b32_e32 v2, v2, v8, vcc
	v_cndmask_b32_e32 v6, v7, v12, vcc
	v_mov_b32_e32 v7, 0x3b800000
	v_lshlrev_b32_e32 v2, 20, v2
	v_lshl_add_u32 v6, v6, 23, v7
	v_or3_b32 v2, v3, v6, v2
.LBB1_476:
	s_or_b64 exec, exec, s[6:7]
	s_movk_i32 s4, 0x7f
	v_cmp_gt_i16_sdwa s[6:7], v4, s4 src0_sel:BYTE_3 src1_sel:DWORD
	s_mov_b64 s[4:5], 0
                                        ; implicit-def: $sgpr10
	s_and_saveexec_b64 s[8:9], s[6:7]
	s_xor_b64 s[6:7], exec, s[8:9]
	s_cbranch_execnz .LBB1_2525
; %bb.477:
	s_or_saveexec_b64 s[6:7], s[6:7]
	v_mov_b32_e32 v3, s10
	s_xor_b64 exec, exec, s[6:7]
	s_cbranch_execnz .LBB1_2528
.LBB1_478:
	s_or_b64 exec, exec, s[6:7]
	s_and_saveexec_b64 s[6:7], s[4:5]
	s_cbranch_execz .LBB1_480
.LBB1_479:
	v_bfe_u32 v3, v4, 24, 3
	v_ffbh_u32_e32 v12, v3
	v_min_u32_e32 v12, 32, v12
	v_lshrrev_b32_e32 v7, 27, v4
	v_subrev_u32_e32 v13, 28, v12
	v_and_b32_e32 v6, 0x80000000, v4
	v_and_b32_e32 v7, 15, v7
	v_bfe_u32 v8, v4, 27, 4
	v_lshlrev_b32_sdwa v4, v13, v4 dst_sel:DWORD dst_unused:UNUSED_PAD src0_sel:DWORD src1_sel:BYTE_3
	v_sub_u32_e32 v12, 29, v12
	v_and_b32_e32 v4, 7, v4
	v_cmp_eq_u16_e32 vcc, 0, v7
	v_cndmask_b32_e32 v3, v3, v4, vcc
	v_cndmask_b32_e32 v4, v8, v12, vcc
	v_mov_b32_e32 v7, 0x3b800000
	v_lshlrev_b32_e32 v3, 20, v3
	v_lshl_add_u32 v4, v4, 23, v7
	v_or3_b32 v3, v6, v4, v3
.LBB1_480:
	s_or_b64 exec, exec, s[6:7]
	s_nop 0
	v_mfma_f32_16x16x4f32 a[0:3], v2, v3, a[0:3]
	s_movk_i32 s4, 0x7f
	v_cmp_gt_i16_sdwa s[6:7], v9, s4 src0_sel:BYTE_0 src1_sel:DWORD
	s_mov_b64 s[4:5], 0
                                        ; implicit-def: $sgpr10
	s_and_saveexec_b64 s[8:9], s[6:7]
	s_xor_b64 s[6:7], exec, s[8:9]
	s_cbranch_execnz .LBB1_2529
; %bb.481:
	s_or_saveexec_b64 s[6:7], s[6:7]
	v_mov_b32_e32 v2, s10
	s_xor_b64 exec, exec, s[6:7]
	s_cbranch_execnz .LBB1_2532
.LBB1_482:
	s_or_b64 exec, exec, s[6:7]
	s_and_saveexec_b64 s[6:7], s[4:5]
	s_cbranch_execz .LBB1_484
.LBB1_483:
	v_mov_b32_e32 v2, 8
	v_and_b32_e32 v3, 7, v9
	v_lshrrev_b32_sdwa v2, v2, v9 dst_sel:BYTE_1 dst_unused:UNUSED_PAD src0_sel:DWORD src1_sel:DWORD
	v_ffbh_u32_e32 v4, v3
	v_or_b32_sdwa v2, v9, v2 dst_sel:DWORD dst_unused:UNUSED_PAD src0_sel:BYTE_0 src1_sel:DWORD
	v_min_u32_e32 v4, 32, v4
	v_lshrrev_b16_e32 v2, 3, v2
	v_subrev_u32_e32 v6, 28, v4
	v_and_b32_e32 v2, 15, v2
	v_lshlrev_b32_e32 v6, v6, v9
	v_sub_u32_e32 v4, 29, v4
	v_and_b32_e32 v6, 7, v6
	v_cmp_eq_u16_e32 vcc, 0, v2
	v_cndmask_b32_e32 v3, v3, v6, vcc
	v_cndmask_b32_e32 v2, v2, v4, vcc
	v_lshlrev_b32_e32 v4, 24, v9
	v_mov_b32_e32 v6, 0x3b800000
	v_lshlrev_b32_e32 v3, 20, v3
	v_and_b32_e32 v4, 0x80000000, v4
	v_lshl_add_u32 v2, v2, 23, v6
	v_or3_b32 v2, v4, v2, v3
.LBB1_484:
	s_or_b64 exec, exec, s[6:7]
	s_movk_i32 s4, 0x7f
	v_cmp_gt_i16_sdwa s[6:7], v5, s4 src0_sel:BYTE_0 src1_sel:DWORD
	s_mov_b64 s[4:5], 0
                                        ; implicit-def: $sgpr10
	s_and_saveexec_b64 s[8:9], s[6:7]
	s_xor_b64 s[6:7], exec, s[8:9]
	s_cbranch_execnz .LBB1_2533
; %bb.485:
	s_or_saveexec_b64 s[6:7], s[6:7]
	v_mov_b32_e32 v3, s10
	s_xor_b64 exec, exec, s[6:7]
	s_cbranch_execnz .LBB1_2536
.LBB1_486:
	s_or_b64 exec, exec, s[6:7]
	s_and_saveexec_b64 s[6:7], s[4:5]
	s_cbranch_execz .LBB1_488
.LBB1_487:
	v_mov_b32_e32 v3, 8
	v_and_b32_e32 v4, 7, v5
	v_lshrrev_b32_sdwa v3, v3, v5 dst_sel:BYTE_1 dst_unused:UNUSED_PAD src0_sel:DWORD src1_sel:DWORD
	v_ffbh_u32_e32 v6, v4
	v_or_b32_sdwa v3, v5, v3 dst_sel:DWORD dst_unused:UNUSED_PAD src0_sel:BYTE_0 src1_sel:DWORD
	v_min_u32_e32 v6, 32, v6
	v_lshrrev_b16_e32 v3, 3, v3
	v_subrev_u32_e32 v7, 28, v6
	v_and_b32_e32 v3, 15, v3
	v_lshlrev_b32_e32 v7, v7, v5
	v_sub_u32_e32 v6, 29, v6
	v_and_b32_e32 v7, 7, v7
	v_cmp_eq_u16_e32 vcc, 0, v3
	v_cndmask_b32_e32 v4, v4, v7, vcc
	v_cndmask_b32_e32 v3, v3, v6, vcc
	v_lshlrev_b32_e32 v6, 24, v5
	v_mov_b32_e32 v7, 0x3b800000
	v_lshlrev_b32_e32 v4, 20, v4
	v_and_b32_e32 v6, 0x80000000, v6
	v_lshl_add_u32 v3, v3, 23, v7
	v_or3_b32 v3, v6, v3, v4
.LBB1_488:
	s_or_b64 exec, exec, s[6:7]
	s_nop 0
	v_mfma_f32_16x16x4f32 a[0:3], v2, v3, a[0:3]
	v_lshrrev_b32_e32 v3, 8, v9
	s_movk_i32 s4, 0x7f
	v_cmp_gt_i16_sdwa s[6:7], v3, s4 src0_sel:BYTE_0 src1_sel:DWORD
	s_mov_b64 s[4:5], 0
                                        ; implicit-def: $sgpr10
	s_and_saveexec_b64 s[8:9], s[6:7]
	s_xor_b64 s[6:7], exec, s[8:9]
	s_cbranch_execnz .LBB1_2537
; %bb.489:
	s_or_saveexec_b64 s[6:7], s[6:7]
	v_mov_b32_e32 v2, s10
	s_xor_b64 exec, exec, s[6:7]
	s_cbranch_execnz .LBB1_2540
.LBB1_490:
	s_or_b64 exec, exec, s[6:7]
	s_and_saveexec_b64 s[6:7], s[4:5]
	s_cbranch_execz .LBB1_492
.LBB1_491:
	v_bfe_u32 v2, v9, 8, 3
	v_ffbh_u32_e32 v6, v2
	v_min_u32_e32 v6, 32, v6
	v_lshrrev_b16_e32 v4, 3, v3
	v_subrev_u32_e32 v7, 28, v6
	v_and_b32_e32 v4, 15, v4
	v_lshlrev_b32_e32 v3, v7, v3
	v_sub_u32_e32 v6, 29, v6
	v_and_b32_e32 v3, 7, v3
	v_cmp_eq_u16_e32 vcc, 0, v4
	v_cndmask_b32_e32 v2, v2, v3, vcc
	v_cndmask_b32_e32 v3, v4, v6, vcc
	v_lshlrev_b32_e32 v4, 16, v9
	v_mov_b32_e32 v6, 0x3b800000
	v_lshlrev_b32_e32 v2, 20, v2
	v_and_b32_e32 v4, 0x80000000, v4
	v_lshl_add_u32 v3, v3, 23, v6
	v_or3_b32 v2, v4, v3, v2
.LBB1_492:
	s_or_b64 exec, exec, s[6:7]
	v_lshrrev_b32_e32 v3, 8, v5
	s_movk_i32 s4, 0x7f
	v_cmp_gt_i16_sdwa s[6:7], v3, s4 src0_sel:BYTE_0 src1_sel:DWORD
	s_mov_b64 s[4:5], 0
                                        ; implicit-def: $sgpr10
	s_and_saveexec_b64 s[8:9], s[6:7]
	s_xor_b64 s[6:7], exec, s[8:9]
	s_cbranch_execnz .LBB1_2541
; %bb.493:
	s_or_saveexec_b64 s[6:7], s[6:7]
	v_mov_b32_e32 v4, s10
	s_xor_b64 exec, exec, s[6:7]
	s_cbranch_execnz .LBB1_2544
.LBB1_494:
	s_or_b64 exec, exec, s[6:7]
	s_and_saveexec_b64 s[6:7], s[4:5]
	s_cbranch_execz .LBB1_496
.LBB1_495:
	v_bfe_u32 v4, v5, 8, 3
	v_ffbh_u32_e32 v7, v4
	v_min_u32_e32 v7, 32, v7
	v_lshrrev_b16_e32 v6, 3, v3
	v_subrev_u32_e32 v8, 28, v7
	v_and_b32_e32 v6, 15, v6
	v_lshlrev_b32_e32 v3, v8, v3
	v_sub_u32_e32 v7, 29, v7
	v_and_b32_e32 v3, 7, v3
	v_cmp_eq_u16_e32 vcc, 0, v6
	v_cndmask_b32_e32 v3, v4, v3, vcc
	v_cndmask_b32_e32 v4, v6, v7, vcc
	v_lshlrev_b32_e32 v6, 16, v5
	v_mov_b32_e32 v7, 0x3b800000
	v_lshlrev_b32_e32 v3, 20, v3
	v_and_b32_e32 v6, 0x80000000, v6
	v_lshl_add_u32 v4, v4, 23, v7
	v_or3_b32 v4, v6, v4, v3
.LBB1_496:
	s_or_b64 exec, exec, s[6:7]
	s_nop 0
	v_mfma_f32_16x16x4f32 a[0:3], v2, v4, a[0:3]
	s_movk_i32 s4, 0xff
	v_and_b32_sdwa v3, v9, s4 dst_sel:DWORD dst_unused:UNUSED_PAD src0_sel:WORD_1 src1_sel:DWORD
	s_movk_i32 s4, 0x7f
	v_cmp_lt_i16_e32 vcc, s4, v3
	s_mov_b64 s[4:5], 0
                                        ; implicit-def: $sgpr10
	s_and_saveexec_b64 s[6:7], vcc
	s_xor_b64 s[6:7], exec, s[6:7]
	s_cbranch_execnz .LBB1_2545
; %bb.497:
	s_or_saveexec_b64 s[6:7], s[6:7]
	v_mov_b32_e32 v2, s10
	s_xor_b64 exec, exec, s[6:7]
	s_cbranch_execnz .LBB1_2548
.LBB1_498:
	s_or_b64 exec, exec, s[6:7]
	s_and_saveexec_b64 s[6:7], s[4:5]
	s_cbranch_execz .LBB1_500
.LBB1_499:
	v_bfe_u32 v2, v9, 16, 3
	v_ffbh_u32_e32 v6, v2
	v_min_u32_e32 v6, 32, v6
	v_lshrrev_b32_e32 v3, 19, v9
	v_subrev_u32_e32 v7, 28, v6
	v_and_b32_e32 v3, 15, v3
	v_lshlrev_b32_sdwa v7, v7, v9 dst_sel:DWORD dst_unused:UNUSED_PAD src0_sel:DWORD src1_sel:WORD_1
	v_bfe_u32 v4, v9, 19, 4
	v_sub_u32_e32 v6, 29, v6
	v_and_b32_e32 v7, 7, v7
	v_cmp_eq_u16_e32 vcc, 0, v3
	v_cndmask_b32_e32 v2, v2, v7, vcc
	v_cndmask_b32_e32 v3, v4, v6, vcc
	v_lshlrev_b32_e32 v4, 8, v9
	v_mov_b32_e32 v6, 0x3b800000
	v_lshlrev_b32_e32 v2, 20, v2
	v_and_b32_e32 v4, 0x80000000, v4
	v_lshl_add_u32 v3, v3, 23, v6
	v_or3_b32 v2, v4, v3, v2
.LBB1_500:
	s_or_b64 exec, exec, s[6:7]
	s_movk_i32 s4, 0xff
	v_and_b32_sdwa v3, v5, s4 dst_sel:DWORD dst_unused:UNUSED_PAD src0_sel:WORD_1 src1_sel:DWORD
	s_movk_i32 s4, 0x7f
	v_cmp_lt_i16_e32 vcc, s4, v3
	s_mov_b64 s[4:5], 0
                                        ; implicit-def: $sgpr10
	s_and_saveexec_b64 s[6:7], vcc
	s_xor_b64 s[6:7], exec, s[6:7]
	s_cbranch_execnz .LBB1_2549
; %bb.501:
	s_or_saveexec_b64 s[6:7], s[6:7]
	v_mov_b32_e32 v4, s10
	s_xor_b64 exec, exec, s[6:7]
	s_cbranch_execnz .LBB1_2552
.LBB1_502:
	s_or_b64 exec, exec, s[6:7]
	s_and_saveexec_b64 s[6:7], s[4:5]
	s_cbranch_execz .LBB1_504
.LBB1_503:
	v_bfe_u32 v3, v5, 16, 3
	v_ffbh_u32_e32 v7, v3
	v_min_u32_e32 v7, 32, v7
	v_lshrrev_b32_e32 v4, 19, v5
	v_subrev_u32_e32 v8, 28, v7
	v_and_b32_e32 v4, 15, v4
	v_lshlrev_b32_sdwa v8, v8, v5 dst_sel:DWORD dst_unused:UNUSED_PAD src0_sel:DWORD src1_sel:WORD_1
	v_bfe_u32 v6, v5, 19, 4
	v_sub_u32_e32 v7, 29, v7
	v_and_b32_e32 v8, 7, v8
	v_cmp_eq_u16_e32 vcc, 0, v4
	v_cndmask_b32_e32 v3, v3, v8, vcc
	v_cndmask_b32_e32 v4, v6, v7, vcc
	v_lshlrev_b32_e32 v6, 8, v5
	v_mov_b32_e32 v7, 0x3b800000
	v_lshlrev_b32_e32 v3, 20, v3
	v_and_b32_e32 v6, 0x80000000, v6
	v_lshl_add_u32 v4, v4, 23, v7
	v_or3_b32 v4, v6, v4, v3
.LBB1_504:
	s_or_b64 exec, exec, s[6:7]
	s_nop 0
	v_mfma_f32_16x16x4f32 a[0:3], v2, v4, a[0:3]
	s_movk_i32 s4, 0x7f
	v_cmp_gt_i16_sdwa s[6:7], v9, s4 src0_sel:BYTE_3 src1_sel:DWORD
	s_mov_b64 s[4:5], 0
                                        ; implicit-def: $sgpr10
	s_and_saveexec_b64 s[8:9], s[6:7]
	s_xor_b64 s[6:7], exec, s[8:9]
	s_cbranch_execnz .LBB1_2553
; %bb.505:
	s_or_saveexec_b64 s[6:7], s[6:7]
	v_mov_b32_e32 v2, s10
	s_xor_b64 exec, exec, s[6:7]
	s_cbranch_execnz .LBB1_2556
.LBB1_506:
	s_or_b64 exec, exec, s[6:7]
	s_and_saveexec_b64 s[6:7], s[4:5]
	s_cbranch_execz .LBB1_508
.LBB1_507:
	v_bfe_u32 v2, v9, 24, 3
	v_ffbh_u32_e32 v7, v2
	v_min_u32_e32 v7, 32, v7
	v_lshrrev_b32_e32 v4, 27, v9
	v_subrev_u32_e32 v8, 28, v7
	v_and_b32_e32 v4, 15, v4
	v_lshlrev_b32_sdwa v8, v8, v9 dst_sel:DWORD dst_unused:UNUSED_PAD src0_sel:DWORD src1_sel:BYTE_3
	v_bfe_u32 v6, v9, 27, 4
	v_sub_u32_e32 v7, 29, v7
	v_and_b32_e32 v8, 7, v8
	v_cmp_eq_u16_e32 vcc, 0, v4
	v_cndmask_b32_e32 v2, v2, v8, vcc
	v_cndmask_b32_e32 v4, v6, v7, vcc
	v_mov_b32_e32 v6, 0x3b800000
	v_and_b32_e32 v3, 0x80000000, v9
	v_lshlrev_b32_e32 v2, 20, v2
	v_lshl_add_u32 v4, v4, 23, v6
	v_or3_b32 v2, v3, v4, v2
.LBB1_508:
	s_or_b64 exec, exec, s[6:7]
	s_movk_i32 s4, 0x7f
	v_cmp_gt_i16_sdwa s[6:7], v5, s4 src0_sel:BYTE_3 src1_sel:DWORD
	s_mov_b64 s[4:5], 0
                                        ; implicit-def: $sgpr10
	s_and_saveexec_b64 s[8:9], s[6:7]
	s_xor_b64 s[6:7], exec, s[8:9]
	s_cbranch_execnz .LBB1_2557
; %bb.509:
	s_or_saveexec_b64 s[6:7], s[6:7]
	v_mov_b32_e32 v3, s10
	s_xor_b64 exec, exec, s[6:7]
	s_cbranch_execnz .LBB1_2560
.LBB1_510:
	s_or_b64 exec, exec, s[6:7]
	s_and_saveexec_b64 s[6:7], s[4:5]
	s_cbranch_execz .LBB1_512
.LBB1_511:
	v_bfe_u32 v3, v5, 24, 3
	v_ffbh_u32_e32 v8, v3
	v_min_u32_e32 v8, 32, v8
	v_lshrrev_b32_e32 v6, 27, v5
	v_subrev_u32_e32 v9, 28, v8
	v_and_b32_e32 v4, 0x80000000, v5
	v_and_b32_e32 v6, 15, v6
	v_bfe_u32 v7, v5, 27, 4
	v_lshlrev_b32_sdwa v5, v9, v5 dst_sel:DWORD dst_unused:UNUSED_PAD src0_sel:DWORD src1_sel:BYTE_3
	v_sub_u32_e32 v8, 29, v8
	v_and_b32_e32 v5, 7, v5
	v_cmp_eq_u16_e32 vcc, 0, v6
	v_cndmask_b32_e32 v3, v3, v5, vcc
	v_cndmask_b32_e32 v5, v7, v8, vcc
	v_mov_b32_e32 v6, 0x3b800000
	v_lshlrev_b32_e32 v3, 20, v3
	v_lshl_add_u32 v5, v5, 23, v6
	v_or3_b32 v3, v4, v5, v3
.LBB1_512:
	s_or_b64 exec, exec, s[6:7]
	s_nop 0
	v_mfma_f32_16x16x4f32 a[0:3], v2, v3, a[0:3]
	s_movk_i32 s4, 0x7f
                                        ; implicit-def: $sgpr10
	s_nop 7
	s_nop 1
	flat_store_dwordx4 v[10:11], a[0:3] offset:48
	flat_load_dwordx4 v[12:15], v[0:1] offset:8
	s_nop 0
	flat_load_dwordx2 v[10:11], v[0:1] offset:32
	s_waitcnt vmcnt(0) lgkmcnt(0)
	flat_load_dwordx4 v[6:9], v[12:13] offset:32
	flat_load_dwordx4 v[2:5], v[14:15]
	s_waitcnt vmcnt(0) lgkmcnt(0)
	v_cmp_gt_i16_sdwa s[6:7], v6, s4 src0_sel:BYTE_0 src1_sel:DWORD
	s_mov_b64 s[4:5], 0
	s_and_saveexec_b64 s[8:9], s[6:7]
	s_xor_b64 s[6:7], exec, s[8:9]
	s_cbranch_execnz .LBB1_2561
; %bb.513:
	s_or_saveexec_b64 s[6:7], s[6:7]
	v_mov_b32_e32 v12, s10
	s_xor_b64 exec, exec, s[6:7]
	s_cbranch_execnz .LBB1_2564
.LBB1_514:
	s_or_b64 exec, exec, s[6:7]
	s_and_saveexec_b64 s[6:7], s[4:5]
	s_cbranch_execz .LBB1_516
.LBB1_515:
	v_and_b32_e32 v12, 7, v6
	v_ffbh_u32_e32 v14, v12
	v_min_u32_e32 v14, 32, v14
	v_lshrrev_b16_e32 v13, 3, v6
	v_subrev_u32_e32 v15, 28, v14
	v_and_b32_e32 v13, 15, v13
	v_lshlrev_b32_e32 v15, v15, v6
	v_sub_u32_e32 v14, 29, v14
	v_and_b32_e32 v15, 7, v15
	v_cmp_eq_u16_e32 vcc, 0, v13
	v_cndmask_b32_e32 v12, v12, v15, vcc
	v_cndmask_b32_e32 v13, v13, v14, vcc
	v_lshlrev_b32_e32 v14, 24, v6
	v_mov_b32_e32 v15, 0x3b800000
	v_lshlrev_b32_e32 v12, 20, v12
	v_and_b32_e32 v14, 0x80000000, v14
	v_lshl_add_u32 v13, v13, 23, v15
	v_or3_b32 v12, v14, v13, v12
.LBB1_516:
	s_or_b64 exec, exec, s[6:7]
	s_movk_i32 s4, 0x7f
	v_cmp_gt_i16_sdwa s[6:7], v2, s4 src0_sel:BYTE_0 src1_sel:DWORD
	s_mov_b64 s[4:5], 0
                                        ; implicit-def: $sgpr10
	s_and_saveexec_b64 s[8:9], s[6:7]
	s_xor_b64 s[6:7], exec, s[8:9]
	s_cbranch_execnz .LBB1_2565
; %bb.517:
	s_or_saveexec_b64 s[6:7], s[6:7]
	v_mov_b32_e32 v13, s10
	s_xor_b64 exec, exec, s[6:7]
	s_cbranch_execnz .LBB1_2568
.LBB1_518:
	s_or_b64 exec, exec, s[6:7]
	s_and_saveexec_b64 s[6:7], s[4:5]
	s_cbranch_execz .LBB1_520
.LBB1_519:
	v_and_b32_e32 v13, 7, v2
	v_ffbh_u32_e32 v15, v13
	v_min_u32_e32 v15, 32, v15
	v_lshrrev_b16_e32 v14, 3, v2
	v_subrev_u32_e32 v16, 28, v15
	v_and_b32_e32 v14, 15, v14
	v_lshlrev_b32_e32 v16, v16, v2
	v_sub_u32_e32 v15, 29, v15
	v_and_b32_e32 v16, 7, v16
	v_cmp_eq_u16_e32 vcc, 0, v14
	v_cndmask_b32_e32 v13, v13, v16, vcc
	v_cndmask_b32_e32 v14, v14, v15, vcc
	v_lshlrev_b32_e32 v15, 24, v2
	v_mov_b32_e32 v16, 0x3b800000
	v_lshlrev_b32_e32 v13, 20, v13
	v_and_b32_e32 v15, 0x80000000, v15
	v_lshl_add_u32 v14, v14, 23, v16
	v_or3_b32 v13, v15, v14, v13
.LBB1_520:
	s_or_b64 exec, exec, s[6:7]
	flat_load_dwordx4 a[0:3], v[10:11] offset:64
	s_movk_i32 s4, 0x7f
                                        ; implicit-def: $sgpr10
	s_waitcnt vmcnt(0) lgkmcnt(0)
	v_mfma_f32_16x16x4f32 a[0:3], v12, v13, a[0:3]
	v_lshrrev_b32_e32 v13, 8, v6
	v_cmp_gt_i16_sdwa s[6:7], v13, s4 src0_sel:BYTE_0 src1_sel:DWORD
	s_mov_b64 s[4:5], 0
	s_and_saveexec_b64 s[8:9], s[6:7]
	s_xor_b64 s[6:7], exec, s[8:9]
	s_cbranch_execnz .LBB1_2569
; %bb.521:
	s_or_saveexec_b64 s[6:7], s[6:7]
	v_mov_b32_e32 v12, s10
	s_xor_b64 exec, exec, s[6:7]
	s_cbranch_execnz .LBB1_2572
.LBB1_522:
	s_or_b64 exec, exec, s[6:7]
	s_and_saveexec_b64 s[6:7], s[4:5]
	s_cbranch_execz .LBB1_524
.LBB1_523:
	v_bfe_u32 v12, v6, 8, 3
	v_ffbh_u32_e32 v15, v12
	v_min_u32_e32 v15, 32, v15
	v_lshrrev_b16_e32 v14, 3, v13
	v_subrev_u32_e32 v16, 28, v15
	v_and_b32_e32 v14, 15, v14
	v_lshlrev_b32_e32 v13, v16, v13
	v_sub_u32_e32 v15, 29, v15
	v_and_b32_e32 v13, 7, v13
	v_cmp_eq_u16_e32 vcc, 0, v14
	v_cndmask_b32_e32 v12, v12, v13, vcc
	v_cndmask_b32_e32 v13, v14, v15, vcc
	v_lshlrev_b32_e32 v14, 16, v6
	v_mov_b32_e32 v15, 0x3b800000
	v_lshlrev_b32_e32 v12, 20, v12
	v_and_b32_e32 v14, 0x80000000, v14
	v_lshl_add_u32 v13, v13, 23, v15
	v_or3_b32 v12, v14, v13, v12
.LBB1_524:
	s_or_b64 exec, exec, s[6:7]
	v_lshrrev_b32_e32 v13, 8, v2
	s_movk_i32 s4, 0x7f
	v_cmp_gt_i16_sdwa s[6:7], v13, s4 src0_sel:BYTE_0 src1_sel:DWORD
	s_mov_b64 s[4:5], 0
                                        ; implicit-def: $sgpr10
	s_and_saveexec_b64 s[8:9], s[6:7]
	s_xor_b64 s[6:7], exec, s[8:9]
	s_cbranch_execnz .LBB1_2573
; %bb.525:
	s_or_saveexec_b64 s[6:7], s[6:7]
	v_mov_b32_e32 v14, s10
	s_xor_b64 exec, exec, s[6:7]
	s_cbranch_execnz .LBB1_2576
.LBB1_526:
	s_or_b64 exec, exec, s[6:7]
	s_and_saveexec_b64 s[6:7], s[4:5]
	s_cbranch_execz .LBB1_528
.LBB1_527:
	v_bfe_u32 v14, v2, 8, 3
	v_ffbh_u32_e32 v16, v14
	v_min_u32_e32 v16, 32, v16
	v_lshrrev_b16_e32 v15, 3, v13
	v_subrev_u32_e32 v17, 28, v16
	v_and_b32_e32 v15, 15, v15
	v_lshlrev_b32_e32 v13, v17, v13
	v_sub_u32_e32 v16, 29, v16
	v_and_b32_e32 v13, 7, v13
	v_cmp_eq_u16_e32 vcc, 0, v15
	v_cndmask_b32_e32 v13, v14, v13, vcc
	v_cndmask_b32_e32 v14, v15, v16, vcc
	v_lshlrev_b32_e32 v15, 16, v2
	v_mov_b32_e32 v16, 0x3b800000
	v_lshlrev_b32_e32 v13, 20, v13
	v_and_b32_e32 v15, 0x80000000, v15
	v_lshl_add_u32 v14, v14, 23, v16
	v_or3_b32 v14, v15, v14, v13
.LBB1_528:
	s_or_b64 exec, exec, s[6:7]
	s_nop 0
	v_mfma_f32_16x16x4f32 a[0:3], v12, v14, a[0:3]
	s_movk_i32 s4, 0xff
	v_and_b32_sdwa v13, v6, s4 dst_sel:DWORD dst_unused:UNUSED_PAD src0_sel:WORD_1 src1_sel:DWORD
	s_movk_i32 s4, 0x7f
	v_cmp_lt_i16_e32 vcc, s4, v13
	s_mov_b64 s[4:5], 0
                                        ; implicit-def: $sgpr10
	s_and_saveexec_b64 s[6:7], vcc
	s_xor_b64 s[6:7], exec, s[6:7]
	s_cbranch_execnz .LBB1_2577
; %bb.529:
	s_or_saveexec_b64 s[6:7], s[6:7]
	v_mov_b32_e32 v12, s10
	s_xor_b64 exec, exec, s[6:7]
	s_cbranch_execnz .LBB1_2580
.LBB1_530:
	s_or_b64 exec, exec, s[6:7]
	s_and_saveexec_b64 s[6:7], s[4:5]
	s_cbranch_execz .LBB1_532
.LBB1_531:
	v_bfe_u32 v12, v6, 16, 3
	v_ffbh_u32_e32 v15, v12
	v_min_u32_e32 v15, 32, v15
	v_lshrrev_b32_e32 v13, 19, v6
	v_subrev_u32_e32 v16, 28, v15
	v_and_b32_e32 v13, 15, v13
	v_lshlrev_b32_sdwa v16, v16, v6 dst_sel:DWORD dst_unused:UNUSED_PAD src0_sel:DWORD src1_sel:WORD_1
	v_bfe_u32 v14, v6, 19, 4
	v_sub_u32_e32 v15, 29, v15
	v_and_b32_e32 v16, 7, v16
	v_cmp_eq_u16_e32 vcc, 0, v13
	v_cndmask_b32_e32 v12, v12, v16, vcc
	v_cndmask_b32_e32 v13, v14, v15, vcc
	v_lshlrev_b32_e32 v14, 8, v6
	v_mov_b32_e32 v15, 0x3b800000
	v_lshlrev_b32_e32 v12, 20, v12
	v_and_b32_e32 v14, 0x80000000, v14
	v_lshl_add_u32 v13, v13, 23, v15
	v_or3_b32 v12, v14, v13, v12
.LBB1_532:
	s_or_b64 exec, exec, s[6:7]
	s_movk_i32 s4, 0xff
	v_and_b32_sdwa v13, v2, s4 dst_sel:DWORD dst_unused:UNUSED_PAD src0_sel:WORD_1 src1_sel:DWORD
	s_movk_i32 s4, 0x7f
	v_cmp_lt_i16_e32 vcc, s4, v13
	s_mov_b64 s[4:5], 0
                                        ; implicit-def: $sgpr10
	s_and_saveexec_b64 s[6:7], vcc
	s_xor_b64 s[6:7], exec, s[6:7]
	s_cbranch_execnz .LBB1_2581
; %bb.533:
	s_or_saveexec_b64 s[6:7], s[6:7]
	v_mov_b32_e32 v14, s10
	s_xor_b64 exec, exec, s[6:7]
	s_cbranch_execnz .LBB1_2584
.LBB1_534:
	s_or_b64 exec, exec, s[6:7]
	s_and_saveexec_b64 s[6:7], s[4:5]
	s_cbranch_execz .LBB1_536
.LBB1_535:
	v_bfe_u32 v13, v2, 16, 3
	v_ffbh_u32_e32 v16, v13
	v_min_u32_e32 v16, 32, v16
	v_lshrrev_b32_e32 v14, 19, v2
	v_subrev_u32_e32 v17, 28, v16
	v_and_b32_e32 v14, 15, v14
	v_lshlrev_b32_sdwa v17, v17, v2 dst_sel:DWORD dst_unused:UNUSED_PAD src0_sel:DWORD src1_sel:WORD_1
	v_bfe_u32 v15, v2, 19, 4
	v_sub_u32_e32 v16, 29, v16
	v_and_b32_e32 v17, 7, v17
	v_cmp_eq_u16_e32 vcc, 0, v14
	v_cndmask_b32_e32 v13, v13, v17, vcc
	v_cndmask_b32_e32 v14, v15, v16, vcc
	v_lshlrev_b32_e32 v15, 8, v2
	v_mov_b32_e32 v16, 0x3b800000
	v_lshlrev_b32_e32 v13, 20, v13
	v_and_b32_e32 v15, 0x80000000, v15
	v_lshl_add_u32 v14, v14, 23, v16
	v_or3_b32 v14, v15, v14, v13
.LBB1_536:
	s_or_b64 exec, exec, s[6:7]
	s_nop 0
	v_mfma_f32_16x16x4f32 a[0:3], v12, v14, a[0:3]
	s_movk_i32 s4, 0x7f
	v_cmp_gt_i16_sdwa s[6:7], v6, s4 src0_sel:BYTE_3 src1_sel:DWORD
	s_mov_b64 s[4:5], 0
                                        ; implicit-def: $sgpr10
	s_and_saveexec_b64 s[8:9], s[6:7]
	s_xor_b64 s[6:7], exec, s[8:9]
	s_cbranch_execnz .LBB1_2585
; %bb.537:
	s_or_saveexec_b64 s[6:7], s[6:7]
	v_mov_b32_e32 v12, s10
	s_xor_b64 exec, exec, s[6:7]
	s_cbranch_execnz .LBB1_2588
.LBB1_538:
	s_or_b64 exec, exec, s[6:7]
	s_and_saveexec_b64 s[6:7], s[4:5]
	s_cbranch_execz .LBB1_540
.LBB1_539:
	v_bfe_u32 v12, v6, 24, 3
	v_ffbh_u32_e32 v16, v12
	v_min_u32_e32 v16, 32, v16
	v_lshrrev_b32_e32 v14, 27, v6
	v_subrev_u32_e32 v17, 28, v16
	v_and_b32_e32 v13, 0x80000000, v6
	v_and_b32_e32 v14, 15, v14
	v_bfe_u32 v15, v6, 27, 4
	v_lshlrev_b32_sdwa v6, v17, v6 dst_sel:DWORD dst_unused:UNUSED_PAD src0_sel:DWORD src1_sel:BYTE_3
	v_sub_u32_e32 v16, 29, v16
	v_and_b32_e32 v6, 7, v6
	v_cmp_eq_u16_e32 vcc, 0, v14
	v_cndmask_b32_e32 v6, v12, v6, vcc
	v_cndmask_b32_e32 v12, v15, v16, vcc
	v_mov_b32_e32 v14, 0x3b800000
	v_lshlrev_b32_e32 v6, 20, v6
	v_lshl_add_u32 v12, v12, 23, v14
	v_or3_b32 v12, v13, v12, v6
.LBB1_540:
	s_or_b64 exec, exec, s[6:7]
	s_movk_i32 s4, 0x7f
	v_cmp_gt_i16_sdwa s[6:7], v2, s4 src0_sel:BYTE_3 src1_sel:DWORD
	s_mov_b64 s[4:5], 0
                                        ; implicit-def: $sgpr10
	s_and_saveexec_b64 s[8:9], s[6:7]
	s_xor_b64 s[6:7], exec, s[8:9]
	s_cbranch_execnz .LBB1_2589
; %bb.541:
	s_or_saveexec_b64 s[6:7], s[6:7]
	v_mov_b32_e32 v6, s10
	s_xor_b64 exec, exec, s[6:7]
	s_cbranch_execnz .LBB1_2592
.LBB1_542:
	s_or_b64 exec, exec, s[6:7]
	s_and_saveexec_b64 s[6:7], s[4:5]
	s_cbranch_execz .LBB1_544
.LBB1_543:
	v_bfe_u32 v6, v2, 24, 3
	v_ffbh_u32_e32 v16, v6
	v_min_u32_e32 v16, 32, v16
	v_lshrrev_b32_e32 v14, 27, v2
	v_subrev_u32_e32 v17, 28, v16
	v_and_b32_e32 v13, 0x80000000, v2
	v_and_b32_e32 v14, 15, v14
	v_bfe_u32 v15, v2, 27, 4
	v_lshlrev_b32_sdwa v2, v17, v2 dst_sel:DWORD dst_unused:UNUSED_PAD src0_sel:DWORD src1_sel:BYTE_3
	v_sub_u32_e32 v16, 29, v16
	v_and_b32_e32 v2, 7, v2
	v_cmp_eq_u16_e32 vcc, 0, v14
	v_cndmask_b32_e32 v2, v6, v2, vcc
	v_cndmask_b32_e32 v6, v15, v16, vcc
	v_mov_b32_e32 v14, 0x3b800000
	v_lshlrev_b32_e32 v2, 20, v2
	v_lshl_add_u32 v6, v6, 23, v14
	v_or3_b32 v6, v13, v6, v2
.LBB1_544:
	s_or_b64 exec, exec, s[6:7]
	s_nop 0
	v_mfma_f32_16x16x4f32 a[0:3], v12, v6, a[0:3]
	s_movk_i32 s4, 0x7f
	v_cmp_gt_i16_sdwa s[6:7], v7, s4 src0_sel:BYTE_0 src1_sel:DWORD
	s_mov_b64 s[4:5], 0
                                        ; implicit-def: $sgpr10
	s_and_saveexec_b64 s[8:9], s[6:7]
	s_xor_b64 s[6:7], exec, s[8:9]
	s_cbranch_execnz .LBB1_2593
; %bb.545:
	s_or_saveexec_b64 s[6:7], s[6:7]
	v_mov_b32_e32 v2, s10
	s_xor_b64 exec, exec, s[6:7]
	s_cbranch_execnz .LBB1_2596
.LBB1_546:
	s_or_b64 exec, exec, s[6:7]
	s_and_saveexec_b64 s[6:7], s[4:5]
	s_cbranch_execz .LBB1_548
.LBB1_547:
	v_and_b32_e32 v2, 7, v7
	v_ffbh_u32_e32 v12, v2
	v_min_u32_e32 v12, 32, v12
	v_lshrrev_b16_e32 v6, 3, v7
	v_subrev_u32_e32 v13, 28, v12
	v_and_b32_e32 v6, 15, v6
	v_lshlrev_b32_e32 v13, v13, v7
	v_sub_u32_e32 v12, 29, v12
	v_and_b32_e32 v13, 7, v13
	v_cmp_eq_u16_e32 vcc, 0, v6
	v_cndmask_b32_e32 v2, v2, v13, vcc
	v_cndmask_b32_e32 v6, v6, v12, vcc
	v_lshlrev_b32_e32 v12, 24, v7
	v_mov_b32_e32 v13, 0x3b800000
	v_lshlrev_b32_e32 v2, 20, v2
	v_and_b32_e32 v12, 0x80000000, v12
	v_lshl_add_u32 v6, v6, 23, v13
	v_or3_b32 v2, v12, v6, v2
.LBB1_548:
	s_or_b64 exec, exec, s[6:7]
	s_movk_i32 s4, 0x7f
	v_cmp_gt_i16_sdwa s[6:7], v3, s4 src0_sel:BYTE_0 src1_sel:DWORD
	s_mov_b64 s[4:5], 0
                                        ; implicit-def: $sgpr10
	s_and_saveexec_b64 s[8:9], s[6:7]
	s_xor_b64 s[6:7], exec, s[8:9]
	s_cbranch_execnz .LBB1_2597
; %bb.549:
	s_or_saveexec_b64 s[6:7], s[6:7]
	v_mov_b32_e32 v6, s10
	s_xor_b64 exec, exec, s[6:7]
	s_cbranch_execnz .LBB1_2600
.LBB1_550:
	s_or_b64 exec, exec, s[6:7]
	s_and_saveexec_b64 s[6:7], s[4:5]
	s_cbranch_execz .LBB1_552
.LBB1_551:
	v_and_b32_e32 v6, 7, v3
	v_ffbh_u32_e32 v13, v6
	v_min_u32_e32 v13, 32, v13
	v_lshrrev_b16_e32 v12, 3, v3
	v_subrev_u32_e32 v14, 28, v13
	v_and_b32_e32 v12, 15, v12
	v_lshlrev_b32_e32 v14, v14, v3
	v_sub_u32_e32 v13, 29, v13
	v_and_b32_e32 v14, 7, v14
	v_cmp_eq_u16_e32 vcc, 0, v12
	v_cndmask_b32_e32 v6, v6, v14, vcc
	v_cndmask_b32_e32 v12, v12, v13, vcc
	v_lshlrev_b32_e32 v13, 24, v3
	v_mov_b32_e32 v14, 0x3b800000
	v_lshlrev_b32_e32 v6, 20, v6
	v_and_b32_e32 v13, 0x80000000, v13
	v_lshl_add_u32 v12, v12, 23, v14
	v_or3_b32 v6, v13, v12, v6
.LBB1_552:
	s_or_b64 exec, exec, s[6:7]
	s_nop 0
	v_mfma_f32_16x16x4f32 a[0:3], v2, v6, a[0:3]
	v_lshrrev_b32_e32 v6, 8, v7
	s_movk_i32 s4, 0x7f
	v_cmp_gt_i16_sdwa s[6:7], v6, s4 src0_sel:BYTE_0 src1_sel:DWORD
	s_mov_b64 s[4:5], 0
                                        ; implicit-def: $sgpr10
	s_and_saveexec_b64 s[8:9], s[6:7]
	s_xor_b64 s[6:7], exec, s[8:9]
	s_cbranch_execnz .LBB1_2601
; %bb.553:
	s_or_saveexec_b64 s[6:7], s[6:7]
	v_mov_b32_e32 v2, s10
	s_xor_b64 exec, exec, s[6:7]
	s_cbranch_execnz .LBB1_2604
.LBB1_554:
	s_or_b64 exec, exec, s[6:7]
	s_and_saveexec_b64 s[6:7], s[4:5]
	s_cbranch_execz .LBB1_556
.LBB1_555:
	v_bfe_u32 v2, v7, 8, 3
	v_ffbh_u32_e32 v13, v2
	v_min_u32_e32 v13, 32, v13
	v_lshrrev_b16_e32 v12, 3, v6
	v_subrev_u32_e32 v14, 28, v13
	v_and_b32_e32 v12, 15, v12
	v_lshlrev_b32_e32 v6, v14, v6
	v_sub_u32_e32 v13, 29, v13
	v_and_b32_e32 v6, 7, v6
	v_cmp_eq_u16_e32 vcc, 0, v12
	v_cndmask_b32_e32 v2, v2, v6, vcc
	v_cndmask_b32_e32 v6, v12, v13, vcc
	v_lshlrev_b32_e32 v12, 16, v7
	v_mov_b32_e32 v13, 0x3b800000
	v_lshlrev_b32_e32 v2, 20, v2
	v_and_b32_e32 v12, 0x80000000, v12
	v_lshl_add_u32 v6, v6, 23, v13
	v_or3_b32 v2, v12, v6, v2
.LBB1_556:
	s_or_b64 exec, exec, s[6:7]
	v_lshrrev_b32_e32 v6, 8, v3
	s_movk_i32 s4, 0x7f
	v_cmp_gt_i16_sdwa s[6:7], v6, s4 src0_sel:BYTE_0 src1_sel:DWORD
	s_mov_b64 s[4:5], 0
                                        ; implicit-def: $sgpr10
	s_and_saveexec_b64 s[8:9], s[6:7]
	s_xor_b64 s[6:7], exec, s[8:9]
	s_cbranch_execnz .LBB1_2605
; %bb.557:
	s_or_saveexec_b64 s[6:7], s[6:7]
	v_mov_b32_e32 v12, s10
	s_xor_b64 exec, exec, s[6:7]
	s_cbranch_execnz .LBB1_2608
.LBB1_558:
	s_or_b64 exec, exec, s[6:7]
	s_and_saveexec_b64 s[6:7], s[4:5]
	s_cbranch_execz .LBB1_560
.LBB1_559:
	v_bfe_u32 v12, v3, 8, 3
	v_ffbh_u32_e32 v14, v12
	v_min_u32_e32 v14, 32, v14
	v_lshrrev_b16_e32 v13, 3, v6
	v_subrev_u32_e32 v15, 28, v14
	v_and_b32_e32 v13, 15, v13
	v_lshlrev_b32_e32 v6, v15, v6
	v_sub_u32_e32 v14, 29, v14
	v_and_b32_e32 v6, 7, v6
	v_cmp_eq_u16_e32 vcc, 0, v13
	v_cndmask_b32_e32 v6, v12, v6, vcc
	v_cndmask_b32_e32 v12, v13, v14, vcc
	v_lshlrev_b32_e32 v13, 16, v3
	v_mov_b32_e32 v14, 0x3b800000
	v_lshlrev_b32_e32 v6, 20, v6
	v_and_b32_e32 v13, 0x80000000, v13
	v_lshl_add_u32 v12, v12, 23, v14
	v_or3_b32 v12, v13, v12, v6
.LBB1_560:
	s_or_b64 exec, exec, s[6:7]
	s_nop 0
	v_mfma_f32_16x16x4f32 a[0:3], v2, v12, a[0:3]
	s_movk_i32 s4, 0xff
	v_and_b32_sdwa v6, v7, s4 dst_sel:DWORD dst_unused:UNUSED_PAD src0_sel:WORD_1 src1_sel:DWORD
	s_movk_i32 s4, 0x7f
	v_cmp_lt_i16_e32 vcc, s4, v6
	s_mov_b64 s[4:5], 0
                                        ; implicit-def: $sgpr10
	s_and_saveexec_b64 s[6:7], vcc
	s_xor_b64 s[6:7], exec, s[6:7]
	s_cbranch_execnz .LBB1_2609
; %bb.561:
	s_or_saveexec_b64 s[6:7], s[6:7]
	v_mov_b32_e32 v2, s10
	s_xor_b64 exec, exec, s[6:7]
	s_cbranch_execnz .LBB1_2612
.LBB1_562:
	s_or_b64 exec, exec, s[6:7]
	s_and_saveexec_b64 s[6:7], s[4:5]
	s_cbranch_execz .LBB1_564
.LBB1_563:
	v_bfe_u32 v2, v7, 16, 3
	v_ffbh_u32_e32 v13, v2
	v_min_u32_e32 v13, 32, v13
	v_lshrrev_b32_e32 v6, 19, v7
	v_subrev_u32_e32 v14, 28, v13
	v_and_b32_e32 v6, 15, v6
	v_lshlrev_b32_sdwa v14, v14, v7 dst_sel:DWORD dst_unused:UNUSED_PAD src0_sel:DWORD src1_sel:WORD_1
	v_bfe_u32 v12, v7, 19, 4
	v_sub_u32_e32 v13, 29, v13
	v_and_b32_e32 v14, 7, v14
	v_cmp_eq_u16_e32 vcc, 0, v6
	v_cndmask_b32_e32 v2, v2, v14, vcc
	v_cndmask_b32_e32 v6, v12, v13, vcc
	v_lshlrev_b32_e32 v12, 8, v7
	v_mov_b32_e32 v13, 0x3b800000
	v_lshlrev_b32_e32 v2, 20, v2
	v_and_b32_e32 v12, 0x80000000, v12
	v_lshl_add_u32 v6, v6, 23, v13
	v_or3_b32 v2, v12, v6, v2
.LBB1_564:
	s_or_b64 exec, exec, s[6:7]
	s_movk_i32 s4, 0xff
	v_and_b32_sdwa v6, v3, s4 dst_sel:DWORD dst_unused:UNUSED_PAD src0_sel:WORD_1 src1_sel:DWORD
	s_movk_i32 s4, 0x7f
	v_cmp_lt_i16_e32 vcc, s4, v6
	s_mov_b64 s[4:5], 0
                                        ; implicit-def: $sgpr10
	s_and_saveexec_b64 s[6:7], vcc
	s_xor_b64 s[6:7], exec, s[6:7]
	s_cbranch_execnz .LBB1_2613
; %bb.565:
	s_or_saveexec_b64 s[6:7], s[6:7]
	v_mov_b32_e32 v12, s10
	s_xor_b64 exec, exec, s[6:7]
	s_cbranch_execnz .LBB1_2616
.LBB1_566:
	s_or_b64 exec, exec, s[6:7]
	s_and_saveexec_b64 s[6:7], s[4:5]
	s_cbranch_execz .LBB1_568
.LBB1_567:
	v_bfe_u32 v6, v3, 16, 3
	v_ffbh_u32_e32 v14, v6
	v_min_u32_e32 v14, 32, v14
	v_lshrrev_b32_e32 v12, 19, v3
	v_subrev_u32_e32 v15, 28, v14
	v_and_b32_e32 v12, 15, v12
	v_lshlrev_b32_sdwa v15, v15, v3 dst_sel:DWORD dst_unused:UNUSED_PAD src0_sel:DWORD src1_sel:WORD_1
	v_bfe_u32 v13, v3, 19, 4
	v_sub_u32_e32 v14, 29, v14
	v_and_b32_e32 v15, 7, v15
	v_cmp_eq_u16_e32 vcc, 0, v12
	v_cndmask_b32_e32 v6, v6, v15, vcc
	v_cndmask_b32_e32 v12, v13, v14, vcc
	v_lshlrev_b32_e32 v13, 8, v3
	v_mov_b32_e32 v14, 0x3b800000
	v_lshlrev_b32_e32 v6, 20, v6
	v_and_b32_e32 v13, 0x80000000, v13
	v_lshl_add_u32 v12, v12, 23, v14
	v_or3_b32 v12, v13, v12, v6
.LBB1_568:
	s_or_b64 exec, exec, s[6:7]
	s_nop 0
	v_mfma_f32_16x16x4f32 a[0:3], v2, v12, a[0:3]
	s_movk_i32 s4, 0x7f
	v_cmp_gt_i16_sdwa s[6:7], v7, s4 src0_sel:BYTE_3 src1_sel:DWORD
	s_mov_b64 s[4:5], 0
                                        ; implicit-def: $sgpr10
	s_and_saveexec_b64 s[8:9], s[6:7]
	s_xor_b64 s[6:7], exec, s[8:9]
	s_cbranch_execnz .LBB1_2617
; %bb.569:
	s_or_saveexec_b64 s[6:7], s[6:7]
	v_mov_b32_e32 v2, s10
	s_xor_b64 exec, exec, s[6:7]
	s_cbranch_execnz .LBB1_2620
.LBB1_570:
	s_or_b64 exec, exec, s[6:7]
	s_and_saveexec_b64 s[6:7], s[4:5]
	s_cbranch_execz .LBB1_572
.LBB1_571:
	v_bfe_u32 v2, v7, 24, 3
	v_ffbh_u32_e32 v14, v2
	v_min_u32_e32 v14, 32, v14
	v_lshrrev_b32_e32 v12, 27, v7
	v_subrev_u32_e32 v15, 28, v14
	v_and_b32_e32 v6, 0x80000000, v7
	v_and_b32_e32 v12, 15, v12
	v_bfe_u32 v13, v7, 27, 4
	v_lshlrev_b32_sdwa v7, v15, v7 dst_sel:DWORD dst_unused:UNUSED_PAD src0_sel:DWORD src1_sel:BYTE_3
	v_sub_u32_e32 v14, 29, v14
	v_and_b32_e32 v7, 7, v7
	v_cmp_eq_u16_e32 vcc, 0, v12
	v_cndmask_b32_e32 v2, v2, v7, vcc
	v_cndmask_b32_e32 v7, v13, v14, vcc
	v_mov_b32_e32 v12, 0x3b800000
	v_lshlrev_b32_e32 v2, 20, v2
	v_lshl_add_u32 v7, v7, 23, v12
	v_or3_b32 v2, v6, v7, v2
.LBB1_572:
	s_or_b64 exec, exec, s[6:7]
	s_movk_i32 s4, 0x7f
	v_cmp_gt_i16_sdwa s[6:7], v3, s4 src0_sel:BYTE_3 src1_sel:DWORD
	s_mov_b64 s[4:5], 0
                                        ; implicit-def: $sgpr10
	s_and_saveexec_b64 s[8:9], s[6:7]
	s_xor_b64 s[6:7], exec, s[8:9]
	s_cbranch_execnz .LBB1_2621
; %bb.573:
	s_or_saveexec_b64 s[6:7], s[6:7]
	v_mov_b32_e32 v6, s10
	s_xor_b64 exec, exec, s[6:7]
	s_cbranch_execnz .LBB1_2624
.LBB1_574:
	s_or_b64 exec, exec, s[6:7]
	s_and_saveexec_b64 s[6:7], s[4:5]
	s_cbranch_execz .LBB1_576
.LBB1_575:
	v_bfe_u32 v6, v3, 24, 3
	v_ffbh_u32_e32 v14, v6
	v_min_u32_e32 v14, 32, v14
	v_lshrrev_b32_e32 v12, 27, v3
	v_subrev_u32_e32 v15, 28, v14
	v_and_b32_e32 v7, 0x80000000, v3
	v_and_b32_e32 v12, 15, v12
	v_bfe_u32 v13, v3, 27, 4
	v_lshlrev_b32_sdwa v3, v15, v3 dst_sel:DWORD dst_unused:UNUSED_PAD src0_sel:DWORD src1_sel:BYTE_3
	v_sub_u32_e32 v14, 29, v14
	v_and_b32_e32 v3, 7, v3
	v_cmp_eq_u16_e32 vcc, 0, v12
	v_cndmask_b32_e32 v3, v6, v3, vcc
	v_cndmask_b32_e32 v6, v13, v14, vcc
	v_mov_b32_e32 v12, 0x3b800000
	v_lshlrev_b32_e32 v3, 20, v3
	v_lshl_add_u32 v6, v6, 23, v12
	v_or3_b32 v6, v7, v6, v3
.LBB1_576:
	s_or_b64 exec, exec, s[6:7]
	s_nop 0
	v_mfma_f32_16x16x4f32 a[0:3], v2, v6, a[0:3]
	s_movk_i32 s4, 0x7f
	v_cmp_gt_i16_sdwa s[6:7], v8, s4 src0_sel:BYTE_0 src1_sel:DWORD
	s_mov_b64 s[4:5], 0
                                        ; implicit-def: $sgpr10
	s_and_saveexec_b64 s[8:9], s[6:7]
	s_xor_b64 s[6:7], exec, s[8:9]
	s_cbranch_execnz .LBB1_2625
; %bb.577:
	s_or_saveexec_b64 s[6:7], s[6:7]
	v_mov_b32_e32 v2, s10
	s_xor_b64 exec, exec, s[6:7]
	s_cbranch_execnz .LBB1_2628
.LBB1_578:
	s_or_b64 exec, exec, s[6:7]
	s_and_saveexec_b64 s[6:7], s[4:5]
	s_cbranch_execz .LBB1_580
.LBB1_579:
	v_and_b32_e32 v2, 7, v8
	v_ffbh_u32_e32 v6, v2
	v_min_u32_e32 v6, 32, v6
	v_lshrrev_b16_e32 v3, 3, v8
	v_subrev_u32_e32 v7, 28, v6
	v_and_b32_e32 v3, 15, v3
	v_lshlrev_b32_e32 v7, v7, v8
	v_sub_u32_e32 v6, 29, v6
	v_and_b32_e32 v7, 7, v7
	v_cmp_eq_u16_e32 vcc, 0, v3
	v_cndmask_b32_e32 v2, v2, v7, vcc
	v_cndmask_b32_e32 v3, v3, v6, vcc
	v_lshlrev_b32_e32 v6, 24, v8
	v_mov_b32_e32 v7, 0x3b800000
	v_lshlrev_b32_e32 v2, 20, v2
	v_and_b32_e32 v6, 0x80000000, v6
	v_lshl_add_u32 v3, v3, 23, v7
	v_or3_b32 v2, v6, v3, v2
.LBB1_580:
	s_or_b64 exec, exec, s[6:7]
	s_movk_i32 s4, 0x7f
	v_cmp_gt_i16_sdwa s[6:7], v4, s4 src0_sel:BYTE_0 src1_sel:DWORD
	s_mov_b64 s[4:5], 0
                                        ; implicit-def: $sgpr10
	s_and_saveexec_b64 s[8:9], s[6:7]
	s_xor_b64 s[6:7], exec, s[8:9]
	s_cbranch_execnz .LBB1_2629
; %bb.581:
	s_or_saveexec_b64 s[6:7], s[6:7]
	v_mov_b32_e32 v3, s10
	s_xor_b64 exec, exec, s[6:7]
	s_cbranch_execnz .LBB1_2632
.LBB1_582:
	s_or_b64 exec, exec, s[6:7]
	s_and_saveexec_b64 s[6:7], s[4:5]
	s_cbranch_execz .LBB1_584
.LBB1_583:
	v_and_b32_e32 v3, 7, v4
	v_ffbh_u32_e32 v7, v3
	v_min_u32_e32 v7, 32, v7
	v_lshrrev_b16_e32 v6, 3, v4
	v_subrev_u32_e32 v12, 28, v7
	v_and_b32_e32 v6, 15, v6
	v_lshlrev_b32_e32 v12, v12, v4
	v_sub_u32_e32 v7, 29, v7
	v_and_b32_e32 v12, 7, v12
	v_cmp_eq_u16_e32 vcc, 0, v6
	v_cndmask_b32_e32 v3, v3, v12, vcc
	v_cndmask_b32_e32 v6, v6, v7, vcc
	v_lshlrev_b32_e32 v7, 24, v4
	v_mov_b32_e32 v12, 0x3b800000
	v_lshlrev_b32_e32 v3, 20, v3
	v_and_b32_e32 v7, 0x80000000, v7
	v_lshl_add_u32 v6, v6, 23, v12
	v_or3_b32 v3, v7, v6, v3
.LBB1_584:
	s_or_b64 exec, exec, s[6:7]
	s_nop 0
	v_mfma_f32_16x16x4f32 a[0:3], v2, v3, a[0:3]
	v_lshrrev_b32_e32 v3, 8, v8
	s_movk_i32 s4, 0x7f
	v_cmp_gt_i16_sdwa s[6:7], v3, s4 src0_sel:BYTE_0 src1_sel:DWORD
	s_mov_b64 s[4:5], 0
                                        ; implicit-def: $sgpr10
	s_and_saveexec_b64 s[8:9], s[6:7]
	s_xor_b64 s[6:7], exec, s[8:9]
	s_cbranch_execnz .LBB1_2633
; %bb.585:
	s_or_saveexec_b64 s[6:7], s[6:7]
	v_mov_b32_e32 v2, s10
	s_xor_b64 exec, exec, s[6:7]
	s_cbranch_execnz .LBB1_2636
.LBB1_586:
	s_or_b64 exec, exec, s[6:7]
	s_and_saveexec_b64 s[6:7], s[4:5]
	s_cbranch_execz .LBB1_588
.LBB1_587:
	v_bfe_u32 v2, v8, 8, 3
	v_ffbh_u32_e32 v7, v2
	v_min_u32_e32 v7, 32, v7
	v_lshrrev_b16_e32 v6, 3, v3
	v_subrev_u32_e32 v12, 28, v7
	v_and_b32_e32 v6, 15, v6
	v_lshlrev_b32_e32 v3, v12, v3
	v_sub_u32_e32 v7, 29, v7
	v_and_b32_e32 v3, 7, v3
	v_cmp_eq_u16_e32 vcc, 0, v6
	v_cndmask_b32_e32 v2, v2, v3, vcc
	v_cndmask_b32_e32 v3, v6, v7, vcc
	v_lshlrev_b32_e32 v6, 16, v8
	v_mov_b32_e32 v7, 0x3b800000
	v_lshlrev_b32_e32 v2, 20, v2
	v_and_b32_e32 v6, 0x80000000, v6
	v_lshl_add_u32 v3, v3, 23, v7
	v_or3_b32 v2, v6, v3, v2
.LBB1_588:
	s_or_b64 exec, exec, s[6:7]
	v_lshrrev_b32_e32 v3, 8, v4
	s_movk_i32 s4, 0x7f
	v_cmp_gt_i16_sdwa s[6:7], v3, s4 src0_sel:BYTE_0 src1_sel:DWORD
	s_mov_b64 s[4:5], 0
                                        ; implicit-def: $sgpr10
	s_and_saveexec_b64 s[8:9], s[6:7]
	s_xor_b64 s[6:7], exec, s[8:9]
	s_cbranch_execnz .LBB1_2637
; %bb.589:
	s_or_saveexec_b64 s[6:7], s[6:7]
	v_mov_b32_e32 v6, s10
	s_xor_b64 exec, exec, s[6:7]
	s_cbranch_execnz .LBB1_2640
.LBB1_590:
	s_or_b64 exec, exec, s[6:7]
	s_and_saveexec_b64 s[6:7], s[4:5]
	s_cbranch_execz .LBB1_592
.LBB1_591:
	v_bfe_u32 v6, v4, 8, 3
	v_ffbh_u32_e32 v12, v6
	v_min_u32_e32 v12, 32, v12
	v_lshrrev_b16_e32 v7, 3, v3
	v_subrev_u32_e32 v13, 28, v12
	v_and_b32_e32 v7, 15, v7
	v_lshlrev_b32_e32 v3, v13, v3
	v_sub_u32_e32 v12, 29, v12
	v_and_b32_e32 v3, 7, v3
	v_cmp_eq_u16_e32 vcc, 0, v7
	v_cndmask_b32_e32 v3, v6, v3, vcc
	v_cndmask_b32_e32 v6, v7, v12, vcc
	v_lshlrev_b32_e32 v7, 16, v4
	v_mov_b32_e32 v12, 0x3b800000
	v_lshlrev_b32_e32 v3, 20, v3
	v_and_b32_e32 v7, 0x80000000, v7
	v_lshl_add_u32 v6, v6, 23, v12
	v_or3_b32 v6, v7, v6, v3
.LBB1_592:
	s_or_b64 exec, exec, s[6:7]
	s_nop 0
	v_mfma_f32_16x16x4f32 a[0:3], v2, v6, a[0:3]
	s_movk_i32 s4, 0xff
	v_and_b32_sdwa v3, v8, s4 dst_sel:DWORD dst_unused:UNUSED_PAD src0_sel:WORD_1 src1_sel:DWORD
	s_movk_i32 s4, 0x7f
	v_cmp_lt_i16_e32 vcc, s4, v3
	s_mov_b64 s[4:5], 0
                                        ; implicit-def: $sgpr10
	s_and_saveexec_b64 s[6:7], vcc
	s_xor_b64 s[6:7], exec, s[6:7]
	s_cbranch_execnz .LBB1_2641
; %bb.593:
	s_or_saveexec_b64 s[6:7], s[6:7]
	v_mov_b32_e32 v2, s10
	s_xor_b64 exec, exec, s[6:7]
	s_cbranch_execnz .LBB1_2644
.LBB1_594:
	s_or_b64 exec, exec, s[6:7]
	s_and_saveexec_b64 s[6:7], s[4:5]
	s_cbranch_execz .LBB1_596
.LBB1_595:
	v_bfe_u32 v2, v8, 16, 3
	v_ffbh_u32_e32 v7, v2
	v_min_u32_e32 v7, 32, v7
	v_lshrrev_b32_e32 v3, 19, v8
	v_subrev_u32_e32 v12, 28, v7
	v_and_b32_e32 v3, 15, v3
	v_lshlrev_b32_sdwa v12, v12, v8 dst_sel:DWORD dst_unused:UNUSED_PAD src0_sel:DWORD src1_sel:WORD_1
	v_bfe_u32 v6, v8, 19, 4
	v_sub_u32_e32 v7, 29, v7
	v_and_b32_e32 v12, 7, v12
	v_cmp_eq_u16_e32 vcc, 0, v3
	v_cndmask_b32_e32 v2, v2, v12, vcc
	v_cndmask_b32_e32 v3, v6, v7, vcc
	v_lshlrev_b32_e32 v6, 8, v8
	v_mov_b32_e32 v7, 0x3b800000
	v_lshlrev_b32_e32 v2, 20, v2
	v_and_b32_e32 v6, 0x80000000, v6
	v_lshl_add_u32 v3, v3, 23, v7
	v_or3_b32 v2, v6, v3, v2
.LBB1_596:
	s_or_b64 exec, exec, s[6:7]
	s_movk_i32 s4, 0xff
	v_and_b32_sdwa v3, v4, s4 dst_sel:DWORD dst_unused:UNUSED_PAD src0_sel:WORD_1 src1_sel:DWORD
	s_movk_i32 s4, 0x7f
	v_cmp_lt_i16_e32 vcc, s4, v3
	s_mov_b64 s[4:5], 0
                                        ; implicit-def: $sgpr10
	s_and_saveexec_b64 s[6:7], vcc
	s_xor_b64 s[6:7], exec, s[6:7]
	s_cbranch_execnz .LBB1_2645
; %bb.597:
	s_or_saveexec_b64 s[6:7], s[6:7]
	v_mov_b32_e32 v6, s10
	s_xor_b64 exec, exec, s[6:7]
	s_cbranch_execnz .LBB1_2648
.LBB1_598:
	s_or_b64 exec, exec, s[6:7]
	s_and_saveexec_b64 s[6:7], s[4:5]
	s_cbranch_execz .LBB1_600
.LBB1_599:
	v_bfe_u32 v3, v4, 16, 3
	v_ffbh_u32_e32 v12, v3
	v_min_u32_e32 v12, 32, v12
	v_lshrrev_b32_e32 v6, 19, v4
	v_subrev_u32_e32 v13, 28, v12
	v_and_b32_e32 v6, 15, v6
	v_lshlrev_b32_sdwa v13, v13, v4 dst_sel:DWORD dst_unused:UNUSED_PAD src0_sel:DWORD src1_sel:WORD_1
	v_bfe_u32 v7, v4, 19, 4
	v_sub_u32_e32 v12, 29, v12
	v_and_b32_e32 v13, 7, v13
	v_cmp_eq_u16_e32 vcc, 0, v6
	v_cndmask_b32_e32 v3, v3, v13, vcc
	v_cndmask_b32_e32 v6, v7, v12, vcc
	v_lshlrev_b32_e32 v7, 8, v4
	v_mov_b32_e32 v12, 0x3b800000
	v_lshlrev_b32_e32 v3, 20, v3
	v_and_b32_e32 v7, 0x80000000, v7
	v_lshl_add_u32 v6, v6, 23, v12
	v_or3_b32 v6, v7, v6, v3
.LBB1_600:
	s_or_b64 exec, exec, s[6:7]
	s_nop 0
	v_mfma_f32_16x16x4f32 a[0:3], v2, v6, a[0:3]
	s_movk_i32 s4, 0x7f
	v_cmp_gt_i16_sdwa s[6:7], v8, s4 src0_sel:BYTE_3 src1_sel:DWORD
	s_mov_b64 s[4:5], 0
                                        ; implicit-def: $sgpr10
	s_and_saveexec_b64 s[8:9], s[6:7]
	s_xor_b64 s[6:7], exec, s[8:9]
	s_cbranch_execnz .LBB1_2649
; %bb.601:
	s_or_saveexec_b64 s[6:7], s[6:7]
	v_mov_b32_e32 v2, s10
	s_xor_b64 exec, exec, s[6:7]
	s_cbranch_execnz .LBB1_2652
.LBB1_602:
	s_or_b64 exec, exec, s[6:7]
	s_and_saveexec_b64 s[6:7], s[4:5]
	s_cbranch_execz .LBB1_604
.LBB1_603:
	v_bfe_u32 v2, v8, 24, 3
	v_ffbh_u32_e32 v12, v2
	v_min_u32_e32 v12, 32, v12
	v_lshrrev_b32_e32 v6, 27, v8
	v_subrev_u32_e32 v13, 28, v12
	v_and_b32_e32 v3, 0x80000000, v8
	v_and_b32_e32 v6, 15, v6
	v_bfe_u32 v7, v8, 27, 4
	v_lshlrev_b32_sdwa v8, v13, v8 dst_sel:DWORD dst_unused:UNUSED_PAD src0_sel:DWORD src1_sel:BYTE_3
	v_sub_u32_e32 v12, 29, v12
	v_and_b32_e32 v8, 7, v8
	v_cmp_eq_u16_e32 vcc, 0, v6
	v_cndmask_b32_e32 v2, v2, v8, vcc
	v_cndmask_b32_e32 v6, v7, v12, vcc
	v_mov_b32_e32 v7, 0x3b800000
	v_lshlrev_b32_e32 v2, 20, v2
	v_lshl_add_u32 v6, v6, 23, v7
	v_or3_b32 v2, v3, v6, v2
.LBB1_604:
	s_or_b64 exec, exec, s[6:7]
	s_movk_i32 s4, 0x7f
	v_cmp_gt_i16_sdwa s[6:7], v4, s4 src0_sel:BYTE_3 src1_sel:DWORD
	s_mov_b64 s[4:5], 0
                                        ; implicit-def: $sgpr10
	s_and_saveexec_b64 s[8:9], s[6:7]
	s_xor_b64 s[6:7], exec, s[8:9]
	s_cbranch_execnz .LBB1_2653
; %bb.605:
	s_or_saveexec_b64 s[6:7], s[6:7]
	v_mov_b32_e32 v3, s10
	s_xor_b64 exec, exec, s[6:7]
	s_cbranch_execnz .LBB1_2656
.LBB1_606:
	s_or_b64 exec, exec, s[6:7]
	s_and_saveexec_b64 s[6:7], s[4:5]
	s_cbranch_execz .LBB1_608
.LBB1_607:
	v_bfe_u32 v3, v4, 24, 3
	v_ffbh_u32_e32 v12, v3
	v_min_u32_e32 v12, 32, v12
	v_lshrrev_b32_e32 v7, 27, v4
	v_subrev_u32_e32 v13, 28, v12
	v_and_b32_e32 v6, 0x80000000, v4
	v_and_b32_e32 v7, 15, v7
	v_bfe_u32 v8, v4, 27, 4
	v_lshlrev_b32_sdwa v4, v13, v4 dst_sel:DWORD dst_unused:UNUSED_PAD src0_sel:DWORD src1_sel:BYTE_3
	v_sub_u32_e32 v12, 29, v12
	v_and_b32_e32 v4, 7, v4
	v_cmp_eq_u16_e32 vcc, 0, v7
	v_cndmask_b32_e32 v3, v3, v4, vcc
	v_cndmask_b32_e32 v4, v8, v12, vcc
	v_mov_b32_e32 v7, 0x3b800000
	v_lshlrev_b32_e32 v3, 20, v3
	v_lshl_add_u32 v4, v4, 23, v7
	v_or3_b32 v3, v6, v4, v3
.LBB1_608:
	s_or_b64 exec, exec, s[6:7]
	s_nop 0
	v_mfma_f32_16x16x4f32 a[0:3], v2, v3, a[0:3]
	s_movk_i32 s4, 0x7f
	v_cmp_gt_i16_sdwa s[6:7], v9, s4 src0_sel:BYTE_0 src1_sel:DWORD
	s_mov_b64 s[4:5], 0
                                        ; implicit-def: $sgpr10
	s_and_saveexec_b64 s[8:9], s[6:7]
	s_xor_b64 s[6:7], exec, s[8:9]
	s_cbranch_execnz .LBB1_2657
; %bb.609:
	s_or_saveexec_b64 s[6:7], s[6:7]
	v_mov_b32_e32 v2, s10
	s_xor_b64 exec, exec, s[6:7]
	s_cbranch_execnz .LBB1_2660
.LBB1_610:
	s_or_b64 exec, exec, s[6:7]
	s_and_saveexec_b64 s[6:7], s[4:5]
	s_cbranch_execz .LBB1_612
.LBB1_611:
	v_mov_b32_e32 v2, 8
	v_and_b32_e32 v3, 7, v9
	v_lshrrev_b32_sdwa v2, v2, v9 dst_sel:BYTE_1 dst_unused:UNUSED_PAD src0_sel:DWORD src1_sel:DWORD
	v_ffbh_u32_e32 v4, v3
	v_or_b32_sdwa v2, v9, v2 dst_sel:DWORD dst_unused:UNUSED_PAD src0_sel:BYTE_0 src1_sel:DWORD
	v_min_u32_e32 v4, 32, v4
	v_lshrrev_b16_e32 v2, 3, v2
	v_subrev_u32_e32 v6, 28, v4
	v_and_b32_e32 v2, 15, v2
	v_lshlrev_b32_e32 v6, v6, v9
	v_sub_u32_e32 v4, 29, v4
	v_and_b32_e32 v6, 7, v6
	v_cmp_eq_u16_e32 vcc, 0, v2
	v_cndmask_b32_e32 v3, v3, v6, vcc
	v_cndmask_b32_e32 v2, v2, v4, vcc
	v_lshlrev_b32_e32 v4, 24, v9
	v_mov_b32_e32 v6, 0x3b800000
	v_lshlrev_b32_e32 v3, 20, v3
	v_and_b32_e32 v4, 0x80000000, v4
	v_lshl_add_u32 v2, v2, 23, v6
	v_or3_b32 v2, v4, v2, v3
.LBB1_612:
	s_or_b64 exec, exec, s[6:7]
	s_movk_i32 s4, 0x7f
	v_cmp_gt_i16_sdwa s[6:7], v5, s4 src0_sel:BYTE_0 src1_sel:DWORD
	s_mov_b64 s[4:5], 0
                                        ; implicit-def: $sgpr10
	s_and_saveexec_b64 s[8:9], s[6:7]
	s_xor_b64 s[6:7], exec, s[8:9]
	s_cbranch_execnz .LBB1_2661
; %bb.613:
	s_or_saveexec_b64 s[6:7], s[6:7]
	v_mov_b32_e32 v3, s10
	s_xor_b64 exec, exec, s[6:7]
	s_cbranch_execnz .LBB1_2664
.LBB1_614:
	s_or_b64 exec, exec, s[6:7]
	s_and_saveexec_b64 s[6:7], s[4:5]
	s_cbranch_execz .LBB1_616
.LBB1_615:
	v_mov_b32_e32 v3, 8
	v_and_b32_e32 v4, 7, v5
	v_lshrrev_b32_sdwa v3, v3, v5 dst_sel:BYTE_1 dst_unused:UNUSED_PAD src0_sel:DWORD src1_sel:DWORD
	v_ffbh_u32_e32 v6, v4
	v_or_b32_sdwa v3, v5, v3 dst_sel:DWORD dst_unused:UNUSED_PAD src0_sel:BYTE_0 src1_sel:DWORD
	v_min_u32_e32 v6, 32, v6
	v_lshrrev_b16_e32 v3, 3, v3
	v_subrev_u32_e32 v7, 28, v6
	v_and_b32_e32 v3, 15, v3
	v_lshlrev_b32_e32 v7, v7, v5
	v_sub_u32_e32 v6, 29, v6
	v_and_b32_e32 v7, 7, v7
	v_cmp_eq_u16_e32 vcc, 0, v3
	v_cndmask_b32_e32 v4, v4, v7, vcc
	v_cndmask_b32_e32 v3, v3, v6, vcc
	v_lshlrev_b32_e32 v6, 24, v5
	v_mov_b32_e32 v7, 0x3b800000
	v_lshlrev_b32_e32 v4, 20, v4
	v_and_b32_e32 v6, 0x80000000, v6
	v_lshl_add_u32 v3, v3, 23, v7
	v_or3_b32 v3, v6, v3, v4
.LBB1_616:
	s_or_b64 exec, exec, s[6:7]
	s_nop 0
	v_mfma_f32_16x16x4f32 a[0:3], v2, v3, a[0:3]
	v_lshrrev_b32_e32 v3, 8, v9
	s_movk_i32 s4, 0x7f
	v_cmp_gt_i16_sdwa s[6:7], v3, s4 src0_sel:BYTE_0 src1_sel:DWORD
	s_mov_b64 s[4:5], 0
                                        ; implicit-def: $sgpr10
	s_and_saveexec_b64 s[8:9], s[6:7]
	s_xor_b64 s[6:7], exec, s[8:9]
	s_cbranch_execnz .LBB1_2665
; %bb.617:
	s_or_saveexec_b64 s[6:7], s[6:7]
	v_mov_b32_e32 v2, s10
	s_xor_b64 exec, exec, s[6:7]
	s_cbranch_execnz .LBB1_2668
.LBB1_618:
	s_or_b64 exec, exec, s[6:7]
	s_and_saveexec_b64 s[6:7], s[4:5]
	s_cbranch_execz .LBB1_620
.LBB1_619:
	v_bfe_u32 v2, v9, 8, 3
	v_ffbh_u32_e32 v6, v2
	v_min_u32_e32 v6, 32, v6
	v_lshrrev_b16_e32 v4, 3, v3
	v_subrev_u32_e32 v7, 28, v6
	v_and_b32_e32 v4, 15, v4
	v_lshlrev_b32_e32 v3, v7, v3
	v_sub_u32_e32 v6, 29, v6
	v_and_b32_e32 v3, 7, v3
	v_cmp_eq_u16_e32 vcc, 0, v4
	v_cndmask_b32_e32 v2, v2, v3, vcc
	v_cndmask_b32_e32 v3, v4, v6, vcc
	v_lshlrev_b32_e32 v4, 16, v9
	v_mov_b32_e32 v6, 0x3b800000
	v_lshlrev_b32_e32 v2, 20, v2
	v_and_b32_e32 v4, 0x80000000, v4
	v_lshl_add_u32 v3, v3, 23, v6
	v_or3_b32 v2, v4, v3, v2
.LBB1_620:
	s_or_b64 exec, exec, s[6:7]
	v_lshrrev_b32_e32 v3, 8, v5
	s_movk_i32 s4, 0x7f
	v_cmp_gt_i16_sdwa s[6:7], v3, s4 src0_sel:BYTE_0 src1_sel:DWORD
	s_mov_b64 s[4:5], 0
                                        ; implicit-def: $sgpr10
	s_and_saveexec_b64 s[8:9], s[6:7]
	s_xor_b64 s[6:7], exec, s[8:9]
	s_cbranch_execnz .LBB1_2669
; %bb.621:
	s_or_saveexec_b64 s[6:7], s[6:7]
	v_mov_b32_e32 v4, s10
	s_xor_b64 exec, exec, s[6:7]
	s_cbranch_execnz .LBB1_2672
.LBB1_622:
	s_or_b64 exec, exec, s[6:7]
	s_and_saveexec_b64 s[6:7], s[4:5]
	s_cbranch_execz .LBB1_624
.LBB1_623:
	v_bfe_u32 v4, v5, 8, 3
	v_ffbh_u32_e32 v7, v4
	v_min_u32_e32 v7, 32, v7
	v_lshrrev_b16_e32 v6, 3, v3
	v_subrev_u32_e32 v8, 28, v7
	v_and_b32_e32 v6, 15, v6
	v_lshlrev_b32_e32 v3, v8, v3
	v_sub_u32_e32 v7, 29, v7
	v_and_b32_e32 v3, 7, v3
	v_cmp_eq_u16_e32 vcc, 0, v6
	v_cndmask_b32_e32 v3, v4, v3, vcc
	v_cndmask_b32_e32 v4, v6, v7, vcc
	v_lshlrev_b32_e32 v6, 16, v5
	v_mov_b32_e32 v7, 0x3b800000
	v_lshlrev_b32_e32 v3, 20, v3
	v_and_b32_e32 v6, 0x80000000, v6
	v_lshl_add_u32 v4, v4, 23, v7
	v_or3_b32 v4, v6, v4, v3
.LBB1_624:
	s_or_b64 exec, exec, s[6:7]
	s_nop 0
	v_mfma_f32_16x16x4f32 a[0:3], v2, v4, a[0:3]
	s_movk_i32 s4, 0xff
	v_and_b32_sdwa v3, v9, s4 dst_sel:DWORD dst_unused:UNUSED_PAD src0_sel:WORD_1 src1_sel:DWORD
	s_movk_i32 s4, 0x7f
	v_cmp_lt_i16_e32 vcc, s4, v3
	s_mov_b64 s[4:5], 0
                                        ; implicit-def: $sgpr10
	s_and_saveexec_b64 s[6:7], vcc
	s_xor_b64 s[6:7], exec, s[6:7]
	s_cbranch_execnz .LBB1_2673
; %bb.625:
	s_or_saveexec_b64 s[6:7], s[6:7]
	v_mov_b32_e32 v2, s10
	s_xor_b64 exec, exec, s[6:7]
	s_cbranch_execnz .LBB1_2676
.LBB1_626:
	s_or_b64 exec, exec, s[6:7]
	s_and_saveexec_b64 s[6:7], s[4:5]
	s_cbranch_execz .LBB1_628
.LBB1_627:
	v_bfe_u32 v2, v9, 16, 3
	v_ffbh_u32_e32 v6, v2
	v_min_u32_e32 v6, 32, v6
	v_lshrrev_b32_e32 v3, 19, v9
	v_subrev_u32_e32 v7, 28, v6
	v_and_b32_e32 v3, 15, v3
	v_lshlrev_b32_sdwa v7, v7, v9 dst_sel:DWORD dst_unused:UNUSED_PAD src0_sel:DWORD src1_sel:WORD_1
	v_bfe_u32 v4, v9, 19, 4
	v_sub_u32_e32 v6, 29, v6
	v_and_b32_e32 v7, 7, v7
	v_cmp_eq_u16_e32 vcc, 0, v3
	v_cndmask_b32_e32 v2, v2, v7, vcc
	v_cndmask_b32_e32 v3, v4, v6, vcc
	v_lshlrev_b32_e32 v4, 8, v9
	v_mov_b32_e32 v6, 0x3b800000
	v_lshlrev_b32_e32 v2, 20, v2
	v_and_b32_e32 v4, 0x80000000, v4
	v_lshl_add_u32 v3, v3, 23, v6
	v_or3_b32 v2, v4, v3, v2
.LBB1_628:
	s_or_b64 exec, exec, s[6:7]
	s_movk_i32 s4, 0xff
	v_and_b32_sdwa v3, v5, s4 dst_sel:DWORD dst_unused:UNUSED_PAD src0_sel:WORD_1 src1_sel:DWORD
	s_movk_i32 s4, 0x7f
	v_cmp_lt_i16_e32 vcc, s4, v3
	s_mov_b64 s[4:5], 0
                                        ; implicit-def: $sgpr10
	s_and_saveexec_b64 s[6:7], vcc
	s_xor_b64 s[6:7], exec, s[6:7]
	s_cbranch_execnz .LBB1_2677
; %bb.629:
	s_or_saveexec_b64 s[6:7], s[6:7]
	v_mov_b32_e32 v4, s10
	s_xor_b64 exec, exec, s[6:7]
	s_cbranch_execnz .LBB1_2680
.LBB1_630:
	s_or_b64 exec, exec, s[6:7]
	s_and_saveexec_b64 s[6:7], s[4:5]
	s_cbranch_execz .LBB1_632
.LBB1_631:
	v_bfe_u32 v3, v5, 16, 3
	v_ffbh_u32_e32 v7, v3
	v_min_u32_e32 v7, 32, v7
	v_lshrrev_b32_e32 v4, 19, v5
	v_subrev_u32_e32 v8, 28, v7
	v_and_b32_e32 v4, 15, v4
	v_lshlrev_b32_sdwa v8, v8, v5 dst_sel:DWORD dst_unused:UNUSED_PAD src0_sel:DWORD src1_sel:WORD_1
	v_bfe_u32 v6, v5, 19, 4
	v_sub_u32_e32 v7, 29, v7
	v_and_b32_e32 v8, 7, v8
	v_cmp_eq_u16_e32 vcc, 0, v4
	v_cndmask_b32_e32 v3, v3, v8, vcc
	v_cndmask_b32_e32 v4, v6, v7, vcc
	v_lshlrev_b32_e32 v6, 8, v5
	v_mov_b32_e32 v7, 0x3b800000
	v_lshlrev_b32_e32 v3, 20, v3
	v_and_b32_e32 v6, 0x80000000, v6
	v_lshl_add_u32 v4, v4, 23, v7
	v_or3_b32 v4, v6, v4, v3
.LBB1_632:
	s_or_b64 exec, exec, s[6:7]
	s_nop 0
	v_mfma_f32_16x16x4f32 a[0:3], v2, v4, a[0:3]
	s_movk_i32 s4, 0x7f
	v_cmp_gt_i16_sdwa s[6:7], v9, s4 src0_sel:BYTE_3 src1_sel:DWORD
	s_mov_b64 s[4:5], 0
                                        ; implicit-def: $sgpr10
	s_and_saveexec_b64 s[8:9], s[6:7]
	s_xor_b64 s[6:7], exec, s[8:9]
	s_cbranch_execnz .LBB1_2681
; %bb.633:
	s_or_saveexec_b64 s[6:7], s[6:7]
	v_mov_b32_e32 v2, s10
	s_xor_b64 exec, exec, s[6:7]
	s_cbranch_execnz .LBB1_2684
.LBB1_634:
	s_or_b64 exec, exec, s[6:7]
	s_and_saveexec_b64 s[6:7], s[4:5]
	s_cbranch_execz .LBB1_636
.LBB1_635:
	v_bfe_u32 v2, v9, 24, 3
	v_ffbh_u32_e32 v7, v2
	v_min_u32_e32 v7, 32, v7
	v_lshrrev_b32_e32 v4, 27, v9
	v_subrev_u32_e32 v8, 28, v7
	v_and_b32_e32 v4, 15, v4
	v_lshlrev_b32_sdwa v8, v8, v9 dst_sel:DWORD dst_unused:UNUSED_PAD src0_sel:DWORD src1_sel:BYTE_3
	v_bfe_u32 v6, v9, 27, 4
	v_sub_u32_e32 v7, 29, v7
	v_and_b32_e32 v8, 7, v8
	v_cmp_eq_u16_e32 vcc, 0, v4
	v_cndmask_b32_e32 v2, v2, v8, vcc
	v_cndmask_b32_e32 v4, v6, v7, vcc
	v_mov_b32_e32 v6, 0x3b800000
	v_and_b32_e32 v3, 0x80000000, v9
	v_lshlrev_b32_e32 v2, 20, v2
	v_lshl_add_u32 v4, v4, 23, v6
	v_or3_b32 v2, v3, v4, v2
.LBB1_636:
	s_or_b64 exec, exec, s[6:7]
	s_movk_i32 s4, 0x7f
	v_cmp_gt_i16_sdwa s[6:7], v5, s4 src0_sel:BYTE_3 src1_sel:DWORD
	s_mov_b64 s[4:5], 0
                                        ; implicit-def: $sgpr10
	s_and_saveexec_b64 s[8:9], s[6:7]
	s_xor_b64 s[6:7], exec, s[8:9]
	s_cbranch_execnz .LBB1_2685
; %bb.637:
	s_or_saveexec_b64 s[6:7], s[6:7]
	v_mov_b32_e32 v3, s10
	s_xor_b64 exec, exec, s[6:7]
	s_cbranch_execnz .LBB1_2688
.LBB1_638:
	s_or_b64 exec, exec, s[6:7]
	s_and_saveexec_b64 s[6:7], s[4:5]
	s_cbranch_execz .LBB1_640
.LBB1_639:
	v_bfe_u32 v3, v5, 24, 3
	v_ffbh_u32_e32 v8, v3
	v_min_u32_e32 v8, 32, v8
	v_lshrrev_b32_e32 v6, 27, v5
	v_subrev_u32_e32 v9, 28, v8
	v_and_b32_e32 v4, 0x80000000, v5
	v_and_b32_e32 v6, 15, v6
	v_bfe_u32 v7, v5, 27, 4
	v_lshlrev_b32_sdwa v5, v9, v5 dst_sel:DWORD dst_unused:UNUSED_PAD src0_sel:DWORD src1_sel:BYTE_3
	v_sub_u32_e32 v8, 29, v8
	v_and_b32_e32 v5, 7, v5
	v_cmp_eq_u16_e32 vcc, 0, v6
	v_cndmask_b32_e32 v3, v3, v5, vcc
	v_cndmask_b32_e32 v5, v7, v8, vcc
	v_mov_b32_e32 v6, 0x3b800000
	v_lshlrev_b32_e32 v3, 20, v3
	v_lshl_add_u32 v5, v5, 23, v6
	v_or3_b32 v3, v4, v5, v3
.LBB1_640:
	s_or_b64 exec, exec, s[6:7]
	s_nop 0
	v_mfma_f32_16x16x4f32 a[0:3], v2, v3, a[0:3]
	s_movk_i32 s4, 0x7f
                                        ; implicit-def: $sgpr10
	s_nop 7
	s_nop 1
	flat_store_dwordx4 v[10:11], a[0:3] offset:64
	flat_load_dwordx4 v[12:15], v[0:1] offset:8
	s_nop 0
	flat_load_dwordx2 v[10:11], v[0:1] offset:32
	s_waitcnt vmcnt(0) lgkmcnt(0)
	flat_load_dwordx4 v[6:9], v[12:13] offset:32
	flat_load_dwordx4 v[2:5], v[14:15] offset:32
	s_waitcnt vmcnt(0) lgkmcnt(0)
	v_cmp_gt_i16_sdwa s[6:7], v6, s4 src0_sel:BYTE_0 src1_sel:DWORD
	s_mov_b64 s[4:5], 0
	s_and_saveexec_b64 s[8:9], s[6:7]
	s_xor_b64 s[6:7], exec, s[8:9]
	s_cbranch_execnz .LBB1_2689
; %bb.641:
	s_or_saveexec_b64 s[6:7], s[6:7]
	v_mov_b32_e32 v12, s10
	s_xor_b64 exec, exec, s[6:7]
	s_cbranch_execnz .LBB1_2692
.LBB1_642:
	s_or_b64 exec, exec, s[6:7]
	s_and_saveexec_b64 s[6:7], s[4:5]
	s_cbranch_execz .LBB1_644
.LBB1_643:
	v_and_b32_e32 v12, 7, v6
	v_ffbh_u32_e32 v14, v12
	v_min_u32_e32 v14, 32, v14
	v_lshrrev_b16_e32 v13, 3, v6
	v_subrev_u32_e32 v15, 28, v14
	v_and_b32_e32 v13, 15, v13
	v_lshlrev_b32_e32 v15, v15, v6
	v_sub_u32_e32 v14, 29, v14
	v_and_b32_e32 v15, 7, v15
	v_cmp_eq_u16_e32 vcc, 0, v13
	v_cndmask_b32_e32 v12, v12, v15, vcc
	v_cndmask_b32_e32 v13, v13, v14, vcc
	v_lshlrev_b32_e32 v14, 24, v6
	v_mov_b32_e32 v15, 0x3b800000
	v_lshlrev_b32_e32 v12, 20, v12
	v_and_b32_e32 v14, 0x80000000, v14
	v_lshl_add_u32 v13, v13, 23, v15
	v_or3_b32 v12, v14, v13, v12
.LBB1_644:
	s_or_b64 exec, exec, s[6:7]
	s_movk_i32 s4, 0x7f
	v_cmp_gt_i16_sdwa s[6:7], v2, s4 src0_sel:BYTE_0 src1_sel:DWORD
	s_mov_b64 s[4:5], 0
                                        ; implicit-def: $sgpr10
	s_and_saveexec_b64 s[8:9], s[6:7]
	s_xor_b64 s[6:7], exec, s[8:9]
	s_cbranch_execnz .LBB1_2693
; %bb.645:
	s_or_saveexec_b64 s[6:7], s[6:7]
	v_mov_b32_e32 v13, s10
	s_xor_b64 exec, exec, s[6:7]
	s_cbranch_execnz .LBB1_2696
.LBB1_646:
	s_or_b64 exec, exec, s[6:7]
	s_and_saveexec_b64 s[6:7], s[4:5]
	s_cbranch_execz .LBB1_648
.LBB1_647:
	v_and_b32_e32 v13, 7, v2
	v_ffbh_u32_e32 v15, v13
	v_min_u32_e32 v15, 32, v15
	v_lshrrev_b16_e32 v14, 3, v2
	v_subrev_u32_e32 v16, 28, v15
	v_and_b32_e32 v14, 15, v14
	v_lshlrev_b32_e32 v16, v16, v2
	v_sub_u32_e32 v15, 29, v15
	v_and_b32_e32 v16, 7, v16
	v_cmp_eq_u16_e32 vcc, 0, v14
	v_cndmask_b32_e32 v13, v13, v16, vcc
	v_cndmask_b32_e32 v14, v14, v15, vcc
	v_lshlrev_b32_e32 v15, 24, v2
	v_mov_b32_e32 v16, 0x3b800000
	v_lshlrev_b32_e32 v13, 20, v13
	v_and_b32_e32 v15, 0x80000000, v15
	v_lshl_add_u32 v14, v14, 23, v16
	v_or3_b32 v13, v15, v14, v13
.LBB1_648:
	s_or_b64 exec, exec, s[6:7]
	flat_load_dwordx4 a[0:3], v[10:11] offset:80
	s_movk_i32 s4, 0x7f
                                        ; implicit-def: $sgpr10
	s_waitcnt vmcnt(0) lgkmcnt(0)
	v_mfma_f32_16x16x4f32 a[0:3], v12, v13, a[0:3]
	v_lshrrev_b32_e32 v13, 8, v6
	v_cmp_gt_i16_sdwa s[6:7], v13, s4 src0_sel:BYTE_0 src1_sel:DWORD
	s_mov_b64 s[4:5], 0
	s_and_saveexec_b64 s[8:9], s[6:7]
	s_xor_b64 s[6:7], exec, s[8:9]
	s_cbranch_execnz .LBB1_2697
; %bb.649:
	s_or_saveexec_b64 s[6:7], s[6:7]
	v_mov_b32_e32 v12, s10
	s_xor_b64 exec, exec, s[6:7]
	s_cbranch_execnz .LBB1_2700
.LBB1_650:
	s_or_b64 exec, exec, s[6:7]
	s_and_saveexec_b64 s[6:7], s[4:5]
	s_cbranch_execz .LBB1_652
.LBB1_651:
	v_bfe_u32 v12, v6, 8, 3
	v_ffbh_u32_e32 v15, v12
	v_min_u32_e32 v15, 32, v15
	v_lshrrev_b16_e32 v14, 3, v13
	v_subrev_u32_e32 v16, 28, v15
	v_and_b32_e32 v14, 15, v14
	v_lshlrev_b32_e32 v13, v16, v13
	v_sub_u32_e32 v15, 29, v15
	v_and_b32_e32 v13, 7, v13
	v_cmp_eq_u16_e32 vcc, 0, v14
	v_cndmask_b32_e32 v12, v12, v13, vcc
	v_cndmask_b32_e32 v13, v14, v15, vcc
	v_lshlrev_b32_e32 v14, 16, v6
	v_mov_b32_e32 v15, 0x3b800000
	v_lshlrev_b32_e32 v12, 20, v12
	v_and_b32_e32 v14, 0x80000000, v14
	v_lshl_add_u32 v13, v13, 23, v15
	v_or3_b32 v12, v14, v13, v12
.LBB1_652:
	s_or_b64 exec, exec, s[6:7]
	v_lshrrev_b32_e32 v13, 8, v2
	s_movk_i32 s4, 0x7f
	v_cmp_gt_i16_sdwa s[6:7], v13, s4 src0_sel:BYTE_0 src1_sel:DWORD
	s_mov_b64 s[4:5], 0
                                        ; implicit-def: $sgpr10
	s_and_saveexec_b64 s[8:9], s[6:7]
	s_xor_b64 s[6:7], exec, s[8:9]
	s_cbranch_execnz .LBB1_2701
; %bb.653:
	s_or_saveexec_b64 s[6:7], s[6:7]
	v_mov_b32_e32 v14, s10
	s_xor_b64 exec, exec, s[6:7]
	s_cbranch_execnz .LBB1_2704
.LBB1_654:
	s_or_b64 exec, exec, s[6:7]
	s_and_saveexec_b64 s[6:7], s[4:5]
	s_cbranch_execz .LBB1_656
.LBB1_655:
	v_bfe_u32 v14, v2, 8, 3
	v_ffbh_u32_e32 v16, v14
	v_min_u32_e32 v16, 32, v16
	v_lshrrev_b16_e32 v15, 3, v13
	v_subrev_u32_e32 v17, 28, v16
	v_and_b32_e32 v15, 15, v15
	v_lshlrev_b32_e32 v13, v17, v13
	v_sub_u32_e32 v16, 29, v16
	v_and_b32_e32 v13, 7, v13
	v_cmp_eq_u16_e32 vcc, 0, v15
	v_cndmask_b32_e32 v13, v14, v13, vcc
	v_cndmask_b32_e32 v14, v15, v16, vcc
	v_lshlrev_b32_e32 v15, 16, v2
	v_mov_b32_e32 v16, 0x3b800000
	v_lshlrev_b32_e32 v13, 20, v13
	v_and_b32_e32 v15, 0x80000000, v15
	v_lshl_add_u32 v14, v14, 23, v16
	v_or3_b32 v14, v15, v14, v13
.LBB1_656:
	s_or_b64 exec, exec, s[6:7]
	s_nop 0
	v_mfma_f32_16x16x4f32 a[0:3], v12, v14, a[0:3]
	s_movk_i32 s4, 0xff
	v_and_b32_sdwa v13, v6, s4 dst_sel:DWORD dst_unused:UNUSED_PAD src0_sel:WORD_1 src1_sel:DWORD
	s_movk_i32 s4, 0x7f
	v_cmp_lt_i16_e32 vcc, s4, v13
	s_mov_b64 s[4:5], 0
                                        ; implicit-def: $sgpr10
	s_and_saveexec_b64 s[6:7], vcc
	s_xor_b64 s[6:7], exec, s[6:7]
	s_cbranch_execnz .LBB1_2705
; %bb.657:
	s_or_saveexec_b64 s[6:7], s[6:7]
	v_mov_b32_e32 v12, s10
	s_xor_b64 exec, exec, s[6:7]
	s_cbranch_execnz .LBB1_2708
.LBB1_658:
	s_or_b64 exec, exec, s[6:7]
	s_and_saveexec_b64 s[6:7], s[4:5]
	s_cbranch_execz .LBB1_660
.LBB1_659:
	v_bfe_u32 v12, v6, 16, 3
	v_ffbh_u32_e32 v15, v12
	v_min_u32_e32 v15, 32, v15
	v_lshrrev_b32_e32 v13, 19, v6
	v_subrev_u32_e32 v16, 28, v15
	v_and_b32_e32 v13, 15, v13
	v_lshlrev_b32_sdwa v16, v16, v6 dst_sel:DWORD dst_unused:UNUSED_PAD src0_sel:DWORD src1_sel:WORD_1
	v_bfe_u32 v14, v6, 19, 4
	v_sub_u32_e32 v15, 29, v15
	v_and_b32_e32 v16, 7, v16
	v_cmp_eq_u16_e32 vcc, 0, v13
	v_cndmask_b32_e32 v12, v12, v16, vcc
	v_cndmask_b32_e32 v13, v14, v15, vcc
	v_lshlrev_b32_e32 v14, 8, v6
	v_mov_b32_e32 v15, 0x3b800000
	v_lshlrev_b32_e32 v12, 20, v12
	v_and_b32_e32 v14, 0x80000000, v14
	v_lshl_add_u32 v13, v13, 23, v15
	v_or3_b32 v12, v14, v13, v12
.LBB1_660:
	s_or_b64 exec, exec, s[6:7]
	s_movk_i32 s4, 0xff
	v_and_b32_sdwa v13, v2, s4 dst_sel:DWORD dst_unused:UNUSED_PAD src0_sel:WORD_1 src1_sel:DWORD
	s_movk_i32 s4, 0x7f
	v_cmp_lt_i16_e32 vcc, s4, v13
	s_mov_b64 s[4:5], 0
                                        ; implicit-def: $sgpr10
	s_and_saveexec_b64 s[6:7], vcc
	s_xor_b64 s[6:7], exec, s[6:7]
	s_cbranch_execnz .LBB1_2709
; %bb.661:
	s_or_saveexec_b64 s[6:7], s[6:7]
	v_mov_b32_e32 v14, s10
	s_xor_b64 exec, exec, s[6:7]
	s_cbranch_execnz .LBB1_2712
.LBB1_662:
	s_or_b64 exec, exec, s[6:7]
	s_and_saveexec_b64 s[6:7], s[4:5]
	s_cbranch_execz .LBB1_664
.LBB1_663:
	v_bfe_u32 v13, v2, 16, 3
	v_ffbh_u32_e32 v16, v13
	v_min_u32_e32 v16, 32, v16
	v_lshrrev_b32_e32 v14, 19, v2
	v_subrev_u32_e32 v17, 28, v16
	v_and_b32_e32 v14, 15, v14
	v_lshlrev_b32_sdwa v17, v17, v2 dst_sel:DWORD dst_unused:UNUSED_PAD src0_sel:DWORD src1_sel:WORD_1
	v_bfe_u32 v15, v2, 19, 4
	v_sub_u32_e32 v16, 29, v16
	v_and_b32_e32 v17, 7, v17
	v_cmp_eq_u16_e32 vcc, 0, v14
	v_cndmask_b32_e32 v13, v13, v17, vcc
	v_cndmask_b32_e32 v14, v15, v16, vcc
	v_lshlrev_b32_e32 v15, 8, v2
	v_mov_b32_e32 v16, 0x3b800000
	v_lshlrev_b32_e32 v13, 20, v13
	v_and_b32_e32 v15, 0x80000000, v15
	v_lshl_add_u32 v14, v14, 23, v16
	v_or3_b32 v14, v15, v14, v13
.LBB1_664:
	s_or_b64 exec, exec, s[6:7]
	s_nop 0
	v_mfma_f32_16x16x4f32 a[0:3], v12, v14, a[0:3]
	s_movk_i32 s4, 0x7f
	v_cmp_gt_i16_sdwa s[6:7], v6, s4 src0_sel:BYTE_3 src1_sel:DWORD
	s_mov_b64 s[4:5], 0
                                        ; implicit-def: $sgpr10
	s_and_saveexec_b64 s[8:9], s[6:7]
	s_xor_b64 s[6:7], exec, s[8:9]
	s_cbranch_execnz .LBB1_2713
; %bb.665:
	s_or_saveexec_b64 s[6:7], s[6:7]
	v_mov_b32_e32 v12, s10
	s_xor_b64 exec, exec, s[6:7]
	s_cbranch_execnz .LBB1_2716
.LBB1_666:
	s_or_b64 exec, exec, s[6:7]
	s_and_saveexec_b64 s[6:7], s[4:5]
	s_cbranch_execz .LBB1_668
.LBB1_667:
	v_bfe_u32 v12, v6, 24, 3
	v_ffbh_u32_e32 v16, v12
	v_min_u32_e32 v16, 32, v16
	v_lshrrev_b32_e32 v14, 27, v6
	v_subrev_u32_e32 v17, 28, v16
	v_and_b32_e32 v13, 0x80000000, v6
	v_and_b32_e32 v14, 15, v14
	v_bfe_u32 v15, v6, 27, 4
	v_lshlrev_b32_sdwa v6, v17, v6 dst_sel:DWORD dst_unused:UNUSED_PAD src0_sel:DWORD src1_sel:BYTE_3
	v_sub_u32_e32 v16, 29, v16
	v_and_b32_e32 v6, 7, v6
	v_cmp_eq_u16_e32 vcc, 0, v14
	v_cndmask_b32_e32 v6, v12, v6, vcc
	v_cndmask_b32_e32 v12, v15, v16, vcc
	v_mov_b32_e32 v14, 0x3b800000
	v_lshlrev_b32_e32 v6, 20, v6
	v_lshl_add_u32 v12, v12, 23, v14
	v_or3_b32 v12, v13, v12, v6
.LBB1_668:
	s_or_b64 exec, exec, s[6:7]
	s_movk_i32 s4, 0x7f
	v_cmp_gt_i16_sdwa s[6:7], v2, s4 src0_sel:BYTE_3 src1_sel:DWORD
	s_mov_b64 s[4:5], 0
                                        ; implicit-def: $sgpr10
	s_and_saveexec_b64 s[8:9], s[6:7]
	s_xor_b64 s[6:7], exec, s[8:9]
	s_cbranch_execnz .LBB1_2717
; %bb.669:
	s_or_saveexec_b64 s[6:7], s[6:7]
	v_mov_b32_e32 v6, s10
	s_xor_b64 exec, exec, s[6:7]
	s_cbranch_execnz .LBB1_2720
.LBB1_670:
	s_or_b64 exec, exec, s[6:7]
	s_and_saveexec_b64 s[6:7], s[4:5]
	s_cbranch_execz .LBB1_672
.LBB1_671:
	v_bfe_u32 v6, v2, 24, 3
	v_ffbh_u32_e32 v16, v6
	v_min_u32_e32 v16, 32, v16
	v_lshrrev_b32_e32 v14, 27, v2
	v_subrev_u32_e32 v17, 28, v16
	v_and_b32_e32 v13, 0x80000000, v2
	v_and_b32_e32 v14, 15, v14
	v_bfe_u32 v15, v2, 27, 4
	v_lshlrev_b32_sdwa v2, v17, v2 dst_sel:DWORD dst_unused:UNUSED_PAD src0_sel:DWORD src1_sel:BYTE_3
	v_sub_u32_e32 v16, 29, v16
	v_and_b32_e32 v2, 7, v2
	v_cmp_eq_u16_e32 vcc, 0, v14
	v_cndmask_b32_e32 v2, v6, v2, vcc
	v_cndmask_b32_e32 v6, v15, v16, vcc
	v_mov_b32_e32 v14, 0x3b800000
	v_lshlrev_b32_e32 v2, 20, v2
	v_lshl_add_u32 v6, v6, 23, v14
	v_or3_b32 v6, v13, v6, v2
.LBB1_672:
	s_or_b64 exec, exec, s[6:7]
	s_nop 0
	v_mfma_f32_16x16x4f32 a[0:3], v12, v6, a[0:3]
	s_movk_i32 s4, 0x7f
	v_cmp_gt_i16_sdwa s[6:7], v7, s4 src0_sel:BYTE_0 src1_sel:DWORD
	s_mov_b64 s[4:5], 0
                                        ; implicit-def: $sgpr10
	s_and_saveexec_b64 s[8:9], s[6:7]
	s_xor_b64 s[6:7], exec, s[8:9]
	s_cbranch_execnz .LBB1_2721
; %bb.673:
	s_or_saveexec_b64 s[6:7], s[6:7]
	v_mov_b32_e32 v2, s10
	s_xor_b64 exec, exec, s[6:7]
	s_cbranch_execnz .LBB1_2724
.LBB1_674:
	s_or_b64 exec, exec, s[6:7]
	s_and_saveexec_b64 s[6:7], s[4:5]
	s_cbranch_execz .LBB1_676
.LBB1_675:
	v_and_b32_e32 v2, 7, v7
	v_ffbh_u32_e32 v12, v2
	v_min_u32_e32 v12, 32, v12
	v_lshrrev_b16_e32 v6, 3, v7
	v_subrev_u32_e32 v13, 28, v12
	v_and_b32_e32 v6, 15, v6
	v_lshlrev_b32_e32 v13, v13, v7
	v_sub_u32_e32 v12, 29, v12
	v_and_b32_e32 v13, 7, v13
	v_cmp_eq_u16_e32 vcc, 0, v6
	v_cndmask_b32_e32 v2, v2, v13, vcc
	v_cndmask_b32_e32 v6, v6, v12, vcc
	v_lshlrev_b32_e32 v12, 24, v7
	v_mov_b32_e32 v13, 0x3b800000
	v_lshlrev_b32_e32 v2, 20, v2
	v_and_b32_e32 v12, 0x80000000, v12
	v_lshl_add_u32 v6, v6, 23, v13
	v_or3_b32 v2, v12, v6, v2
.LBB1_676:
	s_or_b64 exec, exec, s[6:7]
	s_movk_i32 s4, 0x7f
	v_cmp_gt_i16_sdwa s[6:7], v3, s4 src0_sel:BYTE_0 src1_sel:DWORD
	s_mov_b64 s[4:5], 0
                                        ; implicit-def: $sgpr10
	s_and_saveexec_b64 s[8:9], s[6:7]
	s_xor_b64 s[6:7], exec, s[8:9]
	s_cbranch_execnz .LBB1_2725
; %bb.677:
	s_or_saveexec_b64 s[6:7], s[6:7]
	v_mov_b32_e32 v6, s10
	s_xor_b64 exec, exec, s[6:7]
	s_cbranch_execnz .LBB1_2728
.LBB1_678:
	s_or_b64 exec, exec, s[6:7]
	s_and_saveexec_b64 s[6:7], s[4:5]
	s_cbranch_execz .LBB1_680
.LBB1_679:
	v_and_b32_e32 v6, 7, v3
	v_ffbh_u32_e32 v13, v6
	v_min_u32_e32 v13, 32, v13
	v_lshrrev_b16_e32 v12, 3, v3
	v_subrev_u32_e32 v14, 28, v13
	v_and_b32_e32 v12, 15, v12
	v_lshlrev_b32_e32 v14, v14, v3
	v_sub_u32_e32 v13, 29, v13
	v_and_b32_e32 v14, 7, v14
	v_cmp_eq_u16_e32 vcc, 0, v12
	v_cndmask_b32_e32 v6, v6, v14, vcc
	v_cndmask_b32_e32 v12, v12, v13, vcc
	v_lshlrev_b32_e32 v13, 24, v3
	v_mov_b32_e32 v14, 0x3b800000
	v_lshlrev_b32_e32 v6, 20, v6
	v_and_b32_e32 v13, 0x80000000, v13
	v_lshl_add_u32 v12, v12, 23, v14
	v_or3_b32 v6, v13, v12, v6
.LBB1_680:
	s_or_b64 exec, exec, s[6:7]
	s_nop 0
	v_mfma_f32_16x16x4f32 a[0:3], v2, v6, a[0:3]
	v_lshrrev_b32_e32 v6, 8, v7
	s_movk_i32 s4, 0x7f
	v_cmp_gt_i16_sdwa s[6:7], v6, s4 src0_sel:BYTE_0 src1_sel:DWORD
	s_mov_b64 s[4:5], 0
                                        ; implicit-def: $sgpr10
	s_and_saveexec_b64 s[8:9], s[6:7]
	s_xor_b64 s[6:7], exec, s[8:9]
	s_cbranch_execnz .LBB1_2729
; %bb.681:
	s_or_saveexec_b64 s[6:7], s[6:7]
	v_mov_b32_e32 v2, s10
	s_xor_b64 exec, exec, s[6:7]
	s_cbranch_execnz .LBB1_2732
.LBB1_682:
	s_or_b64 exec, exec, s[6:7]
	s_and_saveexec_b64 s[6:7], s[4:5]
	s_cbranch_execz .LBB1_684
.LBB1_683:
	v_bfe_u32 v2, v7, 8, 3
	v_ffbh_u32_e32 v13, v2
	v_min_u32_e32 v13, 32, v13
	v_lshrrev_b16_e32 v12, 3, v6
	v_subrev_u32_e32 v14, 28, v13
	v_and_b32_e32 v12, 15, v12
	v_lshlrev_b32_e32 v6, v14, v6
	v_sub_u32_e32 v13, 29, v13
	v_and_b32_e32 v6, 7, v6
	v_cmp_eq_u16_e32 vcc, 0, v12
	v_cndmask_b32_e32 v2, v2, v6, vcc
	v_cndmask_b32_e32 v6, v12, v13, vcc
	v_lshlrev_b32_e32 v12, 16, v7
	v_mov_b32_e32 v13, 0x3b800000
	v_lshlrev_b32_e32 v2, 20, v2
	v_and_b32_e32 v12, 0x80000000, v12
	v_lshl_add_u32 v6, v6, 23, v13
	v_or3_b32 v2, v12, v6, v2
.LBB1_684:
	s_or_b64 exec, exec, s[6:7]
	v_lshrrev_b32_e32 v6, 8, v3
	s_movk_i32 s4, 0x7f
	v_cmp_gt_i16_sdwa s[6:7], v6, s4 src0_sel:BYTE_0 src1_sel:DWORD
	s_mov_b64 s[4:5], 0
                                        ; implicit-def: $sgpr10
	s_and_saveexec_b64 s[8:9], s[6:7]
	s_xor_b64 s[6:7], exec, s[8:9]
	s_cbranch_execnz .LBB1_2733
; %bb.685:
	s_or_saveexec_b64 s[6:7], s[6:7]
	v_mov_b32_e32 v12, s10
	s_xor_b64 exec, exec, s[6:7]
	s_cbranch_execnz .LBB1_2736
.LBB1_686:
	s_or_b64 exec, exec, s[6:7]
	s_and_saveexec_b64 s[6:7], s[4:5]
	s_cbranch_execz .LBB1_688
.LBB1_687:
	v_bfe_u32 v12, v3, 8, 3
	v_ffbh_u32_e32 v14, v12
	v_min_u32_e32 v14, 32, v14
	v_lshrrev_b16_e32 v13, 3, v6
	v_subrev_u32_e32 v15, 28, v14
	v_and_b32_e32 v13, 15, v13
	v_lshlrev_b32_e32 v6, v15, v6
	v_sub_u32_e32 v14, 29, v14
	v_and_b32_e32 v6, 7, v6
	v_cmp_eq_u16_e32 vcc, 0, v13
	v_cndmask_b32_e32 v6, v12, v6, vcc
	v_cndmask_b32_e32 v12, v13, v14, vcc
	v_lshlrev_b32_e32 v13, 16, v3
	v_mov_b32_e32 v14, 0x3b800000
	v_lshlrev_b32_e32 v6, 20, v6
	v_and_b32_e32 v13, 0x80000000, v13
	v_lshl_add_u32 v12, v12, 23, v14
	v_or3_b32 v12, v13, v12, v6
.LBB1_688:
	s_or_b64 exec, exec, s[6:7]
	s_nop 0
	v_mfma_f32_16x16x4f32 a[0:3], v2, v12, a[0:3]
	s_movk_i32 s4, 0xff
	v_and_b32_sdwa v6, v7, s4 dst_sel:DWORD dst_unused:UNUSED_PAD src0_sel:WORD_1 src1_sel:DWORD
	s_movk_i32 s4, 0x7f
	v_cmp_lt_i16_e32 vcc, s4, v6
	s_mov_b64 s[4:5], 0
                                        ; implicit-def: $sgpr10
	s_and_saveexec_b64 s[6:7], vcc
	s_xor_b64 s[6:7], exec, s[6:7]
	s_cbranch_execnz .LBB1_2737
; %bb.689:
	s_or_saveexec_b64 s[6:7], s[6:7]
	v_mov_b32_e32 v2, s10
	s_xor_b64 exec, exec, s[6:7]
	s_cbranch_execnz .LBB1_2740
.LBB1_690:
	s_or_b64 exec, exec, s[6:7]
	s_and_saveexec_b64 s[6:7], s[4:5]
	s_cbranch_execz .LBB1_692
.LBB1_691:
	v_bfe_u32 v2, v7, 16, 3
	v_ffbh_u32_e32 v13, v2
	v_min_u32_e32 v13, 32, v13
	v_lshrrev_b32_e32 v6, 19, v7
	v_subrev_u32_e32 v14, 28, v13
	v_and_b32_e32 v6, 15, v6
	v_lshlrev_b32_sdwa v14, v14, v7 dst_sel:DWORD dst_unused:UNUSED_PAD src0_sel:DWORD src1_sel:WORD_1
	v_bfe_u32 v12, v7, 19, 4
	v_sub_u32_e32 v13, 29, v13
	v_and_b32_e32 v14, 7, v14
	v_cmp_eq_u16_e32 vcc, 0, v6
	v_cndmask_b32_e32 v2, v2, v14, vcc
	v_cndmask_b32_e32 v6, v12, v13, vcc
	v_lshlrev_b32_e32 v12, 8, v7
	v_mov_b32_e32 v13, 0x3b800000
	v_lshlrev_b32_e32 v2, 20, v2
	v_and_b32_e32 v12, 0x80000000, v12
	v_lshl_add_u32 v6, v6, 23, v13
	v_or3_b32 v2, v12, v6, v2
.LBB1_692:
	s_or_b64 exec, exec, s[6:7]
	s_movk_i32 s4, 0xff
	v_and_b32_sdwa v6, v3, s4 dst_sel:DWORD dst_unused:UNUSED_PAD src0_sel:WORD_1 src1_sel:DWORD
	s_movk_i32 s4, 0x7f
	v_cmp_lt_i16_e32 vcc, s4, v6
	s_mov_b64 s[4:5], 0
                                        ; implicit-def: $sgpr10
	s_and_saveexec_b64 s[6:7], vcc
	s_xor_b64 s[6:7], exec, s[6:7]
	s_cbranch_execnz .LBB1_2741
; %bb.693:
	s_or_saveexec_b64 s[6:7], s[6:7]
	v_mov_b32_e32 v12, s10
	s_xor_b64 exec, exec, s[6:7]
	s_cbranch_execnz .LBB1_2744
.LBB1_694:
	s_or_b64 exec, exec, s[6:7]
	s_and_saveexec_b64 s[6:7], s[4:5]
	s_cbranch_execz .LBB1_696
.LBB1_695:
	v_bfe_u32 v6, v3, 16, 3
	v_ffbh_u32_e32 v14, v6
	v_min_u32_e32 v14, 32, v14
	v_lshrrev_b32_e32 v12, 19, v3
	v_subrev_u32_e32 v15, 28, v14
	v_and_b32_e32 v12, 15, v12
	v_lshlrev_b32_sdwa v15, v15, v3 dst_sel:DWORD dst_unused:UNUSED_PAD src0_sel:DWORD src1_sel:WORD_1
	v_bfe_u32 v13, v3, 19, 4
	v_sub_u32_e32 v14, 29, v14
	v_and_b32_e32 v15, 7, v15
	v_cmp_eq_u16_e32 vcc, 0, v12
	v_cndmask_b32_e32 v6, v6, v15, vcc
	v_cndmask_b32_e32 v12, v13, v14, vcc
	v_lshlrev_b32_e32 v13, 8, v3
	v_mov_b32_e32 v14, 0x3b800000
	v_lshlrev_b32_e32 v6, 20, v6
	v_and_b32_e32 v13, 0x80000000, v13
	v_lshl_add_u32 v12, v12, 23, v14
	v_or3_b32 v12, v13, v12, v6
.LBB1_696:
	s_or_b64 exec, exec, s[6:7]
	s_nop 0
	v_mfma_f32_16x16x4f32 a[0:3], v2, v12, a[0:3]
	s_movk_i32 s4, 0x7f
	v_cmp_gt_i16_sdwa s[6:7], v7, s4 src0_sel:BYTE_3 src1_sel:DWORD
	s_mov_b64 s[4:5], 0
                                        ; implicit-def: $sgpr10
	s_and_saveexec_b64 s[8:9], s[6:7]
	s_xor_b64 s[6:7], exec, s[8:9]
	s_cbranch_execnz .LBB1_2745
; %bb.697:
	s_or_saveexec_b64 s[6:7], s[6:7]
	v_mov_b32_e32 v2, s10
	s_xor_b64 exec, exec, s[6:7]
	s_cbranch_execnz .LBB1_2748
.LBB1_698:
	s_or_b64 exec, exec, s[6:7]
	s_and_saveexec_b64 s[6:7], s[4:5]
	s_cbranch_execz .LBB1_700
.LBB1_699:
	v_bfe_u32 v2, v7, 24, 3
	v_ffbh_u32_e32 v14, v2
	v_min_u32_e32 v14, 32, v14
	v_lshrrev_b32_e32 v12, 27, v7
	v_subrev_u32_e32 v15, 28, v14
	v_and_b32_e32 v6, 0x80000000, v7
	v_and_b32_e32 v12, 15, v12
	v_bfe_u32 v13, v7, 27, 4
	v_lshlrev_b32_sdwa v7, v15, v7 dst_sel:DWORD dst_unused:UNUSED_PAD src0_sel:DWORD src1_sel:BYTE_3
	v_sub_u32_e32 v14, 29, v14
	v_and_b32_e32 v7, 7, v7
	v_cmp_eq_u16_e32 vcc, 0, v12
	v_cndmask_b32_e32 v2, v2, v7, vcc
	v_cndmask_b32_e32 v7, v13, v14, vcc
	v_mov_b32_e32 v12, 0x3b800000
	v_lshlrev_b32_e32 v2, 20, v2
	v_lshl_add_u32 v7, v7, 23, v12
	v_or3_b32 v2, v6, v7, v2
.LBB1_700:
	s_or_b64 exec, exec, s[6:7]
	s_movk_i32 s4, 0x7f
	v_cmp_gt_i16_sdwa s[6:7], v3, s4 src0_sel:BYTE_3 src1_sel:DWORD
	s_mov_b64 s[4:5], 0
                                        ; implicit-def: $sgpr10
	s_and_saveexec_b64 s[8:9], s[6:7]
	s_xor_b64 s[6:7], exec, s[8:9]
	s_cbranch_execnz .LBB1_2749
; %bb.701:
	s_or_saveexec_b64 s[6:7], s[6:7]
	v_mov_b32_e32 v6, s10
	s_xor_b64 exec, exec, s[6:7]
	s_cbranch_execnz .LBB1_2752
.LBB1_702:
	s_or_b64 exec, exec, s[6:7]
	s_and_saveexec_b64 s[6:7], s[4:5]
	s_cbranch_execz .LBB1_704
.LBB1_703:
	v_bfe_u32 v6, v3, 24, 3
	v_ffbh_u32_e32 v14, v6
	v_min_u32_e32 v14, 32, v14
	v_lshrrev_b32_e32 v12, 27, v3
	v_subrev_u32_e32 v15, 28, v14
	v_and_b32_e32 v7, 0x80000000, v3
	v_and_b32_e32 v12, 15, v12
	v_bfe_u32 v13, v3, 27, 4
	v_lshlrev_b32_sdwa v3, v15, v3 dst_sel:DWORD dst_unused:UNUSED_PAD src0_sel:DWORD src1_sel:BYTE_3
	v_sub_u32_e32 v14, 29, v14
	v_and_b32_e32 v3, 7, v3
	v_cmp_eq_u16_e32 vcc, 0, v12
	v_cndmask_b32_e32 v3, v6, v3, vcc
	v_cndmask_b32_e32 v6, v13, v14, vcc
	v_mov_b32_e32 v12, 0x3b800000
	v_lshlrev_b32_e32 v3, 20, v3
	v_lshl_add_u32 v6, v6, 23, v12
	v_or3_b32 v6, v7, v6, v3
.LBB1_704:
	s_or_b64 exec, exec, s[6:7]
	s_nop 0
	v_mfma_f32_16x16x4f32 a[0:3], v2, v6, a[0:3]
	s_movk_i32 s4, 0x7f
	v_cmp_gt_i16_sdwa s[6:7], v8, s4 src0_sel:BYTE_0 src1_sel:DWORD
	s_mov_b64 s[4:5], 0
                                        ; implicit-def: $sgpr10
	s_and_saveexec_b64 s[8:9], s[6:7]
	s_xor_b64 s[6:7], exec, s[8:9]
	s_cbranch_execnz .LBB1_2753
; %bb.705:
	s_or_saveexec_b64 s[6:7], s[6:7]
	v_mov_b32_e32 v2, s10
	s_xor_b64 exec, exec, s[6:7]
	s_cbranch_execnz .LBB1_2756
.LBB1_706:
	s_or_b64 exec, exec, s[6:7]
	s_and_saveexec_b64 s[6:7], s[4:5]
	s_cbranch_execz .LBB1_708
.LBB1_707:
	v_and_b32_e32 v2, 7, v8
	v_ffbh_u32_e32 v6, v2
	v_min_u32_e32 v6, 32, v6
	v_lshrrev_b16_e32 v3, 3, v8
	v_subrev_u32_e32 v7, 28, v6
	v_and_b32_e32 v3, 15, v3
	v_lshlrev_b32_e32 v7, v7, v8
	v_sub_u32_e32 v6, 29, v6
	v_and_b32_e32 v7, 7, v7
	v_cmp_eq_u16_e32 vcc, 0, v3
	v_cndmask_b32_e32 v2, v2, v7, vcc
	v_cndmask_b32_e32 v3, v3, v6, vcc
	v_lshlrev_b32_e32 v6, 24, v8
	v_mov_b32_e32 v7, 0x3b800000
	v_lshlrev_b32_e32 v2, 20, v2
	v_and_b32_e32 v6, 0x80000000, v6
	v_lshl_add_u32 v3, v3, 23, v7
	v_or3_b32 v2, v6, v3, v2
.LBB1_708:
	s_or_b64 exec, exec, s[6:7]
	s_movk_i32 s4, 0x7f
	v_cmp_gt_i16_sdwa s[6:7], v4, s4 src0_sel:BYTE_0 src1_sel:DWORD
	s_mov_b64 s[4:5], 0
                                        ; implicit-def: $sgpr10
	s_and_saveexec_b64 s[8:9], s[6:7]
	s_xor_b64 s[6:7], exec, s[8:9]
	s_cbranch_execnz .LBB1_2757
; %bb.709:
	s_or_saveexec_b64 s[6:7], s[6:7]
	v_mov_b32_e32 v3, s10
	s_xor_b64 exec, exec, s[6:7]
	s_cbranch_execnz .LBB1_2760
.LBB1_710:
	s_or_b64 exec, exec, s[6:7]
	s_and_saveexec_b64 s[6:7], s[4:5]
	s_cbranch_execz .LBB1_712
.LBB1_711:
	v_and_b32_e32 v3, 7, v4
	v_ffbh_u32_e32 v7, v3
	v_min_u32_e32 v7, 32, v7
	v_lshrrev_b16_e32 v6, 3, v4
	v_subrev_u32_e32 v12, 28, v7
	v_and_b32_e32 v6, 15, v6
	v_lshlrev_b32_e32 v12, v12, v4
	v_sub_u32_e32 v7, 29, v7
	v_and_b32_e32 v12, 7, v12
	v_cmp_eq_u16_e32 vcc, 0, v6
	v_cndmask_b32_e32 v3, v3, v12, vcc
	v_cndmask_b32_e32 v6, v6, v7, vcc
	v_lshlrev_b32_e32 v7, 24, v4
	v_mov_b32_e32 v12, 0x3b800000
	v_lshlrev_b32_e32 v3, 20, v3
	v_and_b32_e32 v7, 0x80000000, v7
	v_lshl_add_u32 v6, v6, 23, v12
	v_or3_b32 v3, v7, v6, v3
.LBB1_712:
	s_or_b64 exec, exec, s[6:7]
	s_nop 0
	v_mfma_f32_16x16x4f32 a[0:3], v2, v3, a[0:3]
	v_lshrrev_b32_e32 v3, 8, v8
	s_movk_i32 s4, 0x7f
	v_cmp_gt_i16_sdwa s[6:7], v3, s4 src0_sel:BYTE_0 src1_sel:DWORD
	s_mov_b64 s[4:5], 0
                                        ; implicit-def: $sgpr10
	s_and_saveexec_b64 s[8:9], s[6:7]
	s_xor_b64 s[6:7], exec, s[8:9]
	s_cbranch_execnz .LBB1_2761
; %bb.713:
	s_or_saveexec_b64 s[6:7], s[6:7]
	v_mov_b32_e32 v2, s10
	s_xor_b64 exec, exec, s[6:7]
	s_cbranch_execnz .LBB1_2764
.LBB1_714:
	s_or_b64 exec, exec, s[6:7]
	s_and_saveexec_b64 s[6:7], s[4:5]
	s_cbranch_execz .LBB1_716
.LBB1_715:
	v_bfe_u32 v2, v8, 8, 3
	v_ffbh_u32_e32 v7, v2
	v_min_u32_e32 v7, 32, v7
	v_lshrrev_b16_e32 v6, 3, v3
	v_subrev_u32_e32 v12, 28, v7
	v_and_b32_e32 v6, 15, v6
	v_lshlrev_b32_e32 v3, v12, v3
	v_sub_u32_e32 v7, 29, v7
	v_and_b32_e32 v3, 7, v3
	v_cmp_eq_u16_e32 vcc, 0, v6
	v_cndmask_b32_e32 v2, v2, v3, vcc
	v_cndmask_b32_e32 v3, v6, v7, vcc
	v_lshlrev_b32_e32 v6, 16, v8
	v_mov_b32_e32 v7, 0x3b800000
	v_lshlrev_b32_e32 v2, 20, v2
	v_and_b32_e32 v6, 0x80000000, v6
	v_lshl_add_u32 v3, v3, 23, v7
	v_or3_b32 v2, v6, v3, v2
.LBB1_716:
	s_or_b64 exec, exec, s[6:7]
	v_lshrrev_b32_e32 v3, 8, v4
	s_movk_i32 s4, 0x7f
	v_cmp_gt_i16_sdwa s[6:7], v3, s4 src0_sel:BYTE_0 src1_sel:DWORD
	s_mov_b64 s[4:5], 0
                                        ; implicit-def: $sgpr10
	s_and_saveexec_b64 s[8:9], s[6:7]
	s_xor_b64 s[6:7], exec, s[8:9]
	s_cbranch_execnz .LBB1_2765
; %bb.717:
	s_or_saveexec_b64 s[6:7], s[6:7]
	v_mov_b32_e32 v6, s10
	s_xor_b64 exec, exec, s[6:7]
	s_cbranch_execnz .LBB1_2768
.LBB1_718:
	s_or_b64 exec, exec, s[6:7]
	s_and_saveexec_b64 s[6:7], s[4:5]
	s_cbranch_execz .LBB1_720
.LBB1_719:
	v_bfe_u32 v6, v4, 8, 3
	v_ffbh_u32_e32 v12, v6
	v_min_u32_e32 v12, 32, v12
	v_lshrrev_b16_e32 v7, 3, v3
	v_subrev_u32_e32 v13, 28, v12
	v_and_b32_e32 v7, 15, v7
	v_lshlrev_b32_e32 v3, v13, v3
	v_sub_u32_e32 v12, 29, v12
	v_and_b32_e32 v3, 7, v3
	v_cmp_eq_u16_e32 vcc, 0, v7
	v_cndmask_b32_e32 v3, v6, v3, vcc
	v_cndmask_b32_e32 v6, v7, v12, vcc
	v_lshlrev_b32_e32 v7, 16, v4
	v_mov_b32_e32 v12, 0x3b800000
	v_lshlrev_b32_e32 v3, 20, v3
	v_and_b32_e32 v7, 0x80000000, v7
	v_lshl_add_u32 v6, v6, 23, v12
	v_or3_b32 v6, v7, v6, v3
.LBB1_720:
	s_or_b64 exec, exec, s[6:7]
	s_nop 0
	v_mfma_f32_16x16x4f32 a[0:3], v2, v6, a[0:3]
	s_movk_i32 s4, 0xff
	v_and_b32_sdwa v3, v8, s4 dst_sel:DWORD dst_unused:UNUSED_PAD src0_sel:WORD_1 src1_sel:DWORD
	s_movk_i32 s4, 0x7f
	v_cmp_lt_i16_e32 vcc, s4, v3
	s_mov_b64 s[4:5], 0
                                        ; implicit-def: $sgpr10
	s_and_saveexec_b64 s[6:7], vcc
	s_xor_b64 s[6:7], exec, s[6:7]
	s_cbranch_execnz .LBB1_2769
; %bb.721:
	s_or_saveexec_b64 s[6:7], s[6:7]
	v_mov_b32_e32 v2, s10
	s_xor_b64 exec, exec, s[6:7]
	s_cbranch_execnz .LBB1_2772
.LBB1_722:
	s_or_b64 exec, exec, s[6:7]
	s_and_saveexec_b64 s[6:7], s[4:5]
	s_cbranch_execz .LBB1_724
.LBB1_723:
	v_bfe_u32 v2, v8, 16, 3
	v_ffbh_u32_e32 v7, v2
	v_min_u32_e32 v7, 32, v7
	v_lshrrev_b32_e32 v3, 19, v8
	v_subrev_u32_e32 v12, 28, v7
	v_and_b32_e32 v3, 15, v3
	v_lshlrev_b32_sdwa v12, v12, v8 dst_sel:DWORD dst_unused:UNUSED_PAD src0_sel:DWORD src1_sel:WORD_1
	v_bfe_u32 v6, v8, 19, 4
	v_sub_u32_e32 v7, 29, v7
	v_and_b32_e32 v12, 7, v12
	v_cmp_eq_u16_e32 vcc, 0, v3
	v_cndmask_b32_e32 v2, v2, v12, vcc
	v_cndmask_b32_e32 v3, v6, v7, vcc
	v_lshlrev_b32_e32 v6, 8, v8
	v_mov_b32_e32 v7, 0x3b800000
	v_lshlrev_b32_e32 v2, 20, v2
	v_and_b32_e32 v6, 0x80000000, v6
	v_lshl_add_u32 v3, v3, 23, v7
	v_or3_b32 v2, v6, v3, v2
.LBB1_724:
	s_or_b64 exec, exec, s[6:7]
	s_movk_i32 s4, 0xff
	v_and_b32_sdwa v3, v4, s4 dst_sel:DWORD dst_unused:UNUSED_PAD src0_sel:WORD_1 src1_sel:DWORD
	s_movk_i32 s4, 0x7f
	v_cmp_lt_i16_e32 vcc, s4, v3
	s_mov_b64 s[4:5], 0
                                        ; implicit-def: $sgpr10
	s_and_saveexec_b64 s[6:7], vcc
	s_xor_b64 s[6:7], exec, s[6:7]
	s_cbranch_execnz .LBB1_2773
; %bb.725:
	s_or_saveexec_b64 s[6:7], s[6:7]
	v_mov_b32_e32 v6, s10
	s_xor_b64 exec, exec, s[6:7]
	s_cbranch_execnz .LBB1_2776
.LBB1_726:
	s_or_b64 exec, exec, s[6:7]
	s_and_saveexec_b64 s[6:7], s[4:5]
	s_cbranch_execz .LBB1_728
.LBB1_727:
	v_bfe_u32 v3, v4, 16, 3
	v_ffbh_u32_e32 v12, v3
	v_min_u32_e32 v12, 32, v12
	v_lshrrev_b32_e32 v6, 19, v4
	v_subrev_u32_e32 v13, 28, v12
	v_and_b32_e32 v6, 15, v6
	v_lshlrev_b32_sdwa v13, v13, v4 dst_sel:DWORD dst_unused:UNUSED_PAD src0_sel:DWORD src1_sel:WORD_1
	v_bfe_u32 v7, v4, 19, 4
	v_sub_u32_e32 v12, 29, v12
	v_and_b32_e32 v13, 7, v13
	v_cmp_eq_u16_e32 vcc, 0, v6
	v_cndmask_b32_e32 v3, v3, v13, vcc
	v_cndmask_b32_e32 v6, v7, v12, vcc
	v_lshlrev_b32_e32 v7, 8, v4
	v_mov_b32_e32 v12, 0x3b800000
	v_lshlrev_b32_e32 v3, 20, v3
	v_and_b32_e32 v7, 0x80000000, v7
	v_lshl_add_u32 v6, v6, 23, v12
	v_or3_b32 v6, v7, v6, v3
.LBB1_728:
	s_or_b64 exec, exec, s[6:7]
	s_nop 0
	v_mfma_f32_16x16x4f32 a[0:3], v2, v6, a[0:3]
	s_movk_i32 s4, 0x7f
	v_cmp_gt_i16_sdwa s[6:7], v8, s4 src0_sel:BYTE_3 src1_sel:DWORD
	s_mov_b64 s[4:5], 0
                                        ; implicit-def: $sgpr10
	s_and_saveexec_b64 s[8:9], s[6:7]
	s_xor_b64 s[6:7], exec, s[8:9]
	s_cbranch_execnz .LBB1_2777
; %bb.729:
	s_or_saveexec_b64 s[6:7], s[6:7]
	v_mov_b32_e32 v2, s10
	s_xor_b64 exec, exec, s[6:7]
	s_cbranch_execnz .LBB1_2780
.LBB1_730:
	s_or_b64 exec, exec, s[6:7]
	s_and_saveexec_b64 s[6:7], s[4:5]
	s_cbranch_execz .LBB1_732
.LBB1_731:
	v_bfe_u32 v2, v8, 24, 3
	v_ffbh_u32_e32 v12, v2
	v_min_u32_e32 v12, 32, v12
	v_lshrrev_b32_e32 v6, 27, v8
	v_subrev_u32_e32 v13, 28, v12
	v_and_b32_e32 v3, 0x80000000, v8
	v_and_b32_e32 v6, 15, v6
	v_bfe_u32 v7, v8, 27, 4
	v_lshlrev_b32_sdwa v8, v13, v8 dst_sel:DWORD dst_unused:UNUSED_PAD src0_sel:DWORD src1_sel:BYTE_3
	v_sub_u32_e32 v12, 29, v12
	v_and_b32_e32 v8, 7, v8
	v_cmp_eq_u16_e32 vcc, 0, v6
	v_cndmask_b32_e32 v2, v2, v8, vcc
	v_cndmask_b32_e32 v6, v7, v12, vcc
	v_mov_b32_e32 v7, 0x3b800000
	v_lshlrev_b32_e32 v2, 20, v2
	v_lshl_add_u32 v6, v6, 23, v7
	v_or3_b32 v2, v3, v6, v2
.LBB1_732:
	s_or_b64 exec, exec, s[6:7]
	s_movk_i32 s4, 0x7f
	v_cmp_gt_i16_sdwa s[6:7], v4, s4 src0_sel:BYTE_3 src1_sel:DWORD
	s_mov_b64 s[4:5], 0
                                        ; implicit-def: $sgpr10
	s_and_saveexec_b64 s[8:9], s[6:7]
	s_xor_b64 s[6:7], exec, s[8:9]
	s_cbranch_execnz .LBB1_2781
; %bb.733:
	s_or_saveexec_b64 s[6:7], s[6:7]
	v_mov_b32_e32 v3, s10
	s_xor_b64 exec, exec, s[6:7]
	s_cbranch_execnz .LBB1_2784
.LBB1_734:
	s_or_b64 exec, exec, s[6:7]
	s_and_saveexec_b64 s[6:7], s[4:5]
	s_cbranch_execz .LBB1_736
.LBB1_735:
	v_bfe_u32 v3, v4, 24, 3
	v_ffbh_u32_e32 v12, v3
	v_min_u32_e32 v12, 32, v12
	v_lshrrev_b32_e32 v7, 27, v4
	v_subrev_u32_e32 v13, 28, v12
	v_and_b32_e32 v6, 0x80000000, v4
	v_and_b32_e32 v7, 15, v7
	v_bfe_u32 v8, v4, 27, 4
	v_lshlrev_b32_sdwa v4, v13, v4 dst_sel:DWORD dst_unused:UNUSED_PAD src0_sel:DWORD src1_sel:BYTE_3
	v_sub_u32_e32 v12, 29, v12
	v_and_b32_e32 v4, 7, v4
	v_cmp_eq_u16_e32 vcc, 0, v7
	v_cndmask_b32_e32 v3, v3, v4, vcc
	v_cndmask_b32_e32 v4, v8, v12, vcc
	v_mov_b32_e32 v7, 0x3b800000
	v_lshlrev_b32_e32 v3, 20, v3
	v_lshl_add_u32 v4, v4, 23, v7
	v_or3_b32 v3, v6, v4, v3
.LBB1_736:
	s_or_b64 exec, exec, s[6:7]
	s_nop 0
	v_mfma_f32_16x16x4f32 a[0:3], v2, v3, a[0:3]
	s_movk_i32 s4, 0x7f
	v_cmp_gt_i16_sdwa s[6:7], v9, s4 src0_sel:BYTE_0 src1_sel:DWORD
	s_mov_b64 s[4:5], 0
                                        ; implicit-def: $sgpr10
	s_and_saveexec_b64 s[8:9], s[6:7]
	s_xor_b64 s[6:7], exec, s[8:9]
	s_cbranch_execnz .LBB1_2785
; %bb.737:
	s_or_saveexec_b64 s[6:7], s[6:7]
	v_mov_b32_e32 v2, s10
	s_xor_b64 exec, exec, s[6:7]
	s_cbranch_execnz .LBB1_2788
.LBB1_738:
	s_or_b64 exec, exec, s[6:7]
	s_and_saveexec_b64 s[6:7], s[4:5]
	s_cbranch_execz .LBB1_740
.LBB1_739:
	v_mov_b32_e32 v2, 8
	v_and_b32_e32 v3, 7, v9
	v_lshrrev_b32_sdwa v2, v2, v9 dst_sel:BYTE_1 dst_unused:UNUSED_PAD src0_sel:DWORD src1_sel:DWORD
	v_ffbh_u32_e32 v4, v3
	v_or_b32_sdwa v2, v9, v2 dst_sel:DWORD dst_unused:UNUSED_PAD src0_sel:BYTE_0 src1_sel:DWORD
	v_min_u32_e32 v4, 32, v4
	v_lshrrev_b16_e32 v2, 3, v2
	v_subrev_u32_e32 v6, 28, v4
	v_and_b32_e32 v2, 15, v2
	v_lshlrev_b32_e32 v6, v6, v9
	v_sub_u32_e32 v4, 29, v4
	v_and_b32_e32 v6, 7, v6
	v_cmp_eq_u16_e32 vcc, 0, v2
	v_cndmask_b32_e32 v3, v3, v6, vcc
	v_cndmask_b32_e32 v2, v2, v4, vcc
	v_lshlrev_b32_e32 v4, 24, v9
	v_mov_b32_e32 v6, 0x3b800000
	v_lshlrev_b32_e32 v3, 20, v3
	v_and_b32_e32 v4, 0x80000000, v4
	v_lshl_add_u32 v2, v2, 23, v6
	v_or3_b32 v2, v4, v2, v3
.LBB1_740:
	s_or_b64 exec, exec, s[6:7]
	s_movk_i32 s4, 0x7f
	v_cmp_gt_i16_sdwa s[6:7], v5, s4 src0_sel:BYTE_0 src1_sel:DWORD
	s_mov_b64 s[4:5], 0
                                        ; implicit-def: $sgpr10
	s_and_saveexec_b64 s[8:9], s[6:7]
	s_xor_b64 s[6:7], exec, s[8:9]
	s_cbranch_execnz .LBB1_2789
; %bb.741:
	s_or_saveexec_b64 s[6:7], s[6:7]
	v_mov_b32_e32 v3, s10
	s_xor_b64 exec, exec, s[6:7]
	s_cbranch_execnz .LBB1_2792
.LBB1_742:
	s_or_b64 exec, exec, s[6:7]
	s_and_saveexec_b64 s[6:7], s[4:5]
	s_cbranch_execz .LBB1_744
.LBB1_743:
	v_mov_b32_e32 v3, 8
	v_and_b32_e32 v4, 7, v5
	v_lshrrev_b32_sdwa v3, v3, v5 dst_sel:BYTE_1 dst_unused:UNUSED_PAD src0_sel:DWORD src1_sel:DWORD
	v_ffbh_u32_e32 v6, v4
	v_or_b32_sdwa v3, v5, v3 dst_sel:DWORD dst_unused:UNUSED_PAD src0_sel:BYTE_0 src1_sel:DWORD
	v_min_u32_e32 v6, 32, v6
	v_lshrrev_b16_e32 v3, 3, v3
	v_subrev_u32_e32 v7, 28, v6
	v_and_b32_e32 v3, 15, v3
	v_lshlrev_b32_e32 v7, v7, v5
	v_sub_u32_e32 v6, 29, v6
	v_and_b32_e32 v7, 7, v7
	v_cmp_eq_u16_e32 vcc, 0, v3
	v_cndmask_b32_e32 v4, v4, v7, vcc
	v_cndmask_b32_e32 v3, v3, v6, vcc
	v_lshlrev_b32_e32 v6, 24, v5
	v_mov_b32_e32 v7, 0x3b800000
	v_lshlrev_b32_e32 v4, 20, v4
	v_and_b32_e32 v6, 0x80000000, v6
	v_lshl_add_u32 v3, v3, 23, v7
	v_or3_b32 v3, v6, v3, v4
.LBB1_744:
	s_or_b64 exec, exec, s[6:7]
	s_nop 0
	v_mfma_f32_16x16x4f32 a[0:3], v2, v3, a[0:3]
	v_lshrrev_b32_e32 v3, 8, v9
	s_movk_i32 s4, 0x7f
	v_cmp_gt_i16_sdwa s[6:7], v3, s4 src0_sel:BYTE_0 src1_sel:DWORD
	s_mov_b64 s[4:5], 0
                                        ; implicit-def: $sgpr10
	s_and_saveexec_b64 s[8:9], s[6:7]
	s_xor_b64 s[6:7], exec, s[8:9]
	s_cbranch_execnz .LBB1_2793
; %bb.745:
	s_or_saveexec_b64 s[6:7], s[6:7]
	v_mov_b32_e32 v2, s10
	s_xor_b64 exec, exec, s[6:7]
	s_cbranch_execnz .LBB1_2796
.LBB1_746:
	s_or_b64 exec, exec, s[6:7]
	s_and_saveexec_b64 s[6:7], s[4:5]
	s_cbranch_execz .LBB1_748
.LBB1_747:
	v_bfe_u32 v2, v9, 8, 3
	v_ffbh_u32_e32 v6, v2
	v_min_u32_e32 v6, 32, v6
	v_lshrrev_b16_e32 v4, 3, v3
	v_subrev_u32_e32 v7, 28, v6
	v_and_b32_e32 v4, 15, v4
	v_lshlrev_b32_e32 v3, v7, v3
	v_sub_u32_e32 v6, 29, v6
	v_and_b32_e32 v3, 7, v3
	v_cmp_eq_u16_e32 vcc, 0, v4
	v_cndmask_b32_e32 v2, v2, v3, vcc
	v_cndmask_b32_e32 v3, v4, v6, vcc
	v_lshlrev_b32_e32 v4, 16, v9
	v_mov_b32_e32 v6, 0x3b800000
	v_lshlrev_b32_e32 v2, 20, v2
	v_and_b32_e32 v4, 0x80000000, v4
	v_lshl_add_u32 v3, v3, 23, v6
	v_or3_b32 v2, v4, v3, v2
.LBB1_748:
	s_or_b64 exec, exec, s[6:7]
	v_lshrrev_b32_e32 v3, 8, v5
	s_movk_i32 s4, 0x7f
	v_cmp_gt_i16_sdwa s[6:7], v3, s4 src0_sel:BYTE_0 src1_sel:DWORD
	s_mov_b64 s[4:5], 0
                                        ; implicit-def: $sgpr10
	s_and_saveexec_b64 s[8:9], s[6:7]
	s_xor_b64 s[6:7], exec, s[8:9]
	s_cbranch_execnz .LBB1_2797
; %bb.749:
	s_or_saveexec_b64 s[6:7], s[6:7]
	v_mov_b32_e32 v4, s10
	s_xor_b64 exec, exec, s[6:7]
	s_cbranch_execnz .LBB1_2800
.LBB1_750:
	s_or_b64 exec, exec, s[6:7]
	s_and_saveexec_b64 s[6:7], s[4:5]
	s_cbranch_execz .LBB1_752
.LBB1_751:
	v_bfe_u32 v4, v5, 8, 3
	v_ffbh_u32_e32 v7, v4
	v_min_u32_e32 v7, 32, v7
	v_lshrrev_b16_e32 v6, 3, v3
	v_subrev_u32_e32 v8, 28, v7
	v_and_b32_e32 v6, 15, v6
	v_lshlrev_b32_e32 v3, v8, v3
	v_sub_u32_e32 v7, 29, v7
	v_and_b32_e32 v3, 7, v3
	v_cmp_eq_u16_e32 vcc, 0, v6
	v_cndmask_b32_e32 v3, v4, v3, vcc
	v_cndmask_b32_e32 v4, v6, v7, vcc
	v_lshlrev_b32_e32 v6, 16, v5
	v_mov_b32_e32 v7, 0x3b800000
	v_lshlrev_b32_e32 v3, 20, v3
	v_and_b32_e32 v6, 0x80000000, v6
	v_lshl_add_u32 v4, v4, 23, v7
	v_or3_b32 v4, v6, v4, v3
.LBB1_752:
	s_or_b64 exec, exec, s[6:7]
	s_nop 0
	v_mfma_f32_16x16x4f32 a[0:3], v2, v4, a[0:3]
	s_movk_i32 s4, 0xff
	v_and_b32_sdwa v3, v9, s4 dst_sel:DWORD dst_unused:UNUSED_PAD src0_sel:WORD_1 src1_sel:DWORD
	s_movk_i32 s4, 0x7f
	v_cmp_lt_i16_e32 vcc, s4, v3
	s_mov_b64 s[4:5], 0
                                        ; implicit-def: $sgpr10
	s_and_saveexec_b64 s[6:7], vcc
	s_xor_b64 s[6:7], exec, s[6:7]
	s_cbranch_execnz .LBB1_2801
; %bb.753:
	s_or_saveexec_b64 s[6:7], s[6:7]
	v_mov_b32_e32 v2, s10
	s_xor_b64 exec, exec, s[6:7]
	s_cbranch_execnz .LBB1_2804
.LBB1_754:
	s_or_b64 exec, exec, s[6:7]
	s_and_saveexec_b64 s[6:7], s[4:5]
	s_cbranch_execz .LBB1_756
.LBB1_755:
	v_bfe_u32 v2, v9, 16, 3
	v_ffbh_u32_e32 v6, v2
	v_min_u32_e32 v6, 32, v6
	v_lshrrev_b32_e32 v3, 19, v9
	v_subrev_u32_e32 v7, 28, v6
	v_and_b32_e32 v3, 15, v3
	v_lshlrev_b32_sdwa v7, v7, v9 dst_sel:DWORD dst_unused:UNUSED_PAD src0_sel:DWORD src1_sel:WORD_1
	v_bfe_u32 v4, v9, 19, 4
	v_sub_u32_e32 v6, 29, v6
	v_and_b32_e32 v7, 7, v7
	v_cmp_eq_u16_e32 vcc, 0, v3
	v_cndmask_b32_e32 v2, v2, v7, vcc
	v_cndmask_b32_e32 v3, v4, v6, vcc
	v_lshlrev_b32_e32 v4, 8, v9
	v_mov_b32_e32 v6, 0x3b800000
	v_lshlrev_b32_e32 v2, 20, v2
	v_and_b32_e32 v4, 0x80000000, v4
	v_lshl_add_u32 v3, v3, 23, v6
	v_or3_b32 v2, v4, v3, v2
.LBB1_756:
	s_or_b64 exec, exec, s[6:7]
	s_movk_i32 s4, 0xff
	v_and_b32_sdwa v3, v5, s4 dst_sel:DWORD dst_unused:UNUSED_PAD src0_sel:WORD_1 src1_sel:DWORD
	s_movk_i32 s4, 0x7f
	v_cmp_lt_i16_e32 vcc, s4, v3
	s_mov_b64 s[4:5], 0
                                        ; implicit-def: $sgpr10
	s_and_saveexec_b64 s[6:7], vcc
	s_xor_b64 s[6:7], exec, s[6:7]
	s_cbranch_execnz .LBB1_2805
; %bb.757:
	s_or_saveexec_b64 s[6:7], s[6:7]
	v_mov_b32_e32 v4, s10
	s_xor_b64 exec, exec, s[6:7]
	s_cbranch_execnz .LBB1_2808
.LBB1_758:
	s_or_b64 exec, exec, s[6:7]
	s_and_saveexec_b64 s[6:7], s[4:5]
	s_cbranch_execz .LBB1_760
.LBB1_759:
	v_bfe_u32 v3, v5, 16, 3
	v_ffbh_u32_e32 v7, v3
	v_min_u32_e32 v7, 32, v7
	v_lshrrev_b32_e32 v4, 19, v5
	v_subrev_u32_e32 v8, 28, v7
	v_and_b32_e32 v4, 15, v4
	v_lshlrev_b32_sdwa v8, v8, v5 dst_sel:DWORD dst_unused:UNUSED_PAD src0_sel:DWORD src1_sel:WORD_1
	v_bfe_u32 v6, v5, 19, 4
	v_sub_u32_e32 v7, 29, v7
	v_and_b32_e32 v8, 7, v8
	v_cmp_eq_u16_e32 vcc, 0, v4
	v_cndmask_b32_e32 v3, v3, v8, vcc
	v_cndmask_b32_e32 v4, v6, v7, vcc
	v_lshlrev_b32_e32 v6, 8, v5
	v_mov_b32_e32 v7, 0x3b800000
	v_lshlrev_b32_e32 v3, 20, v3
	v_and_b32_e32 v6, 0x80000000, v6
	v_lshl_add_u32 v4, v4, 23, v7
	v_or3_b32 v4, v6, v4, v3
.LBB1_760:
	s_or_b64 exec, exec, s[6:7]
	s_nop 0
	v_mfma_f32_16x16x4f32 a[0:3], v2, v4, a[0:3]
	s_movk_i32 s4, 0x7f
	v_cmp_gt_i16_sdwa s[6:7], v9, s4 src0_sel:BYTE_3 src1_sel:DWORD
	s_mov_b64 s[4:5], 0
                                        ; implicit-def: $sgpr10
	s_and_saveexec_b64 s[8:9], s[6:7]
	s_xor_b64 s[6:7], exec, s[8:9]
	s_cbranch_execnz .LBB1_2809
; %bb.761:
	s_or_saveexec_b64 s[6:7], s[6:7]
	v_mov_b32_e32 v2, s10
	s_xor_b64 exec, exec, s[6:7]
	s_cbranch_execnz .LBB1_2812
.LBB1_762:
	s_or_b64 exec, exec, s[6:7]
	s_and_saveexec_b64 s[6:7], s[4:5]
	s_cbranch_execz .LBB1_764
.LBB1_763:
	v_bfe_u32 v2, v9, 24, 3
	v_ffbh_u32_e32 v7, v2
	v_min_u32_e32 v7, 32, v7
	v_lshrrev_b32_e32 v4, 27, v9
	v_subrev_u32_e32 v8, 28, v7
	v_and_b32_e32 v4, 15, v4
	v_lshlrev_b32_sdwa v8, v8, v9 dst_sel:DWORD dst_unused:UNUSED_PAD src0_sel:DWORD src1_sel:BYTE_3
	v_bfe_u32 v6, v9, 27, 4
	v_sub_u32_e32 v7, 29, v7
	v_and_b32_e32 v8, 7, v8
	v_cmp_eq_u16_e32 vcc, 0, v4
	v_cndmask_b32_e32 v2, v2, v8, vcc
	v_cndmask_b32_e32 v4, v6, v7, vcc
	v_mov_b32_e32 v6, 0x3b800000
	v_and_b32_e32 v3, 0x80000000, v9
	v_lshlrev_b32_e32 v2, 20, v2
	v_lshl_add_u32 v4, v4, 23, v6
	v_or3_b32 v2, v3, v4, v2
.LBB1_764:
	s_or_b64 exec, exec, s[6:7]
	s_movk_i32 s4, 0x7f
	v_cmp_gt_i16_sdwa s[6:7], v5, s4 src0_sel:BYTE_3 src1_sel:DWORD
	s_mov_b64 s[4:5], 0
                                        ; implicit-def: $sgpr10
	s_and_saveexec_b64 s[8:9], s[6:7]
	s_xor_b64 s[6:7], exec, s[8:9]
	s_cbranch_execnz .LBB1_2813
; %bb.765:
	s_or_saveexec_b64 s[6:7], s[6:7]
	v_mov_b32_e32 v3, s10
	s_xor_b64 exec, exec, s[6:7]
	s_cbranch_execnz .LBB1_2816
.LBB1_766:
	s_or_b64 exec, exec, s[6:7]
	s_and_saveexec_b64 s[6:7], s[4:5]
	s_cbranch_execz .LBB1_768
.LBB1_767:
	v_bfe_u32 v3, v5, 24, 3
	v_ffbh_u32_e32 v8, v3
	v_min_u32_e32 v8, 32, v8
	v_lshrrev_b32_e32 v6, 27, v5
	v_subrev_u32_e32 v9, 28, v8
	v_and_b32_e32 v4, 0x80000000, v5
	v_and_b32_e32 v6, 15, v6
	v_bfe_u32 v7, v5, 27, 4
	v_lshlrev_b32_sdwa v5, v9, v5 dst_sel:DWORD dst_unused:UNUSED_PAD src0_sel:DWORD src1_sel:BYTE_3
	v_sub_u32_e32 v8, 29, v8
	v_and_b32_e32 v5, 7, v5
	v_cmp_eq_u16_e32 vcc, 0, v6
	v_cndmask_b32_e32 v3, v3, v5, vcc
	v_cndmask_b32_e32 v5, v7, v8, vcc
	v_mov_b32_e32 v6, 0x3b800000
	v_lshlrev_b32_e32 v3, 20, v3
	v_lshl_add_u32 v5, v5, 23, v6
	v_or3_b32 v3, v4, v5, v3
.LBB1_768:
	s_or_b64 exec, exec, s[6:7]
	s_nop 0
	v_mfma_f32_16x16x4f32 a[0:3], v2, v3, a[0:3]
	s_movk_i32 s4, 0x7f
                                        ; implicit-def: $sgpr10
	s_nop 7
	s_nop 1
	flat_store_dwordx4 v[10:11], a[0:3] offset:80
	flat_load_dwordx4 v[12:15], v[0:1] offset:8
	s_nop 0
	flat_load_dwordx2 v[10:11], v[0:1] offset:32
	s_waitcnt vmcnt(0) lgkmcnt(0)
	flat_load_dwordx4 v[6:9], v[12:13] offset:32
	flat_load_dwordx4 v[2:5], v[14:15] offset:64
	s_waitcnt vmcnt(0) lgkmcnt(0)
	v_cmp_gt_i16_sdwa s[6:7], v6, s4 src0_sel:BYTE_0 src1_sel:DWORD
	s_mov_b64 s[4:5], 0
	s_and_saveexec_b64 s[8:9], s[6:7]
	s_xor_b64 s[6:7], exec, s[8:9]
	s_cbranch_execnz .LBB1_2817
; %bb.769:
	s_or_saveexec_b64 s[6:7], s[6:7]
	v_mov_b32_e32 v12, s10
	s_xor_b64 exec, exec, s[6:7]
	s_cbranch_execnz .LBB1_2820
.LBB1_770:
	s_or_b64 exec, exec, s[6:7]
	s_and_saveexec_b64 s[6:7], s[4:5]
	s_cbranch_execz .LBB1_772
.LBB1_771:
	v_and_b32_e32 v12, 7, v6
	v_ffbh_u32_e32 v14, v12
	v_min_u32_e32 v14, 32, v14
	v_lshrrev_b16_e32 v13, 3, v6
	v_subrev_u32_e32 v15, 28, v14
	v_and_b32_e32 v13, 15, v13
	v_lshlrev_b32_e32 v15, v15, v6
	v_sub_u32_e32 v14, 29, v14
	v_and_b32_e32 v15, 7, v15
	v_cmp_eq_u16_e32 vcc, 0, v13
	v_cndmask_b32_e32 v12, v12, v15, vcc
	v_cndmask_b32_e32 v13, v13, v14, vcc
	v_lshlrev_b32_e32 v14, 24, v6
	v_mov_b32_e32 v15, 0x3b800000
	v_lshlrev_b32_e32 v12, 20, v12
	v_and_b32_e32 v14, 0x80000000, v14
	v_lshl_add_u32 v13, v13, 23, v15
	v_or3_b32 v12, v14, v13, v12
.LBB1_772:
	s_or_b64 exec, exec, s[6:7]
	s_movk_i32 s4, 0x7f
	v_cmp_gt_i16_sdwa s[6:7], v2, s4 src0_sel:BYTE_0 src1_sel:DWORD
	s_mov_b64 s[4:5], 0
                                        ; implicit-def: $sgpr10
	s_and_saveexec_b64 s[8:9], s[6:7]
	s_xor_b64 s[6:7], exec, s[8:9]
	s_cbranch_execnz .LBB1_2821
; %bb.773:
	s_or_saveexec_b64 s[6:7], s[6:7]
	v_mov_b32_e32 v13, s10
	s_xor_b64 exec, exec, s[6:7]
	s_cbranch_execnz .LBB1_2824
.LBB1_774:
	s_or_b64 exec, exec, s[6:7]
	s_and_saveexec_b64 s[6:7], s[4:5]
	s_cbranch_execz .LBB1_776
.LBB1_775:
	v_and_b32_e32 v13, 7, v2
	v_ffbh_u32_e32 v15, v13
	v_min_u32_e32 v15, 32, v15
	v_lshrrev_b16_e32 v14, 3, v2
	v_subrev_u32_e32 v16, 28, v15
	v_and_b32_e32 v14, 15, v14
	v_lshlrev_b32_e32 v16, v16, v2
	v_sub_u32_e32 v15, 29, v15
	v_and_b32_e32 v16, 7, v16
	v_cmp_eq_u16_e32 vcc, 0, v14
	v_cndmask_b32_e32 v13, v13, v16, vcc
	v_cndmask_b32_e32 v14, v14, v15, vcc
	v_lshlrev_b32_e32 v15, 24, v2
	v_mov_b32_e32 v16, 0x3b800000
	v_lshlrev_b32_e32 v13, 20, v13
	v_and_b32_e32 v15, 0x80000000, v15
	v_lshl_add_u32 v14, v14, 23, v16
	v_or3_b32 v13, v15, v14, v13
.LBB1_776:
	s_or_b64 exec, exec, s[6:7]
	flat_load_dwordx4 a[0:3], v[10:11] offset:96
	s_movk_i32 s4, 0x7f
                                        ; implicit-def: $sgpr10
	s_waitcnt vmcnt(0) lgkmcnt(0)
	v_mfma_f32_16x16x4f32 a[0:3], v12, v13, a[0:3]
	v_lshrrev_b32_e32 v13, 8, v6
	v_cmp_gt_i16_sdwa s[6:7], v13, s4 src0_sel:BYTE_0 src1_sel:DWORD
	s_mov_b64 s[4:5], 0
	s_and_saveexec_b64 s[8:9], s[6:7]
	s_xor_b64 s[6:7], exec, s[8:9]
	s_cbranch_execnz .LBB1_2825
; %bb.777:
	s_or_saveexec_b64 s[6:7], s[6:7]
	v_mov_b32_e32 v12, s10
	s_xor_b64 exec, exec, s[6:7]
	s_cbranch_execnz .LBB1_2828
.LBB1_778:
	s_or_b64 exec, exec, s[6:7]
	s_and_saveexec_b64 s[6:7], s[4:5]
	s_cbranch_execz .LBB1_780
.LBB1_779:
	v_bfe_u32 v12, v6, 8, 3
	v_ffbh_u32_e32 v15, v12
	v_min_u32_e32 v15, 32, v15
	v_lshrrev_b16_e32 v14, 3, v13
	v_subrev_u32_e32 v16, 28, v15
	v_and_b32_e32 v14, 15, v14
	v_lshlrev_b32_e32 v13, v16, v13
	v_sub_u32_e32 v15, 29, v15
	v_and_b32_e32 v13, 7, v13
	v_cmp_eq_u16_e32 vcc, 0, v14
	v_cndmask_b32_e32 v12, v12, v13, vcc
	v_cndmask_b32_e32 v13, v14, v15, vcc
	v_lshlrev_b32_e32 v14, 16, v6
	v_mov_b32_e32 v15, 0x3b800000
	v_lshlrev_b32_e32 v12, 20, v12
	v_and_b32_e32 v14, 0x80000000, v14
	v_lshl_add_u32 v13, v13, 23, v15
	v_or3_b32 v12, v14, v13, v12
.LBB1_780:
	s_or_b64 exec, exec, s[6:7]
	v_lshrrev_b32_e32 v13, 8, v2
	s_movk_i32 s4, 0x7f
	v_cmp_gt_i16_sdwa s[6:7], v13, s4 src0_sel:BYTE_0 src1_sel:DWORD
	s_mov_b64 s[4:5], 0
                                        ; implicit-def: $sgpr10
	s_and_saveexec_b64 s[8:9], s[6:7]
	s_xor_b64 s[6:7], exec, s[8:9]
	s_cbranch_execnz .LBB1_2829
; %bb.781:
	s_or_saveexec_b64 s[6:7], s[6:7]
	v_mov_b32_e32 v14, s10
	s_xor_b64 exec, exec, s[6:7]
	s_cbranch_execnz .LBB1_2832
.LBB1_782:
	s_or_b64 exec, exec, s[6:7]
	s_and_saveexec_b64 s[6:7], s[4:5]
	s_cbranch_execz .LBB1_784
.LBB1_783:
	v_bfe_u32 v14, v2, 8, 3
	v_ffbh_u32_e32 v16, v14
	v_min_u32_e32 v16, 32, v16
	v_lshrrev_b16_e32 v15, 3, v13
	v_subrev_u32_e32 v17, 28, v16
	v_and_b32_e32 v15, 15, v15
	v_lshlrev_b32_e32 v13, v17, v13
	v_sub_u32_e32 v16, 29, v16
	v_and_b32_e32 v13, 7, v13
	v_cmp_eq_u16_e32 vcc, 0, v15
	v_cndmask_b32_e32 v13, v14, v13, vcc
	v_cndmask_b32_e32 v14, v15, v16, vcc
	v_lshlrev_b32_e32 v15, 16, v2
	v_mov_b32_e32 v16, 0x3b800000
	v_lshlrev_b32_e32 v13, 20, v13
	v_and_b32_e32 v15, 0x80000000, v15
	v_lshl_add_u32 v14, v14, 23, v16
	v_or3_b32 v14, v15, v14, v13
.LBB1_784:
	s_or_b64 exec, exec, s[6:7]
	s_nop 0
	v_mfma_f32_16x16x4f32 a[0:3], v12, v14, a[0:3]
	s_movk_i32 s4, 0xff
	v_and_b32_sdwa v13, v6, s4 dst_sel:DWORD dst_unused:UNUSED_PAD src0_sel:WORD_1 src1_sel:DWORD
	s_movk_i32 s4, 0x7f
	v_cmp_lt_i16_e32 vcc, s4, v13
	s_mov_b64 s[4:5], 0
                                        ; implicit-def: $sgpr10
	s_and_saveexec_b64 s[6:7], vcc
	s_xor_b64 s[6:7], exec, s[6:7]
	s_cbranch_execnz .LBB1_2833
; %bb.785:
	s_or_saveexec_b64 s[6:7], s[6:7]
	v_mov_b32_e32 v12, s10
	s_xor_b64 exec, exec, s[6:7]
	s_cbranch_execnz .LBB1_2836
.LBB1_786:
	s_or_b64 exec, exec, s[6:7]
	s_and_saveexec_b64 s[6:7], s[4:5]
	s_cbranch_execz .LBB1_788
.LBB1_787:
	v_bfe_u32 v12, v6, 16, 3
	v_ffbh_u32_e32 v15, v12
	v_min_u32_e32 v15, 32, v15
	v_lshrrev_b32_e32 v13, 19, v6
	v_subrev_u32_e32 v16, 28, v15
	v_and_b32_e32 v13, 15, v13
	v_lshlrev_b32_sdwa v16, v16, v6 dst_sel:DWORD dst_unused:UNUSED_PAD src0_sel:DWORD src1_sel:WORD_1
	v_bfe_u32 v14, v6, 19, 4
	v_sub_u32_e32 v15, 29, v15
	v_and_b32_e32 v16, 7, v16
	v_cmp_eq_u16_e32 vcc, 0, v13
	v_cndmask_b32_e32 v12, v12, v16, vcc
	v_cndmask_b32_e32 v13, v14, v15, vcc
	v_lshlrev_b32_e32 v14, 8, v6
	v_mov_b32_e32 v15, 0x3b800000
	v_lshlrev_b32_e32 v12, 20, v12
	v_and_b32_e32 v14, 0x80000000, v14
	v_lshl_add_u32 v13, v13, 23, v15
	v_or3_b32 v12, v14, v13, v12
.LBB1_788:
	s_or_b64 exec, exec, s[6:7]
	s_movk_i32 s4, 0xff
	v_and_b32_sdwa v13, v2, s4 dst_sel:DWORD dst_unused:UNUSED_PAD src0_sel:WORD_1 src1_sel:DWORD
	s_movk_i32 s4, 0x7f
	v_cmp_lt_i16_e32 vcc, s4, v13
	s_mov_b64 s[4:5], 0
                                        ; implicit-def: $sgpr10
	s_and_saveexec_b64 s[6:7], vcc
	s_xor_b64 s[6:7], exec, s[6:7]
	s_cbranch_execnz .LBB1_2837
; %bb.789:
	s_or_saveexec_b64 s[6:7], s[6:7]
	v_mov_b32_e32 v14, s10
	s_xor_b64 exec, exec, s[6:7]
	s_cbranch_execnz .LBB1_2840
.LBB1_790:
	s_or_b64 exec, exec, s[6:7]
	s_and_saveexec_b64 s[6:7], s[4:5]
	s_cbranch_execz .LBB1_792
.LBB1_791:
	v_bfe_u32 v13, v2, 16, 3
	v_ffbh_u32_e32 v16, v13
	v_min_u32_e32 v16, 32, v16
	v_lshrrev_b32_e32 v14, 19, v2
	v_subrev_u32_e32 v17, 28, v16
	v_and_b32_e32 v14, 15, v14
	v_lshlrev_b32_sdwa v17, v17, v2 dst_sel:DWORD dst_unused:UNUSED_PAD src0_sel:DWORD src1_sel:WORD_1
	v_bfe_u32 v15, v2, 19, 4
	v_sub_u32_e32 v16, 29, v16
	v_and_b32_e32 v17, 7, v17
	v_cmp_eq_u16_e32 vcc, 0, v14
	v_cndmask_b32_e32 v13, v13, v17, vcc
	v_cndmask_b32_e32 v14, v15, v16, vcc
	v_lshlrev_b32_e32 v15, 8, v2
	v_mov_b32_e32 v16, 0x3b800000
	v_lshlrev_b32_e32 v13, 20, v13
	v_and_b32_e32 v15, 0x80000000, v15
	v_lshl_add_u32 v14, v14, 23, v16
	v_or3_b32 v14, v15, v14, v13
.LBB1_792:
	s_or_b64 exec, exec, s[6:7]
	s_nop 0
	v_mfma_f32_16x16x4f32 a[0:3], v12, v14, a[0:3]
	s_movk_i32 s4, 0x7f
	v_cmp_gt_i16_sdwa s[6:7], v6, s4 src0_sel:BYTE_3 src1_sel:DWORD
	s_mov_b64 s[4:5], 0
                                        ; implicit-def: $sgpr10
	s_and_saveexec_b64 s[8:9], s[6:7]
	s_xor_b64 s[6:7], exec, s[8:9]
	s_cbranch_execnz .LBB1_2841
; %bb.793:
	s_or_saveexec_b64 s[6:7], s[6:7]
	v_mov_b32_e32 v12, s10
	s_xor_b64 exec, exec, s[6:7]
	s_cbranch_execnz .LBB1_2844
.LBB1_794:
	s_or_b64 exec, exec, s[6:7]
	s_and_saveexec_b64 s[6:7], s[4:5]
	s_cbranch_execz .LBB1_796
.LBB1_795:
	v_bfe_u32 v12, v6, 24, 3
	v_ffbh_u32_e32 v16, v12
	v_min_u32_e32 v16, 32, v16
	v_lshrrev_b32_e32 v14, 27, v6
	v_subrev_u32_e32 v17, 28, v16
	v_and_b32_e32 v13, 0x80000000, v6
	v_and_b32_e32 v14, 15, v14
	v_bfe_u32 v15, v6, 27, 4
	v_lshlrev_b32_sdwa v6, v17, v6 dst_sel:DWORD dst_unused:UNUSED_PAD src0_sel:DWORD src1_sel:BYTE_3
	v_sub_u32_e32 v16, 29, v16
	v_and_b32_e32 v6, 7, v6
	v_cmp_eq_u16_e32 vcc, 0, v14
	v_cndmask_b32_e32 v6, v12, v6, vcc
	v_cndmask_b32_e32 v12, v15, v16, vcc
	v_mov_b32_e32 v14, 0x3b800000
	v_lshlrev_b32_e32 v6, 20, v6
	v_lshl_add_u32 v12, v12, 23, v14
	v_or3_b32 v12, v13, v12, v6
.LBB1_796:
	s_or_b64 exec, exec, s[6:7]
	s_movk_i32 s4, 0x7f
	v_cmp_gt_i16_sdwa s[6:7], v2, s4 src0_sel:BYTE_3 src1_sel:DWORD
	s_mov_b64 s[4:5], 0
                                        ; implicit-def: $sgpr10
	s_and_saveexec_b64 s[8:9], s[6:7]
	s_xor_b64 s[6:7], exec, s[8:9]
	s_cbranch_execnz .LBB1_2845
; %bb.797:
	s_or_saveexec_b64 s[6:7], s[6:7]
	v_mov_b32_e32 v6, s10
	s_xor_b64 exec, exec, s[6:7]
	s_cbranch_execnz .LBB1_2848
.LBB1_798:
	s_or_b64 exec, exec, s[6:7]
	s_and_saveexec_b64 s[6:7], s[4:5]
	s_cbranch_execz .LBB1_800
.LBB1_799:
	v_bfe_u32 v6, v2, 24, 3
	v_ffbh_u32_e32 v16, v6
	v_min_u32_e32 v16, 32, v16
	v_lshrrev_b32_e32 v14, 27, v2
	v_subrev_u32_e32 v17, 28, v16
	v_and_b32_e32 v13, 0x80000000, v2
	v_and_b32_e32 v14, 15, v14
	v_bfe_u32 v15, v2, 27, 4
	v_lshlrev_b32_sdwa v2, v17, v2 dst_sel:DWORD dst_unused:UNUSED_PAD src0_sel:DWORD src1_sel:BYTE_3
	v_sub_u32_e32 v16, 29, v16
	v_and_b32_e32 v2, 7, v2
	v_cmp_eq_u16_e32 vcc, 0, v14
	v_cndmask_b32_e32 v2, v6, v2, vcc
	v_cndmask_b32_e32 v6, v15, v16, vcc
	v_mov_b32_e32 v14, 0x3b800000
	v_lshlrev_b32_e32 v2, 20, v2
	v_lshl_add_u32 v6, v6, 23, v14
	v_or3_b32 v6, v13, v6, v2
.LBB1_800:
	s_or_b64 exec, exec, s[6:7]
	s_nop 0
	v_mfma_f32_16x16x4f32 a[0:3], v12, v6, a[0:3]
	s_movk_i32 s4, 0x7f
	v_cmp_gt_i16_sdwa s[6:7], v7, s4 src0_sel:BYTE_0 src1_sel:DWORD
	s_mov_b64 s[4:5], 0
                                        ; implicit-def: $sgpr10
	s_and_saveexec_b64 s[8:9], s[6:7]
	s_xor_b64 s[6:7], exec, s[8:9]
	s_cbranch_execnz .LBB1_2849
; %bb.801:
	s_or_saveexec_b64 s[6:7], s[6:7]
	v_mov_b32_e32 v2, s10
	s_xor_b64 exec, exec, s[6:7]
	s_cbranch_execnz .LBB1_2852
.LBB1_802:
	s_or_b64 exec, exec, s[6:7]
	s_and_saveexec_b64 s[6:7], s[4:5]
	s_cbranch_execz .LBB1_804
.LBB1_803:
	v_and_b32_e32 v2, 7, v7
	v_ffbh_u32_e32 v12, v2
	v_min_u32_e32 v12, 32, v12
	v_lshrrev_b16_e32 v6, 3, v7
	v_subrev_u32_e32 v13, 28, v12
	v_and_b32_e32 v6, 15, v6
	v_lshlrev_b32_e32 v13, v13, v7
	v_sub_u32_e32 v12, 29, v12
	v_and_b32_e32 v13, 7, v13
	v_cmp_eq_u16_e32 vcc, 0, v6
	v_cndmask_b32_e32 v2, v2, v13, vcc
	v_cndmask_b32_e32 v6, v6, v12, vcc
	v_lshlrev_b32_e32 v12, 24, v7
	v_mov_b32_e32 v13, 0x3b800000
	v_lshlrev_b32_e32 v2, 20, v2
	v_and_b32_e32 v12, 0x80000000, v12
	v_lshl_add_u32 v6, v6, 23, v13
	v_or3_b32 v2, v12, v6, v2
.LBB1_804:
	s_or_b64 exec, exec, s[6:7]
	s_movk_i32 s4, 0x7f
	v_cmp_gt_i16_sdwa s[6:7], v3, s4 src0_sel:BYTE_0 src1_sel:DWORD
	s_mov_b64 s[4:5], 0
                                        ; implicit-def: $sgpr10
	s_and_saveexec_b64 s[8:9], s[6:7]
	s_xor_b64 s[6:7], exec, s[8:9]
	s_cbranch_execnz .LBB1_2853
; %bb.805:
	s_or_saveexec_b64 s[6:7], s[6:7]
	v_mov_b32_e32 v6, s10
	s_xor_b64 exec, exec, s[6:7]
	s_cbranch_execnz .LBB1_2856
.LBB1_806:
	s_or_b64 exec, exec, s[6:7]
	s_and_saveexec_b64 s[6:7], s[4:5]
	s_cbranch_execz .LBB1_808
.LBB1_807:
	v_and_b32_e32 v6, 7, v3
	v_ffbh_u32_e32 v13, v6
	v_min_u32_e32 v13, 32, v13
	v_lshrrev_b16_e32 v12, 3, v3
	v_subrev_u32_e32 v14, 28, v13
	v_and_b32_e32 v12, 15, v12
	v_lshlrev_b32_e32 v14, v14, v3
	v_sub_u32_e32 v13, 29, v13
	v_and_b32_e32 v14, 7, v14
	v_cmp_eq_u16_e32 vcc, 0, v12
	v_cndmask_b32_e32 v6, v6, v14, vcc
	v_cndmask_b32_e32 v12, v12, v13, vcc
	v_lshlrev_b32_e32 v13, 24, v3
	v_mov_b32_e32 v14, 0x3b800000
	v_lshlrev_b32_e32 v6, 20, v6
	v_and_b32_e32 v13, 0x80000000, v13
	v_lshl_add_u32 v12, v12, 23, v14
	v_or3_b32 v6, v13, v12, v6
.LBB1_808:
	s_or_b64 exec, exec, s[6:7]
	s_nop 0
	v_mfma_f32_16x16x4f32 a[0:3], v2, v6, a[0:3]
	v_lshrrev_b32_e32 v6, 8, v7
	s_movk_i32 s4, 0x7f
	v_cmp_gt_i16_sdwa s[6:7], v6, s4 src0_sel:BYTE_0 src1_sel:DWORD
	s_mov_b64 s[4:5], 0
                                        ; implicit-def: $sgpr10
	s_and_saveexec_b64 s[8:9], s[6:7]
	s_xor_b64 s[6:7], exec, s[8:9]
	s_cbranch_execnz .LBB1_2857
; %bb.809:
	s_or_saveexec_b64 s[6:7], s[6:7]
	v_mov_b32_e32 v2, s10
	s_xor_b64 exec, exec, s[6:7]
	s_cbranch_execnz .LBB1_2860
.LBB1_810:
	s_or_b64 exec, exec, s[6:7]
	s_and_saveexec_b64 s[6:7], s[4:5]
	s_cbranch_execz .LBB1_812
.LBB1_811:
	v_bfe_u32 v2, v7, 8, 3
	v_ffbh_u32_e32 v13, v2
	v_min_u32_e32 v13, 32, v13
	v_lshrrev_b16_e32 v12, 3, v6
	v_subrev_u32_e32 v14, 28, v13
	v_and_b32_e32 v12, 15, v12
	v_lshlrev_b32_e32 v6, v14, v6
	v_sub_u32_e32 v13, 29, v13
	v_and_b32_e32 v6, 7, v6
	v_cmp_eq_u16_e32 vcc, 0, v12
	v_cndmask_b32_e32 v2, v2, v6, vcc
	v_cndmask_b32_e32 v6, v12, v13, vcc
	v_lshlrev_b32_e32 v12, 16, v7
	v_mov_b32_e32 v13, 0x3b800000
	v_lshlrev_b32_e32 v2, 20, v2
	v_and_b32_e32 v12, 0x80000000, v12
	v_lshl_add_u32 v6, v6, 23, v13
	v_or3_b32 v2, v12, v6, v2
.LBB1_812:
	s_or_b64 exec, exec, s[6:7]
	v_lshrrev_b32_e32 v6, 8, v3
	s_movk_i32 s4, 0x7f
	v_cmp_gt_i16_sdwa s[6:7], v6, s4 src0_sel:BYTE_0 src1_sel:DWORD
	s_mov_b64 s[4:5], 0
                                        ; implicit-def: $sgpr10
	s_and_saveexec_b64 s[8:9], s[6:7]
	s_xor_b64 s[6:7], exec, s[8:9]
	s_cbranch_execnz .LBB1_2861
; %bb.813:
	s_or_saveexec_b64 s[6:7], s[6:7]
	v_mov_b32_e32 v12, s10
	s_xor_b64 exec, exec, s[6:7]
	s_cbranch_execnz .LBB1_2864
.LBB1_814:
	s_or_b64 exec, exec, s[6:7]
	s_and_saveexec_b64 s[6:7], s[4:5]
	s_cbranch_execz .LBB1_816
.LBB1_815:
	v_bfe_u32 v12, v3, 8, 3
	v_ffbh_u32_e32 v14, v12
	v_min_u32_e32 v14, 32, v14
	v_lshrrev_b16_e32 v13, 3, v6
	v_subrev_u32_e32 v15, 28, v14
	v_and_b32_e32 v13, 15, v13
	v_lshlrev_b32_e32 v6, v15, v6
	v_sub_u32_e32 v14, 29, v14
	v_and_b32_e32 v6, 7, v6
	v_cmp_eq_u16_e32 vcc, 0, v13
	v_cndmask_b32_e32 v6, v12, v6, vcc
	v_cndmask_b32_e32 v12, v13, v14, vcc
	v_lshlrev_b32_e32 v13, 16, v3
	v_mov_b32_e32 v14, 0x3b800000
	v_lshlrev_b32_e32 v6, 20, v6
	v_and_b32_e32 v13, 0x80000000, v13
	v_lshl_add_u32 v12, v12, 23, v14
	v_or3_b32 v12, v13, v12, v6
.LBB1_816:
	s_or_b64 exec, exec, s[6:7]
	s_nop 0
	v_mfma_f32_16x16x4f32 a[0:3], v2, v12, a[0:3]
	s_movk_i32 s4, 0xff
	v_and_b32_sdwa v6, v7, s4 dst_sel:DWORD dst_unused:UNUSED_PAD src0_sel:WORD_1 src1_sel:DWORD
	s_movk_i32 s4, 0x7f
	v_cmp_lt_i16_e32 vcc, s4, v6
	s_mov_b64 s[4:5], 0
                                        ; implicit-def: $sgpr10
	s_and_saveexec_b64 s[6:7], vcc
	s_xor_b64 s[6:7], exec, s[6:7]
	s_cbranch_execnz .LBB1_2865
; %bb.817:
	s_or_saveexec_b64 s[6:7], s[6:7]
	v_mov_b32_e32 v2, s10
	s_xor_b64 exec, exec, s[6:7]
	s_cbranch_execnz .LBB1_2868
.LBB1_818:
	s_or_b64 exec, exec, s[6:7]
	s_and_saveexec_b64 s[6:7], s[4:5]
	s_cbranch_execz .LBB1_820
.LBB1_819:
	v_bfe_u32 v2, v7, 16, 3
	v_ffbh_u32_e32 v13, v2
	v_min_u32_e32 v13, 32, v13
	v_lshrrev_b32_e32 v6, 19, v7
	v_subrev_u32_e32 v14, 28, v13
	v_and_b32_e32 v6, 15, v6
	v_lshlrev_b32_sdwa v14, v14, v7 dst_sel:DWORD dst_unused:UNUSED_PAD src0_sel:DWORD src1_sel:WORD_1
	v_bfe_u32 v12, v7, 19, 4
	v_sub_u32_e32 v13, 29, v13
	v_and_b32_e32 v14, 7, v14
	v_cmp_eq_u16_e32 vcc, 0, v6
	v_cndmask_b32_e32 v2, v2, v14, vcc
	v_cndmask_b32_e32 v6, v12, v13, vcc
	v_lshlrev_b32_e32 v12, 8, v7
	v_mov_b32_e32 v13, 0x3b800000
	v_lshlrev_b32_e32 v2, 20, v2
	v_and_b32_e32 v12, 0x80000000, v12
	v_lshl_add_u32 v6, v6, 23, v13
	v_or3_b32 v2, v12, v6, v2
.LBB1_820:
	s_or_b64 exec, exec, s[6:7]
	s_movk_i32 s4, 0xff
	v_and_b32_sdwa v6, v3, s4 dst_sel:DWORD dst_unused:UNUSED_PAD src0_sel:WORD_1 src1_sel:DWORD
	s_movk_i32 s4, 0x7f
	v_cmp_lt_i16_e32 vcc, s4, v6
	s_mov_b64 s[4:5], 0
                                        ; implicit-def: $sgpr10
	s_and_saveexec_b64 s[6:7], vcc
	s_xor_b64 s[6:7], exec, s[6:7]
	s_cbranch_execnz .LBB1_2869
; %bb.821:
	s_or_saveexec_b64 s[6:7], s[6:7]
	v_mov_b32_e32 v12, s10
	s_xor_b64 exec, exec, s[6:7]
	s_cbranch_execnz .LBB1_2872
.LBB1_822:
	s_or_b64 exec, exec, s[6:7]
	s_and_saveexec_b64 s[6:7], s[4:5]
	s_cbranch_execz .LBB1_824
.LBB1_823:
	v_bfe_u32 v6, v3, 16, 3
	v_ffbh_u32_e32 v14, v6
	v_min_u32_e32 v14, 32, v14
	v_lshrrev_b32_e32 v12, 19, v3
	v_subrev_u32_e32 v15, 28, v14
	v_and_b32_e32 v12, 15, v12
	v_lshlrev_b32_sdwa v15, v15, v3 dst_sel:DWORD dst_unused:UNUSED_PAD src0_sel:DWORD src1_sel:WORD_1
	v_bfe_u32 v13, v3, 19, 4
	v_sub_u32_e32 v14, 29, v14
	v_and_b32_e32 v15, 7, v15
	v_cmp_eq_u16_e32 vcc, 0, v12
	v_cndmask_b32_e32 v6, v6, v15, vcc
	v_cndmask_b32_e32 v12, v13, v14, vcc
	v_lshlrev_b32_e32 v13, 8, v3
	v_mov_b32_e32 v14, 0x3b800000
	v_lshlrev_b32_e32 v6, 20, v6
	v_and_b32_e32 v13, 0x80000000, v13
	v_lshl_add_u32 v12, v12, 23, v14
	v_or3_b32 v12, v13, v12, v6
.LBB1_824:
	s_or_b64 exec, exec, s[6:7]
	s_nop 0
	v_mfma_f32_16x16x4f32 a[0:3], v2, v12, a[0:3]
	s_movk_i32 s4, 0x7f
	v_cmp_gt_i16_sdwa s[6:7], v7, s4 src0_sel:BYTE_3 src1_sel:DWORD
	s_mov_b64 s[4:5], 0
                                        ; implicit-def: $sgpr10
	s_and_saveexec_b64 s[8:9], s[6:7]
	s_xor_b64 s[6:7], exec, s[8:9]
	s_cbranch_execnz .LBB1_2873
; %bb.825:
	s_or_saveexec_b64 s[6:7], s[6:7]
	v_mov_b32_e32 v2, s10
	s_xor_b64 exec, exec, s[6:7]
	s_cbranch_execnz .LBB1_2876
.LBB1_826:
	s_or_b64 exec, exec, s[6:7]
	s_and_saveexec_b64 s[6:7], s[4:5]
	s_cbranch_execz .LBB1_828
.LBB1_827:
	v_bfe_u32 v2, v7, 24, 3
	v_ffbh_u32_e32 v14, v2
	v_min_u32_e32 v14, 32, v14
	v_lshrrev_b32_e32 v12, 27, v7
	v_subrev_u32_e32 v15, 28, v14
	v_and_b32_e32 v6, 0x80000000, v7
	v_and_b32_e32 v12, 15, v12
	v_bfe_u32 v13, v7, 27, 4
	v_lshlrev_b32_sdwa v7, v15, v7 dst_sel:DWORD dst_unused:UNUSED_PAD src0_sel:DWORD src1_sel:BYTE_3
	v_sub_u32_e32 v14, 29, v14
	v_and_b32_e32 v7, 7, v7
	v_cmp_eq_u16_e32 vcc, 0, v12
	v_cndmask_b32_e32 v2, v2, v7, vcc
	v_cndmask_b32_e32 v7, v13, v14, vcc
	v_mov_b32_e32 v12, 0x3b800000
	v_lshlrev_b32_e32 v2, 20, v2
	v_lshl_add_u32 v7, v7, 23, v12
	v_or3_b32 v2, v6, v7, v2
.LBB1_828:
	s_or_b64 exec, exec, s[6:7]
	s_movk_i32 s4, 0x7f
	v_cmp_gt_i16_sdwa s[6:7], v3, s4 src0_sel:BYTE_3 src1_sel:DWORD
	s_mov_b64 s[4:5], 0
                                        ; implicit-def: $sgpr10
	s_and_saveexec_b64 s[8:9], s[6:7]
	s_xor_b64 s[6:7], exec, s[8:9]
	s_cbranch_execnz .LBB1_2877
; %bb.829:
	s_or_saveexec_b64 s[6:7], s[6:7]
	v_mov_b32_e32 v6, s10
	s_xor_b64 exec, exec, s[6:7]
	s_cbranch_execnz .LBB1_2880
.LBB1_830:
	s_or_b64 exec, exec, s[6:7]
	s_and_saveexec_b64 s[6:7], s[4:5]
	s_cbranch_execz .LBB1_832
.LBB1_831:
	v_bfe_u32 v6, v3, 24, 3
	v_ffbh_u32_e32 v14, v6
	v_min_u32_e32 v14, 32, v14
	v_lshrrev_b32_e32 v12, 27, v3
	v_subrev_u32_e32 v15, 28, v14
	v_and_b32_e32 v7, 0x80000000, v3
	v_and_b32_e32 v12, 15, v12
	v_bfe_u32 v13, v3, 27, 4
	v_lshlrev_b32_sdwa v3, v15, v3 dst_sel:DWORD dst_unused:UNUSED_PAD src0_sel:DWORD src1_sel:BYTE_3
	v_sub_u32_e32 v14, 29, v14
	v_and_b32_e32 v3, 7, v3
	v_cmp_eq_u16_e32 vcc, 0, v12
	v_cndmask_b32_e32 v3, v6, v3, vcc
	v_cndmask_b32_e32 v6, v13, v14, vcc
	v_mov_b32_e32 v12, 0x3b800000
	v_lshlrev_b32_e32 v3, 20, v3
	v_lshl_add_u32 v6, v6, 23, v12
	v_or3_b32 v6, v7, v6, v3
.LBB1_832:
	s_or_b64 exec, exec, s[6:7]
	s_nop 0
	v_mfma_f32_16x16x4f32 a[0:3], v2, v6, a[0:3]
	s_movk_i32 s4, 0x7f
	v_cmp_gt_i16_sdwa s[6:7], v8, s4 src0_sel:BYTE_0 src1_sel:DWORD
	s_mov_b64 s[4:5], 0
                                        ; implicit-def: $sgpr10
	s_and_saveexec_b64 s[8:9], s[6:7]
	s_xor_b64 s[6:7], exec, s[8:9]
	s_cbranch_execnz .LBB1_2881
; %bb.833:
	s_or_saveexec_b64 s[6:7], s[6:7]
	v_mov_b32_e32 v2, s10
	s_xor_b64 exec, exec, s[6:7]
	s_cbranch_execnz .LBB1_2884
.LBB1_834:
	s_or_b64 exec, exec, s[6:7]
	s_and_saveexec_b64 s[6:7], s[4:5]
	s_cbranch_execz .LBB1_836
.LBB1_835:
	v_and_b32_e32 v2, 7, v8
	v_ffbh_u32_e32 v6, v2
	v_min_u32_e32 v6, 32, v6
	v_lshrrev_b16_e32 v3, 3, v8
	v_subrev_u32_e32 v7, 28, v6
	v_and_b32_e32 v3, 15, v3
	v_lshlrev_b32_e32 v7, v7, v8
	v_sub_u32_e32 v6, 29, v6
	v_and_b32_e32 v7, 7, v7
	v_cmp_eq_u16_e32 vcc, 0, v3
	v_cndmask_b32_e32 v2, v2, v7, vcc
	v_cndmask_b32_e32 v3, v3, v6, vcc
	v_lshlrev_b32_e32 v6, 24, v8
	v_mov_b32_e32 v7, 0x3b800000
	v_lshlrev_b32_e32 v2, 20, v2
	v_and_b32_e32 v6, 0x80000000, v6
	v_lshl_add_u32 v3, v3, 23, v7
	v_or3_b32 v2, v6, v3, v2
.LBB1_836:
	s_or_b64 exec, exec, s[6:7]
	s_movk_i32 s4, 0x7f
	v_cmp_gt_i16_sdwa s[6:7], v4, s4 src0_sel:BYTE_0 src1_sel:DWORD
	s_mov_b64 s[4:5], 0
                                        ; implicit-def: $sgpr10
	s_and_saveexec_b64 s[8:9], s[6:7]
	s_xor_b64 s[6:7], exec, s[8:9]
	s_cbranch_execnz .LBB1_2885
; %bb.837:
	s_or_saveexec_b64 s[6:7], s[6:7]
	v_mov_b32_e32 v3, s10
	s_xor_b64 exec, exec, s[6:7]
	s_cbranch_execnz .LBB1_2888
.LBB1_838:
	s_or_b64 exec, exec, s[6:7]
	s_and_saveexec_b64 s[6:7], s[4:5]
	s_cbranch_execz .LBB1_840
.LBB1_839:
	v_and_b32_e32 v3, 7, v4
	v_ffbh_u32_e32 v7, v3
	v_min_u32_e32 v7, 32, v7
	v_lshrrev_b16_e32 v6, 3, v4
	v_subrev_u32_e32 v12, 28, v7
	v_and_b32_e32 v6, 15, v6
	v_lshlrev_b32_e32 v12, v12, v4
	v_sub_u32_e32 v7, 29, v7
	v_and_b32_e32 v12, 7, v12
	v_cmp_eq_u16_e32 vcc, 0, v6
	v_cndmask_b32_e32 v3, v3, v12, vcc
	v_cndmask_b32_e32 v6, v6, v7, vcc
	v_lshlrev_b32_e32 v7, 24, v4
	v_mov_b32_e32 v12, 0x3b800000
	v_lshlrev_b32_e32 v3, 20, v3
	v_and_b32_e32 v7, 0x80000000, v7
	v_lshl_add_u32 v6, v6, 23, v12
	v_or3_b32 v3, v7, v6, v3
.LBB1_840:
	s_or_b64 exec, exec, s[6:7]
	s_nop 0
	v_mfma_f32_16x16x4f32 a[0:3], v2, v3, a[0:3]
	v_lshrrev_b32_e32 v3, 8, v8
	s_movk_i32 s4, 0x7f
	v_cmp_gt_i16_sdwa s[6:7], v3, s4 src0_sel:BYTE_0 src1_sel:DWORD
	s_mov_b64 s[4:5], 0
                                        ; implicit-def: $sgpr10
	s_and_saveexec_b64 s[8:9], s[6:7]
	s_xor_b64 s[6:7], exec, s[8:9]
	s_cbranch_execnz .LBB1_2889
; %bb.841:
	s_or_saveexec_b64 s[6:7], s[6:7]
	v_mov_b32_e32 v2, s10
	s_xor_b64 exec, exec, s[6:7]
	s_cbranch_execnz .LBB1_2892
.LBB1_842:
	s_or_b64 exec, exec, s[6:7]
	s_and_saveexec_b64 s[6:7], s[4:5]
	s_cbranch_execz .LBB1_844
.LBB1_843:
	v_bfe_u32 v2, v8, 8, 3
	v_ffbh_u32_e32 v7, v2
	v_min_u32_e32 v7, 32, v7
	v_lshrrev_b16_e32 v6, 3, v3
	v_subrev_u32_e32 v12, 28, v7
	v_and_b32_e32 v6, 15, v6
	v_lshlrev_b32_e32 v3, v12, v3
	v_sub_u32_e32 v7, 29, v7
	v_and_b32_e32 v3, 7, v3
	v_cmp_eq_u16_e32 vcc, 0, v6
	v_cndmask_b32_e32 v2, v2, v3, vcc
	v_cndmask_b32_e32 v3, v6, v7, vcc
	v_lshlrev_b32_e32 v6, 16, v8
	v_mov_b32_e32 v7, 0x3b800000
	v_lshlrev_b32_e32 v2, 20, v2
	v_and_b32_e32 v6, 0x80000000, v6
	v_lshl_add_u32 v3, v3, 23, v7
	v_or3_b32 v2, v6, v3, v2
.LBB1_844:
	s_or_b64 exec, exec, s[6:7]
	v_lshrrev_b32_e32 v3, 8, v4
	s_movk_i32 s4, 0x7f
	v_cmp_gt_i16_sdwa s[6:7], v3, s4 src0_sel:BYTE_0 src1_sel:DWORD
	s_mov_b64 s[4:5], 0
                                        ; implicit-def: $sgpr10
	s_and_saveexec_b64 s[8:9], s[6:7]
	s_xor_b64 s[6:7], exec, s[8:9]
	s_cbranch_execnz .LBB1_2893
; %bb.845:
	s_or_saveexec_b64 s[6:7], s[6:7]
	v_mov_b32_e32 v6, s10
	s_xor_b64 exec, exec, s[6:7]
	s_cbranch_execnz .LBB1_2896
.LBB1_846:
	s_or_b64 exec, exec, s[6:7]
	s_and_saveexec_b64 s[6:7], s[4:5]
	s_cbranch_execz .LBB1_848
.LBB1_847:
	v_bfe_u32 v6, v4, 8, 3
	v_ffbh_u32_e32 v12, v6
	v_min_u32_e32 v12, 32, v12
	v_lshrrev_b16_e32 v7, 3, v3
	v_subrev_u32_e32 v13, 28, v12
	v_and_b32_e32 v7, 15, v7
	v_lshlrev_b32_e32 v3, v13, v3
	v_sub_u32_e32 v12, 29, v12
	v_and_b32_e32 v3, 7, v3
	v_cmp_eq_u16_e32 vcc, 0, v7
	v_cndmask_b32_e32 v3, v6, v3, vcc
	v_cndmask_b32_e32 v6, v7, v12, vcc
	v_lshlrev_b32_e32 v7, 16, v4
	v_mov_b32_e32 v12, 0x3b800000
	v_lshlrev_b32_e32 v3, 20, v3
	v_and_b32_e32 v7, 0x80000000, v7
	v_lshl_add_u32 v6, v6, 23, v12
	v_or3_b32 v6, v7, v6, v3
.LBB1_848:
	s_or_b64 exec, exec, s[6:7]
	s_nop 0
	v_mfma_f32_16x16x4f32 a[0:3], v2, v6, a[0:3]
	s_movk_i32 s4, 0xff
	v_and_b32_sdwa v3, v8, s4 dst_sel:DWORD dst_unused:UNUSED_PAD src0_sel:WORD_1 src1_sel:DWORD
	s_movk_i32 s4, 0x7f
	v_cmp_lt_i16_e32 vcc, s4, v3
	s_mov_b64 s[4:5], 0
                                        ; implicit-def: $sgpr10
	s_and_saveexec_b64 s[6:7], vcc
	s_xor_b64 s[6:7], exec, s[6:7]
	s_cbranch_execnz .LBB1_2897
; %bb.849:
	s_or_saveexec_b64 s[6:7], s[6:7]
	v_mov_b32_e32 v2, s10
	s_xor_b64 exec, exec, s[6:7]
	s_cbranch_execnz .LBB1_2900
.LBB1_850:
	s_or_b64 exec, exec, s[6:7]
	s_and_saveexec_b64 s[6:7], s[4:5]
	s_cbranch_execz .LBB1_852
.LBB1_851:
	v_bfe_u32 v2, v8, 16, 3
	v_ffbh_u32_e32 v7, v2
	v_min_u32_e32 v7, 32, v7
	v_lshrrev_b32_e32 v3, 19, v8
	v_subrev_u32_e32 v12, 28, v7
	v_and_b32_e32 v3, 15, v3
	v_lshlrev_b32_sdwa v12, v12, v8 dst_sel:DWORD dst_unused:UNUSED_PAD src0_sel:DWORD src1_sel:WORD_1
	v_bfe_u32 v6, v8, 19, 4
	v_sub_u32_e32 v7, 29, v7
	v_and_b32_e32 v12, 7, v12
	v_cmp_eq_u16_e32 vcc, 0, v3
	v_cndmask_b32_e32 v2, v2, v12, vcc
	v_cndmask_b32_e32 v3, v6, v7, vcc
	v_lshlrev_b32_e32 v6, 8, v8
	v_mov_b32_e32 v7, 0x3b800000
	v_lshlrev_b32_e32 v2, 20, v2
	v_and_b32_e32 v6, 0x80000000, v6
	v_lshl_add_u32 v3, v3, 23, v7
	v_or3_b32 v2, v6, v3, v2
.LBB1_852:
	s_or_b64 exec, exec, s[6:7]
	s_movk_i32 s4, 0xff
	v_and_b32_sdwa v3, v4, s4 dst_sel:DWORD dst_unused:UNUSED_PAD src0_sel:WORD_1 src1_sel:DWORD
	s_movk_i32 s4, 0x7f
	v_cmp_lt_i16_e32 vcc, s4, v3
	s_mov_b64 s[4:5], 0
                                        ; implicit-def: $sgpr10
	s_and_saveexec_b64 s[6:7], vcc
	s_xor_b64 s[6:7], exec, s[6:7]
	s_cbranch_execnz .LBB1_2901
; %bb.853:
	s_or_saveexec_b64 s[6:7], s[6:7]
	v_mov_b32_e32 v6, s10
	s_xor_b64 exec, exec, s[6:7]
	s_cbranch_execnz .LBB1_2904
.LBB1_854:
	s_or_b64 exec, exec, s[6:7]
	s_and_saveexec_b64 s[6:7], s[4:5]
	s_cbranch_execz .LBB1_856
.LBB1_855:
	v_bfe_u32 v3, v4, 16, 3
	v_ffbh_u32_e32 v12, v3
	v_min_u32_e32 v12, 32, v12
	v_lshrrev_b32_e32 v6, 19, v4
	v_subrev_u32_e32 v13, 28, v12
	v_and_b32_e32 v6, 15, v6
	v_lshlrev_b32_sdwa v13, v13, v4 dst_sel:DWORD dst_unused:UNUSED_PAD src0_sel:DWORD src1_sel:WORD_1
	v_bfe_u32 v7, v4, 19, 4
	v_sub_u32_e32 v12, 29, v12
	v_and_b32_e32 v13, 7, v13
	v_cmp_eq_u16_e32 vcc, 0, v6
	v_cndmask_b32_e32 v3, v3, v13, vcc
	v_cndmask_b32_e32 v6, v7, v12, vcc
	v_lshlrev_b32_e32 v7, 8, v4
	v_mov_b32_e32 v12, 0x3b800000
	v_lshlrev_b32_e32 v3, 20, v3
	v_and_b32_e32 v7, 0x80000000, v7
	v_lshl_add_u32 v6, v6, 23, v12
	v_or3_b32 v6, v7, v6, v3
.LBB1_856:
	s_or_b64 exec, exec, s[6:7]
	s_nop 0
	v_mfma_f32_16x16x4f32 a[0:3], v2, v6, a[0:3]
	s_movk_i32 s4, 0x7f
	v_cmp_gt_i16_sdwa s[6:7], v8, s4 src0_sel:BYTE_3 src1_sel:DWORD
	s_mov_b64 s[4:5], 0
                                        ; implicit-def: $sgpr10
	s_and_saveexec_b64 s[8:9], s[6:7]
	s_xor_b64 s[6:7], exec, s[8:9]
	s_cbranch_execnz .LBB1_2905
; %bb.857:
	s_or_saveexec_b64 s[6:7], s[6:7]
	v_mov_b32_e32 v2, s10
	s_xor_b64 exec, exec, s[6:7]
	s_cbranch_execnz .LBB1_2908
.LBB1_858:
	s_or_b64 exec, exec, s[6:7]
	s_and_saveexec_b64 s[6:7], s[4:5]
	s_cbranch_execz .LBB1_860
.LBB1_859:
	v_bfe_u32 v2, v8, 24, 3
	v_ffbh_u32_e32 v12, v2
	v_min_u32_e32 v12, 32, v12
	v_lshrrev_b32_e32 v6, 27, v8
	v_subrev_u32_e32 v13, 28, v12
	v_and_b32_e32 v3, 0x80000000, v8
	v_and_b32_e32 v6, 15, v6
	v_bfe_u32 v7, v8, 27, 4
	v_lshlrev_b32_sdwa v8, v13, v8 dst_sel:DWORD dst_unused:UNUSED_PAD src0_sel:DWORD src1_sel:BYTE_3
	v_sub_u32_e32 v12, 29, v12
	v_and_b32_e32 v8, 7, v8
	v_cmp_eq_u16_e32 vcc, 0, v6
	v_cndmask_b32_e32 v2, v2, v8, vcc
	v_cndmask_b32_e32 v6, v7, v12, vcc
	v_mov_b32_e32 v7, 0x3b800000
	v_lshlrev_b32_e32 v2, 20, v2
	v_lshl_add_u32 v6, v6, 23, v7
	v_or3_b32 v2, v3, v6, v2
.LBB1_860:
	s_or_b64 exec, exec, s[6:7]
	s_movk_i32 s4, 0x7f
	v_cmp_gt_i16_sdwa s[6:7], v4, s4 src0_sel:BYTE_3 src1_sel:DWORD
	s_mov_b64 s[4:5], 0
                                        ; implicit-def: $sgpr10
	s_and_saveexec_b64 s[8:9], s[6:7]
	s_xor_b64 s[6:7], exec, s[8:9]
	s_cbranch_execnz .LBB1_2909
; %bb.861:
	s_or_saveexec_b64 s[6:7], s[6:7]
	v_mov_b32_e32 v3, s10
	s_xor_b64 exec, exec, s[6:7]
	s_cbranch_execnz .LBB1_2912
.LBB1_862:
	s_or_b64 exec, exec, s[6:7]
	s_and_saveexec_b64 s[6:7], s[4:5]
	s_cbranch_execz .LBB1_864
.LBB1_863:
	v_bfe_u32 v3, v4, 24, 3
	v_ffbh_u32_e32 v12, v3
	v_min_u32_e32 v12, 32, v12
	v_lshrrev_b32_e32 v7, 27, v4
	v_subrev_u32_e32 v13, 28, v12
	v_and_b32_e32 v6, 0x80000000, v4
	v_and_b32_e32 v7, 15, v7
	v_bfe_u32 v8, v4, 27, 4
	v_lshlrev_b32_sdwa v4, v13, v4 dst_sel:DWORD dst_unused:UNUSED_PAD src0_sel:DWORD src1_sel:BYTE_3
	v_sub_u32_e32 v12, 29, v12
	v_and_b32_e32 v4, 7, v4
	v_cmp_eq_u16_e32 vcc, 0, v7
	v_cndmask_b32_e32 v3, v3, v4, vcc
	v_cndmask_b32_e32 v4, v8, v12, vcc
	v_mov_b32_e32 v7, 0x3b800000
	v_lshlrev_b32_e32 v3, 20, v3
	v_lshl_add_u32 v4, v4, 23, v7
	v_or3_b32 v3, v6, v4, v3
.LBB1_864:
	s_or_b64 exec, exec, s[6:7]
	s_nop 0
	v_mfma_f32_16x16x4f32 a[0:3], v2, v3, a[0:3]
	s_movk_i32 s4, 0x7f
	v_cmp_gt_i16_sdwa s[6:7], v9, s4 src0_sel:BYTE_0 src1_sel:DWORD
	s_mov_b64 s[4:5], 0
                                        ; implicit-def: $sgpr10
	s_and_saveexec_b64 s[8:9], s[6:7]
	s_xor_b64 s[6:7], exec, s[8:9]
	s_cbranch_execnz .LBB1_2913
; %bb.865:
	s_or_saveexec_b64 s[6:7], s[6:7]
	v_mov_b32_e32 v2, s10
	s_xor_b64 exec, exec, s[6:7]
	s_cbranch_execnz .LBB1_2916
.LBB1_866:
	s_or_b64 exec, exec, s[6:7]
	s_and_saveexec_b64 s[6:7], s[4:5]
	s_cbranch_execz .LBB1_868
.LBB1_867:
	v_mov_b32_e32 v2, 8
	v_and_b32_e32 v3, 7, v9
	v_lshrrev_b32_sdwa v2, v2, v9 dst_sel:BYTE_1 dst_unused:UNUSED_PAD src0_sel:DWORD src1_sel:DWORD
	v_ffbh_u32_e32 v4, v3
	v_or_b32_sdwa v2, v9, v2 dst_sel:DWORD dst_unused:UNUSED_PAD src0_sel:BYTE_0 src1_sel:DWORD
	v_min_u32_e32 v4, 32, v4
	v_lshrrev_b16_e32 v2, 3, v2
	v_subrev_u32_e32 v6, 28, v4
	v_and_b32_e32 v2, 15, v2
	v_lshlrev_b32_e32 v6, v6, v9
	v_sub_u32_e32 v4, 29, v4
	v_and_b32_e32 v6, 7, v6
	v_cmp_eq_u16_e32 vcc, 0, v2
	v_cndmask_b32_e32 v3, v3, v6, vcc
	v_cndmask_b32_e32 v2, v2, v4, vcc
	v_lshlrev_b32_e32 v4, 24, v9
	v_mov_b32_e32 v6, 0x3b800000
	v_lshlrev_b32_e32 v3, 20, v3
	v_and_b32_e32 v4, 0x80000000, v4
	v_lshl_add_u32 v2, v2, 23, v6
	v_or3_b32 v2, v4, v2, v3
.LBB1_868:
	s_or_b64 exec, exec, s[6:7]
	s_movk_i32 s4, 0x7f
	v_cmp_gt_i16_sdwa s[6:7], v5, s4 src0_sel:BYTE_0 src1_sel:DWORD
	s_mov_b64 s[4:5], 0
                                        ; implicit-def: $sgpr10
	s_and_saveexec_b64 s[8:9], s[6:7]
	s_xor_b64 s[6:7], exec, s[8:9]
	s_cbranch_execnz .LBB1_2917
; %bb.869:
	s_or_saveexec_b64 s[6:7], s[6:7]
	v_mov_b32_e32 v3, s10
	s_xor_b64 exec, exec, s[6:7]
	s_cbranch_execnz .LBB1_2920
.LBB1_870:
	s_or_b64 exec, exec, s[6:7]
	s_and_saveexec_b64 s[6:7], s[4:5]
	s_cbranch_execz .LBB1_872
.LBB1_871:
	v_mov_b32_e32 v3, 8
	v_and_b32_e32 v4, 7, v5
	v_lshrrev_b32_sdwa v3, v3, v5 dst_sel:BYTE_1 dst_unused:UNUSED_PAD src0_sel:DWORD src1_sel:DWORD
	v_ffbh_u32_e32 v6, v4
	v_or_b32_sdwa v3, v5, v3 dst_sel:DWORD dst_unused:UNUSED_PAD src0_sel:BYTE_0 src1_sel:DWORD
	v_min_u32_e32 v6, 32, v6
	v_lshrrev_b16_e32 v3, 3, v3
	v_subrev_u32_e32 v7, 28, v6
	v_and_b32_e32 v3, 15, v3
	v_lshlrev_b32_e32 v7, v7, v5
	v_sub_u32_e32 v6, 29, v6
	v_and_b32_e32 v7, 7, v7
	v_cmp_eq_u16_e32 vcc, 0, v3
	v_cndmask_b32_e32 v4, v4, v7, vcc
	v_cndmask_b32_e32 v3, v3, v6, vcc
	v_lshlrev_b32_e32 v6, 24, v5
	v_mov_b32_e32 v7, 0x3b800000
	v_lshlrev_b32_e32 v4, 20, v4
	v_and_b32_e32 v6, 0x80000000, v6
	v_lshl_add_u32 v3, v3, 23, v7
	v_or3_b32 v3, v6, v3, v4
.LBB1_872:
	s_or_b64 exec, exec, s[6:7]
	s_nop 0
	v_mfma_f32_16x16x4f32 a[0:3], v2, v3, a[0:3]
	v_lshrrev_b32_e32 v3, 8, v9
	s_movk_i32 s4, 0x7f
	v_cmp_gt_i16_sdwa s[6:7], v3, s4 src0_sel:BYTE_0 src1_sel:DWORD
	s_mov_b64 s[4:5], 0
                                        ; implicit-def: $sgpr10
	s_and_saveexec_b64 s[8:9], s[6:7]
	s_xor_b64 s[6:7], exec, s[8:9]
	s_cbranch_execnz .LBB1_2921
; %bb.873:
	s_or_saveexec_b64 s[6:7], s[6:7]
	v_mov_b32_e32 v2, s10
	s_xor_b64 exec, exec, s[6:7]
	s_cbranch_execnz .LBB1_2924
.LBB1_874:
	s_or_b64 exec, exec, s[6:7]
	s_and_saveexec_b64 s[6:7], s[4:5]
	s_cbranch_execz .LBB1_876
.LBB1_875:
	v_bfe_u32 v2, v9, 8, 3
	v_ffbh_u32_e32 v6, v2
	v_min_u32_e32 v6, 32, v6
	v_lshrrev_b16_e32 v4, 3, v3
	v_subrev_u32_e32 v7, 28, v6
	v_and_b32_e32 v4, 15, v4
	v_lshlrev_b32_e32 v3, v7, v3
	v_sub_u32_e32 v6, 29, v6
	v_and_b32_e32 v3, 7, v3
	v_cmp_eq_u16_e32 vcc, 0, v4
	v_cndmask_b32_e32 v2, v2, v3, vcc
	v_cndmask_b32_e32 v3, v4, v6, vcc
	v_lshlrev_b32_e32 v4, 16, v9
	v_mov_b32_e32 v6, 0x3b800000
	v_lshlrev_b32_e32 v2, 20, v2
	v_and_b32_e32 v4, 0x80000000, v4
	v_lshl_add_u32 v3, v3, 23, v6
	v_or3_b32 v2, v4, v3, v2
.LBB1_876:
	s_or_b64 exec, exec, s[6:7]
	v_lshrrev_b32_e32 v3, 8, v5
	s_movk_i32 s4, 0x7f
	v_cmp_gt_i16_sdwa s[6:7], v3, s4 src0_sel:BYTE_0 src1_sel:DWORD
	s_mov_b64 s[4:5], 0
                                        ; implicit-def: $sgpr10
	s_and_saveexec_b64 s[8:9], s[6:7]
	s_xor_b64 s[6:7], exec, s[8:9]
	s_cbranch_execnz .LBB1_2925
; %bb.877:
	s_or_saveexec_b64 s[6:7], s[6:7]
	v_mov_b32_e32 v4, s10
	s_xor_b64 exec, exec, s[6:7]
	s_cbranch_execnz .LBB1_2928
.LBB1_878:
	s_or_b64 exec, exec, s[6:7]
	s_and_saveexec_b64 s[6:7], s[4:5]
	s_cbranch_execz .LBB1_880
.LBB1_879:
	v_bfe_u32 v4, v5, 8, 3
	v_ffbh_u32_e32 v7, v4
	v_min_u32_e32 v7, 32, v7
	v_lshrrev_b16_e32 v6, 3, v3
	v_subrev_u32_e32 v8, 28, v7
	v_and_b32_e32 v6, 15, v6
	v_lshlrev_b32_e32 v3, v8, v3
	v_sub_u32_e32 v7, 29, v7
	v_and_b32_e32 v3, 7, v3
	v_cmp_eq_u16_e32 vcc, 0, v6
	v_cndmask_b32_e32 v3, v4, v3, vcc
	v_cndmask_b32_e32 v4, v6, v7, vcc
	v_lshlrev_b32_e32 v6, 16, v5
	v_mov_b32_e32 v7, 0x3b800000
	v_lshlrev_b32_e32 v3, 20, v3
	v_and_b32_e32 v6, 0x80000000, v6
	v_lshl_add_u32 v4, v4, 23, v7
	v_or3_b32 v4, v6, v4, v3
.LBB1_880:
	s_or_b64 exec, exec, s[6:7]
	s_nop 0
	v_mfma_f32_16x16x4f32 a[0:3], v2, v4, a[0:3]
	s_movk_i32 s4, 0xff
	v_and_b32_sdwa v3, v9, s4 dst_sel:DWORD dst_unused:UNUSED_PAD src0_sel:WORD_1 src1_sel:DWORD
	s_movk_i32 s4, 0x7f
	v_cmp_lt_i16_e32 vcc, s4, v3
	s_mov_b64 s[4:5], 0
                                        ; implicit-def: $sgpr10
	s_and_saveexec_b64 s[6:7], vcc
	s_xor_b64 s[6:7], exec, s[6:7]
	s_cbranch_execnz .LBB1_2929
; %bb.881:
	s_or_saveexec_b64 s[6:7], s[6:7]
	v_mov_b32_e32 v2, s10
	s_xor_b64 exec, exec, s[6:7]
	s_cbranch_execnz .LBB1_2932
.LBB1_882:
	s_or_b64 exec, exec, s[6:7]
	s_and_saveexec_b64 s[6:7], s[4:5]
	s_cbranch_execz .LBB1_884
.LBB1_883:
	v_bfe_u32 v2, v9, 16, 3
	v_ffbh_u32_e32 v6, v2
	v_min_u32_e32 v6, 32, v6
	v_lshrrev_b32_e32 v3, 19, v9
	v_subrev_u32_e32 v7, 28, v6
	v_and_b32_e32 v3, 15, v3
	v_lshlrev_b32_sdwa v7, v7, v9 dst_sel:DWORD dst_unused:UNUSED_PAD src0_sel:DWORD src1_sel:WORD_1
	v_bfe_u32 v4, v9, 19, 4
	v_sub_u32_e32 v6, 29, v6
	v_and_b32_e32 v7, 7, v7
	v_cmp_eq_u16_e32 vcc, 0, v3
	v_cndmask_b32_e32 v2, v2, v7, vcc
	v_cndmask_b32_e32 v3, v4, v6, vcc
	v_lshlrev_b32_e32 v4, 8, v9
	v_mov_b32_e32 v6, 0x3b800000
	v_lshlrev_b32_e32 v2, 20, v2
	v_and_b32_e32 v4, 0x80000000, v4
	v_lshl_add_u32 v3, v3, 23, v6
	v_or3_b32 v2, v4, v3, v2
.LBB1_884:
	s_or_b64 exec, exec, s[6:7]
	s_movk_i32 s4, 0xff
	v_and_b32_sdwa v3, v5, s4 dst_sel:DWORD dst_unused:UNUSED_PAD src0_sel:WORD_1 src1_sel:DWORD
	s_movk_i32 s4, 0x7f
	v_cmp_lt_i16_e32 vcc, s4, v3
	s_mov_b64 s[4:5], 0
                                        ; implicit-def: $sgpr10
	s_and_saveexec_b64 s[6:7], vcc
	s_xor_b64 s[6:7], exec, s[6:7]
	s_cbranch_execnz .LBB1_2933
; %bb.885:
	s_or_saveexec_b64 s[6:7], s[6:7]
	v_mov_b32_e32 v4, s10
	s_xor_b64 exec, exec, s[6:7]
	s_cbranch_execnz .LBB1_2936
.LBB1_886:
	s_or_b64 exec, exec, s[6:7]
	s_and_saveexec_b64 s[6:7], s[4:5]
	s_cbranch_execz .LBB1_888
.LBB1_887:
	v_bfe_u32 v3, v5, 16, 3
	v_ffbh_u32_e32 v7, v3
	v_min_u32_e32 v7, 32, v7
	v_lshrrev_b32_e32 v4, 19, v5
	v_subrev_u32_e32 v8, 28, v7
	v_and_b32_e32 v4, 15, v4
	v_lshlrev_b32_sdwa v8, v8, v5 dst_sel:DWORD dst_unused:UNUSED_PAD src0_sel:DWORD src1_sel:WORD_1
	v_bfe_u32 v6, v5, 19, 4
	v_sub_u32_e32 v7, 29, v7
	v_and_b32_e32 v8, 7, v8
	v_cmp_eq_u16_e32 vcc, 0, v4
	v_cndmask_b32_e32 v3, v3, v8, vcc
	v_cndmask_b32_e32 v4, v6, v7, vcc
	v_lshlrev_b32_e32 v6, 8, v5
	v_mov_b32_e32 v7, 0x3b800000
	v_lshlrev_b32_e32 v3, 20, v3
	v_and_b32_e32 v6, 0x80000000, v6
	v_lshl_add_u32 v4, v4, 23, v7
	v_or3_b32 v4, v6, v4, v3
.LBB1_888:
	s_or_b64 exec, exec, s[6:7]
	s_nop 0
	v_mfma_f32_16x16x4f32 a[0:3], v2, v4, a[0:3]
	s_movk_i32 s4, 0x7f
	v_cmp_gt_i16_sdwa s[6:7], v9, s4 src0_sel:BYTE_3 src1_sel:DWORD
	s_mov_b64 s[4:5], 0
                                        ; implicit-def: $sgpr10
	s_and_saveexec_b64 s[8:9], s[6:7]
	s_xor_b64 s[6:7], exec, s[8:9]
	s_cbranch_execnz .LBB1_2937
; %bb.889:
	s_or_saveexec_b64 s[6:7], s[6:7]
	v_mov_b32_e32 v2, s10
	s_xor_b64 exec, exec, s[6:7]
	s_cbranch_execnz .LBB1_2940
.LBB1_890:
	s_or_b64 exec, exec, s[6:7]
	s_and_saveexec_b64 s[6:7], s[4:5]
	s_cbranch_execz .LBB1_892
.LBB1_891:
	v_bfe_u32 v2, v9, 24, 3
	v_ffbh_u32_e32 v7, v2
	v_min_u32_e32 v7, 32, v7
	v_lshrrev_b32_e32 v4, 27, v9
	v_subrev_u32_e32 v8, 28, v7
	v_and_b32_e32 v4, 15, v4
	v_lshlrev_b32_sdwa v8, v8, v9 dst_sel:DWORD dst_unused:UNUSED_PAD src0_sel:DWORD src1_sel:BYTE_3
	v_bfe_u32 v6, v9, 27, 4
	v_sub_u32_e32 v7, 29, v7
	v_and_b32_e32 v8, 7, v8
	v_cmp_eq_u16_e32 vcc, 0, v4
	v_cndmask_b32_e32 v2, v2, v8, vcc
	v_cndmask_b32_e32 v4, v6, v7, vcc
	v_mov_b32_e32 v6, 0x3b800000
	v_and_b32_e32 v3, 0x80000000, v9
	v_lshlrev_b32_e32 v2, 20, v2
	v_lshl_add_u32 v4, v4, 23, v6
	v_or3_b32 v2, v3, v4, v2
.LBB1_892:
	s_or_b64 exec, exec, s[6:7]
	s_movk_i32 s4, 0x7f
	v_cmp_gt_i16_sdwa s[6:7], v5, s4 src0_sel:BYTE_3 src1_sel:DWORD
	s_mov_b64 s[4:5], 0
                                        ; implicit-def: $sgpr10
	s_and_saveexec_b64 s[8:9], s[6:7]
	s_xor_b64 s[6:7], exec, s[8:9]
	s_cbranch_execnz .LBB1_2941
; %bb.893:
	s_or_saveexec_b64 s[6:7], s[6:7]
	v_mov_b32_e32 v3, s10
	s_xor_b64 exec, exec, s[6:7]
	s_cbranch_execnz .LBB1_2944
.LBB1_894:
	s_or_b64 exec, exec, s[6:7]
	s_and_saveexec_b64 s[6:7], s[4:5]
	s_cbranch_execz .LBB1_896
.LBB1_895:
	v_bfe_u32 v3, v5, 24, 3
	v_ffbh_u32_e32 v8, v3
	v_min_u32_e32 v8, 32, v8
	v_lshrrev_b32_e32 v6, 27, v5
	v_subrev_u32_e32 v9, 28, v8
	v_and_b32_e32 v4, 0x80000000, v5
	v_and_b32_e32 v6, 15, v6
	v_bfe_u32 v7, v5, 27, 4
	v_lshlrev_b32_sdwa v5, v9, v5 dst_sel:DWORD dst_unused:UNUSED_PAD src0_sel:DWORD src1_sel:BYTE_3
	v_sub_u32_e32 v8, 29, v8
	v_and_b32_e32 v5, 7, v5
	v_cmp_eq_u16_e32 vcc, 0, v6
	v_cndmask_b32_e32 v3, v3, v5, vcc
	v_cndmask_b32_e32 v5, v7, v8, vcc
	v_mov_b32_e32 v6, 0x3b800000
	v_lshlrev_b32_e32 v3, 20, v3
	v_lshl_add_u32 v5, v5, 23, v6
	v_or3_b32 v3, v4, v5, v3
.LBB1_896:
	s_or_b64 exec, exec, s[6:7]
	s_nop 0
	v_mfma_f32_16x16x4f32 a[0:3], v2, v3, a[0:3]
	s_movk_i32 s4, 0x7f
                                        ; implicit-def: $sgpr10
	s_nop 7
	s_nop 1
	flat_store_dwordx4 v[10:11], a[0:3] offset:96
	flat_load_dwordx4 v[12:15], v[0:1] offset:8
	s_nop 0
	flat_load_dwordx2 v[10:11], v[0:1] offset:32
	s_waitcnt vmcnt(0) lgkmcnt(0)
	flat_load_dwordx4 v[6:9], v[12:13] offset:32
	flat_load_dwordx4 v[2:5], v[14:15] offset:96
	s_waitcnt vmcnt(0) lgkmcnt(0)
	v_cmp_gt_i16_sdwa s[6:7], v6, s4 src0_sel:BYTE_0 src1_sel:DWORD
	s_mov_b64 s[4:5], 0
	s_and_saveexec_b64 s[8:9], s[6:7]
	s_xor_b64 s[6:7], exec, s[8:9]
	s_cbranch_execnz .LBB1_2945
; %bb.897:
	s_or_saveexec_b64 s[6:7], s[6:7]
	v_mov_b32_e32 v12, s10
	s_xor_b64 exec, exec, s[6:7]
	s_cbranch_execnz .LBB1_2948
.LBB1_898:
	s_or_b64 exec, exec, s[6:7]
	s_and_saveexec_b64 s[6:7], s[4:5]
	s_cbranch_execz .LBB1_900
.LBB1_899:
	v_and_b32_e32 v12, 7, v6
	v_ffbh_u32_e32 v14, v12
	v_min_u32_e32 v14, 32, v14
	v_lshrrev_b16_e32 v13, 3, v6
	v_subrev_u32_e32 v15, 28, v14
	v_and_b32_e32 v13, 15, v13
	v_lshlrev_b32_e32 v15, v15, v6
	v_sub_u32_e32 v14, 29, v14
	v_and_b32_e32 v15, 7, v15
	v_cmp_eq_u16_e32 vcc, 0, v13
	v_cndmask_b32_e32 v12, v12, v15, vcc
	v_cndmask_b32_e32 v13, v13, v14, vcc
	v_lshlrev_b32_e32 v14, 24, v6
	v_mov_b32_e32 v15, 0x3b800000
	v_lshlrev_b32_e32 v12, 20, v12
	v_and_b32_e32 v14, 0x80000000, v14
	v_lshl_add_u32 v13, v13, 23, v15
	v_or3_b32 v12, v14, v13, v12
.LBB1_900:
	s_or_b64 exec, exec, s[6:7]
	s_movk_i32 s4, 0x7f
	v_cmp_gt_i16_sdwa s[6:7], v2, s4 src0_sel:BYTE_0 src1_sel:DWORD
	s_mov_b64 s[4:5], 0
                                        ; implicit-def: $sgpr10
	s_and_saveexec_b64 s[8:9], s[6:7]
	s_xor_b64 s[6:7], exec, s[8:9]
	s_cbranch_execnz .LBB1_2949
; %bb.901:
	s_or_saveexec_b64 s[6:7], s[6:7]
	v_mov_b32_e32 v13, s10
	s_xor_b64 exec, exec, s[6:7]
	s_cbranch_execnz .LBB1_2952
.LBB1_902:
	s_or_b64 exec, exec, s[6:7]
	s_and_saveexec_b64 s[6:7], s[4:5]
	s_cbranch_execz .LBB1_904
.LBB1_903:
	v_and_b32_e32 v13, 7, v2
	v_ffbh_u32_e32 v15, v13
	v_min_u32_e32 v15, 32, v15
	v_lshrrev_b16_e32 v14, 3, v2
	v_subrev_u32_e32 v16, 28, v15
	v_and_b32_e32 v14, 15, v14
	v_lshlrev_b32_e32 v16, v16, v2
	v_sub_u32_e32 v15, 29, v15
	v_and_b32_e32 v16, 7, v16
	v_cmp_eq_u16_e32 vcc, 0, v14
	v_cndmask_b32_e32 v13, v13, v16, vcc
	v_cndmask_b32_e32 v14, v14, v15, vcc
	v_lshlrev_b32_e32 v15, 24, v2
	v_mov_b32_e32 v16, 0x3b800000
	v_lshlrev_b32_e32 v13, 20, v13
	v_and_b32_e32 v15, 0x80000000, v15
	v_lshl_add_u32 v14, v14, 23, v16
	v_or3_b32 v13, v15, v14, v13
.LBB1_904:
	s_or_b64 exec, exec, s[6:7]
	flat_load_dwordx4 a[0:3], v[10:11] offset:112
	s_movk_i32 s4, 0x7f
                                        ; implicit-def: $sgpr10
	s_waitcnt vmcnt(0) lgkmcnt(0)
	v_mfma_f32_16x16x4f32 a[0:3], v12, v13, a[0:3]
	v_lshrrev_b32_e32 v13, 8, v6
	v_cmp_gt_i16_sdwa s[6:7], v13, s4 src0_sel:BYTE_0 src1_sel:DWORD
	s_mov_b64 s[4:5], 0
	s_and_saveexec_b64 s[8:9], s[6:7]
	s_xor_b64 s[6:7], exec, s[8:9]
	s_cbranch_execnz .LBB1_2953
; %bb.905:
	s_or_saveexec_b64 s[6:7], s[6:7]
	v_mov_b32_e32 v12, s10
	s_xor_b64 exec, exec, s[6:7]
	s_cbranch_execnz .LBB1_2956
.LBB1_906:
	s_or_b64 exec, exec, s[6:7]
	s_and_saveexec_b64 s[6:7], s[4:5]
	s_cbranch_execz .LBB1_908
.LBB1_907:
	v_bfe_u32 v12, v6, 8, 3
	v_ffbh_u32_e32 v15, v12
	v_min_u32_e32 v15, 32, v15
	v_lshrrev_b16_e32 v14, 3, v13
	v_subrev_u32_e32 v16, 28, v15
	v_and_b32_e32 v14, 15, v14
	v_lshlrev_b32_e32 v13, v16, v13
	v_sub_u32_e32 v15, 29, v15
	v_and_b32_e32 v13, 7, v13
	v_cmp_eq_u16_e32 vcc, 0, v14
	v_cndmask_b32_e32 v12, v12, v13, vcc
	v_cndmask_b32_e32 v13, v14, v15, vcc
	v_lshlrev_b32_e32 v14, 16, v6
	v_mov_b32_e32 v15, 0x3b800000
	v_lshlrev_b32_e32 v12, 20, v12
	v_and_b32_e32 v14, 0x80000000, v14
	v_lshl_add_u32 v13, v13, 23, v15
	v_or3_b32 v12, v14, v13, v12
.LBB1_908:
	s_or_b64 exec, exec, s[6:7]
	v_lshrrev_b32_e32 v13, 8, v2
	s_movk_i32 s4, 0x7f
	v_cmp_gt_i16_sdwa s[6:7], v13, s4 src0_sel:BYTE_0 src1_sel:DWORD
	s_mov_b64 s[4:5], 0
                                        ; implicit-def: $sgpr10
	s_and_saveexec_b64 s[8:9], s[6:7]
	s_xor_b64 s[6:7], exec, s[8:9]
	s_cbranch_execnz .LBB1_2957
; %bb.909:
	s_or_saveexec_b64 s[6:7], s[6:7]
	v_mov_b32_e32 v14, s10
	s_xor_b64 exec, exec, s[6:7]
	s_cbranch_execnz .LBB1_2960
.LBB1_910:
	s_or_b64 exec, exec, s[6:7]
	s_and_saveexec_b64 s[6:7], s[4:5]
	s_cbranch_execz .LBB1_912
.LBB1_911:
	v_bfe_u32 v14, v2, 8, 3
	v_ffbh_u32_e32 v16, v14
	v_min_u32_e32 v16, 32, v16
	v_lshrrev_b16_e32 v15, 3, v13
	v_subrev_u32_e32 v17, 28, v16
	v_and_b32_e32 v15, 15, v15
	v_lshlrev_b32_e32 v13, v17, v13
	v_sub_u32_e32 v16, 29, v16
	v_and_b32_e32 v13, 7, v13
	v_cmp_eq_u16_e32 vcc, 0, v15
	v_cndmask_b32_e32 v13, v14, v13, vcc
	v_cndmask_b32_e32 v14, v15, v16, vcc
	v_lshlrev_b32_e32 v15, 16, v2
	v_mov_b32_e32 v16, 0x3b800000
	v_lshlrev_b32_e32 v13, 20, v13
	v_and_b32_e32 v15, 0x80000000, v15
	v_lshl_add_u32 v14, v14, 23, v16
	v_or3_b32 v14, v15, v14, v13
.LBB1_912:
	s_or_b64 exec, exec, s[6:7]
	s_nop 0
	v_mfma_f32_16x16x4f32 a[0:3], v12, v14, a[0:3]
	s_movk_i32 s4, 0xff
	v_and_b32_sdwa v13, v6, s4 dst_sel:DWORD dst_unused:UNUSED_PAD src0_sel:WORD_1 src1_sel:DWORD
	s_movk_i32 s4, 0x7f
	v_cmp_lt_i16_e32 vcc, s4, v13
	s_mov_b64 s[4:5], 0
                                        ; implicit-def: $sgpr10
	s_and_saveexec_b64 s[6:7], vcc
	s_xor_b64 s[6:7], exec, s[6:7]
	s_cbranch_execnz .LBB1_2961
; %bb.913:
	s_or_saveexec_b64 s[6:7], s[6:7]
	v_mov_b32_e32 v12, s10
	s_xor_b64 exec, exec, s[6:7]
	s_cbranch_execnz .LBB1_2964
.LBB1_914:
	s_or_b64 exec, exec, s[6:7]
	s_and_saveexec_b64 s[6:7], s[4:5]
	s_cbranch_execz .LBB1_916
.LBB1_915:
	v_bfe_u32 v12, v6, 16, 3
	v_ffbh_u32_e32 v15, v12
	v_min_u32_e32 v15, 32, v15
	v_lshrrev_b32_e32 v13, 19, v6
	v_subrev_u32_e32 v16, 28, v15
	v_and_b32_e32 v13, 15, v13
	v_lshlrev_b32_sdwa v16, v16, v6 dst_sel:DWORD dst_unused:UNUSED_PAD src0_sel:DWORD src1_sel:WORD_1
	v_bfe_u32 v14, v6, 19, 4
	v_sub_u32_e32 v15, 29, v15
	v_and_b32_e32 v16, 7, v16
	v_cmp_eq_u16_e32 vcc, 0, v13
	v_cndmask_b32_e32 v12, v12, v16, vcc
	v_cndmask_b32_e32 v13, v14, v15, vcc
	v_lshlrev_b32_e32 v14, 8, v6
	v_mov_b32_e32 v15, 0x3b800000
	v_lshlrev_b32_e32 v12, 20, v12
	v_and_b32_e32 v14, 0x80000000, v14
	v_lshl_add_u32 v13, v13, 23, v15
	v_or3_b32 v12, v14, v13, v12
.LBB1_916:
	s_or_b64 exec, exec, s[6:7]
	s_movk_i32 s4, 0xff
	v_and_b32_sdwa v13, v2, s4 dst_sel:DWORD dst_unused:UNUSED_PAD src0_sel:WORD_1 src1_sel:DWORD
	s_movk_i32 s4, 0x7f
	v_cmp_lt_i16_e32 vcc, s4, v13
	s_mov_b64 s[4:5], 0
                                        ; implicit-def: $sgpr10
	s_and_saveexec_b64 s[6:7], vcc
	s_xor_b64 s[6:7], exec, s[6:7]
	s_cbranch_execnz .LBB1_2965
; %bb.917:
	s_or_saveexec_b64 s[6:7], s[6:7]
	v_mov_b32_e32 v14, s10
	s_xor_b64 exec, exec, s[6:7]
	s_cbranch_execnz .LBB1_2968
.LBB1_918:
	s_or_b64 exec, exec, s[6:7]
	s_and_saveexec_b64 s[6:7], s[4:5]
	s_cbranch_execz .LBB1_920
.LBB1_919:
	v_bfe_u32 v13, v2, 16, 3
	v_ffbh_u32_e32 v16, v13
	v_min_u32_e32 v16, 32, v16
	v_lshrrev_b32_e32 v14, 19, v2
	v_subrev_u32_e32 v17, 28, v16
	v_and_b32_e32 v14, 15, v14
	v_lshlrev_b32_sdwa v17, v17, v2 dst_sel:DWORD dst_unused:UNUSED_PAD src0_sel:DWORD src1_sel:WORD_1
	v_bfe_u32 v15, v2, 19, 4
	v_sub_u32_e32 v16, 29, v16
	v_and_b32_e32 v17, 7, v17
	v_cmp_eq_u16_e32 vcc, 0, v14
	v_cndmask_b32_e32 v13, v13, v17, vcc
	v_cndmask_b32_e32 v14, v15, v16, vcc
	v_lshlrev_b32_e32 v15, 8, v2
	v_mov_b32_e32 v16, 0x3b800000
	v_lshlrev_b32_e32 v13, 20, v13
	v_and_b32_e32 v15, 0x80000000, v15
	v_lshl_add_u32 v14, v14, 23, v16
	v_or3_b32 v14, v15, v14, v13
.LBB1_920:
	s_or_b64 exec, exec, s[6:7]
	s_nop 0
	v_mfma_f32_16x16x4f32 a[0:3], v12, v14, a[0:3]
	s_movk_i32 s4, 0x7f
	v_cmp_gt_i16_sdwa s[6:7], v6, s4 src0_sel:BYTE_3 src1_sel:DWORD
	s_mov_b64 s[4:5], 0
                                        ; implicit-def: $sgpr10
	s_and_saveexec_b64 s[8:9], s[6:7]
	s_xor_b64 s[6:7], exec, s[8:9]
	s_cbranch_execnz .LBB1_2969
; %bb.921:
	s_or_saveexec_b64 s[6:7], s[6:7]
	v_mov_b32_e32 v12, s10
	s_xor_b64 exec, exec, s[6:7]
	s_cbranch_execnz .LBB1_2972
.LBB1_922:
	s_or_b64 exec, exec, s[6:7]
	s_and_saveexec_b64 s[6:7], s[4:5]
	s_cbranch_execz .LBB1_924
.LBB1_923:
	v_bfe_u32 v12, v6, 24, 3
	v_ffbh_u32_e32 v16, v12
	v_min_u32_e32 v16, 32, v16
	v_lshrrev_b32_e32 v14, 27, v6
	v_subrev_u32_e32 v17, 28, v16
	v_and_b32_e32 v13, 0x80000000, v6
	v_and_b32_e32 v14, 15, v14
	v_bfe_u32 v15, v6, 27, 4
	v_lshlrev_b32_sdwa v6, v17, v6 dst_sel:DWORD dst_unused:UNUSED_PAD src0_sel:DWORD src1_sel:BYTE_3
	v_sub_u32_e32 v16, 29, v16
	v_and_b32_e32 v6, 7, v6
	v_cmp_eq_u16_e32 vcc, 0, v14
	v_cndmask_b32_e32 v6, v12, v6, vcc
	v_cndmask_b32_e32 v12, v15, v16, vcc
	v_mov_b32_e32 v14, 0x3b800000
	v_lshlrev_b32_e32 v6, 20, v6
	v_lshl_add_u32 v12, v12, 23, v14
	v_or3_b32 v12, v13, v12, v6
.LBB1_924:
	s_or_b64 exec, exec, s[6:7]
	s_movk_i32 s4, 0x7f
	v_cmp_gt_i16_sdwa s[6:7], v2, s4 src0_sel:BYTE_3 src1_sel:DWORD
	s_mov_b64 s[4:5], 0
                                        ; implicit-def: $sgpr10
	s_and_saveexec_b64 s[8:9], s[6:7]
	s_xor_b64 s[6:7], exec, s[8:9]
	s_cbranch_execnz .LBB1_2973
; %bb.925:
	s_or_saveexec_b64 s[6:7], s[6:7]
	v_mov_b32_e32 v6, s10
	s_xor_b64 exec, exec, s[6:7]
	s_cbranch_execnz .LBB1_2976
.LBB1_926:
	s_or_b64 exec, exec, s[6:7]
	s_and_saveexec_b64 s[6:7], s[4:5]
	s_cbranch_execz .LBB1_928
.LBB1_927:
	v_bfe_u32 v6, v2, 24, 3
	v_ffbh_u32_e32 v16, v6
	v_min_u32_e32 v16, 32, v16
	v_lshrrev_b32_e32 v14, 27, v2
	v_subrev_u32_e32 v17, 28, v16
	v_and_b32_e32 v13, 0x80000000, v2
	v_and_b32_e32 v14, 15, v14
	v_bfe_u32 v15, v2, 27, 4
	v_lshlrev_b32_sdwa v2, v17, v2 dst_sel:DWORD dst_unused:UNUSED_PAD src0_sel:DWORD src1_sel:BYTE_3
	v_sub_u32_e32 v16, 29, v16
	v_and_b32_e32 v2, 7, v2
	v_cmp_eq_u16_e32 vcc, 0, v14
	v_cndmask_b32_e32 v2, v6, v2, vcc
	v_cndmask_b32_e32 v6, v15, v16, vcc
	v_mov_b32_e32 v14, 0x3b800000
	v_lshlrev_b32_e32 v2, 20, v2
	v_lshl_add_u32 v6, v6, 23, v14
	v_or3_b32 v6, v13, v6, v2
.LBB1_928:
	s_or_b64 exec, exec, s[6:7]
	s_nop 0
	v_mfma_f32_16x16x4f32 a[0:3], v12, v6, a[0:3]
	s_movk_i32 s4, 0x7f
	v_cmp_gt_i16_sdwa s[6:7], v7, s4 src0_sel:BYTE_0 src1_sel:DWORD
	s_mov_b64 s[4:5], 0
                                        ; implicit-def: $sgpr10
	s_and_saveexec_b64 s[8:9], s[6:7]
	s_xor_b64 s[6:7], exec, s[8:9]
	s_cbranch_execnz .LBB1_2977
; %bb.929:
	s_or_saveexec_b64 s[6:7], s[6:7]
	v_mov_b32_e32 v2, s10
	s_xor_b64 exec, exec, s[6:7]
	s_cbranch_execnz .LBB1_2980
.LBB1_930:
	s_or_b64 exec, exec, s[6:7]
	s_and_saveexec_b64 s[6:7], s[4:5]
	s_cbranch_execz .LBB1_932
.LBB1_931:
	v_and_b32_e32 v2, 7, v7
	v_ffbh_u32_e32 v12, v2
	v_min_u32_e32 v12, 32, v12
	v_lshrrev_b16_e32 v6, 3, v7
	v_subrev_u32_e32 v13, 28, v12
	v_and_b32_e32 v6, 15, v6
	v_lshlrev_b32_e32 v13, v13, v7
	v_sub_u32_e32 v12, 29, v12
	v_and_b32_e32 v13, 7, v13
	v_cmp_eq_u16_e32 vcc, 0, v6
	v_cndmask_b32_e32 v2, v2, v13, vcc
	v_cndmask_b32_e32 v6, v6, v12, vcc
	v_lshlrev_b32_e32 v12, 24, v7
	v_mov_b32_e32 v13, 0x3b800000
	v_lshlrev_b32_e32 v2, 20, v2
	v_and_b32_e32 v12, 0x80000000, v12
	v_lshl_add_u32 v6, v6, 23, v13
	v_or3_b32 v2, v12, v6, v2
.LBB1_932:
	s_or_b64 exec, exec, s[6:7]
	s_movk_i32 s4, 0x7f
	v_cmp_gt_i16_sdwa s[6:7], v3, s4 src0_sel:BYTE_0 src1_sel:DWORD
	s_mov_b64 s[4:5], 0
                                        ; implicit-def: $sgpr10
	s_and_saveexec_b64 s[8:9], s[6:7]
	s_xor_b64 s[6:7], exec, s[8:9]
	s_cbranch_execnz .LBB1_2981
; %bb.933:
	s_or_saveexec_b64 s[6:7], s[6:7]
	v_mov_b32_e32 v6, s10
	s_xor_b64 exec, exec, s[6:7]
	s_cbranch_execnz .LBB1_2984
.LBB1_934:
	s_or_b64 exec, exec, s[6:7]
	s_and_saveexec_b64 s[6:7], s[4:5]
	s_cbranch_execz .LBB1_936
.LBB1_935:
	v_and_b32_e32 v6, 7, v3
	v_ffbh_u32_e32 v13, v6
	v_min_u32_e32 v13, 32, v13
	v_lshrrev_b16_e32 v12, 3, v3
	v_subrev_u32_e32 v14, 28, v13
	v_and_b32_e32 v12, 15, v12
	v_lshlrev_b32_e32 v14, v14, v3
	v_sub_u32_e32 v13, 29, v13
	v_and_b32_e32 v14, 7, v14
	v_cmp_eq_u16_e32 vcc, 0, v12
	v_cndmask_b32_e32 v6, v6, v14, vcc
	v_cndmask_b32_e32 v12, v12, v13, vcc
	v_lshlrev_b32_e32 v13, 24, v3
	v_mov_b32_e32 v14, 0x3b800000
	v_lshlrev_b32_e32 v6, 20, v6
	v_and_b32_e32 v13, 0x80000000, v13
	v_lshl_add_u32 v12, v12, 23, v14
	v_or3_b32 v6, v13, v12, v6
.LBB1_936:
	s_or_b64 exec, exec, s[6:7]
	s_nop 0
	v_mfma_f32_16x16x4f32 a[0:3], v2, v6, a[0:3]
	v_lshrrev_b32_e32 v6, 8, v7
	s_movk_i32 s4, 0x7f
	v_cmp_gt_i16_sdwa s[6:7], v6, s4 src0_sel:BYTE_0 src1_sel:DWORD
	s_mov_b64 s[4:5], 0
                                        ; implicit-def: $sgpr10
	s_and_saveexec_b64 s[8:9], s[6:7]
	s_xor_b64 s[6:7], exec, s[8:9]
	s_cbranch_execnz .LBB1_2985
; %bb.937:
	s_or_saveexec_b64 s[6:7], s[6:7]
	v_mov_b32_e32 v2, s10
	s_xor_b64 exec, exec, s[6:7]
	s_cbranch_execnz .LBB1_2988
.LBB1_938:
	s_or_b64 exec, exec, s[6:7]
	s_and_saveexec_b64 s[6:7], s[4:5]
	s_cbranch_execz .LBB1_940
.LBB1_939:
	v_bfe_u32 v2, v7, 8, 3
	v_ffbh_u32_e32 v13, v2
	v_min_u32_e32 v13, 32, v13
	v_lshrrev_b16_e32 v12, 3, v6
	v_subrev_u32_e32 v14, 28, v13
	v_and_b32_e32 v12, 15, v12
	v_lshlrev_b32_e32 v6, v14, v6
	v_sub_u32_e32 v13, 29, v13
	v_and_b32_e32 v6, 7, v6
	v_cmp_eq_u16_e32 vcc, 0, v12
	v_cndmask_b32_e32 v2, v2, v6, vcc
	v_cndmask_b32_e32 v6, v12, v13, vcc
	v_lshlrev_b32_e32 v12, 16, v7
	v_mov_b32_e32 v13, 0x3b800000
	v_lshlrev_b32_e32 v2, 20, v2
	v_and_b32_e32 v12, 0x80000000, v12
	v_lshl_add_u32 v6, v6, 23, v13
	v_or3_b32 v2, v12, v6, v2
.LBB1_940:
	s_or_b64 exec, exec, s[6:7]
	v_lshrrev_b32_e32 v6, 8, v3
	s_movk_i32 s4, 0x7f
	v_cmp_gt_i16_sdwa s[6:7], v6, s4 src0_sel:BYTE_0 src1_sel:DWORD
	s_mov_b64 s[4:5], 0
                                        ; implicit-def: $sgpr10
	s_and_saveexec_b64 s[8:9], s[6:7]
	s_xor_b64 s[6:7], exec, s[8:9]
	s_cbranch_execnz .LBB1_2989
; %bb.941:
	s_or_saveexec_b64 s[6:7], s[6:7]
	v_mov_b32_e32 v12, s10
	s_xor_b64 exec, exec, s[6:7]
	s_cbranch_execnz .LBB1_2992
.LBB1_942:
	s_or_b64 exec, exec, s[6:7]
	s_and_saveexec_b64 s[6:7], s[4:5]
	s_cbranch_execz .LBB1_944
.LBB1_943:
	v_bfe_u32 v12, v3, 8, 3
	v_ffbh_u32_e32 v14, v12
	v_min_u32_e32 v14, 32, v14
	v_lshrrev_b16_e32 v13, 3, v6
	v_subrev_u32_e32 v15, 28, v14
	v_and_b32_e32 v13, 15, v13
	v_lshlrev_b32_e32 v6, v15, v6
	v_sub_u32_e32 v14, 29, v14
	v_and_b32_e32 v6, 7, v6
	v_cmp_eq_u16_e32 vcc, 0, v13
	v_cndmask_b32_e32 v6, v12, v6, vcc
	v_cndmask_b32_e32 v12, v13, v14, vcc
	v_lshlrev_b32_e32 v13, 16, v3
	v_mov_b32_e32 v14, 0x3b800000
	v_lshlrev_b32_e32 v6, 20, v6
	v_and_b32_e32 v13, 0x80000000, v13
	v_lshl_add_u32 v12, v12, 23, v14
	v_or3_b32 v12, v13, v12, v6
.LBB1_944:
	s_or_b64 exec, exec, s[6:7]
	s_nop 0
	v_mfma_f32_16x16x4f32 a[0:3], v2, v12, a[0:3]
	s_movk_i32 s4, 0xff
	v_and_b32_sdwa v6, v7, s4 dst_sel:DWORD dst_unused:UNUSED_PAD src0_sel:WORD_1 src1_sel:DWORD
	s_movk_i32 s4, 0x7f
	v_cmp_lt_i16_e32 vcc, s4, v6
	s_mov_b64 s[4:5], 0
                                        ; implicit-def: $sgpr10
	s_and_saveexec_b64 s[6:7], vcc
	s_xor_b64 s[6:7], exec, s[6:7]
	s_cbranch_execnz .LBB1_2993
; %bb.945:
	s_or_saveexec_b64 s[6:7], s[6:7]
	v_mov_b32_e32 v2, s10
	s_xor_b64 exec, exec, s[6:7]
	s_cbranch_execnz .LBB1_2996
.LBB1_946:
	s_or_b64 exec, exec, s[6:7]
	s_and_saveexec_b64 s[6:7], s[4:5]
	s_cbranch_execz .LBB1_948
.LBB1_947:
	v_bfe_u32 v2, v7, 16, 3
	v_ffbh_u32_e32 v13, v2
	v_min_u32_e32 v13, 32, v13
	v_lshrrev_b32_e32 v6, 19, v7
	v_subrev_u32_e32 v14, 28, v13
	v_and_b32_e32 v6, 15, v6
	v_lshlrev_b32_sdwa v14, v14, v7 dst_sel:DWORD dst_unused:UNUSED_PAD src0_sel:DWORD src1_sel:WORD_1
	v_bfe_u32 v12, v7, 19, 4
	v_sub_u32_e32 v13, 29, v13
	v_and_b32_e32 v14, 7, v14
	v_cmp_eq_u16_e32 vcc, 0, v6
	v_cndmask_b32_e32 v2, v2, v14, vcc
	v_cndmask_b32_e32 v6, v12, v13, vcc
	v_lshlrev_b32_e32 v12, 8, v7
	v_mov_b32_e32 v13, 0x3b800000
	v_lshlrev_b32_e32 v2, 20, v2
	v_and_b32_e32 v12, 0x80000000, v12
	v_lshl_add_u32 v6, v6, 23, v13
	v_or3_b32 v2, v12, v6, v2
.LBB1_948:
	s_or_b64 exec, exec, s[6:7]
	s_movk_i32 s4, 0xff
	v_and_b32_sdwa v6, v3, s4 dst_sel:DWORD dst_unused:UNUSED_PAD src0_sel:WORD_1 src1_sel:DWORD
	s_movk_i32 s4, 0x7f
	v_cmp_lt_i16_e32 vcc, s4, v6
	s_mov_b64 s[4:5], 0
                                        ; implicit-def: $sgpr10
	s_and_saveexec_b64 s[6:7], vcc
	s_xor_b64 s[6:7], exec, s[6:7]
	s_cbranch_execnz .LBB1_2997
; %bb.949:
	s_or_saveexec_b64 s[6:7], s[6:7]
	v_mov_b32_e32 v12, s10
	s_xor_b64 exec, exec, s[6:7]
	s_cbranch_execnz .LBB1_3000
.LBB1_950:
	s_or_b64 exec, exec, s[6:7]
	s_and_saveexec_b64 s[6:7], s[4:5]
	s_cbranch_execz .LBB1_952
.LBB1_951:
	v_bfe_u32 v6, v3, 16, 3
	v_ffbh_u32_e32 v14, v6
	v_min_u32_e32 v14, 32, v14
	v_lshrrev_b32_e32 v12, 19, v3
	v_subrev_u32_e32 v15, 28, v14
	v_and_b32_e32 v12, 15, v12
	v_lshlrev_b32_sdwa v15, v15, v3 dst_sel:DWORD dst_unused:UNUSED_PAD src0_sel:DWORD src1_sel:WORD_1
	v_bfe_u32 v13, v3, 19, 4
	v_sub_u32_e32 v14, 29, v14
	v_and_b32_e32 v15, 7, v15
	v_cmp_eq_u16_e32 vcc, 0, v12
	v_cndmask_b32_e32 v6, v6, v15, vcc
	v_cndmask_b32_e32 v12, v13, v14, vcc
	v_lshlrev_b32_e32 v13, 8, v3
	v_mov_b32_e32 v14, 0x3b800000
	v_lshlrev_b32_e32 v6, 20, v6
	v_and_b32_e32 v13, 0x80000000, v13
	v_lshl_add_u32 v12, v12, 23, v14
	v_or3_b32 v12, v13, v12, v6
.LBB1_952:
	s_or_b64 exec, exec, s[6:7]
	s_nop 0
	v_mfma_f32_16x16x4f32 a[0:3], v2, v12, a[0:3]
	s_movk_i32 s4, 0x7f
	v_cmp_gt_i16_sdwa s[6:7], v7, s4 src0_sel:BYTE_3 src1_sel:DWORD
	s_mov_b64 s[4:5], 0
                                        ; implicit-def: $sgpr10
	s_and_saveexec_b64 s[8:9], s[6:7]
	s_xor_b64 s[6:7], exec, s[8:9]
	s_cbranch_execnz .LBB1_3001
; %bb.953:
	s_or_saveexec_b64 s[6:7], s[6:7]
	v_mov_b32_e32 v2, s10
	s_xor_b64 exec, exec, s[6:7]
	s_cbranch_execnz .LBB1_3004
.LBB1_954:
	s_or_b64 exec, exec, s[6:7]
	s_and_saveexec_b64 s[6:7], s[4:5]
	s_cbranch_execz .LBB1_956
.LBB1_955:
	v_bfe_u32 v2, v7, 24, 3
	v_ffbh_u32_e32 v14, v2
	v_min_u32_e32 v14, 32, v14
	v_lshrrev_b32_e32 v12, 27, v7
	v_subrev_u32_e32 v15, 28, v14
	v_and_b32_e32 v6, 0x80000000, v7
	v_and_b32_e32 v12, 15, v12
	v_bfe_u32 v13, v7, 27, 4
	v_lshlrev_b32_sdwa v7, v15, v7 dst_sel:DWORD dst_unused:UNUSED_PAD src0_sel:DWORD src1_sel:BYTE_3
	v_sub_u32_e32 v14, 29, v14
	v_and_b32_e32 v7, 7, v7
	v_cmp_eq_u16_e32 vcc, 0, v12
	v_cndmask_b32_e32 v2, v2, v7, vcc
	v_cndmask_b32_e32 v7, v13, v14, vcc
	v_mov_b32_e32 v12, 0x3b800000
	v_lshlrev_b32_e32 v2, 20, v2
	v_lshl_add_u32 v7, v7, 23, v12
	v_or3_b32 v2, v6, v7, v2
.LBB1_956:
	s_or_b64 exec, exec, s[6:7]
	s_movk_i32 s4, 0x7f
	v_cmp_gt_i16_sdwa s[6:7], v3, s4 src0_sel:BYTE_3 src1_sel:DWORD
	s_mov_b64 s[4:5], 0
                                        ; implicit-def: $sgpr10
	s_and_saveexec_b64 s[8:9], s[6:7]
	s_xor_b64 s[6:7], exec, s[8:9]
	s_cbranch_execnz .LBB1_3005
; %bb.957:
	s_or_saveexec_b64 s[6:7], s[6:7]
	v_mov_b32_e32 v6, s10
	s_xor_b64 exec, exec, s[6:7]
	s_cbranch_execnz .LBB1_3008
.LBB1_958:
	s_or_b64 exec, exec, s[6:7]
	s_and_saveexec_b64 s[6:7], s[4:5]
	s_cbranch_execz .LBB1_960
.LBB1_959:
	v_bfe_u32 v6, v3, 24, 3
	v_ffbh_u32_e32 v14, v6
	v_min_u32_e32 v14, 32, v14
	v_lshrrev_b32_e32 v12, 27, v3
	v_subrev_u32_e32 v15, 28, v14
	v_and_b32_e32 v7, 0x80000000, v3
	v_and_b32_e32 v12, 15, v12
	v_bfe_u32 v13, v3, 27, 4
	v_lshlrev_b32_sdwa v3, v15, v3 dst_sel:DWORD dst_unused:UNUSED_PAD src0_sel:DWORD src1_sel:BYTE_3
	v_sub_u32_e32 v14, 29, v14
	v_and_b32_e32 v3, 7, v3
	v_cmp_eq_u16_e32 vcc, 0, v12
	v_cndmask_b32_e32 v3, v6, v3, vcc
	v_cndmask_b32_e32 v6, v13, v14, vcc
	v_mov_b32_e32 v12, 0x3b800000
	v_lshlrev_b32_e32 v3, 20, v3
	v_lshl_add_u32 v6, v6, 23, v12
	v_or3_b32 v6, v7, v6, v3
.LBB1_960:
	s_or_b64 exec, exec, s[6:7]
	s_nop 0
	v_mfma_f32_16x16x4f32 a[0:3], v2, v6, a[0:3]
	s_movk_i32 s4, 0x7f
	v_cmp_gt_i16_sdwa s[6:7], v8, s4 src0_sel:BYTE_0 src1_sel:DWORD
	s_mov_b64 s[4:5], 0
                                        ; implicit-def: $sgpr10
	s_and_saveexec_b64 s[8:9], s[6:7]
	s_xor_b64 s[6:7], exec, s[8:9]
	s_cbranch_execnz .LBB1_3009
; %bb.961:
	s_or_saveexec_b64 s[6:7], s[6:7]
	v_mov_b32_e32 v2, s10
	s_xor_b64 exec, exec, s[6:7]
	s_cbranch_execnz .LBB1_3012
.LBB1_962:
	s_or_b64 exec, exec, s[6:7]
	s_and_saveexec_b64 s[6:7], s[4:5]
	s_cbranch_execz .LBB1_964
.LBB1_963:
	v_and_b32_e32 v2, 7, v8
	v_ffbh_u32_e32 v6, v2
	v_min_u32_e32 v6, 32, v6
	v_lshrrev_b16_e32 v3, 3, v8
	v_subrev_u32_e32 v7, 28, v6
	v_and_b32_e32 v3, 15, v3
	v_lshlrev_b32_e32 v7, v7, v8
	v_sub_u32_e32 v6, 29, v6
	v_and_b32_e32 v7, 7, v7
	v_cmp_eq_u16_e32 vcc, 0, v3
	v_cndmask_b32_e32 v2, v2, v7, vcc
	v_cndmask_b32_e32 v3, v3, v6, vcc
	v_lshlrev_b32_e32 v6, 24, v8
	v_mov_b32_e32 v7, 0x3b800000
	v_lshlrev_b32_e32 v2, 20, v2
	v_and_b32_e32 v6, 0x80000000, v6
	v_lshl_add_u32 v3, v3, 23, v7
	v_or3_b32 v2, v6, v3, v2
.LBB1_964:
	s_or_b64 exec, exec, s[6:7]
	s_movk_i32 s4, 0x7f
	v_cmp_gt_i16_sdwa s[6:7], v4, s4 src0_sel:BYTE_0 src1_sel:DWORD
	s_mov_b64 s[4:5], 0
                                        ; implicit-def: $sgpr10
	s_and_saveexec_b64 s[8:9], s[6:7]
	s_xor_b64 s[6:7], exec, s[8:9]
	s_cbranch_execnz .LBB1_3013
; %bb.965:
	s_or_saveexec_b64 s[6:7], s[6:7]
	v_mov_b32_e32 v3, s10
	s_xor_b64 exec, exec, s[6:7]
	s_cbranch_execnz .LBB1_3016
.LBB1_966:
	s_or_b64 exec, exec, s[6:7]
	s_and_saveexec_b64 s[6:7], s[4:5]
	s_cbranch_execz .LBB1_968
.LBB1_967:
	v_and_b32_e32 v3, 7, v4
	v_ffbh_u32_e32 v7, v3
	v_min_u32_e32 v7, 32, v7
	v_lshrrev_b16_e32 v6, 3, v4
	v_subrev_u32_e32 v12, 28, v7
	v_and_b32_e32 v6, 15, v6
	v_lshlrev_b32_e32 v12, v12, v4
	v_sub_u32_e32 v7, 29, v7
	v_and_b32_e32 v12, 7, v12
	v_cmp_eq_u16_e32 vcc, 0, v6
	v_cndmask_b32_e32 v3, v3, v12, vcc
	v_cndmask_b32_e32 v6, v6, v7, vcc
	v_lshlrev_b32_e32 v7, 24, v4
	v_mov_b32_e32 v12, 0x3b800000
	v_lshlrev_b32_e32 v3, 20, v3
	v_and_b32_e32 v7, 0x80000000, v7
	v_lshl_add_u32 v6, v6, 23, v12
	v_or3_b32 v3, v7, v6, v3
.LBB1_968:
	s_or_b64 exec, exec, s[6:7]
	s_nop 0
	v_mfma_f32_16x16x4f32 a[0:3], v2, v3, a[0:3]
	v_lshrrev_b32_e32 v3, 8, v8
	s_movk_i32 s4, 0x7f
	v_cmp_gt_i16_sdwa s[6:7], v3, s4 src0_sel:BYTE_0 src1_sel:DWORD
	s_mov_b64 s[4:5], 0
                                        ; implicit-def: $sgpr10
	s_and_saveexec_b64 s[8:9], s[6:7]
	s_xor_b64 s[6:7], exec, s[8:9]
	s_cbranch_execnz .LBB1_3017
; %bb.969:
	s_or_saveexec_b64 s[6:7], s[6:7]
	v_mov_b32_e32 v2, s10
	s_xor_b64 exec, exec, s[6:7]
	s_cbranch_execnz .LBB1_3020
.LBB1_970:
	s_or_b64 exec, exec, s[6:7]
	s_and_saveexec_b64 s[6:7], s[4:5]
	s_cbranch_execz .LBB1_972
.LBB1_971:
	v_bfe_u32 v2, v8, 8, 3
	v_ffbh_u32_e32 v7, v2
	v_min_u32_e32 v7, 32, v7
	v_lshrrev_b16_e32 v6, 3, v3
	v_subrev_u32_e32 v12, 28, v7
	v_and_b32_e32 v6, 15, v6
	v_lshlrev_b32_e32 v3, v12, v3
	v_sub_u32_e32 v7, 29, v7
	v_and_b32_e32 v3, 7, v3
	v_cmp_eq_u16_e32 vcc, 0, v6
	v_cndmask_b32_e32 v2, v2, v3, vcc
	v_cndmask_b32_e32 v3, v6, v7, vcc
	v_lshlrev_b32_e32 v6, 16, v8
	v_mov_b32_e32 v7, 0x3b800000
	v_lshlrev_b32_e32 v2, 20, v2
	v_and_b32_e32 v6, 0x80000000, v6
	v_lshl_add_u32 v3, v3, 23, v7
	v_or3_b32 v2, v6, v3, v2
.LBB1_972:
	s_or_b64 exec, exec, s[6:7]
	v_lshrrev_b32_e32 v3, 8, v4
	s_movk_i32 s4, 0x7f
	v_cmp_gt_i16_sdwa s[6:7], v3, s4 src0_sel:BYTE_0 src1_sel:DWORD
	s_mov_b64 s[4:5], 0
                                        ; implicit-def: $sgpr10
	s_and_saveexec_b64 s[8:9], s[6:7]
	s_xor_b64 s[6:7], exec, s[8:9]
	s_cbranch_execnz .LBB1_3021
; %bb.973:
	s_or_saveexec_b64 s[6:7], s[6:7]
	v_mov_b32_e32 v6, s10
	s_xor_b64 exec, exec, s[6:7]
	s_cbranch_execnz .LBB1_3024
.LBB1_974:
	s_or_b64 exec, exec, s[6:7]
	s_and_saveexec_b64 s[6:7], s[4:5]
	s_cbranch_execz .LBB1_976
.LBB1_975:
	v_bfe_u32 v6, v4, 8, 3
	v_ffbh_u32_e32 v12, v6
	v_min_u32_e32 v12, 32, v12
	v_lshrrev_b16_e32 v7, 3, v3
	v_subrev_u32_e32 v13, 28, v12
	v_and_b32_e32 v7, 15, v7
	v_lshlrev_b32_e32 v3, v13, v3
	v_sub_u32_e32 v12, 29, v12
	v_and_b32_e32 v3, 7, v3
	v_cmp_eq_u16_e32 vcc, 0, v7
	v_cndmask_b32_e32 v3, v6, v3, vcc
	v_cndmask_b32_e32 v6, v7, v12, vcc
	v_lshlrev_b32_e32 v7, 16, v4
	v_mov_b32_e32 v12, 0x3b800000
	v_lshlrev_b32_e32 v3, 20, v3
	v_and_b32_e32 v7, 0x80000000, v7
	v_lshl_add_u32 v6, v6, 23, v12
	v_or3_b32 v6, v7, v6, v3
.LBB1_976:
	s_or_b64 exec, exec, s[6:7]
	s_nop 0
	v_mfma_f32_16x16x4f32 a[0:3], v2, v6, a[0:3]
	s_movk_i32 s4, 0xff
	v_and_b32_sdwa v3, v8, s4 dst_sel:DWORD dst_unused:UNUSED_PAD src0_sel:WORD_1 src1_sel:DWORD
	s_movk_i32 s4, 0x7f
	v_cmp_lt_i16_e32 vcc, s4, v3
	s_mov_b64 s[4:5], 0
                                        ; implicit-def: $sgpr10
	s_and_saveexec_b64 s[6:7], vcc
	s_xor_b64 s[6:7], exec, s[6:7]
	s_cbranch_execnz .LBB1_3025
; %bb.977:
	s_or_saveexec_b64 s[6:7], s[6:7]
	v_mov_b32_e32 v2, s10
	s_xor_b64 exec, exec, s[6:7]
	s_cbranch_execnz .LBB1_3028
.LBB1_978:
	s_or_b64 exec, exec, s[6:7]
	s_and_saveexec_b64 s[6:7], s[4:5]
	s_cbranch_execz .LBB1_980
.LBB1_979:
	v_bfe_u32 v2, v8, 16, 3
	v_ffbh_u32_e32 v7, v2
	v_min_u32_e32 v7, 32, v7
	v_lshrrev_b32_e32 v3, 19, v8
	v_subrev_u32_e32 v12, 28, v7
	v_and_b32_e32 v3, 15, v3
	v_lshlrev_b32_sdwa v12, v12, v8 dst_sel:DWORD dst_unused:UNUSED_PAD src0_sel:DWORD src1_sel:WORD_1
	v_bfe_u32 v6, v8, 19, 4
	v_sub_u32_e32 v7, 29, v7
	v_and_b32_e32 v12, 7, v12
	v_cmp_eq_u16_e32 vcc, 0, v3
	v_cndmask_b32_e32 v2, v2, v12, vcc
	v_cndmask_b32_e32 v3, v6, v7, vcc
	v_lshlrev_b32_e32 v6, 8, v8
	v_mov_b32_e32 v7, 0x3b800000
	v_lshlrev_b32_e32 v2, 20, v2
	v_and_b32_e32 v6, 0x80000000, v6
	v_lshl_add_u32 v3, v3, 23, v7
	v_or3_b32 v2, v6, v3, v2
.LBB1_980:
	s_or_b64 exec, exec, s[6:7]
	s_movk_i32 s4, 0xff
	v_and_b32_sdwa v3, v4, s4 dst_sel:DWORD dst_unused:UNUSED_PAD src0_sel:WORD_1 src1_sel:DWORD
	s_movk_i32 s4, 0x7f
	v_cmp_lt_i16_e32 vcc, s4, v3
	s_mov_b64 s[4:5], 0
                                        ; implicit-def: $sgpr10
	s_and_saveexec_b64 s[6:7], vcc
	s_xor_b64 s[6:7], exec, s[6:7]
	s_cbranch_execnz .LBB1_3029
; %bb.981:
	s_or_saveexec_b64 s[6:7], s[6:7]
	v_mov_b32_e32 v6, s10
	s_xor_b64 exec, exec, s[6:7]
	s_cbranch_execnz .LBB1_3032
.LBB1_982:
	s_or_b64 exec, exec, s[6:7]
	s_and_saveexec_b64 s[6:7], s[4:5]
	s_cbranch_execz .LBB1_984
.LBB1_983:
	v_bfe_u32 v3, v4, 16, 3
	v_ffbh_u32_e32 v12, v3
	v_min_u32_e32 v12, 32, v12
	v_lshrrev_b32_e32 v6, 19, v4
	v_subrev_u32_e32 v13, 28, v12
	v_and_b32_e32 v6, 15, v6
	v_lshlrev_b32_sdwa v13, v13, v4 dst_sel:DWORD dst_unused:UNUSED_PAD src0_sel:DWORD src1_sel:WORD_1
	v_bfe_u32 v7, v4, 19, 4
	v_sub_u32_e32 v12, 29, v12
	v_and_b32_e32 v13, 7, v13
	v_cmp_eq_u16_e32 vcc, 0, v6
	v_cndmask_b32_e32 v3, v3, v13, vcc
	v_cndmask_b32_e32 v6, v7, v12, vcc
	v_lshlrev_b32_e32 v7, 8, v4
	v_mov_b32_e32 v12, 0x3b800000
	v_lshlrev_b32_e32 v3, 20, v3
	v_and_b32_e32 v7, 0x80000000, v7
	v_lshl_add_u32 v6, v6, 23, v12
	v_or3_b32 v6, v7, v6, v3
.LBB1_984:
	s_or_b64 exec, exec, s[6:7]
	s_nop 0
	v_mfma_f32_16x16x4f32 a[0:3], v2, v6, a[0:3]
	s_movk_i32 s4, 0x7f
	v_cmp_gt_i16_sdwa s[6:7], v8, s4 src0_sel:BYTE_3 src1_sel:DWORD
	s_mov_b64 s[4:5], 0
                                        ; implicit-def: $sgpr10
	s_and_saveexec_b64 s[8:9], s[6:7]
	s_xor_b64 s[6:7], exec, s[8:9]
	s_cbranch_execnz .LBB1_3033
; %bb.985:
	s_or_saveexec_b64 s[6:7], s[6:7]
	v_mov_b32_e32 v2, s10
	s_xor_b64 exec, exec, s[6:7]
	s_cbranch_execnz .LBB1_3036
.LBB1_986:
	s_or_b64 exec, exec, s[6:7]
	s_and_saveexec_b64 s[6:7], s[4:5]
	s_cbranch_execz .LBB1_988
.LBB1_987:
	v_bfe_u32 v2, v8, 24, 3
	v_ffbh_u32_e32 v12, v2
	v_min_u32_e32 v12, 32, v12
	v_lshrrev_b32_e32 v6, 27, v8
	v_subrev_u32_e32 v13, 28, v12
	v_and_b32_e32 v3, 0x80000000, v8
	v_and_b32_e32 v6, 15, v6
	v_bfe_u32 v7, v8, 27, 4
	v_lshlrev_b32_sdwa v8, v13, v8 dst_sel:DWORD dst_unused:UNUSED_PAD src0_sel:DWORD src1_sel:BYTE_3
	v_sub_u32_e32 v12, 29, v12
	v_and_b32_e32 v8, 7, v8
	v_cmp_eq_u16_e32 vcc, 0, v6
	v_cndmask_b32_e32 v2, v2, v8, vcc
	v_cndmask_b32_e32 v6, v7, v12, vcc
	v_mov_b32_e32 v7, 0x3b800000
	v_lshlrev_b32_e32 v2, 20, v2
	v_lshl_add_u32 v6, v6, 23, v7
	v_or3_b32 v2, v3, v6, v2
.LBB1_988:
	s_or_b64 exec, exec, s[6:7]
	s_movk_i32 s4, 0x7f
	v_cmp_gt_i16_sdwa s[6:7], v4, s4 src0_sel:BYTE_3 src1_sel:DWORD
	s_mov_b64 s[4:5], 0
                                        ; implicit-def: $sgpr10
	s_and_saveexec_b64 s[8:9], s[6:7]
	s_xor_b64 s[6:7], exec, s[8:9]
	s_cbranch_execnz .LBB1_3037
; %bb.989:
	s_or_saveexec_b64 s[6:7], s[6:7]
	v_mov_b32_e32 v3, s10
	s_xor_b64 exec, exec, s[6:7]
	s_cbranch_execnz .LBB1_3040
.LBB1_990:
	s_or_b64 exec, exec, s[6:7]
	s_and_saveexec_b64 s[6:7], s[4:5]
	s_cbranch_execz .LBB1_992
.LBB1_991:
	v_bfe_u32 v3, v4, 24, 3
	v_ffbh_u32_e32 v12, v3
	v_min_u32_e32 v12, 32, v12
	v_lshrrev_b32_e32 v7, 27, v4
	v_subrev_u32_e32 v13, 28, v12
	v_and_b32_e32 v6, 0x80000000, v4
	v_and_b32_e32 v7, 15, v7
	v_bfe_u32 v8, v4, 27, 4
	v_lshlrev_b32_sdwa v4, v13, v4 dst_sel:DWORD dst_unused:UNUSED_PAD src0_sel:DWORD src1_sel:BYTE_3
	v_sub_u32_e32 v12, 29, v12
	v_and_b32_e32 v4, 7, v4
	v_cmp_eq_u16_e32 vcc, 0, v7
	v_cndmask_b32_e32 v3, v3, v4, vcc
	v_cndmask_b32_e32 v4, v8, v12, vcc
	v_mov_b32_e32 v7, 0x3b800000
	v_lshlrev_b32_e32 v3, 20, v3
	v_lshl_add_u32 v4, v4, 23, v7
	v_or3_b32 v3, v6, v4, v3
.LBB1_992:
	s_or_b64 exec, exec, s[6:7]
	s_nop 0
	v_mfma_f32_16x16x4f32 a[0:3], v2, v3, a[0:3]
	s_movk_i32 s4, 0x7f
	v_cmp_gt_i16_sdwa s[6:7], v9, s4 src0_sel:BYTE_0 src1_sel:DWORD
	s_mov_b64 s[4:5], 0
                                        ; implicit-def: $sgpr10
	s_and_saveexec_b64 s[8:9], s[6:7]
	s_xor_b64 s[6:7], exec, s[8:9]
	s_cbranch_execnz .LBB1_3041
; %bb.993:
	s_or_saveexec_b64 s[6:7], s[6:7]
	v_mov_b32_e32 v2, s10
	s_xor_b64 exec, exec, s[6:7]
	s_cbranch_execnz .LBB1_3044
.LBB1_994:
	s_or_b64 exec, exec, s[6:7]
	s_and_saveexec_b64 s[6:7], s[4:5]
	s_cbranch_execz .LBB1_996
.LBB1_995:
	v_mov_b32_e32 v2, 8
	v_and_b32_e32 v3, 7, v9
	v_lshrrev_b32_sdwa v2, v2, v9 dst_sel:BYTE_1 dst_unused:UNUSED_PAD src0_sel:DWORD src1_sel:DWORD
	v_ffbh_u32_e32 v4, v3
	v_or_b32_sdwa v2, v9, v2 dst_sel:DWORD dst_unused:UNUSED_PAD src0_sel:BYTE_0 src1_sel:DWORD
	v_min_u32_e32 v4, 32, v4
	v_lshrrev_b16_e32 v2, 3, v2
	v_subrev_u32_e32 v6, 28, v4
	v_and_b32_e32 v2, 15, v2
	v_lshlrev_b32_e32 v6, v6, v9
	v_sub_u32_e32 v4, 29, v4
	v_and_b32_e32 v6, 7, v6
	v_cmp_eq_u16_e32 vcc, 0, v2
	v_cndmask_b32_e32 v3, v3, v6, vcc
	v_cndmask_b32_e32 v2, v2, v4, vcc
	v_lshlrev_b32_e32 v4, 24, v9
	v_mov_b32_e32 v6, 0x3b800000
	v_lshlrev_b32_e32 v3, 20, v3
	v_and_b32_e32 v4, 0x80000000, v4
	v_lshl_add_u32 v2, v2, 23, v6
	v_or3_b32 v2, v4, v2, v3
.LBB1_996:
	s_or_b64 exec, exec, s[6:7]
	s_movk_i32 s4, 0x7f
	v_cmp_gt_i16_sdwa s[6:7], v5, s4 src0_sel:BYTE_0 src1_sel:DWORD
	s_mov_b64 s[4:5], 0
                                        ; implicit-def: $sgpr10
	s_and_saveexec_b64 s[8:9], s[6:7]
	s_xor_b64 s[6:7], exec, s[8:9]
	s_cbranch_execnz .LBB1_3045
; %bb.997:
	s_or_saveexec_b64 s[6:7], s[6:7]
	v_mov_b32_e32 v3, s10
	s_xor_b64 exec, exec, s[6:7]
	s_cbranch_execnz .LBB1_3048
.LBB1_998:
	s_or_b64 exec, exec, s[6:7]
	s_and_saveexec_b64 s[6:7], s[4:5]
	s_cbranch_execz .LBB1_1000
.LBB1_999:
	v_mov_b32_e32 v3, 8
	v_and_b32_e32 v4, 7, v5
	v_lshrrev_b32_sdwa v3, v3, v5 dst_sel:BYTE_1 dst_unused:UNUSED_PAD src0_sel:DWORD src1_sel:DWORD
	v_ffbh_u32_e32 v6, v4
	v_or_b32_sdwa v3, v5, v3 dst_sel:DWORD dst_unused:UNUSED_PAD src0_sel:BYTE_0 src1_sel:DWORD
	v_min_u32_e32 v6, 32, v6
	v_lshrrev_b16_e32 v3, 3, v3
	v_subrev_u32_e32 v7, 28, v6
	v_and_b32_e32 v3, 15, v3
	v_lshlrev_b32_e32 v7, v7, v5
	v_sub_u32_e32 v6, 29, v6
	v_and_b32_e32 v7, 7, v7
	v_cmp_eq_u16_e32 vcc, 0, v3
	v_cndmask_b32_e32 v4, v4, v7, vcc
	v_cndmask_b32_e32 v3, v3, v6, vcc
	v_lshlrev_b32_e32 v6, 24, v5
	v_mov_b32_e32 v7, 0x3b800000
	v_lshlrev_b32_e32 v4, 20, v4
	v_and_b32_e32 v6, 0x80000000, v6
	v_lshl_add_u32 v3, v3, 23, v7
	v_or3_b32 v3, v6, v3, v4
.LBB1_1000:
	s_or_b64 exec, exec, s[6:7]
	s_nop 0
	v_mfma_f32_16x16x4f32 a[0:3], v2, v3, a[0:3]
	v_lshrrev_b32_e32 v3, 8, v9
	s_movk_i32 s4, 0x7f
	v_cmp_gt_i16_sdwa s[6:7], v3, s4 src0_sel:BYTE_0 src1_sel:DWORD
	s_mov_b64 s[4:5], 0
                                        ; implicit-def: $sgpr10
	s_and_saveexec_b64 s[8:9], s[6:7]
	s_xor_b64 s[6:7], exec, s[8:9]
	s_cbranch_execnz .LBB1_3049
; %bb.1001:
	s_or_saveexec_b64 s[6:7], s[6:7]
	v_mov_b32_e32 v2, s10
	s_xor_b64 exec, exec, s[6:7]
	s_cbranch_execnz .LBB1_3052
.LBB1_1002:
	s_or_b64 exec, exec, s[6:7]
	s_and_saveexec_b64 s[6:7], s[4:5]
	s_cbranch_execz .LBB1_1004
.LBB1_1003:
	v_bfe_u32 v2, v9, 8, 3
	v_ffbh_u32_e32 v6, v2
	v_min_u32_e32 v6, 32, v6
	v_lshrrev_b16_e32 v4, 3, v3
	v_subrev_u32_e32 v7, 28, v6
	v_and_b32_e32 v4, 15, v4
	v_lshlrev_b32_e32 v3, v7, v3
	v_sub_u32_e32 v6, 29, v6
	v_and_b32_e32 v3, 7, v3
	v_cmp_eq_u16_e32 vcc, 0, v4
	v_cndmask_b32_e32 v2, v2, v3, vcc
	v_cndmask_b32_e32 v3, v4, v6, vcc
	v_lshlrev_b32_e32 v4, 16, v9
	v_mov_b32_e32 v6, 0x3b800000
	v_lshlrev_b32_e32 v2, 20, v2
	v_and_b32_e32 v4, 0x80000000, v4
	v_lshl_add_u32 v3, v3, 23, v6
	v_or3_b32 v2, v4, v3, v2
.LBB1_1004:
	s_or_b64 exec, exec, s[6:7]
	v_lshrrev_b32_e32 v3, 8, v5
	s_movk_i32 s4, 0x7f
	v_cmp_gt_i16_sdwa s[6:7], v3, s4 src0_sel:BYTE_0 src1_sel:DWORD
	s_mov_b64 s[4:5], 0
                                        ; implicit-def: $sgpr10
	s_and_saveexec_b64 s[8:9], s[6:7]
	s_xor_b64 s[6:7], exec, s[8:9]
	s_cbranch_execnz .LBB1_3053
; %bb.1005:
	s_or_saveexec_b64 s[6:7], s[6:7]
	v_mov_b32_e32 v4, s10
	s_xor_b64 exec, exec, s[6:7]
	s_cbranch_execnz .LBB1_3056
.LBB1_1006:
	s_or_b64 exec, exec, s[6:7]
	s_and_saveexec_b64 s[6:7], s[4:5]
	s_cbranch_execz .LBB1_1008
.LBB1_1007:
	v_bfe_u32 v4, v5, 8, 3
	v_ffbh_u32_e32 v7, v4
	v_min_u32_e32 v7, 32, v7
	v_lshrrev_b16_e32 v6, 3, v3
	v_subrev_u32_e32 v8, 28, v7
	v_and_b32_e32 v6, 15, v6
	v_lshlrev_b32_e32 v3, v8, v3
	v_sub_u32_e32 v7, 29, v7
	v_and_b32_e32 v3, 7, v3
	v_cmp_eq_u16_e32 vcc, 0, v6
	v_cndmask_b32_e32 v3, v4, v3, vcc
	v_cndmask_b32_e32 v4, v6, v7, vcc
	v_lshlrev_b32_e32 v6, 16, v5
	v_mov_b32_e32 v7, 0x3b800000
	v_lshlrev_b32_e32 v3, 20, v3
	v_and_b32_e32 v6, 0x80000000, v6
	v_lshl_add_u32 v4, v4, 23, v7
	v_or3_b32 v4, v6, v4, v3
.LBB1_1008:
	s_or_b64 exec, exec, s[6:7]
	s_nop 0
	v_mfma_f32_16x16x4f32 a[0:3], v2, v4, a[0:3]
	s_movk_i32 s4, 0xff
	v_and_b32_sdwa v3, v9, s4 dst_sel:DWORD dst_unused:UNUSED_PAD src0_sel:WORD_1 src1_sel:DWORD
	s_movk_i32 s4, 0x7f
	v_cmp_lt_i16_e32 vcc, s4, v3
	s_mov_b64 s[4:5], 0
                                        ; implicit-def: $sgpr10
	s_and_saveexec_b64 s[6:7], vcc
	s_xor_b64 s[6:7], exec, s[6:7]
	s_cbranch_execnz .LBB1_3057
; %bb.1009:
	s_or_saveexec_b64 s[6:7], s[6:7]
	v_mov_b32_e32 v2, s10
	s_xor_b64 exec, exec, s[6:7]
	s_cbranch_execnz .LBB1_3060
.LBB1_1010:
	s_or_b64 exec, exec, s[6:7]
	s_and_saveexec_b64 s[6:7], s[4:5]
	s_cbranch_execz .LBB1_1012
.LBB1_1011:
	v_bfe_u32 v2, v9, 16, 3
	v_ffbh_u32_e32 v6, v2
	v_min_u32_e32 v6, 32, v6
	v_lshrrev_b32_e32 v3, 19, v9
	v_subrev_u32_e32 v7, 28, v6
	v_and_b32_e32 v3, 15, v3
	v_lshlrev_b32_sdwa v7, v7, v9 dst_sel:DWORD dst_unused:UNUSED_PAD src0_sel:DWORD src1_sel:WORD_1
	v_bfe_u32 v4, v9, 19, 4
	v_sub_u32_e32 v6, 29, v6
	v_and_b32_e32 v7, 7, v7
	v_cmp_eq_u16_e32 vcc, 0, v3
	v_cndmask_b32_e32 v2, v2, v7, vcc
	v_cndmask_b32_e32 v3, v4, v6, vcc
	v_lshlrev_b32_e32 v4, 8, v9
	v_mov_b32_e32 v6, 0x3b800000
	v_lshlrev_b32_e32 v2, 20, v2
	v_and_b32_e32 v4, 0x80000000, v4
	v_lshl_add_u32 v3, v3, 23, v6
	v_or3_b32 v2, v4, v3, v2
.LBB1_1012:
	s_or_b64 exec, exec, s[6:7]
	s_movk_i32 s4, 0xff
	v_and_b32_sdwa v3, v5, s4 dst_sel:DWORD dst_unused:UNUSED_PAD src0_sel:WORD_1 src1_sel:DWORD
	s_movk_i32 s4, 0x7f
	v_cmp_lt_i16_e32 vcc, s4, v3
	s_mov_b64 s[4:5], 0
                                        ; implicit-def: $sgpr10
	s_and_saveexec_b64 s[6:7], vcc
	s_xor_b64 s[6:7], exec, s[6:7]
	s_cbranch_execnz .LBB1_3061
; %bb.1013:
	s_or_saveexec_b64 s[6:7], s[6:7]
	v_mov_b32_e32 v4, s10
	s_xor_b64 exec, exec, s[6:7]
	s_cbranch_execnz .LBB1_3064
.LBB1_1014:
	s_or_b64 exec, exec, s[6:7]
	s_and_saveexec_b64 s[6:7], s[4:5]
	s_cbranch_execz .LBB1_1016
.LBB1_1015:
	v_bfe_u32 v3, v5, 16, 3
	v_ffbh_u32_e32 v7, v3
	v_min_u32_e32 v7, 32, v7
	v_lshrrev_b32_e32 v4, 19, v5
	v_subrev_u32_e32 v8, 28, v7
	v_and_b32_e32 v4, 15, v4
	v_lshlrev_b32_sdwa v8, v8, v5 dst_sel:DWORD dst_unused:UNUSED_PAD src0_sel:DWORD src1_sel:WORD_1
	v_bfe_u32 v6, v5, 19, 4
	v_sub_u32_e32 v7, 29, v7
	v_and_b32_e32 v8, 7, v8
	v_cmp_eq_u16_e32 vcc, 0, v4
	v_cndmask_b32_e32 v3, v3, v8, vcc
	v_cndmask_b32_e32 v4, v6, v7, vcc
	v_lshlrev_b32_e32 v6, 8, v5
	v_mov_b32_e32 v7, 0x3b800000
	v_lshlrev_b32_e32 v3, 20, v3
	v_and_b32_e32 v6, 0x80000000, v6
	v_lshl_add_u32 v4, v4, 23, v7
	v_or3_b32 v4, v6, v4, v3
.LBB1_1016:
	s_or_b64 exec, exec, s[6:7]
	s_nop 0
	v_mfma_f32_16x16x4f32 a[0:3], v2, v4, a[0:3]
	s_movk_i32 s4, 0x7f
	v_cmp_gt_i16_sdwa s[6:7], v9, s4 src0_sel:BYTE_3 src1_sel:DWORD
	s_mov_b64 s[4:5], 0
                                        ; implicit-def: $sgpr10
	s_and_saveexec_b64 s[8:9], s[6:7]
	s_xor_b64 s[6:7], exec, s[8:9]
	s_cbranch_execnz .LBB1_3065
; %bb.1017:
	s_or_saveexec_b64 s[6:7], s[6:7]
	v_mov_b32_e32 v2, s10
	s_xor_b64 exec, exec, s[6:7]
	s_cbranch_execnz .LBB1_3068
.LBB1_1018:
	s_or_b64 exec, exec, s[6:7]
	s_and_saveexec_b64 s[6:7], s[4:5]
	s_cbranch_execz .LBB1_1020
.LBB1_1019:
	v_bfe_u32 v2, v9, 24, 3
	v_ffbh_u32_e32 v7, v2
	v_min_u32_e32 v7, 32, v7
	v_lshrrev_b32_e32 v4, 27, v9
	v_subrev_u32_e32 v8, 28, v7
	v_and_b32_e32 v4, 15, v4
	v_lshlrev_b32_sdwa v8, v8, v9 dst_sel:DWORD dst_unused:UNUSED_PAD src0_sel:DWORD src1_sel:BYTE_3
	v_bfe_u32 v6, v9, 27, 4
	v_sub_u32_e32 v7, 29, v7
	v_and_b32_e32 v8, 7, v8
	v_cmp_eq_u16_e32 vcc, 0, v4
	v_cndmask_b32_e32 v2, v2, v8, vcc
	v_cndmask_b32_e32 v4, v6, v7, vcc
	v_mov_b32_e32 v6, 0x3b800000
	v_and_b32_e32 v3, 0x80000000, v9
	v_lshlrev_b32_e32 v2, 20, v2
	v_lshl_add_u32 v4, v4, 23, v6
	v_or3_b32 v2, v3, v4, v2
.LBB1_1020:
	s_or_b64 exec, exec, s[6:7]
	s_movk_i32 s4, 0x7f
	v_cmp_gt_i16_sdwa s[6:7], v5, s4 src0_sel:BYTE_3 src1_sel:DWORD
	s_mov_b64 s[4:5], 0
                                        ; implicit-def: $sgpr10
	s_and_saveexec_b64 s[8:9], s[6:7]
	s_xor_b64 s[6:7], exec, s[8:9]
	s_cbranch_execnz .LBB1_3069
; %bb.1021:
	s_or_saveexec_b64 s[6:7], s[6:7]
	v_mov_b32_e32 v3, s10
	s_xor_b64 exec, exec, s[6:7]
	s_cbranch_execnz .LBB1_3072
.LBB1_1022:
	s_or_b64 exec, exec, s[6:7]
	s_and_saveexec_b64 s[6:7], s[4:5]
	s_cbranch_execz .LBB1_1024
.LBB1_1023:
	v_bfe_u32 v3, v5, 24, 3
	v_ffbh_u32_e32 v8, v3
	v_min_u32_e32 v8, 32, v8
	v_lshrrev_b32_e32 v6, 27, v5
	v_subrev_u32_e32 v9, 28, v8
	v_and_b32_e32 v4, 0x80000000, v5
	v_and_b32_e32 v6, 15, v6
	v_bfe_u32 v7, v5, 27, 4
	v_lshlrev_b32_sdwa v5, v9, v5 dst_sel:DWORD dst_unused:UNUSED_PAD src0_sel:DWORD src1_sel:BYTE_3
	v_sub_u32_e32 v8, 29, v8
	v_and_b32_e32 v5, 7, v5
	v_cmp_eq_u16_e32 vcc, 0, v6
	v_cndmask_b32_e32 v3, v3, v5, vcc
	v_cndmask_b32_e32 v5, v7, v8, vcc
	v_mov_b32_e32 v6, 0x3b800000
	v_lshlrev_b32_e32 v3, 20, v3
	v_lshl_add_u32 v5, v5, 23, v6
	v_or3_b32 v3, v4, v5, v3
.LBB1_1024:
	s_or_b64 exec, exec, s[6:7]
	s_nop 0
	v_mfma_f32_16x16x4f32 a[0:3], v2, v3, a[0:3]
	s_movk_i32 s4, 0x7f
                                        ; implicit-def: $sgpr10
	s_nop 7
	s_nop 1
	flat_store_dwordx4 v[10:11], a[0:3] offset:112
	flat_load_dwordx4 v[12:15], v[0:1] offset:8
	s_nop 0
	flat_load_dwordx2 v[10:11], v[0:1] offset:32
	s_waitcnt vmcnt(0) lgkmcnt(0)
	flat_load_dwordx4 v[6:9], v[12:13] offset:64
	flat_load_dwordx4 v[2:5], v[14:15]
	s_waitcnt vmcnt(0) lgkmcnt(0)
	v_cmp_gt_i16_sdwa s[6:7], v6, s4 src0_sel:BYTE_0 src1_sel:DWORD
	s_mov_b64 s[4:5], 0
	s_and_saveexec_b64 s[8:9], s[6:7]
	s_xor_b64 s[6:7], exec, s[8:9]
	s_cbranch_execnz .LBB1_3073
; %bb.1025:
	s_or_saveexec_b64 s[6:7], s[6:7]
	v_mov_b32_e32 v12, s10
	s_xor_b64 exec, exec, s[6:7]
	s_cbranch_execnz .LBB1_3076
.LBB1_1026:
	s_or_b64 exec, exec, s[6:7]
	s_and_saveexec_b64 s[6:7], s[4:5]
	s_cbranch_execz .LBB1_1028
.LBB1_1027:
	v_and_b32_e32 v12, 7, v6
	v_ffbh_u32_e32 v14, v12
	v_min_u32_e32 v14, 32, v14
	v_lshrrev_b16_e32 v13, 3, v6
	v_subrev_u32_e32 v15, 28, v14
	v_and_b32_e32 v13, 15, v13
	v_lshlrev_b32_e32 v15, v15, v6
	v_sub_u32_e32 v14, 29, v14
	v_and_b32_e32 v15, 7, v15
	v_cmp_eq_u16_e32 vcc, 0, v13
	v_cndmask_b32_e32 v12, v12, v15, vcc
	v_cndmask_b32_e32 v13, v13, v14, vcc
	v_lshlrev_b32_e32 v14, 24, v6
	v_mov_b32_e32 v15, 0x3b800000
	v_lshlrev_b32_e32 v12, 20, v12
	v_and_b32_e32 v14, 0x80000000, v14
	v_lshl_add_u32 v13, v13, 23, v15
	v_or3_b32 v12, v14, v13, v12
.LBB1_1028:
	s_or_b64 exec, exec, s[6:7]
	s_movk_i32 s4, 0x7f
	v_cmp_gt_i16_sdwa s[6:7], v2, s4 src0_sel:BYTE_0 src1_sel:DWORD
	s_mov_b64 s[4:5], 0
                                        ; implicit-def: $sgpr10
	s_and_saveexec_b64 s[8:9], s[6:7]
	s_xor_b64 s[6:7], exec, s[8:9]
	s_cbranch_execnz .LBB1_3077
; %bb.1029:
	s_or_saveexec_b64 s[6:7], s[6:7]
	v_mov_b32_e32 v13, s10
	s_xor_b64 exec, exec, s[6:7]
	s_cbranch_execnz .LBB1_3080
.LBB1_1030:
	s_or_b64 exec, exec, s[6:7]
	s_and_saveexec_b64 s[6:7], s[4:5]
	s_cbranch_execz .LBB1_1032
.LBB1_1031:
	v_and_b32_e32 v13, 7, v2
	v_ffbh_u32_e32 v15, v13
	v_min_u32_e32 v15, 32, v15
	v_lshrrev_b16_e32 v14, 3, v2
	v_subrev_u32_e32 v16, 28, v15
	v_and_b32_e32 v14, 15, v14
	v_lshlrev_b32_e32 v16, v16, v2
	v_sub_u32_e32 v15, 29, v15
	v_and_b32_e32 v16, 7, v16
	v_cmp_eq_u16_e32 vcc, 0, v14
	v_cndmask_b32_e32 v13, v13, v16, vcc
	v_cndmask_b32_e32 v14, v14, v15, vcc
	v_lshlrev_b32_e32 v15, 24, v2
	v_mov_b32_e32 v16, 0x3b800000
	v_lshlrev_b32_e32 v13, 20, v13
	v_and_b32_e32 v15, 0x80000000, v15
	v_lshl_add_u32 v14, v14, 23, v16
	v_or3_b32 v13, v15, v14, v13
.LBB1_1032:
	s_or_b64 exec, exec, s[6:7]
	flat_load_dwordx4 a[0:3], v[10:11] offset:128
	s_movk_i32 s4, 0x7f
                                        ; implicit-def: $sgpr10
	s_waitcnt vmcnt(0) lgkmcnt(0)
	v_mfma_f32_16x16x4f32 a[0:3], v12, v13, a[0:3]
	v_lshrrev_b32_e32 v13, 8, v6
	v_cmp_gt_i16_sdwa s[6:7], v13, s4 src0_sel:BYTE_0 src1_sel:DWORD
	s_mov_b64 s[4:5], 0
	s_and_saveexec_b64 s[8:9], s[6:7]
	s_xor_b64 s[6:7], exec, s[8:9]
	s_cbranch_execnz .LBB1_3081
; %bb.1033:
	s_or_saveexec_b64 s[6:7], s[6:7]
	v_mov_b32_e32 v12, s10
	s_xor_b64 exec, exec, s[6:7]
	s_cbranch_execnz .LBB1_3084
.LBB1_1034:
	s_or_b64 exec, exec, s[6:7]
	s_and_saveexec_b64 s[6:7], s[4:5]
	s_cbranch_execz .LBB1_1036
.LBB1_1035:
	v_bfe_u32 v12, v6, 8, 3
	v_ffbh_u32_e32 v15, v12
	v_min_u32_e32 v15, 32, v15
	v_lshrrev_b16_e32 v14, 3, v13
	v_subrev_u32_e32 v16, 28, v15
	v_and_b32_e32 v14, 15, v14
	v_lshlrev_b32_e32 v13, v16, v13
	v_sub_u32_e32 v15, 29, v15
	v_and_b32_e32 v13, 7, v13
	v_cmp_eq_u16_e32 vcc, 0, v14
	v_cndmask_b32_e32 v12, v12, v13, vcc
	v_cndmask_b32_e32 v13, v14, v15, vcc
	v_lshlrev_b32_e32 v14, 16, v6
	v_mov_b32_e32 v15, 0x3b800000
	v_lshlrev_b32_e32 v12, 20, v12
	v_and_b32_e32 v14, 0x80000000, v14
	v_lshl_add_u32 v13, v13, 23, v15
	v_or3_b32 v12, v14, v13, v12
.LBB1_1036:
	s_or_b64 exec, exec, s[6:7]
	v_lshrrev_b32_e32 v13, 8, v2
	s_movk_i32 s4, 0x7f
	v_cmp_gt_i16_sdwa s[6:7], v13, s4 src0_sel:BYTE_0 src1_sel:DWORD
	s_mov_b64 s[4:5], 0
                                        ; implicit-def: $sgpr10
	s_and_saveexec_b64 s[8:9], s[6:7]
	s_xor_b64 s[6:7], exec, s[8:9]
	s_cbranch_execnz .LBB1_3085
; %bb.1037:
	s_or_saveexec_b64 s[6:7], s[6:7]
	v_mov_b32_e32 v14, s10
	s_xor_b64 exec, exec, s[6:7]
	s_cbranch_execnz .LBB1_3088
.LBB1_1038:
	s_or_b64 exec, exec, s[6:7]
	s_and_saveexec_b64 s[6:7], s[4:5]
	s_cbranch_execz .LBB1_1040
.LBB1_1039:
	v_bfe_u32 v14, v2, 8, 3
	v_ffbh_u32_e32 v16, v14
	v_min_u32_e32 v16, 32, v16
	v_lshrrev_b16_e32 v15, 3, v13
	v_subrev_u32_e32 v17, 28, v16
	v_and_b32_e32 v15, 15, v15
	v_lshlrev_b32_e32 v13, v17, v13
	v_sub_u32_e32 v16, 29, v16
	v_and_b32_e32 v13, 7, v13
	v_cmp_eq_u16_e32 vcc, 0, v15
	v_cndmask_b32_e32 v13, v14, v13, vcc
	v_cndmask_b32_e32 v14, v15, v16, vcc
	v_lshlrev_b32_e32 v15, 16, v2
	v_mov_b32_e32 v16, 0x3b800000
	v_lshlrev_b32_e32 v13, 20, v13
	v_and_b32_e32 v15, 0x80000000, v15
	v_lshl_add_u32 v14, v14, 23, v16
	v_or3_b32 v14, v15, v14, v13
.LBB1_1040:
	s_or_b64 exec, exec, s[6:7]
	s_nop 0
	v_mfma_f32_16x16x4f32 a[0:3], v12, v14, a[0:3]
	s_movk_i32 s4, 0xff
	v_and_b32_sdwa v13, v6, s4 dst_sel:DWORD dst_unused:UNUSED_PAD src0_sel:WORD_1 src1_sel:DWORD
	s_movk_i32 s4, 0x7f
	v_cmp_lt_i16_e32 vcc, s4, v13
	s_mov_b64 s[4:5], 0
                                        ; implicit-def: $sgpr10
	s_and_saveexec_b64 s[6:7], vcc
	s_xor_b64 s[6:7], exec, s[6:7]
	s_cbranch_execnz .LBB1_3089
; %bb.1041:
	s_or_saveexec_b64 s[6:7], s[6:7]
	v_mov_b32_e32 v12, s10
	s_xor_b64 exec, exec, s[6:7]
	s_cbranch_execnz .LBB1_3092
.LBB1_1042:
	s_or_b64 exec, exec, s[6:7]
	s_and_saveexec_b64 s[6:7], s[4:5]
	s_cbranch_execz .LBB1_1044
.LBB1_1043:
	v_bfe_u32 v12, v6, 16, 3
	v_ffbh_u32_e32 v15, v12
	v_min_u32_e32 v15, 32, v15
	v_lshrrev_b32_e32 v13, 19, v6
	v_subrev_u32_e32 v16, 28, v15
	v_and_b32_e32 v13, 15, v13
	v_lshlrev_b32_sdwa v16, v16, v6 dst_sel:DWORD dst_unused:UNUSED_PAD src0_sel:DWORD src1_sel:WORD_1
	v_bfe_u32 v14, v6, 19, 4
	v_sub_u32_e32 v15, 29, v15
	v_and_b32_e32 v16, 7, v16
	v_cmp_eq_u16_e32 vcc, 0, v13
	v_cndmask_b32_e32 v12, v12, v16, vcc
	v_cndmask_b32_e32 v13, v14, v15, vcc
	v_lshlrev_b32_e32 v14, 8, v6
	v_mov_b32_e32 v15, 0x3b800000
	v_lshlrev_b32_e32 v12, 20, v12
	v_and_b32_e32 v14, 0x80000000, v14
	v_lshl_add_u32 v13, v13, 23, v15
	v_or3_b32 v12, v14, v13, v12
.LBB1_1044:
	s_or_b64 exec, exec, s[6:7]
	s_movk_i32 s4, 0xff
	v_and_b32_sdwa v13, v2, s4 dst_sel:DWORD dst_unused:UNUSED_PAD src0_sel:WORD_1 src1_sel:DWORD
	s_movk_i32 s4, 0x7f
	v_cmp_lt_i16_e32 vcc, s4, v13
	s_mov_b64 s[4:5], 0
                                        ; implicit-def: $sgpr10
	s_and_saveexec_b64 s[6:7], vcc
	s_xor_b64 s[6:7], exec, s[6:7]
	s_cbranch_execnz .LBB1_3093
; %bb.1045:
	s_or_saveexec_b64 s[6:7], s[6:7]
	v_mov_b32_e32 v14, s10
	s_xor_b64 exec, exec, s[6:7]
	s_cbranch_execnz .LBB1_3096
.LBB1_1046:
	s_or_b64 exec, exec, s[6:7]
	s_and_saveexec_b64 s[6:7], s[4:5]
	s_cbranch_execz .LBB1_1048
.LBB1_1047:
	v_bfe_u32 v13, v2, 16, 3
	v_ffbh_u32_e32 v16, v13
	v_min_u32_e32 v16, 32, v16
	v_lshrrev_b32_e32 v14, 19, v2
	v_subrev_u32_e32 v17, 28, v16
	v_and_b32_e32 v14, 15, v14
	v_lshlrev_b32_sdwa v17, v17, v2 dst_sel:DWORD dst_unused:UNUSED_PAD src0_sel:DWORD src1_sel:WORD_1
	v_bfe_u32 v15, v2, 19, 4
	v_sub_u32_e32 v16, 29, v16
	v_and_b32_e32 v17, 7, v17
	v_cmp_eq_u16_e32 vcc, 0, v14
	v_cndmask_b32_e32 v13, v13, v17, vcc
	v_cndmask_b32_e32 v14, v15, v16, vcc
	v_lshlrev_b32_e32 v15, 8, v2
	v_mov_b32_e32 v16, 0x3b800000
	v_lshlrev_b32_e32 v13, 20, v13
	v_and_b32_e32 v15, 0x80000000, v15
	v_lshl_add_u32 v14, v14, 23, v16
	v_or3_b32 v14, v15, v14, v13
.LBB1_1048:
	s_or_b64 exec, exec, s[6:7]
	s_nop 0
	v_mfma_f32_16x16x4f32 a[0:3], v12, v14, a[0:3]
	s_movk_i32 s4, 0x7f
	v_cmp_gt_i16_sdwa s[6:7], v6, s4 src0_sel:BYTE_3 src1_sel:DWORD
	s_mov_b64 s[4:5], 0
                                        ; implicit-def: $sgpr10
	s_and_saveexec_b64 s[8:9], s[6:7]
	s_xor_b64 s[6:7], exec, s[8:9]
	s_cbranch_execnz .LBB1_3097
; %bb.1049:
	s_or_saveexec_b64 s[6:7], s[6:7]
	v_mov_b32_e32 v12, s10
	s_xor_b64 exec, exec, s[6:7]
	s_cbranch_execnz .LBB1_3100
.LBB1_1050:
	s_or_b64 exec, exec, s[6:7]
	s_and_saveexec_b64 s[6:7], s[4:5]
	s_cbranch_execz .LBB1_1052
.LBB1_1051:
	v_bfe_u32 v12, v6, 24, 3
	v_ffbh_u32_e32 v16, v12
	v_min_u32_e32 v16, 32, v16
	v_lshrrev_b32_e32 v14, 27, v6
	v_subrev_u32_e32 v17, 28, v16
	v_and_b32_e32 v13, 0x80000000, v6
	v_and_b32_e32 v14, 15, v14
	v_bfe_u32 v15, v6, 27, 4
	v_lshlrev_b32_sdwa v6, v17, v6 dst_sel:DWORD dst_unused:UNUSED_PAD src0_sel:DWORD src1_sel:BYTE_3
	v_sub_u32_e32 v16, 29, v16
	v_and_b32_e32 v6, 7, v6
	v_cmp_eq_u16_e32 vcc, 0, v14
	v_cndmask_b32_e32 v6, v12, v6, vcc
	v_cndmask_b32_e32 v12, v15, v16, vcc
	v_mov_b32_e32 v14, 0x3b800000
	v_lshlrev_b32_e32 v6, 20, v6
	v_lshl_add_u32 v12, v12, 23, v14
	v_or3_b32 v12, v13, v12, v6
.LBB1_1052:
	s_or_b64 exec, exec, s[6:7]
	s_movk_i32 s4, 0x7f
	v_cmp_gt_i16_sdwa s[6:7], v2, s4 src0_sel:BYTE_3 src1_sel:DWORD
	s_mov_b64 s[4:5], 0
                                        ; implicit-def: $sgpr10
	s_and_saveexec_b64 s[8:9], s[6:7]
	s_xor_b64 s[6:7], exec, s[8:9]
	s_cbranch_execnz .LBB1_3101
; %bb.1053:
	s_or_saveexec_b64 s[6:7], s[6:7]
	v_mov_b32_e32 v6, s10
	s_xor_b64 exec, exec, s[6:7]
	s_cbranch_execnz .LBB1_3104
.LBB1_1054:
	s_or_b64 exec, exec, s[6:7]
	s_and_saveexec_b64 s[6:7], s[4:5]
	s_cbranch_execz .LBB1_1056
.LBB1_1055:
	v_bfe_u32 v6, v2, 24, 3
	v_ffbh_u32_e32 v16, v6
	v_min_u32_e32 v16, 32, v16
	v_lshrrev_b32_e32 v14, 27, v2
	v_subrev_u32_e32 v17, 28, v16
	v_and_b32_e32 v13, 0x80000000, v2
	v_and_b32_e32 v14, 15, v14
	v_bfe_u32 v15, v2, 27, 4
	v_lshlrev_b32_sdwa v2, v17, v2 dst_sel:DWORD dst_unused:UNUSED_PAD src0_sel:DWORD src1_sel:BYTE_3
	v_sub_u32_e32 v16, 29, v16
	v_and_b32_e32 v2, 7, v2
	v_cmp_eq_u16_e32 vcc, 0, v14
	v_cndmask_b32_e32 v2, v6, v2, vcc
	v_cndmask_b32_e32 v6, v15, v16, vcc
	v_mov_b32_e32 v14, 0x3b800000
	v_lshlrev_b32_e32 v2, 20, v2
	v_lshl_add_u32 v6, v6, 23, v14
	v_or3_b32 v6, v13, v6, v2
.LBB1_1056:
	s_or_b64 exec, exec, s[6:7]
	s_nop 0
	v_mfma_f32_16x16x4f32 a[0:3], v12, v6, a[0:3]
	s_movk_i32 s4, 0x7f
	v_cmp_gt_i16_sdwa s[6:7], v7, s4 src0_sel:BYTE_0 src1_sel:DWORD
	s_mov_b64 s[4:5], 0
                                        ; implicit-def: $sgpr10
	s_and_saveexec_b64 s[8:9], s[6:7]
	s_xor_b64 s[6:7], exec, s[8:9]
	s_cbranch_execnz .LBB1_3105
; %bb.1057:
	s_or_saveexec_b64 s[6:7], s[6:7]
	v_mov_b32_e32 v2, s10
	s_xor_b64 exec, exec, s[6:7]
	s_cbranch_execnz .LBB1_3108
.LBB1_1058:
	s_or_b64 exec, exec, s[6:7]
	s_and_saveexec_b64 s[6:7], s[4:5]
	s_cbranch_execz .LBB1_1060
.LBB1_1059:
	v_and_b32_e32 v2, 7, v7
	v_ffbh_u32_e32 v12, v2
	v_min_u32_e32 v12, 32, v12
	v_lshrrev_b16_e32 v6, 3, v7
	v_subrev_u32_e32 v13, 28, v12
	v_and_b32_e32 v6, 15, v6
	v_lshlrev_b32_e32 v13, v13, v7
	v_sub_u32_e32 v12, 29, v12
	v_and_b32_e32 v13, 7, v13
	v_cmp_eq_u16_e32 vcc, 0, v6
	v_cndmask_b32_e32 v2, v2, v13, vcc
	v_cndmask_b32_e32 v6, v6, v12, vcc
	v_lshlrev_b32_e32 v12, 24, v7
	v_mov_b32_e32 v13, 0x3b800000
	v_lshlrev_b32_e32 v2, 20, v2
	v_and_b32_e32 v12, 0x80000000, v12
	v_lshl_add_u32 v6, v6, 23, v13
	v_or3_b32 v2, v12, v6, v2
.LBB1_1060:
	s_or_b64 exec, exec, s[6:7]
	s_movk_i32 s4, 0x7f
	v_cmp_gt_i16_sdwa s[6:7], v3, s4 src0_sel:BYTE_0 src1_sel:DWORD
	s_mov_b64 s[4:5], 0
                                        ; implicit-def: $sgpr10
	s_and_saveexec_b64 s[8:9], s[6:7]
	s_xor_b64 s[6:7], exec, s[8:9]
	s_cbranch_execnz .LBB1_3109
; %bb.1061:
	s_or_saveexec_b64 s[6:7], s[6:7]
	v_mov_b32_e32 v6, s10
	s_xor_b64 exec, exec, s[6:7]
	s_cbranch_execnz .LBB1_3112
.LBB1_1062:
	s_or_b64 exec, exec, s[6:7]
	s_and_saveexec_b64 s[6:7], s[4:5]
	s_cbranch_execz .LBB1_1064
.LBB1_1063:
	v_and_b32_e32 v6, 7, v3
	v_ffbh_u32_e32 v13, v6
	v_min_u32_e32 v13, 32, v13
	v_lshrrev_b16_e32 v12, 3, v3
	v_subrev_u32_e32 v14, 28, v13
	v_and_b32_e32 v12, 15, v12
	v_lshlrev_b32_e32 v14, v14, v3
	v_sub_u32_e32 v13, 29, v13
	v_and_b32_e32 v14, 7, v14
	v_cmp_eq_u16_e32 vcc, 0, v12
	v_cndmask_b32_e32 v6, v6, v14, vcc
	v_cndmask_b32_e32 v12, v12, v13, vcc
	v_lshlrev_b32_e32 v13, 24, v3
	v_mov_b32_e32 v14, 0x3b800000
	v_lshlrev_b32_e32 v6, 20, v6
	v_and_b32_e32 v13, 0x80000000, v13
	v_lshl_add_u32 v12, v12, 23, v14
	v_or3_b32 v6, v13, v12, v6
.LBB1_1064:
	s_or_b64 exec, exec, s[6:7]
	s_nop 0
	v_mfma_f32_16x16x4f32 a[0:3], v2, v6, a[0:3]
	v_lshrrev_b32_e32 v6, 8, v7
	s_movk_i32 s4, 0x7f
	v_cmp_gt_i16_sdwa s[6:7], v6, s4 src0_sel:BYTE_0 src1_sel:DWORD
	s_mov_b64 s[4:5], 0
                                        ; implicit-def: $sgpr10
	s_and_saveexec_b64 s[8:9], s[6:7]
	s_xor_b64 s[6:7], exec, s[8:9]
	s_cbranch_execnz .LBB1_3113
; %bb.1065:
	s_or_saveexec_b64 s[6:7], s[6:7]
	v_mov_b32_e32 v2, s10
	s_xor_b64 exec, exec, s[6:7]
	s_cbranch_execnz .LBB1_3116
.LBB1_1066:
	s_or_b64 exec, exec, s[6:7]
	s_and_saveexec_b64 s[6:7], s[4:5]
	s_cbranch_execz .LBB1_1068
.LBB1_1067:
	v_bfe_u32 v2, v7, 8, 3
	v_ffbh_u32_e32 v13, v2
	v_min_u32_e32 v13, 32, v13
	v_lshrrev_b16_e32 v12, 3, v6
	v_subrev_u32_e32 v14, 28, v13
	v_and_b32_e32 v12, 15, v12
	v_lshlrev_b32_e32 v6, v14, v6
	v_sub_u32_e32 v13, 29, v13
	v_and_b32_e32 v6, 7, v6
	v_cmp_eq_u16_e32 vcc, 0, v12
	v_cndmask_b32_e32 v2, v2, v6, vcc
	v_cndmask_b32_e32 v6, v12, v13, vcc
	v_lshlrev_b32_e32 v12, 16, v7
	v_mov_b32_e32 v13, 0x3b800000
	v_lshlrev_b32_e32 v2, 20, v2
	v_and_b32_e32 v12, 0x80000000, v12
	v_lshl_add_u32 v6, v6, 23, v13
	v_or3_b32 v2, v12, v6, v2
.LBB1_1068:
	s_or_b64 exec, exec, s[6:7]
	v_lshrrev_b32_e32 v6, 8, v3
	s_movk_i32 s4, 0x7f
	v_cmp_gt_i16_sdwa s[6:7], v6, s4 src0_sel:BYTE_0 src1_sel:DWORD
	s_mov_b64 s[4:5], 0
                                        ; implicit-def: $sgpr10
	s_and_saveexec_b64 s[8:9], s[6:7]
	s_xor_b64 s[6:7], exec, s[8:9]
	s_cbranch_execnz .LBB1_3117
; %bb.1069:
	s_or_saveexec_b64 s[6:7], s[6:7]
	v_mov_b32_e32 v12, s10
	s_xor_b64 exec, exec, s[6:7]
	s_cbranch_execnz .LBB1_3120
.LBB1_1070:
	s_or_b64 exec, exec, s[6:7]
	s_and_saveexec_b64 s[6:7], s[4:5]
	s_cbranch_execz .LBB1_1072
.LBB1_1071:
	v_bfe_u32 v12, v3, 8, 3
	v_ffbh_u32_e32 v14, v12
	v_min_u32_e32 v14, 32, v14
	v_lshrrev_b16_e32 v13, 3, v6
	v_subrev_u32_e32 v15, 28, v14
	v_and_b32_e32 v13, 15, v13
	v_lshlrev_b32_e32 v6, v15, v6
	v_sub_u32_e32 v14, 29, v14
	v_and_b32_e32 v6, 7, v6
	v_cmp_eq_u16_e32 vcc, 0, v13
	v_cndmask_b32_e32 v6, v12, v6, vcc
	v_cndmask_b32_e32 v12, v13, v14, vcc
	v_lshlrev_b32_e32 v13, 16, v3
	v_mov_b32_e32 v14, 0x3b800000
	v_lshlrev_b32_e32 v6, 20, v6
	v_and_b32_e32 v13, 0x80000000, v13
	v_lshl_add_u32 v12, v12, 23, v14
	v_or3_b32 v12, v13, v12, v6
.LBB1_1072:
	s_or_b64 exec, exec, s[6:7]
	s_nop 0
	v_mfma_f32_16x16x4f32 a[0:3], v2, v12, a[0:3]
	s_movk_i32 s4, 0xff
	v_and_b32_sdwa v6, v7, s4 dst_sel:DWORD dst_unused:UNUSED_PAD src0_sel:WORD_1 src1_sel:DWORD
	s_movk_i32 s4, 0x7f
	v_cmp_lt_i16_e32 vcc, s4, v6
	s_mov_b64 s[4:5], 0
                                        ; implicit-def: $sgpr10
	s_and_saveexec_b64 s[6:7], vcc
	s_xor_b64 s[6:7], exec, s[6:7]
	s_cbranch_execnz .LBB1_3121
; %bb.1073:
	s_or_saveexec_b64 s[6:7], s[6:7]
	v_mov_b32_e32 v2, s10
	s_xor_b64 exec, exec, s[6:7]
	s_cbranch_execnz .LBB1_3124
.LBB1_1074:
	s_or_b64 exec, exec, s[6:7]
	s_and_saveexec_b64 s[6:7], s[4:5]
	s_cbranch_execz .LBB1_1076
.LBB1_1075:
	v_bfe_u32 v2, v7, 16, 3
	v_ffbh_u32_e32 v13, v2
	v_min_u32_e32 v13, 32, v13
	v_lshrrev_b32_e32 v6, 19, v7
	v_subrev_u32_e32 v14, 28, v13
	v_and_b32_e32 v6, 15, v6
	v_lshlrev_b32_sdwa v14, v14, v7 dst_sel:DWORD dst_unused:UNUSED_PAD src0_sel:DWORD src1_sel:WORD_1
	v_bfe_u32 v12, v7, 19, 4
	v_sub_u32_e32 v13, 29, v13
	v_and_b32_e32 v14, 7, v14
	v_cmp_eq_u16_e32 vcc, 0, v6
	v_cndmask_b32_e32 v2, v2, v14, vcc
	v_cndmask_b32_e32 v6, v12, v13, vcc
	v_lshlrev_b32_e32 v12, 8, v7
	v_mov_b32_e32 v13, 0x3b800000
	v_lshlrev_b32_e32 v2, 20, v2
	v_and_b32_e32 v12, 0x80000000, v12
	v_lshl_add_u32 v6, v6, 23, v13
	v_or3_b32 v2, v12, v6, v2
.LBB1_1076:
	s_or_b64 exec, exec, s[6:7]
	s_movk_i32 s4, 0xff
	v_and_b32_sdwa v6, v3, s4 dst_sel:DWORD dst_unused:UNUSED_PAD src0_sel:WORD_1 src1_sel:DWORD
	s_movk_i32 s4, 0x7f
	v_cmp_lt_i16_e32 vcc, s4, v6
	s_mov_b64 s[4:5], 0
                                        ; implicit-def: $sgpr10
	s_and_saveexec_b64 s[6:7], vcc
	s_xor_b64 s[6:7], exec, s[6:7]
	s_cbranch_execnz .LBB1_3125
; %bb.1077:
	s_or_saveexec_b64 s[6:7], s[6:7]
	v_mov_b32_e32 v12, s10
	s_xor_b64 exec, exec, s[6:7]
	s_cbranch_execnz .LBB1_3128
.LBB1_1078:
	s_or_b64 exec, exec, s[6:7]
	s_and_saveexec_b64 s[6:7], s[4:5]
	s_cbranch_execz .LBB1_1080
.LBB1_1079:
	v_bfe_u32 v6, v3, 16, 3
	v_ffbh_u32_e32 v14, v6
	v_min_u32_e32 v14, 32, v14
	v_lshrrev_b32_e32 v12, 19, v3
	v_subrev_u32_e32 v15, 28, v14
	v_and_b32_e32 v12, 15, v12
	v_lshlrev_b32_sdwa v15, v15, v3 dst_sel:DWORD dst_unused:UNUSED_PAD src0_sel:DWORD src1_sel:WORD_1
	v_bfe_u32 v13, v3, 19, 4
	v_sub_u32_e32 v14, 29, v14
	v_and_b32_e32 v15, 7, v15
	v_cmp_eq_u16_e32 vcc, 0, v12
	v_cndmask_b32_e32 v6, v6, v15, vcc
	v_cndmask_b32_e32 v12, v13, v14, vcc
	v_lshlrev_b32_e32 v13, 8, v3
	v_mov_b32_e32 v14, 0x3b800000
	v_lshlrev_b32_e32 v6, 20, v6
	v_and_b32_e32 v13, 0x80000000, v13
	v_lshl_add_u32 v12, v12, 23, v14
	v_or3_b32 v12, v13, v12, v6
.LBB1_1080:
	s_or_b64 exec, exec, s[6:7]
	s_nop 0
	v_mfma_f32_16x16x4f32 a[0:3], v2, v12, a[0:3]
	s_movk_i32 s4, 0x7f
	v_cmp_gt_i16_sdwa s[6:7], v7, s4 src0_sel:BYTE_3 src1_sel:DWORD
	s_mov_b64 s[4:5], 0
                                        ; implicit-def: $sgpr10
	s_and_saveexec_b64 s[8:9], s[6:7]
	s_xor_b64 s[6:7], exec, s[8:9]
	s_cbranch_execnz .LBB1_3129
; %bb.1081:
	s_or_saveexec_b64 s[6:7], s[6:7]
	v_mov_b32_e32 v2, s10
	s_xor_b64 exec, exec, s[6:7]
	s_cbranch_execnz .LBB1_3132
.LBB1_1082:
	s_or_b64 exec, exec, s[6:7]
	s_and_saveexec_b64 s[6:7], s[4:5]
	s_cbranch_execz .LBB1_1084
.LBB1_1083:
	v_bfe_u32 v2, v7, 24, 3
	v_ffbh_u32_e32 v14, v2
	v_min_u32_e32 v14, 32, v14
	v_lshrrev_b32_e32 v12, 27, v7
	v_subrev_u32_e32 v15, 28, v14
	v_and_b32_e32 v6, 0x80000000, v7
	v_and_b32_e32 v12, 15, v12
	v_bfe_u32 v13, v7, 27, 4
	v_lshlrev_b32_sdwa v7, v15, v7 dst_sel:DWORD dst_unused:UNUSED_PAD src0_sel:DWORD src1_sel:BYTE_3
	v_sub_u32_e32 v14, 29, v14
	v_and_b32_e32 v7, 7, v7
	v_cmp_eq_u16_e32 vcc, 0, v12
	v_cndmask_b32_e32 v2, v2, v7, vcc
	v_cndmask_b32_e32 v7, v13, v14, vcc
	v_mov_b32_e32 v12, 0x3b800000
	v_lshlrev_b32_e32 v2, 20, v2
	v_lshl_add_u32 v7, v7, 23, v12
	v_or3_b32 v2, v6, v7, v2
.LBB1_1084:
	s_or_b64 exec, exec, s[6:7]
	s_movk_i32 s4, 0x7f
	v_cmp_gt_i16_sdwa s[6:7], v3, s4 src0_sel:BYTE_3 src1_sel:DWORD
	s_mov_b64 s[4:5], 0
                                        ; implicit-def: $sgpr10
	s_and_saveexec_b64 s[8:9], s[6:7]
	s_xor_b64 s[6:7], exec, s[8:9]
	s_cbranch_execnz .LBB1_3133
; %bb.1085:
	s_or_saveexec_b64 s[6:7], s[6:7]
	v_mov_b32_e32 v6, s10
	s_xor_b64 exec, exec, s[6:7]
	s_cbranch_execnz .LBB1_3136
.LBB1_1086:
	s_or_b64 exec, exec, s[6:7]
	s_and_saveexec_b64 s[6:7], s[4:5]
	s_cbranch_execz .LBB1_1088
.LBB1_1087:
	v_bfe_u32 v6, v3, 24, 3
	v_ffbh_u32_e32 v14, v6
	v_min_u32_e32 v14, 32, v14
	v_lshrrev_b32_e32 v12, 27, v3
	v_subrev_u32_e32 v15, 28, v14
	v_and_b32_e32 v7, 0x80000000, v3
	v_and_b32_e32 v12, 15, v12
	v_bfe_u32 v13, v3, 27, 4
	v_lshlrev_b32_sdwa v3, v15, v3 dst_sel:DWORD dst_unused:UNUSED_PAD src0_sel:DWORD src1_sel:BYTE_3
	v_sub_u32_e32 v14, 29, v14
	v_and_b32_e32 v3, 7, v3
	v_cmp_eq_u16_e32 vcc, 0, v12
	v_cndmask_b32_e32 v3, v6, v3, vcc
	v_cndmask_b32_e32 v6, v13, v14, vcc
	v_mov_b32_e32 v12, 0x3b800000
	v_lshlrev_b32_e32 v3, 20, v3
	v_lshl_add_u32 v6, v6, 23, v12
	v_or3_b32 v6, v7, v6, v3
.LBB1_1088:
	s_or_b64 exec, exec, s[6:7]
	s_nop 0
	v_mfma_f32_16x16x4f32 a[0:3], v2, v6, a[0:3]
	s_movk_i32 s4, 0x7f
	v_cmp_gt_i16_sdwa s[6:7], v8, s4 src0_sel:BYTE_0 src1_sel:DWORD
	s_mov_b64 s[4:5], 0
                                        ; implicit-def: $sgpr10
	s_and_saveexec_b64 s[8:9], s[6:7]
	s_xor_b64 s[6:7], exec, s[8:9]
	s_cbranch_execnz .LBB1_3137
; %bb.1089:
	s_or_saveexec_b64 s[6:7], s[6:7]
	v_mov_b32_e32 v2, s10
	s_xor_b64 exec, exec, s[6:7]
	s_cbranch_execnz .LBB1_3140
.LBB1_1090:
	s_or_b64 exec, exec, s[6:7]
	s_and_saveexec_b64 s[6:7], s[4:5]
	s_cbranch_execz .LBB1_1092
.LBB1_1091:
	v_and_b32_e32 v2, 7, v8
	v_ffbh_u32_e32 v6, v2
	v_min_u32_e32 v6, 32, v6
	v_lshrrev_b16_e32 v3, 3, v8
	v_subrev_u32_e32 v7, 28, v6
	v_and_b32_e32 v3, 15, v3
	v_lshlrev_b32_e32 v7, v7, v8
	v_sub_u32_e32 v6, 29, v6
	v_and_b32_e32 v7, 7, v7
	v_cmp_eq_u16_e32 vcc, 0, v3
	v_cndmask_b32_e32 v2, v2, v7, vcc
	v_cndmask_b32_e32 v3, v3, v6, vcc
	v_lshlrev_b32_e32 v6, 24, v8
	v_mov_b32_e32 v7, 0x3b800000
	v_lshlrev_b32_e32 v2, 20, v2
	v_and_b32_e32 v6, 0x80000000, v6
	v_lshl_add_u32 v3, v3, 23, v7
	v_or3_b32 v2, v6, v3, v2
.LBB1_1092:
	s_or_b64 exec, exec, s[6:7]
	s_movk_i32 s4, 0x7f
	v_cmp_gt_i16_sdwa s[6:7], v4, s4 src0_sel:BYTE_0 src1_sel:DWORD
	s_mov_b64 s[4:5], 0
                                        ; implicit-def: $sgpr10
	s_and_saveexec_b64 s[8:9], s[6:7]
	s_xor_b64 s[6:7], exec, s[8:9]
	s_cbranch_execnz .LBB1_3141
; %bb.1093:
	s_or_saveexec_b64 s[6:7], s[6:7]
	v_mov_b32_e32 v3, s10
	s_xor_b64 exec, exec, s[6:7]
	s_cbranch_execnz .LBB1_3144
.LBB1_1094:
	s_or_b64 exec, exec, s[6:7]
	s_and_saveexec_b64 s[6:7], s[4:5]
	s_cbranch_execz .LBB1_1096
.LBB1_1095:
	v_and_b32_e32 v3, 7, v4
	v_ffbh_u32_e32 v7, v3
	v_min_u32_e32 v7, 32, v7
	v_lshrrev_b16_e32 v6, 3, v4
	v_subrev_u32_e32 v12, 28, v7
	v_and_b32_e32 v6, 15, v6
	v_lshlrev_b32_e32 v12, v12, v4
	v_sub_u32_e32 v7, 29, v7
	v_and_b32_e32 v12, 7, v12
	v_cmp_eq_u16_e32 vcc, 0, v6
	v_cndmask_b32_e32 v3, v3, v12, vcc
	v_cndmask_b32_e32 v6, v6, v7, vcc
	v_lshlrev_b32_e32 v7, 24, v4
	v_mov_b32_e32 v12, 0x3b800000
	v_lshlrev_b32_e32 v3, 20, v3
	v_and_b32_e32 v7, 0x80000000, v7
	v_lshl_add_u32 v6, v6, 23, v12
	v_or3_b32 v3, v7, v6, v3
.LBB1_1096:
	s_or_b64 exec, exec, s[6:7]
	s_nop 0
	v_mfma_f32_16x16x4f32 a[0:3], v2, v3, a[0:3]
	v_lshrrev_b32_e32 v3, 8, v8
	s_movk_i32 s4, 0x7f
	v_cmp_gt_i16_sdwa s[6:7], v3, s4 src0_sel:BYTE_0 src1_sel:DWORD
	s_mov_b64 s[4:5], 0
                                        ; implicit-def: $sgpr10
	s_and_saveexec_b64 s[8:9], s[6:7]
	s_xor_b64 s[6:7], exec, s[8:9]
	s_cbranch_execnz .LBB1_3145
; %bb.1097:
	s_or_saveexec_b64 s[6:7], s[6:7]
	v_mov_b32_e32 v2, s10
	s_xor_b64 exec, exec, s[6:7]
	s_cbranch_execnz .LBB1_3148
.LBB1_1098:
	s_or_b64 exec, exec, s[6:7]
	s_and_saveexec_b64 s[6:7], s[4:5]
	s_cbranch_execz .LBB1_1100
.LBB1_1099:
	v_bfe_u32 v2, v8, 8, 3
	v_ffbh_u32_e32 v7, v2
	v_min_u32_e32 v7, 32, v7
	v_lshrrev_b16_e32 v6, 3, v3
	v_subrev_u32_e32 v12, 28, v7
	v_and_b32_e32 v6, 15, v6
	v_lshlrev_b32_e32 v3, v12, v3
	v_sub_u32_e32 v7, 29, v7
	v_and_b32_e32 v3, 7, v3
	v_cmp_eq_u16_e32 vcc, 0, v6
	v_cndmask_b32_e32 v2, v2, v3, vcc
	v_cndmask_b32_e32 v3, v6, v7, vcc
	v_lshlrev_b32_e32 v6, 16, v8
	v_mov_b32_e32 v7, 0x3b800000
	v_lshlrev_b32_e32 v2, 20, v2
	v_and_b32_e32 v6, 0x80000000, v6
	v_lshl_add_u32 v3, v3, 23, v7
	v_or3_b32 v2, v6, v3, v2
.LBB1_1100:
	s_or_b64 exec, exec, s[6:7]
	v_lshrrev_b32_e32 v3, 8, v4
	s_movk_i32 s4, 0x7f
	v_cmp_gt_i16_sdwa s[6:7], v3, s4 src0_sel:BYTE_0 src1_sel:DWORD
	s_mov_b64 s[4:5], 0
                                        ; implicit-def: $sgpr10
	s_and_saveexec_b64 s[8:9], s[6:7]
	s_xor_b64 s[6:7], exec, s[8:9]
	s_cbranch_execnz .LBB1_3149
; %bb.1101:
	s_or_saveexec_b64 s[6:7], s[6:7]
	v_mov_b32_e32 v6, s10
	s_xor_b64 exec, exec, s[6:7]
	s_cbranch_execnz .LBB1_3152
.LBB1_1102:
	s_or_b64 exec, exec, s[6:7]
	s_and_saveexec_b64 s[6:7], s[4:5]
	s_cbranch_execz .LBB1_1104
.LBB1_1103:
	v_bfe_u32 v6, v4, 8, 3
	v_ffbh_u32_e32 v12, v6
	v_min_u32_e32 v12, 32, v12
	v_lshrrev_b16_e32 v7, 3, v3
	v_subrev_u32_e32 v13, 28, v12
	v_and_b32_e32 v7, 15, v7
	v_lshlrev_b32_e32 v3, v13, v3
	v_sub_u32_e32 v12, 29, v12
	v_and_b32_e32 v3, 7, v3
	v_cmp_eq_u16_e32 vcc, 0, v7
	v_cndmask_b32_e32 v3, v6, v3, vcc
	v_cndmask_b32_e32 v6, v7, v12, vcc
	v_lshlrev_b32_e32 v7, 16, v4
	v_mov_b32_e32 v12, 0x3b800000
	v_lshlrev_b32_e32 v3, 20, v3
	v_and_b32_e32 v7, 0x80000000, v7
	v_lshl_add_u32 v6, v6, 23, v12
	v_or3_b32 v6, v7, v6, v3
.LBB1_1104:
	s_or_b64 exec, exec, s[6:7]
	s_nop 0
	v_mfma_f32_16x16x4f32 a[0:3], v2, v6, a[0:3]
	s_movk_i32 s4, 0xff
	v_and_b32_sdwa v3, v8, s4 dst_sel:DWORD dst_unused:UNUSED_PAD src0_sel:WORD_1 src1_sel:DWORD
	s_movk_i32 s4, 0x7f
	v_cmp_lt_i16_e32 vcc, s4, v3
	s_mov_b64 s[4:5], 0
                                        ; implicit-def: $sgpr10
	s_and_saveexec_b64 s[6:7], vcc
	s_xor_b64 s[6:7], exec, s[6:7]
	s_cbranch_execnz .LBB1_3153
; %bb.1105:
	s_or_saveexec_b64 s[6:7], s[6:7]
	v_mov_b32_e32 v2, s10
	s_xor_b64 exec, exec, s[6:7]
	s_cbranch_execnz .LBB1_3156
.LBB1_1106:
	s_or_b64 exec, exec, s[6:7]
	s_and_saveexec_b64 s[6:7], s[4:5]
	s_cbranch_execz .LBB1_1108
.LBB1_1107:
	v_bfe_u32 v2, v8, 16, 3
	v_ffbh_u32_e32 v7, v2
	v_min_u32_e32 v7, 32, v7
	v_lshrrev_b32_e32 v3, 19, v8
	v_subrev_u32_e32 v12, 28, v7
	v_and_b32_e32 v3, 15, v3
	v_lshlrev_b32_sdwa v12, v12, v8 dst_sel:DWORD dst_unused:UNUSED_PAD src0_sel:DWORD src1_sel:WORD_1
	v_bfe_u32 v6, v8, 19, 4
	v_sub_u32_e32 v7, 29, v7
	v_and_b32_e32 v12, 7, v12
	v_cmp_eq_u16_e32 vcc, 0, v3
	v_cndmask_b32_e32 v2, v2, v12, vcc
	v_cndmask_b32_e32 v3, v6, v7, vcc
	v_lshlrev_b32_e32 v6, 8, v8
	v_mov_b32_e32 v7, 0x3b800000
	v_lshlrev_b32_e32 v2, 20, v2
	v_and_b32_e32 v6, 0x80000000, v6
	v_lshl_add_u32 v3, v3, 23, v7
	v_or3_b32 v2, v6, v3, v2
.LBB1_1108:
	s_or_b64 exec, exec, s[6:7]
	s_movk_i32 s4, 0xff
	v_and_b32_sdwa v3, v4, s4 dst_sel:DWORD dst_unused:UNUSED_PAD src0_sel:WORD_1 src1_sel:DWORD
	s_movk_i32 s4, 0x7f
	v_cmp_lt_i16_e32 vcc, s4, v3
	s_mov_b64 s[4:5], 0
                                        ; implicit-def: $sgpr10
	s_and_saveexec_b64 s[6:7], vcc
	s_xor_b64 s[6:7], exec, s[6:7]
	s_cbranch_execnz .LBB1_3157
; %bb.1109:
	s_or_saveexec_b64 s[6:7], s[6:7]
	v_mov_b32_e32 v6, s10
	s_xor_b64 exec, exec, s[6:7]
	s_cbranch_execnz .LBB1_3160
.LBB1_1110:
	s_or_b64 exec, exec, s[6:7]
	s_and_saveexec_b64 s[6:7], s[4:5]
	s_cbranch_execz .LBB1_1112
.LBB1_1111:
	v_bfe_u32 v3, v4, 16, 3
	v_ffbh_u32_e32 v12, v3
	v_min_u32_e32 v12, 32, v12
	v_lshrrev_b32_e32 v6, 19, v4
	v_subrev_u32_e32 v13, 28, v12
	v_and_b32_e32 v6, 15, v6
	v_lshlrev_b32_sdwa v13, v13, v4 dst_sel:DWORD dst_unused:UNUSED_PAD src0_sel:DWORD src1_sel:WORD_1
	v_bfe_u32 v7, v4, 19, 4
	v_sub_u32_e32 v12, 29, v12
	v_and_b32_e32 v13, 7, v13
	v_cmp_eq_u16_e32 vcc, 0, v6
	v_cndmask_b32_e32 v3, v3, v13, vcc
	v_cndmask_b32_e32 v6, v7, v12, vcc
	v_lshlrev_b32_e32 v7, 8, v4
	v_mov_b32_e32 v12, 0x3b800000
	v_lshlrev_b32_e32 v3, 20, v3
	v_and_b32_e32 v7, 0x80000000, v7
	v_lshl_add_u32 v6, v6, 23, v12
	v_or3_b32 v6, v7, v6, v3
.LBB1_1112:
	s_or_b64 exec, exec, s[6:7]
	s_nop 0
	v_mfma_f32_16x16x4f32 a[0:3], v2, v6, a[0:3]
	s_movk_i32 s4, 0x7f
	v_cmp_gt_i16_sdwa s[6:7], v8, s4 src0_sel:BYTE_3 src1_sel:DWORD
	s_mov_b64 s[4:5], 0
                                        ; implicit-def: $sgpr10
	s_and_saveexec_b64 s[8:9], s[6:7]
	s_xor_b64 s[6:7], exec, s[8:9]
	s_cbranch_execnz .LBB1_3161
; %bb.1113:
	s_or_saveexec_b64 s[6:7], s[6:7]
	v_mov_b32_e32 v2, s10
	s_xor_b64 exec, exec, s[6:7]
	s_cbranch_execnz .LBB1_3164
.LBB1_1114:
	s_or_b64 exec, exec, s[6:7]
	s_and_saveexec_b64 s[6:7], s[4:5]
	s_cbranch_execz .LBB1_1116
.LBB1_1115:
	v_bfe_u32 v2, v8, 24, 3
	v_ffbh_u32_e32 v12, v2
	v_min_u32_e32 v12, 32, v12
	v_lshrrev_b32_e32 v6, 27, v8
	v_subrev_u32_e32 v13, 28, v12
	v_and_b32_e32 v3, 0x80000000, v8
	v_and_b32_e32 v6, 15, v6
	v_bfe_u32 v7, v8, 27, 4
	v_lshlrev_b32_sdwa v8, v13, v8 dst_sel:DWORD dst_unused:UNUSED_PAD src0_sel:DWORD src1_sel:BYTE_3
	v_sub_u32_e32 v12, 29, v12
	v_and_b32_e32 v8, 7, v8
	v_cmp_eq_u16_e32 vcc, 0, v6
	v_cndmask_b32_e32 v2, v2, v8, vcc
	v_cndmask_b32_e32 v6, v7, v12, vcc
	v_mov_b32_e32 v7, 0x3b800000
	v_lshlrev_b32_e32 v2, 20, v2
	v_lshl_add_u32 v6, v6, 23, v7
	v_or3_b32 v2, v3, v6, v2
.LBB1_1116:
	s_or_b64 exec, exec, s[6:7]
	s_movk_i32 s4, 0x7f
	v_cmp_gt_i16_sdwa s[6:7], v4, s4 src0_sel:BYTE_3 src1_sel:DWORD
	s_mov_b64 s[4:5], 0
                                        ; implicit-def: $sgpr10
	s_and_saveexec_b64 s[8:9], s[6:7]
	s_xor_b64 s[6:7], exec, s[8:9]
	s_cbranch_execnz .LBB1_3165
; %bb.1117:
	s_or_saveexec_b64 s[6:7], s[6:7]
	v_mov_b32_e32 v3, s10
	s_xor_b64 exec, exec, s[6:7]
	s_cbranch_execnz .LBB1_3168
.LBB1_1118:
	s_or_b64 exec, exec, s[6:7]
	s_and_saveexec_b64 s[6:7], s[4:5]
	s_cbranch_execz .LBB1_1120
.LBB1_1119:
	v_bfe_u32 v3, v4, 24, 3
	v_ffbh_u32_e32 v12, v3
	v_min_u32_e32 v12, 32, v12
	v_lshrrev_b32_e32 v7, 27, v4
	v_subrev_u32_e32 v13, 28, v12
	v_and_b32_e32 v6, 0x80000000, v4
	v_and_b32_e32 v7, 15, v7
	v_bfe_u32 v8, v4, 27, 4
	v_lshlrev_b32_sdwa v4, v13, v4 dst_sel:DWORD dst_unused:UNUSED_PAD src0_sel:DWORD src1_sel:BYTE_3
	v_sub_u32_e32 v12, 29, v12
	v_and_b32_e32 v4, 7, v4
	v_cmp_eq_u16_e32 vcc, 0, v7
	v_cndmask_b32_e32 v3, v3, v4, vcc
	v_cndmask_b32_e32 v4, v8, v12, vcc
	v_mov_b32_e32 v7, 0x3b800000
	v_lshlrev_b32_e32 v3, 20, v3
	v_lshl_add_u32 v4, v4, 23, v7
	v_or3_b32 v3, v6, v4, v3
.LBB1_1120:
	s_or_b64 exec, exec, s[6:7]
	s_nop 0
	v_mfma_f32_16x16x4f32 a[0:3], v2, v3, a[0:3]
	s_movk_i32 s4, 0x7f
	v_cmp_gt_i16_sdwa s[6:7], v9, s4 src0_sel:BYTE_0 src1_sel:DWORD
	s_mov_b64 s[4:5], 0
                                        ; implicit-def: $sgpr10
	s_and_saveexec_b64 s[8:9], s[6:7]
	s_xor_b64 s[6:7], exec, s[8:9]
	s_cbranch_execnz .LBB1_3169
; %bb.1121:
	s_or_saveexec_b64 s[6:7], s[6:7]
	v_mov_b32_e32 v2, s10
	s_xor_b64 exec, exec, s[6:7]
	s_cbranch_execnz .LBB1_3172
.LBB1_1122:
	s_or_b64 exec, exec, s[6:7]
	s_and_saveexec_b64 s[6:7], s[4:5]
	s_cbranch_execz .LBB1_1124
.LBB1_1123:
	v_mov_b32_e32 v2, 8
	v_and_b32_e32 v3, 7, v9
	v_lshrrev_b32_sdwa v2, v2, v9 dst_sel:BYTE_1 dst_unused:UNUSED_PAD src0_sel:DWORD src1_sel:DWORD
	v_ffbh_u32_e32 v4, v3
	v_or_b32_sdwa v2, v9, v2 dst_sel:DWORD dst_unused:UNUSED_PAD src0_sel:BYTE_0 src1_sel:DWORD
	v_min_u32_e32 v4, 32, v4
	v_lshrrev_b16_e32 v2, 3, v2
	v_subrev_u32_e32 v6, 28, v4
	v_and_b32_e32 v2, 15, v2
	v_lshlrev_b32_e32 v6, v6, v9
	v_sub_u32_e32 v4, 29, v4
	v_and_b32_e32 v6, 7, v6
	v_cmp_eq_u16_e32 vcc, 0, v2
	v_cndmask_b32_e32 v3, v3, v6, vcc
	v_cndmask_b32_e32 v2, v2, v4, vcc
	v_lshlrev_b32_e32 v4, 24, v9
	v_mov_b32_e32 v6, 0x3b800000
	v_lshlrev_b32_e32 v3, 20, v3
	v_and_b32_e32 v4, 0x80000000, v4
	v_lshl_add_u32 v2, v2, 23, v6
	v_or3_b32 v2, v4, v2, v3
.LBB1_1124:
	s_or_b64 exec, exec, s[6:7]
	s_movk_i32 s4, 0x7f
	v_cmp_gt_i16_sdwa s[6:7], v5, s4 src0_sel:BYTE_0 src1_sel:DWORD
	s_mov_b64 s[4:5], 0
                                        ; implicit-def: $sgpr10
	s_and_saveexec_b64 s[8:9], s[6:7]
	s_xor_b64 s[6:7], exec, s[8:9]
	s_cbranch_execnz .LBB1_3173
; %bb.1125:
	s_or_saveexec_b64 s[6:7], s[6:7]
	v_mov_b32_e32 v3, s10
	s_xor_b64 exec, exec, s[6:7]
	s_cbranch_execnz .LBB1_3176
.LBB1_1126:
	s_or_b64 exec, exec, s[6:7]
	s_and_saveexec_b64 s[6:7], s[4:5]
	s_cbranch_execz .LBB1_1128
.LBB1_1127:
	v_mov_b32_e32 v3, 8
	v_and_b32_e32 v4, 7, v5
	v_lshrrev_b32_sdwa v3, v3, v5 dst_sel:BYTE_1 dst_unused:UNUSED_PAD src0_sel:DWORD src1_sel:DWORD
	v_ffbh_u32_e32 v6, v4
	v_or_b32_sdwa v3, v5, v3 dst_sel:DWORD dst_unused:UNUSED_PAD src0_sel:BYTE_0 src1_sel:DWORD
	v_min_u32_e32 v6, 32, v6
	v_lshrrev_b16_e32 v3, 3, v3
	v_subrev_u32_e32 v7, 28, v6
	v_and_b32_e32 v3, 15, v3
	v_lshlrev_b32_e32 v7, v7, v5
	v_sub_u32_e32 v6, 29, v6
	v_and_b32_e32 v7, 7, v7
	v_cmp_eq_u16_e32 vcc, 0, v3
	v_cndmask_b32_e32 v4, v4, v7, vcc
	v_cndmask_b32_e32 v3, v3, v6, vcc
	v_lshlrev_b32_e32 v6, 24, v5
	v_mov_b32_e32 v7, 0x3b800000
	v_lshlrev_b32_e32 v4, 20, v4
	v_and_b32_e32 v6, 0x80000000, v6
	v_lshl_add_u32 v3, v3, 23, v7
	v_or3_b32 v3, v6, v3, v4
.LBB1_1128:
	s_or_b64 exec, exec, s[6:7]
	s_nop 0
	v_mfma_f32_16x16x4f32 a[0:3], v2, v3, a[0:3]
	v_lshrrev_b32_e32 v3, 8, v9
	s_movk_i32 s4, 0x7f
	v_cmp_gt_i16_sdwa s[6:7], v3, s4 src0_sel:BYTE_0 src1_sel:DWORD
	s_mov_b64 s[4:5], 0
                                        ; implicit-def: $sgpr10
	s_and_saveexec_b64 s[8:9], s[6:7]
	s_xor_b64 s[6:7], exec, s[8:9]
	s_cbranch_execnz .LBB1_3177
; %bb.1129:
	s_or_saveexec_b64 s[6:7], s[6:7]
	v_mov_b32_e32 v2, s10
	s_xor_b64 exec, exec, s[6:7]
	s_cbranch_execnz .LBB1_3180
.LBB1_1130:
	s_or_b64 exec, exec, s[6:7]
	s_and_saveexec_b64 s[6:7], s[4:5]
	s_cbranch_execz .LBB1_1132
.LBB1_1131:
	v_bfe_u32 v2, v9, 8, 3
	v_ffbh_u32_e32 v6, v2
	v_min_u32_e32 v6, 32, v6
	v_lshrrev_b16_e32 v4, 3, v3
	v_subrev_u32_e32 v7, 28, v6
	v_and_b32_e32 v4, 15, v4
	v_lshlrev_b32_e32 v3, v7, v3
	v_sub_u32_e32 v6, 29, v6
	v_and_b32_e32 v3, 7, v3
	v_cmp_eq_u16_e32 vcc, 0, v4
	v_cndmask_b32_e32 v2, v2, v3, vcc
	v_cndmask_b32_e32 v3, v4, v6, vcc
	v_lshlrev_b32_e32 v4, 16, v9
	v_mov_b32_e32 v6, 0x3b800000
	v_lshlrev_b32_e32 v2, 20, v2
	v_and_b32_e32 v4, 0x80000000, v4
	v_lshl_add_u32 v3, v3, 23, v6
	v_or3_b32 v2, v4, v3, v2
.LBB1_1132:
	s_or_b64 exec, exec, s[6:7]
	v_lshrrev_b32_e32 v3, 8, v5
	s_movk_i32 s4, 0x7f
	v_cmp_gt_i16_sdwa s[6:7], v3, s4 src0_sel:BYTE_0 src1_sel:DWORD
	s_mov_b64 s[4:5], 0
                                        ; implicit-def: $sgpr10
	s_and_saveexec_b64 s[8:9], s[6:7]
	s_xor_b64 s[6:7], exec, s[8:9]
	s_cbranch_execnz .LBB1_3181
; %bb.1133:
	s_or_saveexec_b64 s[6:7], s[6:7]
	v_mov_b32_e32 v4, s10
	s_xor_b64 exec, exec, s[6:7]
	s_cbranch_execnz .LBB1_3184
.LBB1_1134:
	s_or_b64 exec, exec, s[6:7]
	s_and_saveexec_b64 s[6:7], s[4:5]
	s_cbranch_execz .LBB1_1136
.LBB1_1135:
	v_bfe_u32 v4, v5, 8, 3
	v_ffbh_u32_e32 v7, v4
	v_min_u32_e32 v7, 32, v7
	v_lshrrev_b16_e32 v6, 3, v3
	v_subrev_u32_e32 v8, 28, v7
	v_and_b32_e32 v6, 15, v6
	v_lshlrev_b32_e32 v3, v8, v3
	v_sub_u32_e32 v7, 29, v7
	v_and_b32_e32 v3, 7, v3
	v_cmp_eq_u16_e32 vcc, 0, v6
	v_cndmask_b32_e32 v3, v4, v3, vcc
	v_cndmask_b32_e32 v4, v6, v7, vcc
	v_lshlrev_b32_e32 v6, 16, v5
	v_mov_b32_e32 v7, 0x3b800000
	v_lshlrev_b32_e32 v3, 20, v3
	v_and_b32_e32 v6, 0x80000000, v6
	v_lshl_add_u32 v4, v4, 23, v7
	v_or3_b32 v4, v6, v4, v3
.LBB1_1136:
	s_or_b64 exec, exec, s[6:7]
	s_nop 0
	v_mfma_f32_16x16x4f32 a[0:3], v2, v4, a[0:3]
	s_movk_i32 s4, 0xff
	v_and_b32_sdwa v3, v9, s4 dst_sel:DWORD dst_unused:UNUSED_PAD src0_sel:WORD_1 src1_sel:DWORD
	s_movk_i32 s4, 0x7f
	v_cmp_lt_i16_e32 vcc, s4, v3
	s_mov_b64 s[4:5], 0
                                        ; implicit-def: $sgpr10
	s_and_saveexec_b64 s[6:7], vcc
	s_xor_b64 s[6:7], exec, s[6:7]
	s_cbranch_execnz .LBB1_3185
; %bb.1137:
	s_or_saveexec_b64 s[6:7], s[6:7]
	v_mov_b32_e32 v2, s10
	s_xor_b64 exec, exec, s[6:7]
	s_cbranch_execnz .LBB1_3188
.LBB1_1138:
	s_or_b64 exec, exec, s[6:7]
	s_and_saveexec_b64 s[6:7], s[4:5]
	s_cbranch_execz .LBB1_1140
.LBB1_1139:
	v_bfe_u32 v2, v9, 16, 3
	v_ffbh_u32_e32 v6, v2
	v_min_u32_e32 v6, 32, v6
	v_lshrrev_b32_e32 v3, 19, v9
	v_subrev_u32_e32 v7, 28, v6
	v_and_b32_e32 v3, 15, v3
	v_lshlrev_b32_sdwa v7, v7, v9 dst_sel:DWORD dst_unused:UNUSED_PAD src0_sel:DWORD src1_sel:WORD_1
	v_bfe_u32 v4, v9, 19, 4
	v_sub_u32_e32 v6, 29, v6
	v_and_b32_e32 v7, 7, v7
	v_cmp_eq_u16_e32 vcc, 0, v3
	v_cndmask_b32_e32 v2, v2, v7, vcc
	v_cndmask_b32_e32 v3, v4, v6, vcc
	v_lshlrev_b32_e32 v4, 8, v9
	v_mov_b32_e32 v6, 0x3b800000
	v_lshlrev_b32_e32 v2, 20, v2
	v_and_b32_e32 v4, 0x80000000, v4
	v_lshl_add_u32 v3, v3, 23, v6
	v_or3_b32 v2, v4, v3, v2
.LBB1_1140:
	s_or_b64 exec, exec, s[6:7]
	s_movk_i32 s4, 0xff
	v_and_b32_sdwa v3, v5, s4 dst_sel:DWORD dst_unused:UNUSED_PAD src0_sel:WORD_1 src1_sel:DWORD
	s_movk_i32 s4, 0x7f
	v_cmp_lt_i16_e32 vcc, s4, v3
	s_mov_b64 s[4:5], 0
                                        ; implicit-def: $sgpr10
	s_and_saveexec_b64 s[6:7], vcc
	s_xor_b64 s[6:7], exec, s[6:7]
	s_cbranch_execnz .LBB1_3189
; %bb.1141:
	s_or_saveexec_b64 s[6:7], s[6:7]
	v_mov_b32_e32 v4, s10
	s_xor_b64 exec, exec, s[6:7]
	s_cbranch_execnz .LBB1_3192
.LBB1_1142:
	s_or_b64 exec, exec, s[6:7]
	s_and_saveexec_b64 s[6:7], s[4:5]
	s_cbranch_execz .LBB1_1144
.LBB1_1143:
	v_bfe_u32 v3, v5, 16, 3
	v_ffbh_u32_e32 v7, v3
	v_min_u32_e32 v7, 32, v7
	v_lshrrev_b32_e32 v4, 19, v5
	v_subrev_u32_e32 v8, 28, v7
	v_and_b32_e32 v4, 15, v4
	v_lshlrev_b32_sdwa v8, v8, v5 dst_sel:DWORD dst_unused:UNUSED_PAD src0_sel:DWORD src1_sel:WORD_1
	v_bfe_u32 v6, v5, 19, 4
	v_sub_u32_e32 v7, 29, v7
	v_and_b32_e32 v8, 7, v8
	v_cmp_eq_u16_e32 vcc, 0, v4
	v_cndmask_b32_e32 v3, v3, v8, vcc
	v_cndmask_b32_e32 v4, v6, v7, vcc
	v_lshlrev_b32_e32 v6, 8, v5
	v_mov_b32_e32 v7, 0x3b800000
	v_lshlrev_b32_e32 v3, 20, v3
	v_and_b32_e32 v6, 0x80000000, v6
	v_lshl_add_u32 v4, v4, 23, v7
	v_or3_b32 v4, v6, v4, v3
.LBB1_1144:
	s_or_b64 exec, exec, s[6:7]
	s_nop 0
	v_mfma_f32_16x16x4f32 a[0:3], v2, v4, a[0:3]
	s_movk_i32 s4, 0x7f
	v_cmp_gt_i16_sdwa s[6:7], v9, s4 src0_sel:BYTE_3 src1_sel:DWORD
	s_mov_b64 s[4:5], 0
                                        ; implicit-def: $sgpr10
	s_and_saveexec_b64 s[8:9], s[6:7]
	s_xor_b64 s[6:7], exec, s[8:9]
	s_cbranch_execnz .LBB1_3193
; %bb.1145:
	s_or_saveexec_b64 s[6:7], s[6:7]
	v_mov_b32_e32 v2, s10
	s_xor_b64 exec, exec, s[6:7]
	s_cbranch_execnz .LBB1_3196
.LBB1_1146:
	s_or_b64 exec, exec, s[6:7]
	s_and_saveexec_b64 s[6:7], s[4:5]
	s_cbranch_execz .LBB1_1148
.LBB1_1147:
	v_bfe_u32 v2, v9, 24, 3
	v_ffbh_u32_e32 v7, v2
	v_min_u32_e32 v7, 32, v7
	v_lshrrev_b32_e32 v4, 27, v9
	v_subrev_u32_e32 v8, 28, v7
	v_and_b32_e32 v4, 15, v4
	v_lshlrev_b32_sdwa v8, v8, v9 dst_sel:DWORD dst_unused:UNUSED_PAD src0_sel:DWORD src1_sel:BYTE_3
	v_bfe_u32 v6, v9, 27, 4
	v_sub_u32_e32 v7, 29, v7
	v_and_b32_e32 v8, 7, v8
	v_cmp_eq_u16_e32 vcc, 0, v4
	v_cndmask_b32_e32 v2, v2, v8, vcc
	v_cndmask_b32_e32 v4, v6, v7, vcc
	v_mov_b32_e32 v6, 0x3b800000
	v_and_b32_e32 v3, 0x80000000, v9
	v_lshlrev_b32_e32 v2, 20, v2
	v_lshl_add_u32 v4, v4, 23, v6
	v_or3_b32 v2, v3, v4, v2
.LBB1_1148:
	s_or_b64 exec, exec, s[6:7]
	s_movk_i32 s4, 0x7f
	v_cmp_gt_i16_sdwa s[6:7], v5, s4 src0_sel:BYTE_3 src1_sel:DWORD
	s_mov_b64 s[4:5], 0
                                        ; implicit-def: $sgpr10
	s_and_saveexec_b64 s[8:9], s[6:7]
	s_xor_b64 s[6:7], exec, s[8:9]
	s_cbranch_execnz .LBB1_3197
; %bb.1149:
	s_or_saveexec_b64 s[6:7], s[6:7]
	v_mov_b32_e32 v3, s10
	s_xor_b64 exec, exec, s[6:7]
	s_cbranch_execnz .LBB1_3200
.LBB1_1150:
	s_or_b64 exec, exec, s[6:7]
	s_and_saveexec_b64 s[6:7], s[4:5]
	s_cbranch_execz .LBB1_1152
.LBB1_1151:
	v_bfe_u32 v3, v5, 24, 3
	v_ffbh_u32_e32 v8, v3
	v_min_u32_e32 v8, 32, v8
	v_lshrrev_b32_e32 v6, 27, v5
	v_subrev_u32_e32 v9, 28, v8
	v_and_b32_e32 v4, 0x80000000, v5
	v_and_b32_e32 v6, 15, v6
	v_bfe_u32 v7, v5, 27, 4
	v_lshlrev_b32_sdwa v5, v9, v5 dst_sel:DWORD dst_unused:UNUSED_PAD src0_sel:DWORD src1_sel:BYTE_3
	v_sub_u32_e32 v8, 29, v8
	v_and_b32_e32 v5, 7, v5
	v_cmp_eq_u16_e32 vcc, 0, v6
	v_cndmask_b32_e32 v3, v3, v5, vcc
	v_cndmask_b32_e32 v5, v7, v8, vcc
	v_mov_b32_e32 v6, 0x3b800000
	v_lshlrev_b32_e32 v3, 20, v3
	v_lshl_add_u32 v5, v5, 23, v6
	v_or3_b32 v3, v4, v5, v3
.LBB1_1152:
	s_or_b64 exec, exec, s[6:7]
	s_nop 0
	v_mfma_f32_16x16x4f32 a[0:3], v2, v3, a[0:3]
	s_movk_i32 s4, 0x7f
                                        ; implicit-def: $sgpr10
	s_nop 7
	s_nop 1
	flat_store_dwordx4 v[10:11], a[0:3] offset:128
	flat_load_dwordx4 v[12:15], v[0:1] offset:8
	s_nop 0
	flat_load_dwordx2 v[10:11], v[0:1] offset:32
	s_waitcnt vmcnt(0) lgkmcnt(0)
	flat_load_dwordx4 v[6:9], v[12:13] offset:64
	flat_load_dwordx4 v[2:5], v[14:15] offset:32
	s_waitcnt vmcnt(0) lgkmcnt(0)
	v_cmp_gt_i16_sdwa s[6:7], v6, s4 src0_sel:BYTE_0 src1_sel:DWORD
	s_mov_b64 s[4:5], 0
	s_and_saveexec_b64 s[8:9], s[6:7]
	s_xor_b64 s[6:7], exec, s[8:9]
	s_cbranch_execnz .LBB1_3201
; %bb.1153:
	s_or_saveexec_b64 s[6:7], s[6:7]
	v_mov_b32_e32 v12, s10
	s_xor_b64 exec, exec, s[6:7]
	s_cbranch_execnz .LBB1_3204
.LBB1_1154:
	s_or_b64 exec, exec, s[6:7]
	s_and_saveexec_b64 s[6:7], s[4:5]
	s_cbranch_execz .LBB1_1156
.LBB1_1155:
	v_and_b32_e32 v12, 7, v6
	v_ffbh_u32_e32 v14, v12
	v_min_u32_e32 v14, 32, v14
	v_lshrrev_b16_e32 v13, 3, v6
	v_subrev_u32_e32 v15, 28, v14
	v_and_b32_e32 v13, 15, v13
	v_lshlrev_b32_e32 v15, v15, v6
	v_sub_u32_e32 v14, 29, v14
	v_and_b32_e32 v15, 7, v15
	v_cmp_eq_u16_e32 vcc, 0, v13
	v_cndmask_b32_e32 v12, v12, v15, vcc
	v_cndmask_b32_e32 v13, v13, v14, vcc
	v_lshlrev_b32_e32 v14, 24, v6
	v_mov_b32_e32 v15, 0x3b800000
	v_lshlrev_b32_e32 v12, 20, v12
	v_and_b32_e32 v14, 0x80000000, v14
	v_lshl_add_u32 v13, v13, 23, v15
	v_or3_b32 v12, v14, v13, v12
.LBB1_1156:
	s_or_b64 exec, exec, s[6:7]
	s_movk_i32 s4, 0x7f
	v_cmp_gt_i16_sdwa s[6:7], v2, s4 src0_sel:BYTE_0 src1_sel:DWORD
	s_mov_b64 s[4:5], 0
                                        ; implicit-def: $sgpr10
	s_and_saveexec_b64 s[8:9], s[6:7]
	s_xor_b64 s[6:7], exec, s[8:9]
	s_cbranch_execnz .LBB1_3205
; %bb.1157:
	s_or_saveexec_b64 s[6:7], s[6:7]
	v_mov_b32_e32 v13, s10
	s_xor_b64 exec, exec, s[6:7]
	s_cbranch_execnz .LBB1_3208
.LBB1_1158:
	s_or_b64 exec, exec, s[6:7]
	s_and_saveexec_b64 s[6:7], s[4:5]
	s_cbranch_execz .LBB1_1160
.LBB1_1159:
	v_and_b32_e32 v13, 7, v2
	v_ffbh_u32_e32 v15, v13
	v_min_u32_e32 v15, 32, v15
	v_lshrrev_b16_e32 v14, 3, v2
	v_subrev_u32_e32 v16, 28, v15
	v_and_b32_e32 v14, 15, v14
	v_lshlrev_b32_e32 v16, v16, v2
	v_sub_u32_e32 v15, 29, v15
	v_and_b32_e32 v16, 7, v16
	v_cmp_eq_u16_e32 vcc, 0, v14
	v_cndmask_b32_e32 v13, v13, v16, vcc
	v_cndmask_b32_e32 v14, v14, v15, vcc
	v_lshlrev_b32_e32 v15, 24, v2
	v_mov_b32_e32 v16, 0x3b800000
	v_lshlrev_b32_e32 v13, 20, v13
	v_and_b32_e32 v15, 0x80000000, v15
	v_lshl_add_u32 v14, v14, 23, v16
	v_or3_b32 v13, v15, v14, v13
.LBB1_1160:
	s_or_b64 exec, exec, s[6:7]
	flat_load_dwordx4 a[0:3], v[10:11] offset:144
	s_movk_i32 s4, 0x7f
                                        ; implicit-def: $sgpr10
	s_waitcnt vmcnt(0) lgkmcnt(0)
	v_mfma_f32_16x16x4f32 a[0:3], v12, v13, a[0:3]
	v_lshrrev_b32_e32 v13, 8, v6
	v_cmp_gt_i16_sdwa s[6:7], v13, s4 src0_sel:BYTE_0 src1_sel:DWORD
	s_mov_b64 s[4:5], 0
	s_and_saveexec_b64 s[8:9], s[6:7]
	s_xor_b64 s[6:7], exec, s[8:9]
	s_cbranch_execnz .LBB1_3209
; %bb.1161:
	s_or_saveexec_b64 s[6:7], s[6:7]
	v_mov_b32_e32 v12, s10
	s_xor_b64 exec, exec, s[6:7]
	s_cbranch_execnz .LBB1_3212
.LBB1_1162:
	s_or_b64 exec, exec, s[6:7]
	s_and_saveexec_b64 s[6:7], s[4:5]
	s_cbranch_execz .LBB1_1164
.LBB1_1163:
	v_bfe_u32 v12, v6, 8, 3
	v_ffbh_u32_e32 v15, v12
	v_min_u32_e32 v15, 32, v15
	v_lshrrev_b16_e32 v14, 3, v13
	v_subrev_u32_e32 v16, 28, v15
	v_and_b32_e32 v14, 15, v14
	v_lshlrev_b32_e32 v13, v16, v13
	v_sub_u32_e32 v15, 29, v15
	v_and_b32_e32 v13, 7, v13
	v_cmp_eq_u16_e32 vcc, 0, v14
	v_cndmask_b32_e32 v12, v12, v13, vcc
	v_cndmask_b32_e32 v13, v14, v15, vcc
	v_lshlrev_b32_e32 v14, 16, v6
	v_mov_b32_e32 v15, 0x3b800000
	v_lshlrev_b32_e32 v12, 20, v12
	v_and_b32_e32 v14, 0x80000000, v14
	v_lshl_add_u32 v13, v13, 23, v15
	v_or3_b32 v12, v14, v13, v12
.LBB1_1164:
	s_or_b64 exec, exec, s[6:7]
	v_lshrrev_b32_e32 v13, 8, v2
	s_movk_i32 s4, 0x7f
	v_cmp_gt_i16_sdwa s[6:7], v13, s4 src0_sel:BYTE_0 src1_sel:DWORD
	s_mov_b64 s[4:5], 0
                                        ; implicit-def: $sgpr10
	s_and_saveexec_b64 s[8:9], s[6:7]
	s_xor_b64 s[6:7], exec, s[8:9]
	s_cbranch_execnz .LBB1_3213
; %bb.1165:
	s_or_saveexec_b64 s[6:7], s[6:7]
	v_mov_b32_e32 v14, s10
	s_xor_b64 exec, exec, s[6:7]
	s_cbranch_execnz .LBB1_3216
.LBB1_1166:
	s_or_b64 exec, exec, s[6:7]
	s_and_saveexec_b64 s[6:7], s[4:5]
	s_cbranch_execz .LBB1_1168
.LBB1_1167:
	v_bfe_u32 v14, v2, 8, 3
	v_ffbh_u32_e32 v16, v14
	v_min_u32_e32 v16, 32, v16
	v_lshrrev_b16_e32 v15, 3, v13
	v_subrev_u32_e32 v17, 28, v16
	v_and_b32_e32 v15, 15, v15
	v_lshlrev_b32_e32 v13, v17, v13
	v_sub_u32_e32 v16, 29, v16
	v_and_b32_e32 v13, 7, v13
	v_cmp_eq_u16_e32 vcc, 0, v15
	v_cndmask_b32_e32 v13, v14, v13, vcc
	v_cndmask_b32_e32 v14, v15, v16, vcc
	v_lshlrev_b32_e32 v15, 16, v2
	v_mov_b32_e32 v16, 0x3b800000
	v_lshlrev_b32_e32 v13, 20, v13
	v_and_b32_e32 v15, 0x80000000, v15
	v_lshl_add_u32 v14, v14, 23, v16
	v_or3_b32 v14, v15, v14, v13
.LBB1_1168:
	s_or_b64 exec, exec, s[6:7]
	s_nop 0
	v_mfma_f32_16x16x4f32 a[0:3], v12, v14, a[0:3]
	s_movk_i32 s4, 0xff
	v_and_b32_sdwa v13, v6, s4 dst_sel:DWORD dst_unused:UNUSED_PAD src0_sel:WORD_1 src1_sel:DWORD
	s_movk_i32 s4, 0x7f
	v_cmp_lt_i16_e32 vcc, s4, v13
	s_mov_b64 s[4:5], 0
                                        ; implicit-def: $sgpr10
	s_and_saveexec_b64 s[6:7], vcc
	s_xor_b64 s[6:7], exec, s[6:7]
	s_cbranch_execnz .LBB1_3217
; %bb.1169:
	s_or_saveexec_b64 s[6:7], s[6:7]
	v_mov_b32_e32 v12, s10
	s_xor_b64 exec, exec, s[6:7]
	s_cbranch_execnz .LBB1_3220
.LBB1_1170:
	s_or_b64 exec, exec, s[6:7]
	s_and_saveexec_b64 s[6:7], s[4:5]
	s_cbranch_execz .LBB1_1172
.LBB1_1171:
	v_bfe_u32 v12, v6, 16, 3
	v_ffbh_u32_e32 v15, v12
	v_min_u32_e32 v15, 32, v15
	v_lshrrev_b32_e32 v13, 19, v6
	v_subrev_u32_e32 v16, 28, v15
	v_and_b32_e32 v13, 15, v13
	v_lshlrev_b32_sdwa v16, v16, v6 dst_sel:DWORD dst_unused:UNUSED_PAD src0_sel:DWORD src1_sel:WORD_1
	v_bfe_u32 v14, v6, 19, 4
	v_sub_u32_e32 v15, 29, v15
	v_and_b32_e32 v16, 7, v16
	v_cmp_eq_u16_e32 vcc, 0, v13
	v_cndmask_b32_e32 v12, v12, v16, vcc
	v_cndmask_b32_e32 v13, v14, v15, vcc
	v_lshlrev_b32_e32 v14, 8, v6
	v_mov_b32_e32 v15, 0x3b800000
	v_lshlrev_b32_e32 v12, 20, v12
	v_and_b32_e32 v14, 0x80000000, v14
	v_lshl_add_u32 v13, v13, 23, v15
	v_or3_b32 v12, v14, v13, v12
.LBB1_1172:
	s_or_b64 exec, exec, s[6:7]
	s_movk_i32 s4, 0xff
	v_and_b32_sdwa v13, v2, s4 dst_sel:DWORD dst_unused:UNUSED_PAD src0_sel:WORD_1 src1_sel:DWORD
	s_movk_i32 s4, 0x7f
	v_cmp_lt_i16_e32 vcc, s4, v13
	s_mov_b64 s[4:5], 0
                                        ; implicit-def: $sgpr10
	s_and_saveexec_b64 s[6:7], vcc
	s_xor_b64 s[6:7], exec, s[6:7]
	s_cbranch_execnz .LBB1_3221
; %bb.1173:
	s_or_saveexec_b64 s[6:7], s[6:7]
	v_mov_b32_e32 v14, s10
	s_xor_b64 exec, exec, s[6:7]
	s_cbranch_execnz .LBB1_3224
.LBB1_1174:
	s_or_b64 exec, exec, s[6:7]
	s_and_saveexec_b64 s[6:7], s[4:5]
	s_cbranch_execz .LBB1_1176
.LBB1_1175:
	v_bfe_u32 v13, v2, 16, 3
	v_ffbh_u32_e32 v16, v13
	v_min_u32_e32 v16, 32, v16
	v_lshrrev_b32_e32 v14, 19, v2
	v_subrev_u32_e32 v17, 28, v16
	v_and_b32_e32 v14, 15, v14
	v_lshlrev_b32_sdwa v17, v17, v2 dst_sel:DWORD dst_unused:UNUSED_PAD src0_sel:DWORD src1_sel:WORD_1
	v_bfe_u32 v15, v2, 19, 4
	v_sub_u32_e32 v16, 29, v16
	v_and_b32_e32 v17, 7, v17
	v_cmp_eq_u16_e32 vcc, 0, v14
	v_cndmask_b32_e32 v13, v13, v17, vcc
	v_cndmask_b32_e32 v14, v15, v16, vcc
	v_lshlrev_b32_e32 v15, 8, v2
	v_mov_b32_e32 v16, 0x3b800000
	v_lshlrev_b32_e32 v13, 20, v13
	v_and_b32_e32 v15, 0x80000000, v15
	v_lshl_add_u32 v14, v14, 23, v16
	v_or3_b32 v14, v15, v14, v13
.LBB1_1176:
	s_or_b64 exec, exec, s[6:7]
	s_nop 0
	v_mfma_f32_16x16x4f32 a[0:3], v12, v14, a[0:3]
	s_movk_i32 s4, 0x7f
	v_cmp_gt_i16_sdwa s[6:7], v6, s4 src0_sel:BYTE_3 src1_sel:DWORD
	s_mov_b64 s[4:5], 0
                                        ; implicit-def: $sgpr10
	s_and_saveexec_b64 s[8:9], s[6:7]
	s_xor_b64 s[6:7], exec, s[8:9]
	s_cbranch_execnz .LBB1_3225
; %bb.1177:
	s_or_saveexec_b64 s[6:7], s[6:7]
	v_mov_b32_e32 v12, s10
	s_xor_b64 exec, exec, s[6:7]
	s_cbranch_execnz .LBB1_3228
.LBB1_1178:
	s_or_b64 exec, exec, s[6:7]
	s_and_saveexec_b64 s[6:7], s[4:5]
	s_cbranch_execz .LBB1_1180
.LBB1_1179:
	v_bfe_u32 v12, v6, 24, 3
	v_ffbh_u32_e32 v16, v12
	v_min_u32_e32 v16, 32, v16
	v_lshrrev_b32_e32 v14, 27, v6
	v_subrev_u32_e32 v17, 28, v16
	v_and_b32_e32 v13, 0x80000000, v6
	v_and_b32_e32 v14, 15, v14
	v_bfe_u32 v15, v6, 27, 4
	v_lshlrev_b32_sdwa v6, v17, v6 dst_sel:DWORD dst_unused:UNUSED_PAD src0_sel:DWORD src1_sel:BYTE_3
	v_sub_u32_e32 v16, 29, v16
	v_and_b32_e32 v6, 7, v6
	v_cmp_eq_u16_e32 vcc, 0, v14
	v_cndmask_b32_e32 v6, v12, v6, vcc
	v_cndmask_b32_e32 v12, v15, v16, vcc
	v_mov_b32_e32 v14, 0x3b800000
	v_lshlrev_b32_e32 v6, 20, v6
	v_lshl_add_u32 v12, v12, 23, v14
	v_or3_b32 v12, v13, v12, v6
.LBB1_1180:
	s_or_b64 exec, exec, s[6:7]
	s_movk_i32 s4, 0x7f
	v_cmp_gt_i16_sdwa s[6:7], v2, s4 src0_sel:BYTE_3 src1_sel:DWORD
	s_mov_b64 s[4:5], 0
                                        ; implicit-def: $sgpr10
	s_and_saveexec_b64 s[8:9], s[6:7]
	s_xor_b64 s[6:7], exec, s[8:9]
	s_cbranch_execnz .LBB1_3229
; %bb.1181:
	s_or_saveexec_b64 s[6:7], s[6:7]
	v_mov_b32_e32 v6, s10
	s_xor_b64 exec, exec, s[6:7]
	s_cbranch_execnz .LBB1_3232
.LBB1_1182:
	s_or_b64 exec, exec, s[6:7]
	s_and_saveexec_b64 s[6:7], s[4:5]
	s_cbranch_execz .LBB1_1184
.LBB1_1183:
	v_bfe_u32 v6, v2, 24, 3
	v_ffbh_u32_e32 v16, v6
	v_min_u32_e32 v16, 32, v16
	v_lshrrev_b32_e32 v14, 27, v2
	v_subrev_u32_e32 v17, 28, v16
	v_and_b32_e32 v13, 0x80000000, v2
	v_and_b32_e32 v14, 15, v14
	v_bfe_u32 v15, v2, 27, 4
	v_lshlrev_b32_sdwa v2, v17, v2 dst_sel:DWORD dst_unused:UNUSED_PAD src0_sel:DWORD src1_sel:BYTE_3
	v_sub_u32_e32 v16, 29, v16
	v_and_b32_e32 v2, 7, v2
	v_cmp_eq_u16_e32 vcc, 0, v14
	v_cndmask_b32_e32 v2, v6, v2, vcc
	v_cndmask_b32_e32 v6, v15, v16, vcc
	v_mov_b32_e32 v14, 0x3b800000
	v_lshlrev_b32_e32 v2, 20, v2
	v_lshl_add_u32 v6, v6, 23, v14
	v_or3_b32 v6, v13, v6, v2
.LBB1_1184:
	s_or_b64 exec, exec, s[6:7]
	s_nop 0
	v_mfma_f32_16x16x4f32 a[0:3], v12, v6, a[0:3]
	s_movk_i32 s4, 0x7f
	v_cmp_gt_i16_sdwa s[6:7], v7, s4 src0_sel:BYTE_0 src1_sel:DWORD
	s_mov_b64 s[4:5], 0
                                        ; implicit-def: $sgpr10
	s_and_saveexec_b64 s[8:9], s[6:7]
	s_xor_b64 s[6:7], exec, s[8:9]
	s_cbranch_execnz .LBB1_3233
; %bb.1185:
	s_or_saveexec_b64 s[6:7], s[6:7]
	v_mov_b32_e32 v2, s10
	s_xor_b64 exec, exec, s[6:7]
	s_cbranch_execnz .LBB1_3236
.LBB1_1186:
	s_or_b64 exec, exec, s[6:7]
	s_and_saveexec_b64 s[6:7], s[4:5]
	s_cbranch_execz .LBB1_1188
.LBB1_1187:
	v_and_b32_e32 v2, 7, v7
	v_ffbh_u32_e32 v12, v2
	v_min_u32_e32 v12, 32, v12
	v_lshrrev_b16_e32 v6, 3, v7
	v_subrev_u32_e32 v13, 28, v12
	v_and_b32_e32 v6, 15, v6
	v_lshlrev_b32_e32 v13, v13, v7
	v_sub_u32_e32 v12, 29, v12
	v_and_b32_e32 v13, 7, v13
	v_cmp_eq_u16_e32 vcc, 0, v6
	v_cndmask_b32_e32 v2, v2, v13, vcc
	v_cndmask_b32_e32 v6, v6, v12, vcc
	v_lshlrev_b32_e32 v12, 24, v7
	v_mov_b32_e32 v13, 0x3b800000
	v_lshlrev_b32_e32 v2, 20, v2
	v_and_b32_e32 v12, 0x80000000, v12
	v_lshl_add_u32 v6, v6, 23, v13
	v_or3_b32 v2, v12, v6, v2
.LBB1_1188:
	s_or_b64 exec, exec, s[6:7]
	s_movk_i32 s4, 0x7f
	v_cmp_gt_i16_sdwa s[6:7], v3, s4 src0_sel:BYTE_0 src1_sel:DWORD
	s_mov_b64 s[4:5], 0
                                        ; implicit-def: $sgpr10
	s_and_saveexec_b64 s[8:9], s[6:7]
	s_xor_b64 s[6:7], exec, s[8:9]
	s_cbranch_execnz .LBB1_3237
; %bb.1189:
	s_or_saveexec_b64 s[6:7], s[6:7]
	v_mov_b32_e32 v6, s10
	s_xor_b64 exec, exec, s[6:7]
	s_cbranch_execnz .LBB1_3240
.LBB1_1190:
	s_or_b64 exec, exec, s[6:7]
	s_and_saveexec_b64 s[6:7], s[4:5]
	s_cbranch_execz .LBB1_1192
.LBB1_1191:
	v_and_b32_e32 v6, 7, v3
	v_ffbh_u32_e32 v13, v6
	v_min_u32_e32 v13, 32, v13
	v_lshrrev_b16_e32 v12, 3, v3
	v_subrev_u32_e32 v14, 28, v13
	v_and_b32_e32 v12, 15, v12
	v_lshlrev_b32_e32 v14, v14, v3
	v_sub_u32_e32 v13, 29, v13
	v_and_b32_e32 v14, 7, v14
	v_cmp_eq_u16_e32 vcc, 0, v12
	v_cndmask_b32_e32 v6, v6, v14, vcc
	v_cndmask_b32_e32 v12, v12, v13, vcc
	v_lshlrev_b32_e32 v13, 24, v3
	v_mov_b32_e32 v14, 0x3b800000
	v_lshlrev_b32_e32 v6, 20, v6
	v_and_b32_e32 v13, 0x80000000, v13
	v_lshl_add_u32 v12, v12, 23, v14
	v_or3_b32 v6, v13, v12, v6
.LBB1_1192:
	s_or_b64 exec, exec, s[6:7]
	s_nop 0
	v_mfma_f32_16x16x4f32 a[0:3], v2, v6, a[0:3]
	v_lshrrev_b32_e32 v6, 8, v7
	s_movk_i32 s4, 0x7f
	v_cmp_gt_i16_sdwa s[6:7], v6, s4 src0_sel:BYTE_0 src1_sel:DWORD
	s_mov_b64 s[4:5], 0
                                        ; implicit-def: $sgpr10
	s_and_saveexec_b64 s[8:9], s[6:7]
	s_xor_b64 s[6:7], exec, s[8:9]
	s_cbranch_execnz .LBB1_3241
; %bb.1193:
	s_or_saveexec_b64 s[6:7], s[6:7]
	v_mov_b32_e32 v2, s10
	s_xor_b64 exec, exec, s[6:7]
	s_cbranch_execnz .LBB1_3244
.LBB1_1194:
	s_or_b64 exec, exec, s[6:7]
	s_and_saveexec_b64 s[6:7], s[4:5]
	s_cbranch_execz .LBB1_1196
.LBB1_1195:
	v_bfe_u32 v2, v7, 8, 3
	v_ffbh_u32_e32 v13, v2
	v_min_u32_e32 v13, 32, v13
	v_lshrrev_b16_e32 v12, 3, v6
	v_subrev_u32_e32 v14, 28, v13
	v_and_b32_e32 v12, 15, v12
	v_lshlrev_b32_e32 v6, v14, v6
	v_sub_u32_e32 v13, 29, v13
	v_and_b32_e32 v6, 7, v6
	v_cmp_eq_u16_e32 vcc, 0, v12
	v_cndmask_b32_e32 v2, v2, v6, vcc
	v_cndmask_b32_e32 v6, v12, v13, vcc
	v_lshlrev_b32_e32 v12, 16, v7
	v_mov_b32_e32 v13, 0x3b800000
	v_lshlrev_b32_e32 v2, 20, v2
	v_and_b32_e32 v12, 0x80000000, v12
	v_lshl_add_u32 v6, v6, 23, v13
	v_or3_b32 v2, v12, v6, v2
.LBB1_1196:
	s_or_b64 exec, exec, s[6:7]
	v_lshrrev_b32_e32 v6, 8, v3
	s_movk_i32 s4, 0x7f
	v_cmp_gt_i16_sdwa s[6:7], v6, s4 src0_sel:BYTE_0 src1_sel:DWORD
	s_mov_b64 s[4:5], 0
                                        ; implicit-def: $sgpr10
	s_and_saveexec_b64 s[8:9], s[6:7]
	s_xor_b64 s[6:7], exec, s[8:9]
	s_cbranch_execnz .LBB1_3245
; %bb.1197:
	s_or_saveexec_b64 s[6:7], s[6:7]
	v_mov_b32_e32 v12, s10
	s_xor_b64 exec, exec, s[6:7]
	s_cbranch_execnz .LBB1_3248
.LBB1_1198:
	s_or_b64 exec, exec, s[6:7]
	s_and_saveexec_b64 s[6:7], s[4:5]
	s_cbranch_execz .LBB1_1200
.LBB1_1199:
	v_bfe_u32 v12, v3, 8, 3
	v_ffbh_u32_e32 v14, v12
	v_min_u32_e32 v14, 32, v14
	v_lshrrev_b16_e32 v13, 3, v6
	v_subrev_u32_e32 v15, 28, v14
	v_and_b32_e32 v13, 15, v13
	v_lshlrev_b32_e32 v6, v15, v6
	v_sub_u32_e32 v14, 29, v14
	v_and_b32_e32 v6, 7, v6
	v_cmp_eq_u16_e32 vcc, 0, v13
	v_cndmask_b32_e32 v6, v12, v6, vcc
	v_cndmask_b32_e32 v12, v13, v14, vcc
	v_lshlrev_b32_e32 v13, 16, v3
	v_mov_b32_e32 v14, 0x3b800000
	v_lshlrev_b32_e32 v6, 20, v6
	v_and_b32_e32 v13, 0x80000000, v13
	v_lshl_add_u32 v12, v12, 23, v14
	v_or3_b32 v12, v13, v12, v6
.LBB1_1200:
	s_or_b64 exec, exec, s[6:7]
	s_nop 0
	v_mfma_f32_16x16x4f32 a[0:3], v2, v12, a[0:3]
	s_movk_i32 s4, 0xff
	v_and_b32_sdwa v6, v7, s4 dst_sel:DWORD dst_unused:UNUSED_PAD src0_sel:WORD_1 src1_sel:DWORD
	s_movk_i32 s4, 0x7f
	v_cmp_lt_i16_e32 vcc, s4, v6
	s_mov_b64 s[4:5], 0
                                        ; implicit-def: $sgpr10
	s_and_saveexec_b64 s[6:7], vcc
	s_xor_b64 s[6:7], exec, s[6:7]
	s_cbranch_execnz .LBB1_3249
; %bb.1201:
	s_or_saveexec_b64 s[6:7], s[6:7]
	v_mov_b32_e32 v2, s10
	s_xor_b64 exec, exec, s[6:7]
	s_cbranch_execnz .LBB1_3252
.LBB1_1202:
	s_or_b64 exec, exec, s[6:7]
	s_and_saveexec_b64 s[6:7], s[4:5]
	s_cbranch_execz .LBB1_1204
.LBB1_1203:
	v_bfe_u32 v2, v7, 16, 3
	v_ffbh_u32_e32 v13, v2
	v_min_u32_e32 v13, 32, v13
	v_lshrrev_b32_e32 v6, 19, v7
	v_subrev_u32_e32 v14, 28, v13
	v_and_b32_e32 v6, 15, v6
	v_lshlrev_b32_sdwa v14, v14, v7 dst_sel:DWORD dst_unused:UNUSED_PAD src0_sel:DWORD src1_sel:WORD_1
	v_bfe_u32 v12, v7, 19, 4
	v_sub_u32_e32 v13, 29, v13
	v_and_b32_e32 v14, 7, v14
	v_cmp_eq_u16_e32 vcc, 0, v6
	v_cndmask_b32_e32 v2, v2, v14, vcc
	v_cndmask_b32_e32 v6, v12, v13, vcc
	v_lshlrev_b32_e32 v12, 8, v7
	v_mov_b32_e32 v13, 0x3b800000
	v_lshlrev_b32_e32 v2, 20, v2
	v_and_b32_e32 v12, 0x80000000, v12
	v_lshl_add_u32 v6, v6, 23, v13
	v_or3_b32 v2, v12, v6, v2
.LBB1_1204:
	s_or_b64 exec, exec, s[6:7]
	s_movk_i32 s4, 0xff
	v_and_b32_sdwa v6, v3, s4 dst_sel:DWORD dst_unused:UNUSED_PAD src0_sel:WORD_1 src1_sel:DWORD
	s_movk_i32 s4, 0x7f
	v_cmp_lt_i16_e32 vcc, s4, v6
	s_mov_b64 s[4:5], 0
                                        ; implicit-def: $sgpr10
	s_and_saveexec_b64 s[6:7], vcc
	s_xor_b64 s[6:7], exec, s[6:7]
	s_cbranch_execnz .LBB1_3253
; %bb.1205:
	s_or_saveexec_b64 s[6:7], s[6:7]
	v_mov_b32_e32 v12, s10
	s_xor_b64 exec, exec, s[6:7]
	s_cbranch_execnz .LBB1_3256
.LBB1_1206:
	s_or_b64 exec, exec, s[6:7]
	s_and_saveexec_b64 s[6:7], s[4:5]
	s_cbranch_execz .LBB1_1208
.LBB1_1207:
	v_bfe_u32 v6, v3, 16, 3
	v_ffbh_u32_e32 v14, v6
	v_min_u32_e32 v14, 32, v14
	v_lshrrev_b32_e32 v12, 19, v3
	v_subrev_u32_e32 v15, 28, v14
	v_and_b32_e32 v12, 15, v12
	v_lshlrev_b32_sdwa v15, v15, v3 dst_sel:DWORD dst_unused:UNUSED_PAD src0_sel:DWORD src1_sel:WORD_1
	v_bfe_u32 v13, v3, 19, 4
	v_sub_u32_e32 v14, 29, v14
	v_and_b32_e32 v15, 7, v15
	v_cmp_eq_u16_e32 vcc, 0, v12
	v_cndmask_b32_e32 v6, v6, v15, vcc
	v_cndmask_b32_e32 v12, v13, v14, vcc
	v_lshlrev_b32_e32 v13, 8, v3
	v_mov_b32_e32 v14, 0x3b800000
	v_lshlrev_b32_e32 v6, 20, v6
	v_and_b32_e32 v13, 0x80000000, v13
	v_lshl_add_u32 v12, v12, 23, v14
	v_or3_b32 v12, v13, v12, v6
.LBB1_1208:
	s_or_b64 exec, exec, s[6:7]
	s_nop 0
	v_mfma_f32_16x16x4f32 a[0:3], v2, v12, a[0:3]
	s_movk_i32 s4, 0x7f
	v_cmp_gt_i16_sdwa s[6:7], v7, s4 src0_sel:BYTE_3 src1_sel:DWORD
	s_mov_b64 s[4:5], 0
                                        ; implicit-def: $sgpr10
	s_and_saveexec_b64 s[8:9], s[6:7]
	s_xor_b64 s[6:7], exec, s[8:9]
	s_cbranch_execnz .LBB1_3257
; %bb.1209:
	s_or_saveexec_b64 s[6:7], s[6:7]
	v_mov_b32_e32 v2, s10
	s_xor_b64 exec, exec, s[6:7]
	s_cbranch_execnz .LBB1_3260
.LBB1_1210:
	s_or_b64 exec, exec, s[6:7]
	s_and_saveexec_b64 s[6:7], s[4:5]
	s_cbranch_execz .LBB1_1212
.LBB1_1211:
	v_bfe_u32 v2, v7, 24, 3
	v_ffbh_u32_e32 v14, v2
	v_min_u32_e32 v14, 32, v14
	v_lshrrev_b32_e32 v12, 27, v7
	v_subrev_u32_e32 v15, 28, v14
	v_and_b32_e32 v6, 0x80000000, v7
	v_and_b32_e32 v12, 15, v12
	v_bfe_u32 v13, v7, 27, 4
	v_lshlrev_b32_sdwa v7, v15, v7 dst_sel:DWORD dst_unused:UNUSED_PAD src0_sel:DWORD src1_sel:BYTE_3
	v_sub_u32_e32 v14, 29, v14
	v_and_b32_e32 v7, 7, v7
	v_cmp_eq_u16_e32 vcc, 0, v12
	v_cndmask_b32_e32 v2, v2, v7, vcc
	v_cndmask_b32_e32 v7, v13, v14, vcc
	v_mov_b32_e32 v12, 0x3b800000
	v_lshlrev_b32_e32 v2, 20, v2
	v_lshl_add_u32 v7, v7, 23, v12
	v_or3_b32 v2, v6, v7, v2
.LBB1_1212:
	s_or_b64 exec, exec, s[6:7]
	s_movk_i32 s4, 0x7f
	v_cmp_gt_i16_sdwa s[6:7], v3, s4 src0_sel:BYTE_3 src1_sel:DWORD
	s_mov_b64 s[4:5], 0
                                        ; implicit-def: $sgpr10
	s_and_saveexec_b64 s[8:9], s[6:7]
	s_xor_b64 s[6:7], exec, s[8:9]
	s_cbranch_execnz .LBB1_3261
; %bb.1213:
	s_or_saveexec_b64 s[6:7], s[6:7]
	v_mov_b32_e32 v6, s10
	s_xor_b64 exec, exec, s[6:7]
	s_cbranch_execnz .LBB1_3264
.LBB1_1214:
	s_or_b64 exec, exec, s[6:7]
	s_and_saveexec_b64 s[6:7], s[4:5]
	s_cbranch_execz .LBB1_1216
.LBB1_1215:
	v_bfe_u32 v6, v3, 24, 3
	v_ffbh_u32_e32 v14, v6
	v_min_u32_e32 v14, 32, v14
	v_lshrrev_b32_e32 v12, 27, v3
	v_subrev_u32_e32 v15, 28, v14
	v_and_b32_e32 v7, 0x80000000, v3
	v_and_b32_e32 v12, 15, v12
	v_bfe_u32 v13, v3, 27, 4
	v_lshlrev_b32_sdwa v3, v15, v3 dst_sel:DWORD dst_unused:UNUSED_PAD src0_sel:DWORD src1_sel:BYTE_3
	v_sub_u32_e32 v14, 29, v14
	v_and_b32_e32 v3, 7, v3
	v_cmp_eq_u16_e32 vcc, 0, v12
	v_cndmask_b32_e32 v3, v6, v3, vcc
	v_cndmask_b32_e32 v6, v13, v14, vcc
	v_mov_b32_e32 v12, 0x3b800000
	v_lshlrev_b32_e32 v3, 20, v3
	v_lshl_add_u32 v6, v6, 23, v12
	v_or3_b32 v6, v7, v6, v3
.LBB1_1216:
	s_or_b64 exec, exec, s[6:7]
	s_nop 0
	v_mfma_f32_16x16x4f32 a[0:3], v2, v6, a[0:3]
	s_movk_i32 s4, 0x7f
	v_cmp_gt_i16_sdwa s[6:7], v8, s4 src0_sel:BYTE_0 src1_sel:DWORD
	s_mov_b64 s[4:5], 0
                                        ; implicit-def: $sgpr10
	s_and_saveexec_b64 s[8:9], s[6:7]
	s_xor_b64 s[6:7], exec, s[8:9]
	s_cbranch_execnz .LBB1_3265
; %bb.1217:
	s_or_saveexec_b64 s[6:7], s[6:7]
	v_mov_b32_e32 v2, s10
	s_xor_b64 exec, exec, s[6:7]
	s_cbranch_execnz .LBB1_3268
.LBB1_1218:
	s_or_b64 exec, exec, s[6:7]
	s_and_saveexec_b64 s[6:7], s[4:5]
	s_cbranch_execz .LBB1_1220
.LBB1_1219:
	v_and_b32_e32 v2, 7, v8
	v_ffbh_u32_e32 v6, v2
	v_min_u32_e32 v6, 32, v6
	v_lshrrev_b16_e32 v3, 3, v8
	v_subrev_u32_e32 v7, 28, v6
	v_and_b32_e32 v3, 15, v3
	v_lshlrev_b32_e32 v7, v7, v8
	v_sub_u32_e32 v6, 29, v6
	v_and_b32_e32 v7, 7, v7
	v_cmp_eq_u16_e32 vcc, 0, v3
	v_cndmask_b32_e32 v2, v2, v7, vcc
	v_cndmask_b32_e32 v3, v3, v6, vcc
	v_lshlrev_b32_e32 v6, 24, v8
	v_mov_b32_e32 v7, 0x3b800000
	v_lshlrev_b32_e32 v2, 20, v2
	v_and_b32_e32 v6, 0x80000000, v6
	v_lshl_add_u32 v3, v3, 23, v7
	v_or3_b32 v2, v6, v3, v2
.LBB1_1220:
	s_or_b64 exec, exec, s[6:7]
	s_movk_i32 s4, 0x7f
	v_cmp_gt_i16_sdwa s[6:7], v4, s4 src0_sel:BYTE_0 src1_sel:DWORD
	s_mov_b64 s[4:5], 0
                                        ; implicit-def: $sgpr10
	s_and_saveexec_b64 s[8:9], s[6:7]
	s_xor_b64 s[6:7], exec, s[8:9]
	s_cbranch_execnz .LBB1_3269
; %bb.1221:
	s_or_saveexec_b64 s[6:7], s[6:7]
	v_mov_b32_e32 v3, s10
	s_xor_b64 exec, exec, s[6:7]
	s_cbranch_execnz .LBB1_3272
.LBB1_1222:
	s_or_b64 exec, exec, s[6:7]
	s_and_saveexec_b64 s[6:7], s[4:5]
	s_cbranch_execz .LBB1_1224
.LBB1_1223:
	v_and_b32_e32 v3, 7, v4
	v_ffbh_u32_e32 v7, v3
	v_min_u32_e32 v7, 32, v7
	v_lshrrev_b16_e32 v6, 3, v4
	v_subrev_u32_e32 v12, 28, v7
	v_and_b32_e32 v6, 15, v6
	v_lshlrev_b32_e32 v12, v12, v4
	v_sub_u32_e32 v7, 29, v7
	v_and_b32_e32 v12, 7, v12
	v_cmp_eq_u16_e32 vcc, 0, v6
	v_cndmask_b32_e32 v3, v3, v12, vcc
	v_cndmask_b32_e32 v6, v6, v7, vcc
	v_lshlrev_b32_e32 v7, 24, v4
	v_mov_b32_e32 v12, 0x3b800000
	v_lshlrev_b32_e32 v3, 20, v3
	v_and_b32_e32 v7, 0x80000000, v7
	v_lshl_add_u32 v6, v6, 23, v12
	v_or3_b32 v3, v7, v6, v3
.LBB1_1224:
	s_or_b64 exec, exec, s[6:7]
	s_nop 0
	v_mfma_f32_16x16x4f32 a[0:3], v2, v3, a[0:3]
	v_lshrrev_b32_e32 v3, 8, v8
	s_movk_i32 s4, 0x7f
	v_cmp_gt_i16_sdwa s[6:7], v3, s4 src0_sel:BYTE_0 src1_sel:DWORD
	s_mov_b64 s[4:5], 0
                                        ; implicit-def: $sgpr10
	s_and_saveexec_b64 s[8:9], s[6:7]
	s_xor_b64 s[6:7], exec, s[8:9]
	s_cbranch_execnz .LBB1_3273
; %bb.1225:
	s_or_saveexec_b64 s[6:7], s[6:7]
	v_mov_b32_e32 v2, s10
	s_xor_b64 exec, exec, s[6:7]
	s_cbranch_execnz .LBB1_3276
.LBB1_1226:
	s_or_b64 exec, exec, s[6:7]
	s_and_saveexec_b64 s[6:7], s[4:5]
	s_cbranch_execz .LBB1_1228
.LBB1_1227:
	v_bfe_u32 v2, v8, 8, 3
	v_ffbh_u32_e32 v7, v2
	v_min_u32_e32 v7, 32, v7
	v_lshrrev_b16_e32 v6, 3, v3
	v_subrev_u32_e32 v12, 28, v7
	v_and_b32_e32 v6, 15, v6
	v_lshlrev_b32_e32 v3, v12, v3
	v_sub_u32_e32 v7, 29, v7
	v_and_b32_e32 v3, 7, v3
	v_cmp_eq_u16_e32 vcc, 0, v6
	v_cndmask_b32_e32 v2, v2, v3, vcc
	v_cndmask_b32_e32 v3, v6, v7, vcc
	v_lshlrev_b32_e32 v6, 16, v8
	v_mov_b32_e32 v7, 0x3b800000
	v_lshlrev_b32_e32 v2, 20, v2
	v_and_b32_e32 v6, 0x80000000, v6
	v_lshl_add_u32 v3, v3, 23, v7
	v_or3_b32 v2, v6, v3, v2
.LBB1_1228:
	s_or_b64 exec, exec, s[6:7]
	v_lshrrev_b32_e32 v3, 8, v4
	s_movk_i32 s4, 0x7f
	v_cmp_gt_i16_sdwa s[6:7], v3, s4 src0_sel:BYTE_0 src1_sel:DWORD
	s_mov_b64 s[4:5], 0
                                        ; implicit-def: $sgpr10
	s_and_saveexec_b64 s[8:9], s[6:7]
	s_xor_b64 s[6:7], exec, s[8:9]
	s_cbranch_execnz .LBB1_3277
; %bb.1229:
	s_or_saveexec_b64 s[6:7], s[6:7]
	v_mov_b32_e32 v6, s10
	s_xor_b64 exec, exec, s[6:7]
	s_cbranch_execnz .LBB1_3280
.LBB1_1230:
	s_or_b64 exec, exec, s[6:7]
	s_and_saveexec_b64 s[6:7], s[4:5]
	s_cbranch_execz .LBB1_1232
.LBB1_1231:
	v_bfe_u32 v6, v4, 8, 3
	v_ffbh_u32_e32 v12, v6
	v_min_u32_e32 v12, 32, v12
	v_lshrrev_b16_e32 v7, 3, v3
	v_subrev_u32_e32 v13, 28, v12
	v_and_b32_e32 v7, 15, v7
	v_lshlrev_b32_e32 v3, v13, v3
	v_sub_u32_e32 v12, 29, v12
	v_and_b32_e32 v3, 7, v3
	v_cmp_eq_u16_e32 vcc, 0, v7
	v_cndmask_b32_e32 v3, v6, v3, vcc
	v_cndmask_b32_e32 v6, v7, v12, vcc
	v_lshlrev_b32_e32 v7, 16, v4
	v_mov_b32_e32 v12, 0x3b800000
	v_lshlrev_b32_e32 v3, 20, v3
	v_and_b32_e32 v7, 0x80000000, v7
	v_lshl_add_u32 v6, v6, 23, v12
	v_or3_b32 v6, v7, v6, v3
.LBB1_1232:
	s_or_b64 exec, exec, s[6:7]
	s_nop 0
	v_mfma_f32_16x16x4f32 a[0:3], v2, v6, a[0:3]
	s_movk_i32 s4, 0xff
	v_and_b32_sdwa v3, v8, s4 dst_sel:DWORD dst_unused:UNUSED_PAD src0_sel:WORD_1 src1_sel:DWORD
	s_movk_i32 s4, 0x7f
	v_cmp_lt_i16_e32 vcc, s4, v3
	s_mov_b64 s[4:5], 0
                                        ; implicit-def: $sgpr10
	s_and_saveexec_b64 s[6:7], vcc
	s_xor_b64 s[6:7], exec, s[6:7]
	s_cbranch_execnz .LBB1_3281
; %bb.1233:
	s_or_saveexec_b64 s[6:7], s[6:7]
	v_mov_b32_e32 v2, s10
	s_xor_b64 exec, exec, s[6:7]
	s_cbranch_execnz .LBB1_3284
.LBB1_1234:
	s_or_b64 exec, exec, s[6:7]
	s_and_saveexec_b64 s[6:7], s[4:5]
	s_cbranch_execz .LBB1_1236
.LBB1_1235:
	v_bfe_u32 v2, v8, 16, 3
	v_ffbh_u32_e32 v7, v2
	v_min_u32_e32 v7, 32, v7
	v_lshrrev_b32_e32 v3, 19, v8
	v_subrev_u32_e32 v12, 28, v7
	v_and_b32_e32 v3, 15, v3
	v_lshlrev_b32_sdwa v12, v12, v8 dst_sel:DWORD dst_unused:UNUSED_PAD src0_sel:DWORD src1_sel:WORD_1
	v_bfe_u32 v6, v8, 19, 4
	v_sub_u32_e32 v7, 29, v7
	v_and_b32_e32 v12, 7, v12
	v_cmp_eq_u16_e32 vcc, 0, v3
	v_cndmask_b32_e32 v2, v2, v12, vcc
	v_cndmask_b32_e32 v3, v6, v7, vcc
	v_lshlrev_b32_e32 v6, 8, v8
	v_mov_b32_e32 v7, 0x3b800000
	v_lshlrev_b32_e32 v2, 20, v2
	v_and_b32_e32 v6, 0x80000000, v6
	v_lshl_add_u32 v3, v3, 23, v7
	v_or3_b32 v2, v6, v3, v2
.LBB1_1236:
	s_or_b64 exec, exec, s[6:7]
	s_movk_i32 s4, 0xff
	v_and_b32_sdwa v3, v4, s4 dst_sel:DWORD dst_unused:UNUSED_PAD src0_sel:WORD_1 src1_sel:DWORD
	s_movk_i32 s4, 0x7f
	v_cmp_lt_i16_e32 vcc, s4, v3
	s_mov_b64 s[4:5], 0
                                        ; implicit-def: $sgpr10
	s_and_saveexec_b64 s[6:7], vcc
	s_xor_b64 s[6:7], exec, s[6:7]
	s_cbranch_execnz .LBB1_3285
; %bb.1237:
	s_or_saveexec_b64 s[6:7], s[6:7]
	v_mov_b32_e32 v6, s10
	s_xor_b64 exec, exec, s[6:7]
	s_cbranch_execnz .LBB1_3288
.LBB1_1238:
	s_or_b64 exec, exec, s[6:7]
	s_and_saveexec_b64 s[6:7], s[4:5]
	s_cbranch_execz .LBB1_1240
.LBB1_1239:
	v_bfe_u32 v3, v4, 16, 3
	v_ffbh_u32_e32 v12, v3
	v_min_u32_e32 v12, 32, v12
	v_lshrrev_b32_e32 v6, 19, v4
	v_subrev_u32_e32 v13, 28, v12
	v_and_b32_e32 v6, 15, v6
	v_lshlrev_b32_sdwa v13, v13, v4 dst_sel:DWORD dst_unused:UNUSED_PAD src0_sel:DWORD src1_sel:WORD_1
	v_bfe_u32 v7, v4, 19, 4
	v_sub_u32_e32 v12, 29, v12
	v_and_b32_e32 v13, 7, v13
	v_cmp_eq_u16_e32 vcc, 0, v6
	v_cndmask_b32_e32 v3, v3, v13, vcc
	v_cndmask_b32_e32 v6, v7, v12, vcc
	v_lshlrev_b32_e32 v7, 8, v4
	v_mov_b32_e32 v12, 0x3b800000
	v_lshlrev_b32_e32 v3, 20, v3
	v_and_b32_e32 v7, 0x80000000, v7
	v_lshl_add_u32 v6, v6, 23, v12
	v_or3_b32 v6, v7, v6, v3
.LBB1_1240:
	s_or_b64 exec, exec, s[6:7]
	s_nop 0
	v_mfma_f32_16x16x4f32 a[0:3], v2, v6, a[0:3]
	s_movk_i32 s4, 0x7f
	v_cmp_gt_i16_sdwa s[6:7], v8, s4 src0_sel:BYTE_3 src1_sel:DWORD
	s_mov_b64 s[4:5], 0
                                        ; implicit-def: $sgpr10
	s_and_saveexec_b64 s[8:9], s[6:7]
	s_xor_b64 s[6:7], exec, s[8:9]
	s_cbranch_execnz .LBB1_3289
; %bb.1241:
	s_or_saveexec_b64 s[6:7], s[6:7]
	v_mov_b32_e32 v2, s10
	s_xor_b64 exec, exec, s[6:7]
	s_cbranch_execnz .LBB1_3292
.LBB1_1242:
	s_or_b64 exec, exec, s[6:7]
	s_and_saveexec_b64 s[6:7], s[4:5]
	s_cbranch_execz .LBB1_1244
.LBB1_1243:
	v_bfe_u32 v2, v8, 24, 3
	v_ffbh_u32_e32 v12, v2
	v_min_u32_e32 v12, 32, v12
	v_lshrrev_b32_e32 v6, 27, v8
	v_subrev_u32_e32 v13, 28, v12
	v_and_b32_e32 v3, 0x80000000, v8
	v_and_b32_e32 v6, 15, v6
	v_bfe_u32 v7, v8, 27, 4
	v_lshlrev_b32_sdwa v8, v13, v8 dst_sel:DWORD dst_unused:UNUSED_PAD src0_sel:DWORD src1_sel:BYTE_3
	v_sub_u32_e32 v12, 29, v12
	v_and_b32_e32 v8, 7, v8
	v_cmp_eq_u16_e32 vcc, 0, v6
	v_cndmask_b32_e32 v2, v2, v8, vcc
	v_cndmask_b32_e32 v6, v7, v12, vcc
	v_mov_b32_e32 v7, 0x3b800000
	v_lshlrev_b32_e32 v2, 20, v2
	v_lshl_add_u32 v6, v6, 23, v7
	v_or3_b32 v2, v3, v6, v2
.LBB1_1244:
	s_or_b64 exec, exec, s[6:7]
	s_movk_i32 s4, 0x7f
	v_cmp_gt_i16_sdwa s[6:7], v4, s4 src0_sel:BYTE_3 src1_sel:DWORD
	s_mov_b64 s[4:5], 0
                                        ; implicit-def: $sgpr10
	s_and_saveexec_b64 s[8:9], s[6:7]
	s_xor_b64 s[6:7], exec, s[8:9]
	s_cbranch_execnz .LBB1_3293
; %bb.1245:
	s_or_saveexec_b64 s[6:7], s[6:7]
	v_mov_b32_e32 v3, s10
	s_xor_b64 exec, exec, s[6:7]
	s_cbranch_execnz .LBB1_3296
.LBB1_1246:
	s_or_b64 exec, exec, s[6:7]
	s_and_saveexec_b64 s[6:7], s[4:5]
	s_cbranch_execz .LBB1_1248
.LBB1_1247:
	v_bfe_u32 v3, v4, 24, 3
	v_ffbh_u32_e32 v12, v3
	v_min_u32_e32 v12, 32, v12
	v_lshrrev_b32_e32 v7, 27, v4
	v_subrev_u32_e32 v13, 28, v12
	v_and_b32_e32 v6, 0x80000000, v4
	v_and_b32_e32 v7, 15, v7
	v_bfe_u32 v8, v4, 27, 4
	v_lshlrev_b32_sdwa v4, v13, v4 dst_sel:DWORD dst_unused:UNUSED_PAD src0_sel:DWORD src1_sel:BYTE_3
	v_sub_u32_e32 v12, 29, v12
	v_and_b32_e32 v4, 7, v4
	v_cmp_eq_u16_e32 vcc, 0, v7
	v_cndmask_b32_e32 v3, v3, v4, vcc
	v_cndmask_b32_e32 v4, v8, v12, vcc
	v_mov_b32_e32 v7, 0x3b800000
	v_lshlrev_b32_e32 v3, 20, v3
	v_lshl_add_u32 v4, v4, 23, v7
	v_or3_b32 v3, v6, v4, v3
.LBB1_1248:
	s_or_b64 exec, exec, s[6:7]
	s_nop 0
	v_mfma_f32_16x16x4f32 a[0:3], v2, v3, a[0:3]
	s_movk_i32 s4, 0x7f
	v_cmp_gt_i16_sdwa s[6:7], v9, s4 src0_sel:BYTE_0 src1_sel:DWORD
	s_mov_b64 s[4:5], 0
                                        ; implicit-def: $sgpr10
	s_and_saveexec_b64 s[8:9], s[6:7]
	s_xor_b64 s[6:7], exec, s[8:9]
	s_cbranch_execnz .LBB1_3297
; %bb.1249:
	s_or_saveexec_b64 s[6:7], s[6:7]
	v_mov_b32_e32 v2, s10
	s_xor_b64 exec, exec, s[6:7]
	s_cbranch_execnz .LBB1_3300
.LBB1_1250:
	s_or_b64 exec, exec, s[6:7]
	s_and_saveexec_b64 s[6:7], s[4:5]
	s_cbranch_execz .LBB1_1252
.LBB1_1251:
	v_mov_b32_e32 v2, 8
	v_and_b32_e32 v3, 7, v9
	v_lshrrev_b32_sdwa v2, v2, v9 dst_sel:BYTE_1 dst_unused:UNUSED_PAD src0_sel:DWORD src1_sel:DWORD
	v_ffbh_u32_e32 v4, v3
	v_or_b32_sdwa v2, v9, v2 dst_sel:DWORD dst_unused:UNUSED_PAD src0_sel:BYTE_0 src1_sel:DWORD
	v_min_u32_e32 v4, 32, v4
	v_lshrrev_b16_e32 v2, 3, v2
	v_subrev_u32_e32 v6, 28, v4
	v_and_b32_e32 v2, 15, v2
	v_lshlrev_b32_e32 v6, v6, v9
	v_sub_u32_e32 v4, 29, v4
	v_and_b32_e32 v6, 7, v6
	v_cmp_eq_u16_e32 vcc, 0, v2
	v_cndmask_b32_e32 v3, v3, v6, vcc
	v_cndmask_b32_e32 v2, v2, v4, vcc
	v_lshlrev_b32_e32 v4, 24, v9
	v_mov_b32_e32 v6, 0x3b800000
	v_lshlrev_b32_e32 v3, 20, v3
	v_and_b32_e32 v4, 0x80000000, v4
	v_lshl_add_u32 v2, v2, 23, v6
	v_or3_b32 v2, v4, v2, v3
.LBB1_1252:
	s_or_b64 exec, exec, s[6:7]
	s_movk_i32 s4, 0x7f
	v_cmp_gt_i16_sdwa s[6:7], v5, s4 src0_sel:BYTE_0 src1_sel:DWORD
	s_mov_b64 s[4:5], 0
                                        ; implicit-def: $sgpr10
	s_and_saveexec_b64 s[8:9], s[6:7]
	s_xor_b64 s[6:7], exec, s[8:9]
	s_cbranch_execnz .LBB1_3301
; %bb.1253:
	s_or_saveexec_b64 s[6:7], s[6:7]
	v_mov_b32_e32 v3, s10
	s_xor_b64 exec, exec, s[6:7]
	s_cbranch_execnz .LBB1_3304
.LBB1_1254:
	s_or_b64 exec, exec, s[6:7]
	s_and_saveexec_b64 s[6:7], s[4:5]
	s_cbranch_execz .LBB1_1256
.LBB1_1255:
	v_mov_b32_e32 v3, 8
	v_and_b32_e32 v4, 7, v5
	v_lshrrev_b32_sdwa v3, v3, v5 dst_sel:BYTE_1 dst_unused:UNUSED_PAD src0_sel:DWORD src1_sel:DWORD
	v_ffbh_u32_e32 v6, v4
	v_or_b32_sdwa v3, v5, v3 dst_sel:DWORD dst_unused:UNUSED_PAD src0_sel:BYTE_0 src1_sel:DWORD
	v_min_u32_e32 v6, 32, v6
	v_lshrrev_b16_e32 v3, 3, v3
	v_subrev_u32_e32 v7, 28, v6
	v_and_b32_e32 v3, 15, v3
	v_lshlrev_b32_e32 v7, v7, v5
	v_sub_u32_e32 v6, 29, v6
	v_and_b32_e32 v7, 7, v7
	v_cmp_eq_u16_e32 vcc, 0, v3
	v_cndmask_b32_e32 v4, v4, v7, vcc
	v_cndmask_b32_e32 v3, v3, v6, vcc
	v_lshlrev_b32_e32 v6, 24, v5
	v_mov_b32_e32 v7, 0x3b800000
	v_lshlrev_b32_e32 v4, 20, v4
	v_and_b32_e32 v6, 0x80000000, v6
	v_lshl_add_u32 v3, v3, 23, v7
	v_or3_b32 v3, v6, v3, v4
.LBB1_1256:
	s_or_b64 exec, exec, s[6:7]
	s_nop 0
	v_mfma_f32_16x16x4f32 a[0:3], v2, v3, a[0:3]
	v_lshrrev_b32_e32 v3, 8, v9
	s_movk_i32 s4, 0x7f
	v_cmp_gt_i16_sdwa s[6:7], v3, s4 src0_sel:BYTE_0 src1_sel:DWORD
	s_mov_b64 s[4:5], 0
                                        ; implicit-def: $sgpr10
	s_and_saveexec_b64 s[8:9], s[6:7]
	s_xor_b64 s[6:7], exec, s[8:9]
	s_cbranch_execnz .LBB1_3305
; %bb.1257:
	s_or_saveexec_b64 s[6:7], s[6:7]
	v_mov_b32_e32 v2, s10
	s_xor_b64 exec, exec, s[6:7]
	s_cbranch_execnz .LBB1_3308
.LBB1_1258:
	s_or_b64 exec, exec, s[6:7]
	s_and_saveexec_b64 s[6:7], s[4:5]
	s_cbranch_execz .LBB1_1260
.LBB1_1259:
	v_bfe_u32 v2, v9, 8, 3
	v_ffbh_u32_e32 v6, v2
	v_min_u32_e32 v6, 32, v6
	v_lshrrev_b16_e32 v4, 3, v3
	v_subrev_u32_e32 v7, 28, v6
	v_and_b32_e32 v4, 15, v4
	v_lshlrev_b32_e32 v3, v7, v3
	v_sub_u32_e32 v6, 29, v6
	v_and_b32_e32 v3, 7, v3
	v_cmp_eq_u16_e32 vcc, 0, v4
	v_cndmask_b32_e32 v2, v2, v3, vcc
	v_cndmask_b32_e32 v3, v4, v6, vcc
	v_lshlrev_b32_e32 v4, 16, v9
	v_mov_b32_e32 v6, 0x3b800000
	v_lshlrev_b32_e32 v2, 20, v2
	v_and_b32_e32 v4, 0x80000000, v4
	v_lshl_add_u32 v3, v3, 23, v6
	v_or3_b32 v2, v4, v3, v2
.LBB1_1260:
	s_or_b64 exec, exec, s[6:7]
	v_lshrrev_b32_e32 v3, 8, v5
	s_movk_i32 s4, 0x7f
	v_cmp_gt_i16_sdwa s[6:7], v3, s4 src0_sel:BYTE_0 src1_sel:DWORD
	s_mov_b64 s[4:5], 0
                                        ; implicit-def: $sgpr10
	s_and_saveexec_b64 s[8:9], s[6:7]
	s_xor_b64 s[6:7], exec, s[8:9]
	s_cbranch_execnz .LBB1_3309
; %bb.1261:
	s_or_saveexec_b64 s[6:7], s[6:7]
	v_mov_b32_e32 v4, s10
	s_xor_b64 exec, exec, s[6:7]
	s_cbranch_execnz .LBB1_3312
.LBB1_1262:
	s_or_b64 exec, exec, s[6:7]
	s_and_saveexec_b64 s[6:7], s[4:5]
	s_cbranch_execz .LBB1_1264
.LBB1_1263:
	v_bfe_u32 v4, v5, 8, 3
	v_ffbh_u32_e32 v7, v4
	v_min_u32_e32 v7, 32, v7
	v_lshrrev_b16_e32 v6, 3, v3
	v_subrev_u32_e32 v8, 28, v7
	v_and_b32_e32 v6, 15, v6
	v_lshlrev_b32_e32 v3, v8, v3
	v_sub_u32_e32 v7, 29, v7
	v_and_b32_e32 v3, 7, v3
	v_cmp_eq_u16_e32 vcc, 0, v6
	v_cndmask_b32_e32 v3, v4, v3, vcc
	v_cndmask_b32_e32 v4, v6, v7, vcc
	v_lshlrev_b32_e32 v6, 16, v5
	v_mov_b32_e32 v7, 0x3b800000
	v_lshlrev_b32_e32 v3, 20, v3
	v_and_b32_e32 v6, 0x80000000, v6
	v_lshl_add_u32 v4, v4, 23, v7
	v_or3_b32 v4, v6, v4, v3
.LBB1_1264:
	s_or_b64 exec, exec, s[6:7]
	s_nop 0
	v_mfma_f32_16x16x4f32 a[0:3], v2, v4, a[0:3]
	s_movk_i32 s4, 0xff
	v_and_b32_sdwa v3, v9, s4 dst_sel:DWORD dst_unused:UNUSED_PAD src0_sel:WORD_1 src1_sel:DWORD
	s_movk_i32 s4, 0x7f
	v_cmp_lt_i16_e32 vcc, s4, v3
	s_mov_b64 s[4:5], 0
                                        ; implicit-def: $sgpr10
	s_and_saveexec_b64 s[6:7], vcc
	s_xor_b64 s[6:7], exec, s[6:7]
	s_cbranch_execnz .LBB1_3313
; %bb.1265:
	s_or_saveexec_b64 s[6:7], s[6:7]
	v_mov_b32_e32 v2, s10
	s_xor_b64 exec, exec, s[6:7]
	s_cbranch_execnz .LBB1_3316
.LBB1_1266:
	s_or_b64 exec, exec, s[6:7]
	s_and_saveexec_b64 s[6:7], s[4:5]
	s_cbranch_execz .LBB1_1268
.LBB1_1267:
	v_bfe_u32 v2, v9, 16, 3
	v_ffbh_u32_e32 v6, v2
	v_min_u32_e32 v6, 32, v6
	v_lshrrev_b32_e32 v3, 19, v9
	v_subrev_u32_e32 v7, 28, v6
	v_and_b32_e32 v3, 15, v3
	v_lshlrev_b32_sdwa v7, v7, v9 dst_sel:DWORD dst_unused:UNUSED_PAD src0_sel:DWORD src1_sel:WORD_1
	v_bfe_u32 v4, v9, 19, 4
	v_sub_u32_e32 v6, 29, v6
	v_and_b32_e32 v7, 7, v7
	v_cmp_eq_u16_e32 vcc, 0, v3
	v_cndmask_b32_e32 v2, v2, v7, vcc
	v_cndmask_b32_e32 v3, v4, v6, vcc
	v_lshlrev_b32_e32 v4, 8, v9
	v_mov_b32_e32 v6, 0x3b800000
	v_lshlrev_b32_e32 v2, 20, v2
	v_and_b32_e32 v4, 0x80000000, v4
	v_lshl_add_u32 v3, v3, 23, v6
	v_or3_b32 v2, v4, v3, v2
.LBB1_1268:
	s_or_b64 exec, exec, s[6:7]
	s_movk_i32 s4, 0xff
	v_and_b32_sdwa v3, v5, s4 dst_sel:DWORD dst_unused:UNUSED_PAD src0_sel:WORD_1 src1_sel:DWORD
	s_movk_i32 s4, 0x7f
	v_cmp_lt_i16_e32 vcc, s4, v3
	s_mov_b64 s[4:5], 0
                                        ; implicit-def: $sgpr10
	s_and_saveexec_b64 s[6:7], vcc
	s_xor_b64 s[6:7], exec, s[6:7]
	s_cbranch_execnz .LBB1_3317
; %bb.1269:
	s_or_saveexec_b64 s[6:7], s[6:7]
	v_mov_b32_e32 v4, s10
	s_xor_b64 exec, exec, s[6:7]
	s_cbranch_execnz .LBB1_3320
.LBB1_1270:
	s_or_b64 exec, exec, s[6:7]
	s_and_saveexec_b64 s[6:7], s[4:5]
	s_cbranch_execz .LBB1_1272
.LBB1_1271:
	v_bfe_u32 v3, v5, 16, 3
	v_ffbh_u32_e32 v7, v3
	v_min_u32_e32 v7, 32, v7
	v_lshrrev_b32_e32 v4, 19, v5
	v_subrev_u32_e32 v8, 28, v7
	v_and_b32_e32 v4, 15, v4
	v_lshlrev_b32_sdwa v8, v8, v5 dst_sel:DWORD dst_unused:UNUSED_PAD src0_sel:DWORD src1_sel:WORD_1
	v_bfe_u32 v6, v5, 19, 4
	v_sub_u32_e32 v7, 29, v7
	v_and_b32_e32 v8, 7, v8
	v_cmp_eq_u16_e32 vcc, 0, v4
	v_cndmask_b32_e32 v3, v3, v8, vcc
	v_cndmask_b32_e32 v4, v6, v7, vcc
	v_lshlrev_b32_e32 v6, 8, v5
	v_mov_b32_e32 v7, 0x3b800000
	v_lshlrev_b32_e32 v3, 20, v3
	v_and_b32_e32 v6, 0x80000000, v6
	v_lshl_add_u32 v4, v4, 23, v7
	v_or3_b32 v4, v6, v4, v3
.LBB1_1272:
	s_or_b64 exec, exec, s[6:7]
	s_nop 0
	v_mfma_f32_16x16x4f32 a[0:3], v2, v4, a[0:3]
	s_movk_i32 s4, 0x7f
	v_cmp_gt_i16_sdwa s[6:7], v9, s4 src0_sel:BYTE_3 src1_sel:DWORD
	s_mov_b64 s[4:5], 0
                                        ; implicit-def: $sgpr10
	s_and_saveexec_b64 s[8:9], s[6:7]
	s_xor_b64 s[6:7], exec, s[8:9]
	s_cbranch_execnz .LBB1_3321
; %bb.1273:
	s_or_saveexec_b64 s[6:7], s[6:7]
	v_mov_b32_e32 v2, s10
	s_xor_b64 exec, exec, s[6:7]
	s_cbranch_execnz .LBB1_3324
.LBB1_1274:
	s_or_b64 exec, exec, s[6:7]
	s_and_saveexec_b64 s[6:7], s[4:5]
	s_cbranch_execz .LBB1_1276
.LBB1_1275:
	v_bfe_u32 v2, v9, 24, 3
	v_ffbh_u32_e32 v7, v2
	v_min_u32_e32 v7, 32, v7
	v_lshrrev_b32_e32 v4, 27, v9
	v_subrev_u32_e32 v8, 28, v7
	v_and_b32_e32 v4, 15, v4
	v_lshlrev_b32_sdwa v8, v8, v9 dst_sel:DWORD dst_unused:UNUSED_PAD src0_sel:DWORD src1_sel:BYTE_3
	v_bfe_u32 v6, v9, 27, 4
	v_sub_u32_e32 v7, 29, v7
	v_and_b32_e32 v8, 7, v8
	v_cmp_eq_u16_e32 vcc, 0, v4
	v_cndmask_b32_e32 v2, v2, v8, vcc
	v_cndmask_b32_e32 v4, v6, v7, vcc
	v_mov_b32_e32 v6, 0x3b800000
	v_and_b32_e32 v3, 0x80000000, v9
	v_lshlrev_b32_e32 v2, 20, v2
	v_lshl_add_u32 v4, v4, 23, v6
	v_or3_b32 v2, v3, v4, v2
.LBB1_1276:
	s_or_b64 exec, exec, s[6:7]
	s_movk_i32 s4, 0x7f
	v_cmp_gt_i16_sdwa s[6:7], v5, s4 src0_sel:BYTE_3 src1_sel:DWORD
	s_mov_b64 s[4:5], 0
                                        ; implicit-def: $sgpr10
	s_and_saveexec_b64 s[8:9], s[6:7]
	s_xor_b64 s[6:7], exec, s[8:9]
	s_cbranch_execnz .LBB1_3325
; %bb.1277:
	s_or_saveexec_b64 s[6:7], s[6:7]
	v_mov_b32_e32 v3, s10
	s_xor_b64 exec, exec, s[6:7]
	s_cbranch_execnz .LBB1_3328
.LBB1_1278:
	s_or_b64 exec, exec, s[6:7]
	s_and_saveexec_b64 s[6:7], s[4:5]
	s_cbranch_execz .LBB1_1280
.LBB1_1279:
	v_bfe_u32 v3, v5, 24, 3
	v_ffbh_u32_e32 v8, v3
	v_min_u32_e32 v8, 32, v8
	v_lshrrev_b32_e32 v6, 27, v5
	v_subrev_u32_e32 v9, 28, v8
	v_and_b32_e32 v4, 0x80000000, v5
	v_and_b32_e32 v6, 15, v6
	v_bfe_u32 v7, v5, 27, 4
	v_lshlrev_b32_sdwa v5, v9, v5 dst_sel:DWORD dst_unused:UNUSED_PAD src0_sel:DWORD src1_sel:BYTE_3
	v_sub_u32_e32 v8, 29, v8
	v_and_b32_e32 v5, 7, v5
	v_cmp_eq_u16_e32 vcc, 0, v6
	v_cndmask_b32_e32 v3, v3, v5, vcc
	v_cndmask_b32_e32 v5, v7, v8, vcc
	v_mov_b32_e32 v6, 0x3b800000
	v_lshlrev_b32_e32 v3, 20, v3
	v_lshl_add_u32 v5, v5, 23, v6
	v_or3_b32 v3, v4, v5, v3
.LBB1_1280:
	s_or_b64 exec, exec, s[6:7]
	s_nop 0
	v_mfma_f32_16x16x4f32 a[0:3], v2, v3, a[0:3]
	s_movk_i32 s4, 0x7f
                                        ; implicit-def: $sgpr10
	s_nop 7
	s_nop 1
	flat_store_dwordx4 v[10:11], a[0:3] offset:144
	flat_load_dwordx4 v[12:15], v[0:1] offset:8
	s_nop 0
	flat_load_dwordx2 v[10:11], v[0:1] offset:32
	s_waitcnt vmcnt(0) lgkmcnt(0)
	flat_load_dwordx4 v[6:9], v[12:13] offset:64
	flat_load_dwordx4 v[2:5], v[14:15] offset:64
	s_waitcnt vmcnt(0) lgkmcnt(0)
	v_cmp_gt_i16_sdwa s[6:7], v6, s4 src0_sel:BYTE_0 src1_sel:DWORD
	s_mov_b64 s[4:5], 0
	s_and_saveexec_b64 s[8:9], s[6:7]
	s_xor_b64 s[6:7], exec, s[8:9]
	s_cbranch_execnz .LBB1_3329
; %bb.1281:
	s_or_saveexec_b64 s[6:7], s[6:7]
	v_mov_b32_e32 v12, s10
	s_xor_b64 exec, exec, s[6:7]
	s_cbranch_execnz .LBB1_3332
.LBB1_1282:
	s_or_b64 exec, exec, s[6:7]
	s_and_saveexec_b64 s[6:7], s[4:5]
	s_cbranch_execz .LBB1_1284
.LBB1_1283:
	v_and_b32_e32 v12, 7, v6
	v_ffbh_u32_e32 v14, v12
	v_min_u32_e32 v14, 32, v14
	v_lshrrev_b16_e32 v13, 3, v6
	v_subrev_u32_e32 v15, 28, v14
	v_and_b32_e32 v13, 15, v13
	v_lshlrev_b32_e32 v15, v15, v6
	v_sub_u32_e32 v14, 29, v14
	v_and_b32_e32 v15, 7, v15
	v_cmp_eq_u16_e32 vcc, 0, v13
	v_cndmask_b32_e32 v12, v12, v15, vcc
	v_cndmask_b32_e32 v13, v13, v14, vcc
	v_lshlrev_b32_e32 v14, 24, v6
	v_mov_b32_e32 v15, 0x3b800000
	v_lshlrev_b32_e32 v12, 20, v12
	v_and_b32_e32 v14, 0x80000000, v14
	v_lshl_add_u32 v13, v13, 23, v15
	v_or3_b32 v12, v14, v13, v12
.LBB1_1284:
	s_or_b64 exec, exec, s[6:7]
	s_movk_i32 s4, 0x7f
	v_cmp_gt_i16_sdwa s[6:7], v2, s4 src0_sel:BYTE_0 src1_sel:DWORD
	s_mov_b64 s[4:5], 0
                                        ; implicit-def: $sgpr10
	s_and_saveexec_b64 s[8:9], s[6:7]
	s_xor_b64 s[6:7], exec, s[8:9]
	s_cbranch_execnz .LBB1_3333
; %bb.1285:
	s_or_saveexec_b64 s[6:7], s[6:7]
	v_mov_b32_e32 v13, s10
	s_xor_b64 exec, exec, s[6:7]
	s_cbranch_execnz .LBB1_3336
.LBB1_1286:
	s_or_b64 exec, exec, s[6:7]
	s_and_saveexec_b64 s[6:7], s[4:5]
	s_cbranch_execz .LBB1_1288
.LBB1_1287:
	v_and_b32_e32 v13, 7, v2
	v_ffbh_u32_e32 v15, v13
	v_min_u32_e32 v15, 32, v15
	v_lshrrev_b16_e32 v14, 3, v2
	v_subrev_u32_e32 v16, 28, v15
	v_and_b32_e32 v14, 15, v14
	v_lshlrev_b32_e32 v16, v16, v2
	v_sub_u32_e32 v15, 29, v15
	v_and_b32_e32 v16, 7, v16
	v_cmp_eq_u16_e32 vcc, 0, v14
	v_cndmask_b32_e32 v13, v13, v16, vcc
	v_cndmask_b32_e32 v14, v14, v15, vcc
	v_lshlrev_b32_e32 v15, 24, v2
	v_mov_b32_e32 v16, 0x3b800000
	v_lshlrev_b32_e32 v13, 20, v13
	v_and_b32_e32 v15, 0x80000000, v15
	v_lshl_add_u32 v14, v14, 23, v16
	v_or3_b32 v13, v15, v14, v13
.LBB1_1288:
	s_or_b64 exec, exec, s[6:7]
	flat_load_dwordx4 a[0:3], v[10:11] offset:160
	s_movk_i32 s4, 0x7f
                                        ; implicit-def: $sgpr10
	s_waitcnt vmcnt(0) lgkmcnt(0)
	v_mfma_f32_16x16x4f32 a[0:3], v12, v13, a[0:3]
	v_lshrrev_b32_e32 v13, 8, v6
	v_cmp_gt_i16_sdwa s[6:7], v13, s4 src0_sel:BYTE_0 src1_sel:DWORD
	s_mov_b64 s[4:5], 0
	s_and_saveexec_b64 s[8:9], s[6:7]
	s_xor_b64 s[6:7], exec, s[8:9]
	s_cbranch_execnz .LBB1_3337
; %bb.1289:
	s_or_saveexec_b64 s[6:7], s[6:7]
	v_mov_b32_e32 v12, s10
	s_xor_b64 exec, exec, s[6:7]
	s_cbranch_execnz .LBB1_3340
.LBB1_1290:
	s_or_b64 exec, exec, s[6:7]
	s_and_saveexec_b64 s[6:7], s[4:5]
	s_cbranch_execz .LBB1_1292
.LBB1_1291:
	v_bfe_u32 v12, v6, 8, 3
	v_ffbh_u32_e32 v15, v12
	v_min_u32_e32 v15, 32, v15
	v_lshrrev_b16_e32 v14, 3, v13
	v_subrev_u32_e32 v16, 28, v15
	v_and_b32_e32 v14, 15, v14
	v_lshlrev_b32_e32 v13, v16, v13
	v_sub_u32_e32 v15, 29, v15
	v_and_b32_e32 v13, 7, v13
	v_cmp_eq_u16_e32 vcc, 0, v14
	v_cndmask_b32_e32 v12, v12, v13, vcc
	v_cndmask_b32_e32 v13, v14, v15, vcc
	v_lshlrev_b32_e32 v14, 16, v6
	v_mov_b32_e32 v15, 0x3b800000
	v_lshlrev_b32_e32 v12, 20, v12
	v_and_b32_e32 v14, 0x80000000, v14
	v_lshl_add_u32 v13, v13, 23, v15
	v_or3_b32 v12, v14, v13, v12
.LBB1_1292:
	s_or_b64 exec, exec, s[6:7]
	v_lshrrev_b32_e32 v13, 8, v2
	s_movk_i32 s4, 0x7f
	v_cmp_gt_i16_sdwa s[6:7], v13, s4 src0_sel:BYTE_0 src1_sel:DWORD
	s_mov_b64 s[4:5], 0
                                        ; implicit-def: $sgpr10
	s_and_saveexec_b64 s[8:9], s[6:7]
	s_xor_b64 s[6:7], exec, s[8:9]
	s_cbranch_execnz .LBB1_3341
; %bb.1293:
	s_or_saveexec_b64 s[6:7], s[6:7]
	v_mov_b32_e32 v14, s10
	s_xor_b64 exec, exec, s[6:7]
	s_cbranch_execnz .LBB1_3344
.LBB1_1294:
	s_or_b64 exec, exec, s[6:7]
	s_and_saveexec_b64 s[6:7], s[4:5]
	s_cbranch_execz .LBB1_1296
.LBB1_1295:
	v_bfe_u32 v14, v2, 8, 3
	v_ffbh_u32_e32 v16, v14
	v_min_u32_e32 v16, 32, v16
	v_lshrrev_b16_e32 v15, 3, v13
	v_subrev_u32_e32 v17, 28, v16
	v_and_b32_e32 v15, 15, v15
	v_lshlrev_b32_e32 v13, v17, v13
	v_sub_u32_e32 v16, 29, v16
	v_and_b32_e32 v13, 7, v13
	v_cmp_eq_u16_e32 vcc, 0, v15
	v_cndmask_b32_e32 v13, v14, v13, vcc
	v_cndmask_b32_e32 v14, v15, v16, vcc
	v_lshlrev_b32_e32 v15, 16, v2
	v_mov_b32_e32 v16, 0x3b800000
	v_lshlrev_b32_e32 v13, 20, v13
	v_and_b32_e32 v15, 0x80000000, v15
	v_lshl_add_u32 v14, v14, 23, v16
	v_or3_b32 v14, v15, v14, v13
.LBB1_1296:
	s_or_b64 exec, exec, s[6:7]
	s_nop 0
	v_mfma_f32_16x16x4f32 a[0:3], v12, v14, a[0:3]
	s_movk_i32 s4, 0xff
	v_and_b32_sdwa v13, v6, s4 dst_sel:DWORD dst_unused:UNUSED_PAD src0_sel:WORD_1 src1_sel:DWORD
	s_movk_i32 s4, 0x7f
	v_cmp_lt_i16_e32 vcc, s4, v13
	s_mov_b64 s[4:5], 0
                                        ; implicit-def: $sgpr10
	s_and_saveexec_b64 s[6:7], vcc
	s_xor_b64 s[6:7], exec, s[6:7]
	s_cbranch_execnz .LBB1_3345
; %bb.1297:
	s_or_saveexec_b64 s[6:7], s[6:7]
	v_mov_b32_e32 v12, s10
	s_xor_b64 exec, exec, s[6:7]
	s_cbranch_execnz .LBB1_3348
.LBB1_1298:
	s_or_b64 exec, exec, s[6:7]
	s_and_saveexec_b64 s[6:7], s[4:5]
	s_cbranch_execz .LBB1_1300
.LBB1_1299:
	v_bfe_u32 v12, v6, 16, 3
	v_ffbh_u32_e32 v15, v12
	v_min_u32_e32 v15, 32, v15
	v_lshrrev_b32_e32 v13, 19, v6
	v_subrev_u32_e32 v16, 28, v15
	v_and_b32_e32 v13, 15, v13
	v_lshlrev_b32_sdwa v16, v16, v6 dst_sel:DWORD dst_unused:UNUSED_PAD src0_sel:DWORD src1_sel:WORD_1
	v_bfe_u32 v14, v6, 19, 4
	v_sub_u32_e32 v15, 29, v15
	v_and_b32_e32 v16, 7, v16
	v_cmp_eq_u16_e32 vcc, 0, v13
	v_cndmask_b32_e32 v12, v12, v16, vcc
	v_cndmask_b32_e32 v13, v14, v15, vcc
	v_lshlrev_b32_e32 v14, 8, v6
	v_mov_b32_e32 v15, 0x3b800000
	v_lshlrev_b32_e32 v12, 20, v12
	v_and_b32_e32 v14, 0x80000000, v14
	v_lshl_add_u32 v13, v13, 23, v15
	v_or3_b32 v12, v14, v13, v12
.LBB1_1300:
	s_or_b64 exec, exec, s[6:7]
	s_movk_i32 s4, 0xff
	v_and_b32_sdwa v13, v2, s4 dst_sel:DWORD dst_unused:UNUSED_PAD src0_sel:WORD_1 src1_sel:DWORD
	s_movk_i32 s4, 0x7f
	v_cmp_lt_i16_e32 vcc, s4, v13
	s_mov_b64 s[4:5], 0
                                        ; implicit-def: $sgpr10
	s_and_saveexec_b64 s[6:7], vcc
	s_xor_b64 s[6:7], exec, s[6:7]
	s_cbranch_execnz .LBB1_3349
; %bb.1301:
	s_or_saveexec_b64 s[6:7], s[6:7]
	v_mov_b32_e32 v14, s10
	s_xor_b64 exec, exec, s[6:7]
	s_cbranch_execnz .LBB1_3352
.LBB1_1302:
	s_or_b64 exec, exec, s[6:7]
	s_and_saveexec_b64 s[6:7], s[4:5]
	s_cbranch_execz .LBB1_1304
.LBB1_1303:
	v_bfe_u32 v13, v2, 16, 3
	v_ffbh_u32_e32 v16, v13
	v_min_u32_e32 v16, 32, v16
	v_lshrrev_b32_e32 v14, 19, v2
	v_subrev_u32_e32 v17, 28, v16
	v_and_b32_e32 v14, 15, v14
	v_lshlrev_b32_sdwa v17, v17, v2 dst_sel:DWORD dst_unused:UNUSED_PAD src0_sel:DWORD src1_sel:WORD_1
	v_bfe_u32 v15, v2, 19, 4
	v_sub_u32_e32 v16, 29, v16
	v_and_b32_e32 v17, 7, v17
	v_cmp_eq_u16_e32 vcc, 0, v14
	v_cndmask_b32_e32 v13, v13, v17, vcc
	v_cndmask_b32_e32 v14, v15, v16, vcc
	v_lshlrev_b32_e32 v15, 8, v2
	v_mov_b32_e32 v16, 0x3b800000
	v_lshlrev_b32_e32 v13, 20, v13
	v_and_b32_e32 v15, 0x80000000, v15
	v_lshl_add_u32 v14, v14, 23, v16
	v_or3_b32 v14, v15, v14, v13
.LBB1_1304:
	s_or_b64 exec, exec, s[6:7]
	s_nop 0
	v_mfma_f32_16x16x4f32 a[0:3], v12, v14, a[0:3]
	s_movk_i32 s4, 0x7f
	v_cmp_gt_i16_sdwa s[6:7], v6, s4 src0_sel:BYTE_3 src1_sel:DWORD
	s_mov_b64 s[4:5], 0
                                        ; implicit-def: $sgpr10
	s_and_saveexec_b64 s[8:9], s[6:7]
	s_xor_b64 s[6:7], exec, s[8:9]
	s_cbranch_execnz .LBB1_3353
; %bb.1305:
	s_or_saveexec_b64 s[6:7], s[6:7]
	v_mov_b32_e32 v12, s10
	s_xor_b64 exec, exec, s[6:7]
	s_cbranch_execnz .LBB1_3356
.LBB1_1306:
	s_or_b64 exec, exec, s[6:7]
	s_and_saveexec_b64 s[6:7], s[4:5]
	s_cbranch_execz .LBB1_1308
.LBB1_1307:
	v_bfe_u32 v12, v6, 24, 3
	v_ffbh_u32_e32 v16, v12
	v_min_u32_e32 v16, 32, v16
	v_lshrrev_b32_e32 v14, 27, v6
	v_subrev_u32_e32 v17, 28, v16
	v_and_b32_e32 v13, 0x80000000, v6
	v_and_b32_e32 v14, 15, v14
	v_bfe_u32 v15, v6, 27, 4
	v_lshlrev_b32_sdwa v6, v17, v6 dst_sel:DWORD dst_unused:UNUSED_PAD src0_sel:DWORD src1_sel:BYTE_3
	v_sub_u32_e32 v16, 29, v16
	v_and_b32_e32 v6, 7, v6
	v_cmp_eq_u16_e32 vcc, 0, v14
	v_cndmask_b32_e32 v6, v12, v6, vcc
	v_cndmask_b32_e32 v12, v15, v16, vcc
	v_mov_b32_e32 v14, 0x3b800000
	v_lshlrev_b32_e32 v6, 20, v6
	v_lshl_add_u32 v12, v12, 23, v14
	v_or3_b32 v12, v13, v12, v6
.LBB1_1308:
	s_or_b64 exec, exec, s[6:7]
	s_movk_i32 s4, 0x7f
	v_cmp_gt_i16_sdwa s[6:7], v2, s4 src0_sel:BYTE_3 src1_sel:DWORD
	s_mov_b64 s[4:5], 0
                                        ; implicit-def: $sgpr10
	s_and_saveexec_b64 s[8:9], s[6:7]
	s_xor_b64 s[6:7], exec, s[8:9]
	s_cbranch_execnz .LBB1_3357
; %bb.1309:
	s_or_saveexec_b64 s[6:7], s[6:7]
	v_mov_b32_e32 v6, s10
	s_xor_b64 exec, exec, s[6:7]
	s_cbranch_execnz .LBB1_3360
.LBB1_1310:
	s_or_b64 exec, exec, s[6:7]
	s_and_saveexec_b64 s[6:7], s[4:5]
	s_cbranch_execz .LBB1_1312
.LBB1_1311:
	v_bfe_u32 v6, v2, 24, 3
	v_ffbh_u32_e32 v16, v6
	v_min_u32_e32 v16, 32, v16
	v_lshrrev_b32_e32 v14, 27, v2
	v_subrev_u32_e32 v17, 28, v16
	v_and_b32_e32 v13, 0x80000000, v2
	v_and_b32_e32 v14, 15, v14
	v_bfe_u32 v15, v2, 27, 4
	v_lshlrev_b32_sdwa v2, v17, v2 dst_sel:DWORD dst_unused:UNUSED_PAD src0_sel:DWORD src1_sel:BYTE_3
	v_sub_u32_e32 v16, 29, v16
	v_and_b32_e32 v2, 7, v2
	v_cmp_eq_u16_e32 vcc, 0, v14
	v_cndmask_b32_e32 v2, v6, v2, vcc
	v_cndmask_b32_e32 v6, v15, v16, vcc
	v_mov_b32_e32 v14, 0x3b800000
	v_lshlrev_b32_e32 v2, 20, v2
	v_lshl_add_u32 v6, v6, 23, v14
	v_or3_b32 v6, v13, v6, v2
.LBB1_1312:
	s_or_b64 exec, exec, s[6:7]
	s_nop 0
	v_mfma_f32_16x16x4f32 a[0:3], v12, v6, a[0:3]
	s_movk_i32 s4, 0x7f
	v_cmp_gt_i16_sdwa s[6:7], v7, s4 src0_sel:BYTE_0 src1_sel:DWORD
	s_mov_b64 s[4:5], 0
                                        ; implicit-def: $sgpr10
	s_and_saveexec_b64 s[8:9], s[6:7]
	s_xor_b64 s[6:7], exec, s[8:9]
	s_cbranch_execnz .LBB1_3361
; %bb.1313:
	s_or_saveexec_b64 s[6:7], s[6:7]
	v_mov_b32_e32 v2, s10
	s_xor_b64 exec, exec, s[6:7]
	s_cbranch_execnz .LBB1_3364
.LBB1_1314:
	s_or_b64 exec, exec, s[6:7]
	s_and_saveexec_b64 s[6:7], s[4:5]
	s_cbranch_execz .LBB1_1316
.LBB1_1315:
	v_and_b32_e32 v2, 7, v7
	v_ffbh_u32_e32 v12, v2
	v_min_u32_e32 v12, 32, v12
	v_lshrrev_b16_e32 v6, 3, v7
	v_subrev_u32_e32 v13, 28, v12
	v_and_b32_e32 v6, 15, v6
	v_lshlrev_b32_e32 v13, v13, v7
	v_sub_u32_e32 v12, 29, v12
	v_and_b32_e32 v13, 7, v13
	v_cmp_eq_u16_e32 vcc, 0, v6
	v_cndmask_b32_e32 v2, v2, v13, vcc
	v_cndmask_b32_e32 v6, v6, v12, vcc
	v_lshlrev_b32_e32 v12, 24, v7
	v_mov_b32_e32 v13, 0x3b800000
	v_lshlrev_b32_e32 v2, 20, v2
	v_and_b32_e32 v12, 0x80000000, v12
	v_lshl_add_u32 v6, v6, 23, v13
	v_or3_b32 v2, v12, v6, v2
.LBB1_1316:
	s_or_b64 exec, exec, s[6:7]
	s_movk_i32 s4, 0x7f
	v_cmp_gt_i16_sdwa s[6:7], v3, s4 src0_sel:BYTE_0 src1_sel:DWORD
	s_mov_b64 s[4:5], 0
                                        ; implicit-def: $sgpr10
	s_and_saveexec_b64 s[8:9], s[6:7]
	s_xor_b64 s[6:7], exec, s[8:9]
	s_cbranch_execnz .LBB1_3365
; %bb.1317:
	s_or_saveexec_b64 s[6:7], s[6:7]
	v_mov_b32_e32 v6, s10
	s_xor_b64 exec, exec, s[6:7]
	s_cbranch_execnz .LBB1_3368
.LBB1_1318:
	s_or_b64 exec, exec, s[6:7]
	s_and_saveexec_b64 s[6:7], s[4:5]
	s_cbranch_execz .LBB1_1320
.LBB1_1319:
	v_and_b32_e32 v6, 7, v3
	v_ffbh_u32_e32 v13, v6
	v_min_u32_e32 v13, 32, v13
	v_lshrrev_b16_e32 v12, 3, v3
	v_subrev_u32_e32 v14, 28, v13
	v_and_b32_e32 v12, 15, v12
	v_lshlrev_b32_e32 v14, v14, v3
	v_sub_u32_e32 v13, 29, v13
	v_and_b32_e32 v14, 7, v14
	v_cmp_eq_u16_e32 vcc, 0, v12
	v_cndmask_b32_e32 v6, v6, v14, vcc
	v_cndmask_b32_e32 v12, v12, v13, vcc
	v_lshlrev_b32_e32 v13, 24, v3
	v_mov_b32_e32 v14, 0x3b800000
	v_lshlrev_b32_e32 v6, 20, v6
	v_and_b32_e32 v13, 0x80000000, v13
	v_lshl_add_u32 v12, v12, 23, v14
	v_or3_b32 v6, v13, v12, v6
.LBB1_1320:
	s_or_b64 exec, exec, s[6:7]
	s_nop 0
	v_mfma_f32_16x16x4f32 a[0:3], v2, v6, a[0:3]
	v_lshrrev_b32_e32 v6, 8, v7
	s_movk_i32 s4, 0x7f
	v_cmp_gt_i16_sdwa s[6:7], v6, s4 src0_sel:BYTE_0 src1_sel:DWORD
	s_mov_b64 s[4:5], 0
                                        ; implicit-def: $sgpr10
	s_and_saveexec_b64 s[8:9], s[6:7]
	s_xor_b64 s[6:7], exec, s[8:9]
	s_cbranch_execnz .LBB1_3369
; %bb.1321:
	s_or_saveexec_b64 s[6:7], s[6:7]
	v_mov_b32_e32 v2, s10
	s_xor_b64 exec, exec, s[6:7]
	s_cbranch_execnz .LBB1_3372
.LBB1_1322:
	s_or_b64 exec, exec, s[6:7]
	s_and_saveexec_b64 s[6:7], s[4:5]
	s_cbranch_execz .LBB1_1324
.LBB1_1323:
	v_bfe_u32 v2, v7, 8, 3
	v_ffbh_u32_e32 v13, v2
	v_min_u32_e32 v13, 32, v13
	v_lshrrev_b16_e32 v12, 3, v6
	v_subrev_u32_e32 v14, 28, v13
	v_and_b32_e32 v12, 15, v12
	v_lshlrev_b32_e32 v6, v14, v6
	v_sub_u32_e32 v13, 29, v13
	v_and_b32_e32 v6, 7, v6
	v_cmp_eq_u16_e32 vcc, 0, v12
	v_cndmask_b32_e32 v2, v2, v6, vcc
	v_cndmask_b32_e32 v6, v12, v13, vcc
	v_lshlrev_b32_e32 v12, 16, v7
	v_mov_b32_e32 v13, 0x3b800000
	v_lshlrev_b32_e32 v2, 20, v2
	v_and_b32_e32 v12, 0x80000000, v12
	v_lshl_add_u32 v6, v6, 23, v13
	v_or3_b32 v2, v12, v6, v2
.LBB1_1324:
	s_or_b64 exec, exec, s[6:7]
	v_lshrrev_b32_e32 v6, 8, v3
	s_movk_i32 s4, 0x7f
	v_cmp_gt_i16_sdwa s[6:7], v6, s4 src0_sel:BYTE_0 src1_sel:DWORD
	s_mov_b64 s[4:5], 0
                                        ; implicit-def: $sgpr10
	s_and_saveexec_b64 s[8:9], s[6:7]
	s_xor_b64 s[6:7], exec, s[8:9]
	s_cbranch_execnz .LBB1_3373
; %bb.1325:
	s_or_saveexec_b64 s[6:7], s[6:7]
	v_mov_b32_e32 v12, s10
	s_xor_b64 exec, exec, s[6:7]
	s_cbranch_execnz .LBB1_3376
.LBB1_1326:
	s_or_b64 exec, exec, s[6:7]
	s_and_saveexec_b64 s[6:7], s[4:5]
	s_cbranch_execz .LBB1_1328
.LBB1_1327:
	v_bfe_u32 v12, v3, 8, 3
	v_ffbh_u32_e32 v14, v12
	v_min_u32_e32 v14, 32, v14
	v_lshrrev_b16_e32 v13, 3, v6
	v_subrev_u32_e32 v15, 28, v14
	v_and_b32_e32 v13, 15, v13
	v_lshlrev_b32_e32 v6, v15, v6
	v_sub_u32_e32 v14, 29, v14
	v_and_b32_e32 v6, 7, v6
	v_cmp_eq_u16_e32 vcc, 0, v13
	v_cndmask_b32_e32 v6, v12, v6, vcc
	v_cndmask_b32_e32 v12, v13, v14, vcc
	v_lshlrev_b32_e32 v13, 16, v3
	v_mov_b32_e32 v14, 0x3b800000
	v_lshlrev_b32_e32 v6, 20, v6
	v_and_b32_e32 v13, 0x80000000, v13
	v_lshl_add_u32 v12, v12, 23, v14
	v_or3_b32 v12, v13, v12, v6
.LBB1_1328:
	s_or_b64 exec, exec, s[6:7]
	s_nop 0
	v_mfma_f32_16x16x4f32 a[0:3], v2, v12, a[0:3]
	s_movk_i32 s4, 0xff
	v_and_b32_sdwa v6, v7, s4 dst_sel:DWORD dst_unused:UNUSED_PAD src0_sel:WORD_1 src1_sel:DWORD
	s_movk_i32 s4, 0x7f
	v_cmp_lt_i16_e32 vcc, s4, v6
	s_mov_b64 s[4:5], 0
                                        ; implicit-def: $sgpr10
	s_and_saveexec_b64 s[6:7], vcc
	s_xor_b64 s[6:7], exec, s[6:7]
	s_cbranch_execnz .LBB1_3377
; %bb.1329:
	s_or_saveexec_b64 s[6:7], s[6:7]
	v_mov_b32_e32 v2, s10
	s_xor_b64 exec, exec, s[6:7]
	s_cbranch_execnz .LBB1_3380
.LBB1_1330:
	s_or_b64 exec, exec, s[6:7]
	s_and_saveexec_b64 s[6:7], s[4:5]
	s_cbranch_execz .LBB1_1332
.LBB1_1331:
	v_bfe_u32 v2, v7, 16, 3
	v_ffbh_u32_e32 v13, v2
	v_min_u32_e32 v13, 32, v13
	v_lshrrev_b32_e32 v6, 19, v7
	v_subrev_u32_e32 v14, 28, v13
	v_and_b32_e32 v6, 15, v6
	v_lshlrev_b32_sdwa v14, v14, v7 dst_sel:DWORD dst_unused:UNUSED_PAD src0_sel:DWORD src1_sel:WORD_1
	v_bfe_u32 v12, v7, 19, 4
	v_sub_u32_e32 v13, 29, v13
	v_and_b32_e32 v14, 7, v14
	v_cmp_eq_u16_e32 vcc, 0, v6
	v_cndmask_b32_e32 v2, v2, v14, vcc
	v_cndmask_b32_e32 v6, v12, v13, vcc
	v_lshlrev_b32_e32 v12, 8, v7
	v_mov_b32_e32 v13, 0x3b800000
	v_lshlrev_b32_e32 v2, 20, v2
	v_and_b32_e32 v12, 0x80000000, v12
	v_lshl_add_u32 v6, v6, 23, v13
	v_or3_b32 v2, v12, v6, v2
.LBB1_1332:
	s_or_b64 exec, exec, s[6:7]
	s_movk_i32 s4, 0xff
	v_and_b32_sdwa v6, v3, s4 dst_sel:DWORD dst_unused:UNUSED_PAD src0_sel:WORD_1 src1_sel:DWORD
	s_movk_i32 s4, 0x7f
	v_cmp_lt_i16_e32 vcc, s4, v6
	s_mov_b64 s[4:5], 0
                                        ; implicit-def: $sgpr10
	s_and_saveexec_b64 s[6:7], vcc
	s_xor_b64 s[6:7], exec, s[6:7]
	s_cbranch_execnz .LBB1_3381
; %bb.1333:
	s_or_saveexec_b64 s[6:7], s[6:7]
	v_mov_b32_e32 v12, s10
	s_xor_b64 exec, exec, s[6:7]
	s_cbranch_execnz .LBB1_3384
.LBB1_1334:
	s_or_b64 exec, exec, s[6:7]
	s_and_saveexec_b64 s[6:7], s[4:5]
	s_cbranch_execz .LBB1_1336
.LBB1_1335:
	v_bfe_u32 v6, v3, 16, 3
	v_ffbh_u32_e32 v14, v6
	v_min_u32_e32 v14, 32, v14
	v_lshrrev_b32_e32 v12, 19, v3
	v_subrev_u32_e32 v15, 28, v14
	v_and_b32_e32 v12, 15, v12
	v_lshlrev_b32_sdwa v15, v15, v3 dst_sel:DWORD dst_unused:UNUSED_PAD src0_sel:DWORD src1_sel:WORD_1
	v_bfe_u32 v13, v3, 19, 4
	v_sub_u32_e32 v14, 29, v14
	v_and_b32_e32 v15, 7, v15
	v_cmp_eq_u16_e32 vcc, 0, v12
	v_cndmask_b32_e32 v6, v6, v15, vcc
	v_cndmask_b32_e32 v12, v13, v14, vcc
	v_lshlrev_b32_e32 v13, 8, v3
	v_mov_b32_e32 v14, 0x3b800000
	v_lshlrev_b32_e32 v6, 20, v6
	v_and_b32_e32 v13, 0x80000000, v13
	v_lshl_add_u32 v12, v12, 23, v14
	v_or3_b32 v12, v13, v12, v6
.LBB1_1336:
	s_or_b64 exec, exec, s[6:7]
	s_nop 0
	v_mfma_f32_16x16x4f32 a[0:3], v2, v12, a[0:3]
	s_movk_i32 s4, 0x7f
	v_cmp_gt_i16_sdwa s[6:7], v7, s4 src0_sel:BYTE_3 src1_sel:DWORD
	s_mov_b64 s[4:5], 0
                                        ; implicit-def: $sgpr10
	s_and_saveexec_b64 s[8:9], s[6:7]
	s_xor_b64 s[6:7], exec, s[8:9]
	s_cbranch_execnz .LBB1_3385
; %bb.1337:
	s_or_saveexec_b64 s[6:7], s[6:7]
	v_mov_b32_e32 v2, s10
	s_xor_b64 exec, exec, s[6:7]
	s_cbranch_execnz .LBB1_3388
.LBB1_1338:
	s_or_b64 exec, exec, s[6:7]
	s_and_saveexec_b64 s[6:7], s[4:5]
	s_cbranch_execz .LBB1_1340
.LBB1_1339:
	v_bfe_u32 v2, v7, 24, 3
	v_ffbh_u32_e32 v14, v2
	v_min_u32_e32 v14, 32, v14
	v_lshrrev_b32_e32 v12, 27, v7
	v_subrev_u32_e32 v15, 28, v14
	v_and_b32_e32 v6, 0x80000000, v7
	v_and_b32_e32 v12, 15, v12
	v_bfe_u32 v13, v7, 27, 4
	v_lshlrev_b32_sdwa v7, v15, v7 dst_sel:DWORD dst_unused:UNUSED_PAD src0_sel:DWORD src1_sel:BYTE_3
	v_sub_u32_e32 v14, 29, v14
	v_and_b32_e32 v7, 7, v7
	v_cmp_eq_u16_e32 vcc, 0, v12
	v_cndmask_b32_e32 v2, v2, v7, vcc
	v_cndmask_b32_e32 v7, v13, v14, vcc
	v_mov_b32_e32 v12, 0x3b800000
	v_lshlrev_b32_e32 v2, 20, v2
	v_lshl_add_u32 v7, v7, 23, v12
	v_or3_b32 v2, v6, v7, v2
.LBB1_1340:
	s_or_b64 exec, exec, s[6:7]
	s_movk_i32 s4, 0x7f
	v_cmp_gt_i16_sdwa s[6:7], v3, s4 src0_sel:BYTE_3 src1_sel:DWORD
	s_mov_b64 s[4:5], 0
                                        ; implicit-def: $sgpr10
	s_and_saveexec_b64 s[8:9], s[6:7]
	s_xor_b64 s[6:7], exec, s[8:9]
	s_cbranch_execnz .LBB1_3389
; %bb.1341:
	s_or_saveexec_b64 s[6:7], s[6:7]
	v_mov_b32_e32 v6, s10
	s_xor_b64 exec, exec, s[6:7]
	s_cbranch_execnz .LBB1_3392
.LBB1_1342:
	s_or_b64 exec, exec, s[6:7]
	s_and_saveexec_b64 s[6:7], s[4:5]
	s_cbranch_execz .LBB1_1344
.LBB1_1343:
	v_bfe_u32 v6, v3, 24, 3
	v_ffbh_u32_e32 v14, v6
	v_min_u32_e32 v14, 32, v14
	v_lshrrev_b32_e32 v12, 27, v3
	v_subrev_u32_e32 v15, 28, v14
	v_and_b32_e32 v7, 0x80000000, v3
	v_and_b32_e32 v12, 15, v12
	v_bfe_u32 v13, v3, 27, 4
	v_lshlrev_b32_sdwa v3, v15, v3 dst_sel:DWORD dst_unused:UNUSED_PAD src0_sel:DWORD src1_sel:BYTE_3
	v_sub_u32_e32 v14, 29, v14
	v_and_b32_e32 v3, 7, v3
	v_cmp_eq_u16_e32 vcc, 0, v12
	v_cndmask_b32_e32 v3, v6, v3, vcc
	v_cndmask_b32_e32 v6, v13, v14, vcc
	v_mov_b32_e32 v12, 0x3b800000
	v_lshlrev_b32_e32 v3, 20, v3
	v_lshl_add_u32 v6, v6, 23, v12
	v_or3_b32 v6, v7, v6, v3
.LBB1_1344:
	s_or_b64 exec, exec, s[6:7]
	s_nop 0
	v_mfma_f32_16x16x4f32 a[0:3], v2, v6, a[0:3]
	s_movk_i32 s4, 0x7f
	v_cmp_gt_i16_sdwa s[6:7], v8, s4 src0_sel:BYTE_0 src1_sel:DWORD
	s_mov_b64 s[4:5], 0
                                        ; implicit-def: $sgpr10
	s_and_saveexec_b64 s[8:9], s[6:7]
	s_xor_b64 s[6:7], exec, s[8:9]
	s_cbranch_execnz .LBB1_3393
; %bb.1345:
	s_or_saveexec_b64 s[6:7], s[6:7]
	v_mov_b32_e32 v2, s10
	s_xor_b64 exec, exec, s[6:7]
	s_cbranch_execnz .LBB1_3396
.LBB1_1346:
	s_or_b64 exec, exec, s[6:7]
	s_and_saveexec_b64 s[6:7], s[4:5]
	s_cbranch_execz .LBB1_1348
.LBB1_1347:
	v_and_b32_e32 v2, 7, v8
	v_ffbh_u32_e32 v6, v2
	v_min_u32_e32 v6, 32, v6
	v_lshrrev_b16_e32 v3, 3, v8
	v_subrev_u32_e32 v7, 28, v6
	v_and_b32_e32 v3, 15, v3
	v_lshlrev_b32_e32 v7, v7, v8
	v_sub_u32_e32 v6, 29, v6
	v_and_b32_e32 v7, 7, v7
	v_cmp_eq_u16_e32 vcc, 0, v3
	v_cndmask_b32_e32 v2, v2, v7, vcc
	v_cndmask_b32_e32 v3, v3, v6, vcc
	v_lshlrev_b32_e32 v6, 24, v8
	v_mov_b32_e32 v7, 0x3b800000
	v_lshlrev_b32_e32 v2, 20, v2
	v_and_b32_e32 v6, 0x80000000, v6
	v_lshl_add_u32 v3, v3, 23, v7
	v_or3_b32 v2, v6, v3, v2
.LBB1_1348:
	s_or_b64 exec, exec, s[6:7]
	s_movk_i32 s4, 0x7f
	v_cmp_gt_i16_sdwa s[6:7], v4, s4 src0_sel:BYTE_0 src1_sel:DWORD
	s_mov_b64 s[4:5], 0
                                        ; implicit-def: $sgpr10
	s_and_saveexec_b64 s[8:9], s[6:7]
	s_xor_b64 s[6:7], exec, s[8:9]
	s_cbranch_execnz .LBB1_3397
; %bb.1349:
	s_or_saveexec_b64 s[6:7], s[6:7]
	v_mov_b32_e32 v3, s10
	s_xor_b64 exec, exec, s[6:7]
	s_cbranch_execnz .LBB1_3400
.LBB1_1350:
	s_or_b64 exec, exec, s[6:7]
	s_and_saveexec_b64 s[6:7], s[4:5]
	s_cbranch_execz .LBB1_1352
.LBB1_1351:
	v_and_b32_e32 v3, 7, v4
	v_ffbh_u32_e32 v7, v3
	v_min_u32_e32 v7, 32, v7
	v_lshrrev_b16_e32 v6, 3, v4
	v_subrev_u32_e32 v12, 28, v7
	v_and_b32_e32 v6, 15, v6
	v_lshlrev_b32_e32 v12, v12, v4
	v_sub_u32_e32 v7, 29, v7
	v_and_b32_e32 v12, 7, v12
	v_cmp_eq_u16_e32 vcc, 0, v6
	v_cndmask_b32_e32 v3, v3, v12, vcc
	v_cndmask_b32_e32 v6, v6, v7, vcc
	v_lshlrev_b32_e32 v7, 24, v4
	v_mov_b32_e32 v12, 0x3b800000
	v_lshlrev_b32_e32 v3, 20, v3
	v_and_b32_e32 v7, 0x80000000, v7
	v_lshl_add_u32 v6, v6, 23, v12
	v_or3_b32 v3, v7, v6, v3
.LBB1_1352:
	s_or_b64 exec, exec, s[6:7]
	s_nop 0
	v_mfma_f32_16x16x4f32 a[0:3], v2, v3, a[0:3]
	v_lshrrev_b32_e32 v3, 8, v8
	s_movk_i32 s4, 0x7f
	v_cmp_gt_i16_sdwa s[6:7], v3, s4 src0_sel:BYTE_0 src1_sel:DWORD
	s_mov_b64 s[4:5], 0
                                        ; implicit-def: $sgpr10
	s_and_saveexec_b64 s[8:9], s[6:7]
	s_xor_b64 s[6:7], exec, s[8:9]
	s_cbranch_execnz .LBB1_3401
; %bb.1353:
	s_or_saveexec_b64 s[6:7], s[6:7]
	v_mov_b32_e32 v2, s10
	s_xor_b64 exec, exec, s[6:7]
	s_cbranch_execnz .LBB1_3404
.LBB1_1354:
	s_or_b64 exec, exec, s[6:7]
	s_and_saveexec_b64 s[6:7], s[4:5]
	s_cbranch_execz .LBB1_1356
.LBB1_1355:
	v_bfe_u32 v2, v8, 8, 3
	v_ffbh_u32_e32 v7, v2
	v_min_u32_e32 v7, 32, v7
	v_lshrrev_b16_e32 v6, 3, v3
	v_subrev_u32_e32 v12, 28, v7
	v_and_b32_e32 v6, 15, v6
	v_lshlrev_b32_e32 v3, v12, v3
	v_sub_u32_e32 v7, 29, v7
	v_and_b32_e32 v3, 7, v3
	v_cmp_eq_u16_e32 vcc, 0, v6
	v_cndmask_b32_e32 v2, v2, v3, vcc
	v_cndmask_b32_e32 v3, v6, v7, vcc
	v_lshlrev_b32_e32 v6, 16, v8
	v_mov_b32_e32 v7, 0x3b800000
	v_lshlrev_b32_e32 v2, 20, v2
	v_and_b32_e32 v6, 0x80000000, v6
	v_lshl_add_u32 v3, v3, 23, v7
	v_or3_b32 v2, v6, v3, v2
.LBB1_1356:
	s_or_b64 exec, exec, s[6:7]
	v_lshrrev_b32_e32 v3, 8, v4
	s_movk_i32 s4, 0x7f
	v_cmp_gt_i16_sdwa s[6:7], v3, s4 src0_sel:BYTE_0 src1_sel:DWORD
	s_mov_b64 s[4:5], 0
                                        ; implicit-def: $sgpr10
	s_and_saveexec_b64 s[8:9], s[6:7]
	s_xor_b64 s[6:7], exec, s[8:9]
	s_cbranch_execnz .LBB1_3405
; %bb.1357:
	s_or_saveexec_b64 s[6:7], s[6:7]
	v_mov_b32_e32 v6, s10
	s_xor_b64 exec, exec, s[6:7]
	s_cbranch_execnz .LBB1_3408
.LBB1_1358:
	s_or_b64 exec, exec, s[6:7]
	s_and_saveexec_b64 s[6:7], s[4:5]
	s_cbranch_execz .LBB1_1360
.LBB1_1359:
	v_bfe_u32 v6, v4, 8, 3
	v_ffbh_u32_e32 v12, v6
	v_min_u32_e32 v12, 32, v12
	v_lshrrev_b16_e32 v7, 3, v3
	v_subrev_u32_e32 v13, 28, v12
	v_and_b32_e32 v7, 15, v7
	v_lshlrev_b32_e32 v3, v13, v3
	v_sub_u32_e32 v12, 29, v12
	v_and_b32_e32 v3, 7, v3
	v_cmp_eq_u16_e32 vcc, 0, v7
	v_cndmask_b32_e32 v3, v6, v3, vcc
	v_cndmask_b32_e32 v6, v7, v12, vcc
	v_lshlrev_b32_e32 v7, 16, v4
	v_mov_b32_e32 v12, 0x3b800000
	v_lshlrev_b32_e32 v3, 20, v3
	v_and_b32_e32 v7, 0x80000000, v7
	v_lshl_add_u32 v6, v6, 23, v12
	v_or3_b32 v6, v7, v6, v3
.LBB1_1360:
	s_or_b64 exec, exec, s[6:7]
	s_nop 0
	v_mfma_f32_16x16x4f32 a[0:3], v2, v6, a[0:3]
	s_movk_i32 s4, 0xff
	v_and_b32_sdwa v3, v8, s4 dst_sel:DWORD dst_unused:UNUSED_PAD src0_sel:WORD_1 src1_sel:DWORD
	s_movk_i32 s4, 0x7f
	v_cmp_lt_i16_e32 vcc, s4, v3
	s_mov_b64 s[4:5], 0
                                        ; implicit-def: $sgpr10
	s_and_saveexec_b64 s[6:7], vcc
	s_xor_b64 s[6:7], exec, s[6:7]
	s_cbranch_execnz .LBB1_3409
; %bb.1361:
	s_or_saveexec_b64 s[6:7], s[6:7]
	v_mov_b32_e32 v2, s10
	s_xor_b64 exec, exec, s[6:7]
	s_cbranch_execnz .LBB1_3412
.LBB1_1362:
	s_or_b64 exec, exec, s[6:7]
	s_and_saveexec_b64 s[6:7], s[4:5]
	s_cbranch_execz .LBB1_1364
.LBB1_1363:
	v_bfe_u32 v2, v8, 16, 3
	v_ffbh_u32_e32 v7, v2
	v_min_u32_e32 v7, 32, v7
	v_lshrrev_b32_e32 v3, 19, v8
	v_subrev_u32_e32 v12, 28, v7
	v_and_b32_e32 v3, 15, v3
	v_lshlrev_b32_sdwa v12, v12, v8 dst_sel:DWORD dst_unused:UNUSED_PAD src0_sel:DWORD src1_sel:WORD_1
	v_bfe_u32 v6, v8, 19, 4
	v_sub_u32_e32 v7, 29, v7
	v_and_b32_e32 v12, 7, v12
	v_cmp_eq_u16_e32 vcc, 0, v3
	v_cndmask_b32_e32 v2, v2, v12, vcc
	v_cndmask_b32_e32 v3, v6, v7, vcc
	v_lshlrev_b32_e32 v6, 8, v8
	v_mov_b32_e32 v7, 0x3b800000
	v_lshlrev_b32_e32 v2, 20, v2
	v_and_b32_e32 v6, 0x80000000, v6
	v_lshl_add_u32 v3, v3, 23, v7
	v_or3_b32 v2, v6, v3, v2
.LBB1_1364:
	s_or_b64 exec, exec, s[6:7]
	s_movk_i32 s4, 0xff
	v_and_b32_sdwa v3, v4, s4 dst_sel:DWORD dst_unused:UNUSED_PAD src0_sel:WORD_1 src1_sel:DWORD
	s_movk_i32 s4, 0x7f
	v_cmp_lt_i16_e32 vcc, s4, v3
	s_mov_b64 s[4:5], 0
                                        ; implicit-def: $sgpr10
	s_and_saveexec_b64 s[6:7], vcc
	s_xor_b64 s[6:7], exec, s[6:7]
	s_cbranch_execnz .LBB1_3413
; %bb.1365:
	s_or_saveexec_b64 s[6:7], s[6:7]
	v_mov_b32_e32 v6, s10
	s_xor_b64 exec, exec, s[6:7]
	s_cbranch_execnz .LBB1_3416
.LBB1_1366:
	s_or_b64 exec, exec, s[6:7]
	s_and_saveexec_b64 s[6:7], s[4:5]
	s_cbranch_execz .LBB1_1368
.LBB1_1367:
	v_bfe_u32 v3, v4, 16, 3
	v_ffbh_u32_e32 v12, v3
	v_min_u32_e32 v12, 32, v12
	v_lshrrev_b32_e32 v6, 19, v4
	v_subrev_u32_e32 v13, 28, v12
	v_and_b32_e32 v6, 15, v6
	v_lshlrev_b32_sdwa v13, v13, v4 dst_sel:DWORD dst_unused:UNUSED_PAD src0_sel:DWORD src1_sel:WORD_1
	v_bfe_u32 v7, v4, 19, 4
	v_sub_u32_e32 v12, 29, v12
	v_and_b32_e32 v13, 7, v13
	v_cmp_eq_u16_e32 vcc, 0, v6
	v_cndmask_b32_e32 v3, v3, v13, vcc
	v_cndmask_b32_e32 v6, v7, v12, vcc
	v_lshlrev_b32_e32 v7, 8, v4
	v_mov_b32_e32 v12, 0x3b800000
	v_lshlrev_b32_e32 v3, 20, v3
	v_and_b32_e32 v7, 0x80000000, v7
	v_lshl_add_u32 v6, v6, 23, v12
	v_or3_b32 v6, v7, v6, v3
.LBB1_1368:
	s_or_b64 exec, exec, s[6:7]
	s_nop 0
	v_mfma_f32_16x16x4f32 a[0:3], v2, v6, a[0:3]
	s_movk_i32 s4, 0x7f
	v_cmp_gt_i16_sdwa s[6:7], v8, s4 src0_sel:BYTE_3 src1_sel:DWORD
	s_mov_b64 s[4:5], 0
                                        ; implicit-def: $sgpr10
	s_and_saveexec_b64 s[8:9], s[6:7]
	s_xor_b64 s[6:7], exec, s[8:9]
	s_cbranch_execnz .LBB1_3417
; %bb.1369:
	s_or_saveexec_b64 s[6:7], s[6:7]
	v_mov_b32_e32 v2, s10
	s_xor_b64 exec, exec, s[6:7]
	s_cbranch_execnz .LBB1_3420
.LBB1_1370:
	s_or_b64 exec, exec, s[6:7]
	s_and_saveexec_b64 s[6:7], s[4:5]
	s_cbranch_execz .LBB1_1372
.LBB1_1371:
	v_bfe_u32 v2, v8, 24, 3
	v_ffbh_u32_e32 v12, v2
	v_min_u32_e32 v12, 32, v12
	v_lshrrev_b32_e32 v6, 27, v8
	v_subrev_u32_e32 v13, 28, v12
	v_and_b32_e32 v3, 0x80000000, v8
	v_and_b32_e32 v6, 15, v6
	v_bfe_u32 v7, v8, 27, 4
	v_lshlrev_b32_sdwa v8, v13, v8 dst_sel:DWORD dst_unused:UNUSED_PAD src0_sel:DWORD src1_sel:BYTE_3
	v_sub_u32_e32 v12, 29, v12
	v_and_b32_e32 v8, 7, v8
	v_cmp_eq_u16_e32 vcc, 0, v6
	v_cndmask_b32_e32 v2, v2, v8, vcc
	v_cndmask_b32_e32 v6, v7, v12, vcc
	v_mov_b32_e32 v7, 0x3b800000
	v_lshlrev_b32_e32 v2, 20, v2
	v_lshl_add_u32 v6, v6, 23, v7
	v_or3_b32 v2, v3, v6, v2
.LBB1_1372:
	s_or_b64 exec, exec, s[6:7]
	s_movk_i32 s4, 0x7f
	v_cmp_gt_i16_sdwa s[6:7], v4, s4 src0_sel:BYTE_3 src1_sel:DWORD
	s_mov_b64 s[4:5], 0
                                        ; implicit-def: $sgpr10
	s_and_saveexec_b64 s[8:9], s[6:7]
	s_xor_b64 s[6:7], exec, s[8:9]
	s_cbranch_execnz .LBB1_3421
; %bb.1373:
	s_or_saveexec_b64 s[6:7], s[6:7]
	v_mov_b32_e32 v3, s10
	s_xor_b64 exec, exec, s[6:7]
	s_cbranch_execnz .LBB1_3424
.LBB1_1374:
	s_or_b64 exec, exec, s[6:7]
	s_and_saveexec_b64 s[6:7], s[4:5]
	s_cbranch_execz .LBB1_1376
.LBB1_1375:
	v_bfe_u32 v3, v4, 24, 3
	v_ffbh_u32_e32 v12, v3
	v_min_u32_e32 v12, 32, v12
	v_lshrrev_b32_e32 v7, 27, v4
	v_subrev_u32_e32 v13, 28, v12
	v_and_b32_e32 v6, 0x80000000, v4
	v_and_b32_e32 v7, 15, v7
	v_bfe_u32 v8, v4, 27, 4
	v_lshlrev_b32_sdwa v4, v13, v4 dst_sel:DWORD dst_unused:UNUSED_PAD src0_sel:DWORD src1_sel:BYTE_3
	v_sub_u32_e32 v12, 29, v12
	v_and_b32_e32 v4, 7, v4
	v_cmp_eq_u16_e32 vcc, 0, v7
	v_cndmask_b32_e32 v3, v3, v4, vcc
	v_cndmask_b32_e32 v4, v8, v12, vcc
	v_mov_b32_e32 v7, 0x3b800000
	v_lshlrev_b32_e32 v3, 20, v3
	v_lshl_add_u32 v4, v4, 23, v7
	v_or3_b32 v3, v6, v4, v3
.LBB1_1376:
	s_or_b64 exec, exec, s[6:7]
	s_nop 0
	v_mfma_f32_16x16x4f32 a[0:3], v2, v3, a[0:3]
	s_movk_i32 s4, 0x7f
	v_cmp_gt_i16_sdwa s[6:7], v9, s4 src0_sel:BYTE_0 src1_sel:DWORD
	s_mov_b64 s[4:5], 0
                                        ; implicit-def: $sgpr10
	s_and_saveexec_b64 s[8:9], s[6:7]
	s_xor_b64 s[6:7], exec, s[8:9]
	s_cbranch_execnz .LBB1_3425
; %bb.1377:
	s_or_saveexec_b64 s[6:7], s[6:7]
	v_mov_b32_e32 v2, s10
	s_xor_b64 exec, exec, s[6:7]
	s_cbranch_execnz .LBB1_3428
.LBB1_1378:
	s_or_b64 exec, exec, s[6:7]
	s_and_saveexec_b64 s[6:7], s[4:5]
	s_cbranch_execz .LBB1_1380
.LBB1_1379:
	v_mov_b32_e32 v2, 8
	v_and_b32_e32 v3, 7, v9
	v_lshrrev_b32_sdwa v2, v2, v9 dst_sel:BYTE_1 dst_unused:UNUSED_PAD src0_sel:DWORD src1_sel:DWORD
	v_ffbh_u32_e32 v4, v3
	v_or_b32_sdwa v2, v9, v2 dst_sel:DWORD dst_unused:UNUSED_PAD src0_sel:BYTE_0 src1_sel:DWORD
	v_min_u32_e32 v4, 32, v4
	v_lshrrev_b16_e32 v2, 3, v2
	v_subrev_u32_e32 v6, 28, v4
	v_and_b32_e32 v2, 15, v2
	v_lshlrev_b32_e32 v6, v6, v9
	v_sub_u32_e32 v4, 29, v4
	v_and_b32_e32 v6, 7, v6
	v_cmp_eq_u16_e32 vcc, 0, v2
	v_cndmask_b32_e32 v3, v3, v6, vcc
	v_cndmask_b32_e32 v2, v2, v4, vcc
	v_lshlrev_b32_e32 v4, 24, v9
	v_mov_b32_e32 v6, 0x3b800000
	v_lshlrev_b32_e32 v3, 20, v3
	v_and_b32_e32 v4, 0x80000000, v4
	v_lshl_add_u32 v2, v2, 23, v6
	v_or3_b32 v2, v4, v2, v3
.LBB1_1380:
	s_or_b64 exec, exec, s[6:7]
	s_movk_i32 s4, 0x7f
	v_cmp_gt_i16_sdwa s[6:7], v5, s4 src0_sel:BYTE_0 src1_sel:DWORD
	s_mov_b64 s[4:5], 0
                                        ; implicit-def: $sgpr10
	s_and_saveexec_b64 s[8:9], s[6:7]
	s_xor_b64 s[6:7], exec, s[8:9]
	s_cbranch_execnz .LBB1_3429
; %bb.1381:
	s_or_saveexec_b64 s[6:7], s[6:7]
	v_mov_b32_e32 v3, s10
	s_xor_b64 exec, exec, s[6:7]
	s_cbranch_execnz .LBB1_3432
.LBB1_1382:
	s_or_b64 exec, exec, s[6:7]
	s_and_saveexec_b64 s[6:7], s[4:5]
	s_cbranch_execz .LBB1_1384
.LBB1_1383:
	v_mov_b32_e32 v3, 8
	v_and_b32_e32 v4, 7, v5
	v_lshrrev_b32_sdwa v3, v3, v5 dst_sel:BYTE_1 dst_unused:UNUSED_PAD src0_sel:DWORD src1_sel:DWORD
	v_ffbh_u32_e32 v6, v4
	v_or_b32_sdwa v3, v5, v3 dst_sel:DWORD dst_unused:UNUSED_PAD src0_sel:BYTE_0 src1_sel:DWORD
	v_min_u32_e32 v6, 32, v6
	v_lshrrev_b16_e32 v3, 3, v3
	v_subrev_u32_e32 v7, 28, v6
	v_and_b32_e32 v3, 15, v3
	v_lshlrev_b32_e32 v7, v7, v5
	v_sub_u32_e32 v6, 29, v6
	v_and_b32_e32 v7, 7, v7
	v_cmp_eq_u16_e32 vcc, 0, v3
	v_cndmask_b32_e32 v4, v4, v7, vcc
	v_cndmask_b32_e32 v3, v3, v6, vcc
	v_lshlrev_b32_e32 v6, 24, v5
	v_mov_b32_e32 v7, 0x3b800000
	v_lshlrev_b32_e32 v4, 20, v4
	v_and_b32_e32 v6, 0x80000000, v6
	v_lshl_add_u32 v3, v3, 23, v7
	v_or3_b32 v3, v6, v3, v4
.LBB1_1384:
	s_or_b64 exec, exec, s[6:7]
	s_nop 0
	v_mfma_f32_16x16x4f32 a[0:3], v2, v3, a[0:3]
	v_lshrrev_b32_e32 v3, 8, v9
	s_movk_i32 s4, 0x7f
	v_cmp_gt_i16_sdwa s[6:7], v3, s4 src0_sel:BYTE_0 src1_sel:DWORD
	s_mov_b64 s[4:5], 0
                                        ; implicit-def: $sgpr10
	s_and_saveexec_b64 s[8:9], s[6:7]
	s_xor_b64 s[6:7], exec, s[8:9]
	s_cbranch_execnz .LBB1_3433
; %bb.1385:
	s_or_saveexec_b64 s[6:7], s[6:7]
	v_mov_b32_e32 v2, s10
	s_xor_b64 exec, exec, s[6:7]
	s_cbranch_execnz .LBB1_3436
.LBB1_1386:
	s_or_b64 exec, exec, s[6:7]
	s_and_saveexec_b64 s[6:7], s[4:5]
	s_cbranch_execz .LBB1_1388
.LBB1_1387:
	v_bfe_u32 v2, v9, 8, 3
	v_ffbh_u32_e32 v6, v2
	v_min_u32_e32 v6, 32, v6
	v_lshrrev_b16_e32 v4, 3, v3
	v_subrev_u32_e32 v7, 28, v6
	v_and_b32_e32 v4, 15, v4
	v_lshlrev_b32_e32 v3, v7, v3
	v_sub_u32_e32 v6, 29, v6
	v_and_b32_e32 v3, 7, v3
	v_cmp_eq_u16_e32 vcc, 0, v4
	v_cndmask_b32_e32 v2, v2, v3, vcc
	v_cndmask_b32_e32 v3, v4, v6, vcc
	v_lshlrev_b32_e32 v4, 16, v9
	v_mov_b32_e32 v6, 0x3b800000
	v_lshlrev_b32_e32 v2, 20, v2
	v_and_b32_e32 v4, 0x80000000, v4
	v_lshl_add_u32 v3, v3, 23, v6
	v_or3_b32 v2, v4, v3, v2
.LBB1_1388:
	s_or_b64 exec, exec, s[6:7]
	v_lshrrev_b32_e32 v3, 8, v5
	s_movk_i32 s4, 0x7f
	v_cmp_gt_i16_sdwa s[6:7], v3, s4 src0_sel:BYTE_0 src1_sel:DWORD
	s_mov_b64 s[4:5], 0
                                        ; implicit-def: $sgpr10
	s_and_saveexec_b64 s[8:9], s[6:7]
	s_xor_b64 s[6:7], exec, s[8:9]
	s_cbranch_execnz .LBB1_3437
; %bb.1389:
	s_or_saveexec_b64 s[6:7], s[6:7]
	v_mov_b32_e32 v4, s10
	s_xor_b64 exec, exec, s[6:7]
	s_cbranch_execnz .LBB1_3440
.LBB1_1390:
	s_or_b64 exec, exec, s[6:7]
	s_and_saveexec_b64 s[6:7], s[4:5]
	s_cbranch_execz .LBB1_1392
.LBB1_1391:
	v_bfe_u32 v4, v5, 8, 3
	v_ffbh_u32_e32 v7, v4
	v_min_u32_e32 v7, 32, v7
	v_lshrrev_b16_e32 v6, 3, v3
	v_subrev_u32_e32 v8, 28, v7
	v_and_b32_e32 v6, 15, v6
	v_lshlrev_b32_e32 v3, v8, v3
	v_sub_u32_e32 v7, 29, v7
	v_and_b32_e32 v3, 7, v3
	v_cmp_eq_u16_e32 vcc, 0, v6
	v_cndmask_b32_e32 v3, v4, v3, vcc
	v_cndmask_b32_e32 v4, v6, v7, vcc
	v_lshlrev_b32_e32 v6, 16, v5
	v_mov_b32_e32 v7, 0x3b800000
	v_lshlrev_b32_e32 v3, 20, v3
	v_and_b32_e32 v6, 0x80000000, v6
	v_lshl_add_u32 v4, v4, 23, v7
	v_or3_b32 v4, v6, v4, v3
.LBB1_1392:
	s_or_b64 exec, exec, s[6:7]
	s_nop 0
	v_mfma_f32_16x16x4f32 a[0:3], v2, v4, a[0:3]
	s_movk_i32 s4, 0xff
	v_and_b32_sdwa v3, v9, s4 dst_sel:DWORD dst_unused:UNUSED_PAD src0_sel:WORD_1 src1_sel:DWORD
	s_movk_i32 s4, 0x7f
	v_cmp_lt_i16_e32 vcc, s4, v3
	s_mov_b64 s[4:5], 0
                                        ; implicit-def: $sgpr10
	s_and_saveexec_b64 s[6:7], vcc
	s_xor_b64 s[6:7], exec, s[6:7]
	s_cbranch_execnz .LBB1_3441
; %bb.1393:
	s_or_saveexec_b64 s[6:7], s[6:7]
	v_mov_b32_e32 v2, s10
	s_xor_b64 exec, exec, s[6:7]
	s_cbranch_execnz .LBB1_3444
.LBB1_1394:
	s_or_b64 exec, exec, s[6:7]
	s_and_saveexec_b64 s[6:7], s[4:5]
	s_cbranch_execz .LBB1_1396
.LBB1_1395:
	v_bfe_u32 v2, v9, 16, 3
	v_ffbh_u32_e32 v6, v2
	v_min_u32_e32 v6, 32, v6
	v_lshrrev_b32_e32 v3, 19, v9
	v_subrev_u32_e32 v7, 28, v6
	v_and_b32_e32 v3, 15, v3
	v_lshlrev_b32_sdwa v7, v7, v9 dst_sel:DWORD dst_unused:UNUSED_PAD src0_sel:DWORD src1_sel:WORD_1
	v_bfe_u32 v4, v9, 19, 4
	v_sub_u32_e32 v6, 29, v6
	v_and_b32_e32 v7, 7, v7
	v_cmp_eq_u16_e32 vcc, 0, v3
	v_cndmask_b32_e32 v2, v2, v7, vcc
	v_cndmask_b32_e32 v3, v4, v6, vcc
	v_lshlrev_b32_e32 v4, 8, v9
	v_mov_b32_e32 v6, 0x3b800000
	v_lshlrev_b32_e32 v2, 20, v2
	v_and_b32_e32 v4, 0x80000000, v4
	v_lshl_add_u32 v3, v3, 23, v6
	v_or3_b32 v2, v4, v3, v2
.LBB1_1396:
	s_or_b64 exec, exec, s[6:7]
	s_movk_i32 s4, 0xff
	v_and_b32_sdwa v3, v5, s4 dst_sel:DWORD dst_unused:UNUSED_PAD src0_sel:WORD_1 src1_sel:DWORD
	s_movk_i32 s4, 0x7f
	v_cmp_lt_i16_e32 vcc, s4, v3
	s_mov_b64 s[4:5], 0
                                        ; implicit-def: $sgpr10
	s_and_saveexec_b64 s[6:7], vcc
	s_xor_b64 s[6:7], exec, s[6:7]
	s_cbranch_execnz .LBB1_3445
; %bb.1397:
	s_or_saveexec_b64 s[6:7], s[6:7]
	v_mov_b32_e32 v4, s10
	s_xor_b64 exec, exec, s[6:7]
	s_cbranch_execnz .LBB1_3448
.LBB1_1398:
	s_or_b64 exec, exec, s[6:7]
	s_and_saveexec_b64 s[6:7], s[4:5]
	s_cbranch_execz .LBB1_1400
.LBB1_1399:
	v_bfe_u32 v3, v5, 16, 3
	v_ffbh_u32_e32 v7, v3
	v_min_u32_e32 v7, 32, v7
	v_lshrrev_b32_e32 v4, 19, v5
	v_subrev_u32_e32 v8, 28, v7
	v_and_b32_e32 v4, 15, v4
	v_lshlrev_b32_sdwa v8, v8, v5 dst_sel:DWORD dst_unused:UNUSED_PAD src0_sel:DWORD src1_sel:WORD_1
	v_bfe_u32 v6, v5, 19, 4
	v_sub_u32_e32 v7, 29, v7
	v_and_b32_e32 v8, 7, v8
	v_cmp_eq_u16_e32 vcc, 0, v4
	v_cndmask_b32_e32 v3, v3, v8, vcc
	v_cndmask_b32_e32 v4, v6, v7, vcc
	v_lshlrev_b32_e32 v6, 8, v5
	v_mov_b32_e32 v7, 0x3b800000
	v_lshlrev_b32_e32 v3, 20, v3
	v_and_b32_e32 v6, 0x80000000, v6
	v_lshl_add_u32 v4, v4, 23, v7
	v_or3_b32 v4, v6, v4, v3
.LBB1_1400:
	s_or_b64 exec, exec, s[6:7]
	s_nop 0
	v_mfma_f32_16x16x4f32 a[0:3], v2, v4, a[0:3]
	s_movk_i32 s4, 0x7f
	v_cmp_gt_i16_sdwa s[6:7], v9, s4 src0_sel:BYTE_3 src1_sel:DWORD
	s_mov_b64 s[4:5], 0
                                        ; implicit-def: $sgpr10
	s_and_saveexec_b64 s[8:9], s[6:7]
	s_xor_b64 s[6:7], exec, s[8:9]
	s_cbranch_execnz .LBB1_3449
; %bb.1401:
	s_or_saveexec_b64 s[6:7], s[6:7]
	v_mov_b32_e32 v2, s10
	s_xor_b64 exec, exec, s[6:7]
	s_cbranch_execnz .LBB1_3452
.LBB1_1402:
	s_or_b64 exec, exec, s[6:7]
	s_and_saveexec_b64 s[6:7], s[4:5]
	s_cbranch_execz .LBB1_1404
.LBB1_1403:
	v_bfe_u32 v2, v9, 24, 3
	v_ffbh_u32_e32 v7, v2
	v_min_u32_e32 v7, 32, v7
	v_lshrrev_b32_e32 v4, 27, v9
	v_subrev_u32_e32 v8, 28, v7
	v_and_b32_e32 v4, 15, v4
	v_lshlrev_b32_sdwa v8, v8, v9 dst_sel:DWORD dst_unused:UNUSED_PAD src0_sel:DWORD src1_sel:BYTE_3
	v_bfe_u32 v6, v9, 27, 4
	v_sub_u32_e32 v7, 29, v7
	v_and_b32_e32 v8, 7, v8
	v_cmp_eq_u16_e32 vcc, 0, v4
	v_cndmask_b32_e32 v2, v2, v8, vcc
	v_cndmask_b32_e32 v4, v6, v7, vcc
	v_mov_b32_e32 v6, 0x3b800000
	v_and_b32_e32 v3, 0x80000000, v9
	v_lshlrev_b32_e32 v2, 20, v2
	v_lshl_add_u32 v4, v4, 23, v6
	v_or3_b32 v2, v3, v4, v2
.LBB1_1404:
	s_or_b64 exec, exec, s[6:7]
	s_movk_i32 s4, 0x7f
	v_cmp_gt_i16_sdwa s[6:7], v5, s4 src0_sel:BYTE_3 src1_sel:DWORD
	s_mov_b64 s[4:5], 0
                                        ; implicit-def: $sgpr10
	s_and_saveexec_b64 s[8:9], s[6:7]
	s_xor_b64 s[6:7], exec, s[8:9]
	s_cbranch_execnz .LBB1_3453
; %bb.1405:
	s_or_saveexec_b64 s[6:7], s[6:7]
	v_mov_b32_e32 v3, s10
	s_xor_b64 exec, exec, s[6:7]
	s_cbranch_execnz .LBB1_3456
.LBB1_1406:
	s_or_b64 exec, exec, s[6:7]
	s_and_saveexec_b64 s[6:7], s[4:5]
	s_cbranch_execz .LBB1_1408
.LBB1_1407:
	v_bfe_u32 v3, v5, 24, 3
	v_ffbh_u32_e32 v8, v3
	v_min_u32_e32 v8, 32, v8
	v_lshrrev_b32_e32 v6, 27, v5
	v_subrev_u32_e32 v9, 28, v8
	v_and_b32_e32 v4, 0x80000000, v5
	v_and_b32_e32 v6, 15, v6
	v_bfe_u32 v7, v5, 27, 4
	v_lshlrev_b32_sdwa v5, v9, v5 dst_sel:DWORD dst_unused:UNUSED_PAD src0_sel:DWORD src1_sel:BYTE_3
	v_sub_u32_e32 v8, 29, v8
	v_and_b32_e32 v5, 7, v5
	v_cmp_eq_u16_e32 vcc, 0, v6
	v_cndmask_b32_e32 v3, v3, v5, vcc
	v_cndmask_b32_e32 v5, v7, v8, vcc
	v_mov_b32_e32 v6, 0x3b800000
	v_lshlrev_b32_e32 v3, 20, v3
	v_lshl_add_u32 v5, v5, 23, v6
	v_or3_b32 v3, v4, v5, v3
.LBB1_1408:
	s_or_b64 exec, exec, s[6:7]
	s_nop 0
	v_mfma_f32_16x16x4f32 a[0:3], v2, v3, a[0:3]
	s_movk_i32 s4, 0x7f
                                        ; implicit-def: $sgpr10
	s_nop 7
	s_nop 1
	flat_store_dwordx4 v[10:11], a[0:3] offset:160
	flat_load_dwordx4 v[12:15], v[0:1] offset:8
	s_nop 0
	flat_load_dwordx2 v[10:11], v[0:1] offset:32
	s_waitcnt vmcnt(0) lgkmcnt(0)
	flat_load_dwordx4 v[6:9], v[12:13] offset:64
	flat_load_dwordx4 v[2:5], v[14:15] offset:96
	s_waitcnt vmcnt(0) lgkmcnt(0)
	v_cmp_gt_i16_sdwa s[6:7], v6, s4 src0_sel:BYTE_0 src1_sel:DWORD
	s_mov_b64 s[4:5], 0
	s_and_saveexec_b64 s[8:9], s[6:7]
	s_xor_b64 s[6:7], exec, s[8:9]
	s_cbranch_execnz .LBB1_3457
; %bb.1409:
	s_or_saveexec_b64 s[6:7], s[6:7]
	v_mov_b32_e32 v12, s10
	s_xor_b64 exec, exec, s[6:7]
	s_cbranch_execnz .LBB1_3460
.LBB1_1410:
	s_or_b64 exec, exec, s[6:7]
	s_and_saveexec_b64 s[6:7], s[4:5]
	s_cbranch_execz .LBB1_1412
.LBB1_1411:
	v_and_b32_e32 v12, 7, v6
	v_ffbh_u32_e32 v14, v12
	v_min_u32_e32 v14, 32, v14
	v_lshrrev_b16_e32 v13, 3, v6
	v_subrev_u32_e32 v15, 28, v14
	v_and_b32_e32 v13, 15, v13
	v_lshlrev_b32_e32 v15, v15, v6
	v_sub_u32_e32 v14, 29, v14
	v_and_b32_e32 v15, 7, v15
	v_cmp_eq_u16_e32 vcc, 0, v13
	v_cndmask_b32_e32 v12, v12, v15, vcc
	v_cndmask_b32_e32 v13, v13, v14, vcc
	v_lshlrev_b32_e32 v14, 24, v6
	v_mov_b32_e32 v15, 0x3b800000
	v_lshlrev_b32_e32 v12, 20, v12
	v_and_b32_e32 v14, 0x80000000, v14
	v_lshl_add_u32 v13, v13, 23, v15
	v_or3_b32 v12, v14, v13, v12
.LBB1_1412:
	s_or_b64 exec, exec, s[6:7]
	s_movk_i32 s4, 0x7f
	v_cmp_gt_i16_sdwa s[6:7], v2, s4 src0_sel:BYTE_0 src1_sel:DWORD
	s_mov_b64 s[4:5], 0
                                        ; implicit-def: $sgpr10
	s_and_saveexec_b64 s[8:9], s[6:7]
	s_xor_b64 s[6:7], exec, s[8:9]
	s_cbranch_execnz .LBB1_3461
; %bb.1413:
	s_or_saveexec_b64 s[6:7], s[6:7]
	v_mov_b32_e32 v13, s10
	s_xor_b64 exec, exec, s[6:7]
	s_cbranch_execnz .LBB1_3464
.LBB1_1414:
	s_or_b64 exec, exec, s[6:7]
	s_and_saveexec_b64 s[6:7], s[4:5]
	s_cbranch_execz .LBB1_1416
.LBB1_1415:
	v_and_b32_e32 v13, 7, v2
	v_ffbh_u32_e32 v15, v13
	v_min_u32_e32 v15, 32, v15
	v_lshrrev_b16_e32 v14, 3, v2
	v_subrev_u32_e32 v16, 28, v15
	v_and_b32_e32 v14, 15, v14
	v_lshlrev_b32_e32 v16, v16, v2
	v_sub_u32_e32 v15, 29, v15
	v_and_b32_e32 v16, 7, v16
	v_cmp_eq_u16_e32 vcc, 0, v14
	v_cndmask_b32_e32 v13, v13, v16, vcc
	v_cndmask_b32_e32 v14, v14, v15, vcc
	v_lshlrev_b32_e32 v15, 24, v2
	v_mov_b32_e32 v16, 0x3b800000
	v_lshlrev_b32_e32 v13, 20, v13
	v_and_b32_e32 v15, 0x80000000, v15
	v_lshl_add_u32 v14, v14, 23, v16
	v_or3_b32 v13, v15, v14, v13
.LBB1_1416:
	s_or_b64 exec, exec, s[6:7]
	flat_load_dwordx4 a[0:3], v[10:11] offset:176
	s_movk_i32 s4, 0x7f
                                        ; implicit-def: $sgpr10
	s_waitcnt vmcnt(0) lgkmcnt(0)
	v_mfma_f32_16x16x4f32 a[0:3], v12, v13, a[0:3]
	v_lshrrev_b32_e32 v13, 8, v6
	v_cmp_gt_i16_sdwa s[6:7], v13, s4 src0_sel:BYTE_0 src1_sel:DWORD
	s_mov_b64 s[4:5], 0
	s_and_saveexec_b64 s[8:9], s[6:7]
	s_xor_b64 s[6:7], exec, s[8:9]
	s_cbranch_execnz .LBB1_3465
; %bb.1417:
	s_or_saveexec_b64 s[6:7], s[6:7]
	v_mov_b32_e32 v12, s10
	s_xor_b64 exec, exec, s[6:7]
	s_cbranch_execnz .LBB1_3468
.LBB1_1418:
	s_or_b64 exec, exec, s[6:7]
	s_and_saveexec_b64 s[6:7], s[4:5]
	s_cbranch_execz .LBB1_1420
.LBB1_1419:
	v_bfe_u32 v12, v6, 8, 3
	v_ffbh_u32_e32 v15, v12
	v_min_u32_e32 v15, 32, v15
	v_lshrrev_b16_e32 v14, 3, v13
	v_subrev_u32_e32 v16, 28, v15
	v_and_b32_e32 v14, 15, v14
	v_lshlrev_b32_e32 v13, v16, v13
	v_sub_u32_e32 v15, 29, v15
	v_and_b32_e32 v13, 7, v13
	v_cmp_eq_u16_e32 vcc, 0, v14
	v_cndmask_b32_e32 v12, v12, v13, vcc
	v_cndmask_b32_e32 v13, v14, v15, vcc
	v_lshlrev_b32_e32 v14, 16, v6
	v_mov_b32_e32 v15, 0x3b800000
	v_lshlrev_b32_e32 v12, 20, v12
	v_and_b32_e32 v14, 0x80000000, v14
	v_lshl_add_u32 v13, v13, 23, v15
	v_or3_b32 v12, v14, v13, v12
.LBB1_1420:
	s_or_b64 exec, exec, s[6:7]
	v_lshrrev_b32_e32 v13, 8, v2
	s_movk_i32 s4, 0x7f
	v_cmp_gt_i16_sdwa s[6:7], v13, s4 src0_sel:BYTE_0 src1_sel:DWORD
	s_mov_b64 s[4:5], 0
                                        ; implicit-def: $sgpr10
	s_and_saveexec_b64 s[8:9], s[6:7]
	s_xor_b64 s[6:7], exec, s[8:9]
	s_cbranch_execnz .LBB1_3469
; %bb.1421:
	s_or_saveexec_b64 s[6:7], s[6:7]
	v_mov_b32_e32 v14, s10
	s_xor_b64 exec, exec, s[6:7]
	s_cbranch_execnz .LBB1_3472
.LBB1_1422:
	s_or_b64 exec, exec, s[6:7]
	s_and_saveexec_b64 s[6:7], s[4:5]
	s_cbranch_execz .LBB1_1424
.LBB1_1423:
	v_bfe_u32 v14, v2, 8, 3
	v_ffbh_u32_e32 v16, v14
	v_min_u32_e32 v16, 32, v16
	v_lshrrev_b16_e32 v15, 3, v13
	v_subrev_u32_e32 v17, 28, v16
	v_and_b32_e32 v15, 15, v15
	v_lshlrev_b32_e32 v13, v17, v13
	v_sub_u32_e32 v16, 29, v16
	v_and_b32_e32 v13, 7, v13
	v_cmp_eq_u16_e32 vcc, 0, v15
	v_cndmask_b32_e32 v13, v14, v13, vcc
	v_cndmask_b32_e32 v14, v15, v16, vcc
	v_lshlrev_b32_e32 v15, 16, v2
	v_mov_b32_e32 v16, 0x3b800000
	v_lshlrev_b32_e32 v13, 20, v13
	v_and_b32_e32 v15, 0x80000000, v15
	v_lshl_add_u32 v14, v14, 23, v16
	v_or3_b32 v14, v15, v14, v13
.LBB1_1424:
	s_or_b64 exec, exec, s[6:7]
	s_nop 0
	v_mfma_f32_16x16x4f32 a[0:3], v12, v14, a[0:3]
	s_movk_i32 s4, 0xff
	v_and_b32_sdwa v13, v6, s4 dst_sel:DWORD dst_unused:UNUSED_PAD src0_sel:WORD_1 src1_sel:DWORD
	s_movk_i32 s4, 0x7f
	v_cmp_lt_i16_e32 vcc, s4, v13
	s_mov_b64 s[4:5], 0
                                        ; implicit-def: $sgpr10
	s_and_saveexec_b64 s[6:7], vcc
	s_xor_b64 s[6:7], exec, s[6:7]
	s_cbranch_execnz .LBB1_3473
; %bb.1425:
	s_or_saveexec_b64 s[6:7], s[6:7]
	v_mov_b32_e32 v12, s10
	s_xor_b64 exec, exec, s[6:7]
	s_cbranch_execnz .LBB1_3476
.LBB1_1426:
	s_or_b64 exec, exec, s[6:7]
	s_and_saveexec_b64 s[6:7], s[4:5]
	s_cbranch_execz .LBB1_1428
.LBB1_1427:
	v_bfe_u32 v12, v6, 16, 3
	v_ffbh_u32_e32 v15, v12
	v_min_u32_e32 v15, 32, v15
	v_lshrrev_b32_e32 v13, 19, v6
	v_subrev_u32_e32 v16, 28, v15
	v_and_b32_e32 v13, 15, v13
	v_lshlrev_b32_sdwa v16, v16, v6 dst_sel:DWORD dst_unused:UNUSED_PAD src0_sel:DWORD src1_sel:WORD_1
	v_bfe_u32 v14, v6, 19, 4
	v_sub_u32_e32 v15, 29, v15
	v_and_b32_e32 v16, 7, v16
	v_cmp_eq_u16_e32 vcc, 0, v13
	v_cndmask_b32_e32 v12, v12, v16, vcc
	v_cndmask_b32_e32 v13, v14, v15, vcc
	v_lshlrev_b32_e32 v14, 8, v6
	v_mov_b32_e32 v15, 0x3b800000
	v_lshlrev_b32_e32 v12, 20, v12
	v_and_b32_e32 v14, 0x80000000, v14
	v_lshl_add_u32 v13, v13, 23, v15
	v_or3_b32 v12, v14, v13, v12
.LBB1_1428:
	s_or_b64 exec, exec, s[6:7]
	s_movk_i32 s4, 0xff
	v_and_b32_sdwa v13, v2, s4 dst_sel:DWORD dst_unused:UNUSED_PAD src0_sel:WORD_1 src1_sel:DWORD
	s_movk_i32 s4, 0x7f
	v_cmp_lt_i16_e32 vcc, s4, v13
	s_mov_b64 s[4:5], 0
                                        ; implicit-def: $sgpr10
	s_and_saveexec_b64 s[6:7], vcc
	s_xor_b64 s[6:7], exec, s[6:7]
	s_cbranch_execnz .LBB1_3477
; %bb.1429:
	s_or_saveexec_b64 s[6:7], s[6:7]
	v_mov_b32_e32 v14, s10
	s_xor_b64 exec, exec, s[6:7]
	s_cbranch_execnz .LBB1_3480
.LBB1_1430:
	s_or_b64 exec, exec, s[6:7]
	s_and_saveexec_b64 s[6:7], s[4:5]
	s_cbranch_execz .LBB1_1432
.LBB1_1431:
	v_bfe_u32 v13, v2, 16, 3
	v_ffbh_u32_e32 v16, v13
	v_min_u32_e32 v16, 32, v16
	v_lshrrev_b32_e32 v14, 19, v2
	v_subrev_u32_e32 v17, 28, v16
	v_and_b32_e32 v14, 15, v14
	v_lshlrev_b32_sdwa v17, v17, v2 dst_sel:DWORD dst_unused:UNUSED_PAD src0_sel:DWORD src1_sel:WORD_1
	v_bfe_u32 v15, v2, 19, 4
	v_sub_u32_e32 v16, 29, v16
	v_and_b32_e32 v17, 7, v17
	v_cmp_eq_u16_e32 vcc, 0, v14
	v_cndmask_b32_e32 v13, v13, v17, vcc
	v_cndmask_b32_e32 v14, v15, v16, vcc
	v_lshlrev_b32_e32 v15, 8, v2
	v_mov_b32_e32 v16, 0x3b800000
	v_lshlrev_b32_e32 v13, 20, v13
	v_and_b32_e32 v15, 0x80000000, v15
	v_lshl_add_u32 v14, v14, 23, v16
	v_or3_b32 v14, v15, v14, v13
.LBB1_1432:
	s_or_b64 exec, exec, s[6:7]
	s_nop 0
	v_mfma_f32_16x16x4f32 a[0:3], v12, v14, a[0:3]
	s_movk_i32 s4, 0x7f
	v_cmp_gt_i16_sdwa s[6:7], v6, s4 src0_sel:BYTE_3 src1_sel:DWORD
	s_mov_b64 s[4:5], 0
                                        ; implicit-def: $sgpr10
	s_and_saveexec_b64 s[8:9], s[6:7]
	s_xor_b64 s[6:7], exec, s[8:9]
	s_cbranch_execnz .LBB1_3481
; %bb.1433:
	s_or_saveexec_b64 s[6:7], s[6:7]
	v_mov_b32_e32 v12, s10
	s_xor_b64 exec, exec, s[6:7]
	s_cbranch_execnz .LBB1_3484
.LBB1_1434:
	s_or_b64 exec, exec, s[6:7]
	s_and_saveexec_b64 s[6:7], s[4:5]
	s_cbranch_execz .LBB1_1436
.LBB1_1435:
	v_bfe_u32 v12, v6, 24, 3
	v_ffbh_u32_e32 v16, v12
	v_min_u32_e32 v16, 32, v16
	v_lshrrev_b32_e32 v14, 27, v6
	v_subrev_u32_e32 v17, 28, v16
	v_and_b32_e32 v13, 0x80000000, v6
	v_and_b32_e32 v14, 15, v14
	v_bfe_u32 v15, v6, 27, 4
	v_lshlrev_b32_sdwa v6, v17, v6 dst_sel:DWORD dst_unused:UNUSED_PAD src0_sel:DWORD src1_sel:BYTE_3
	v_sub_u32_e32 v16, 29, v16
	v_and_b32_e32 v6, 7, v6
	v_cmp_eq_u16_e32 vcc, 0, v14
	v_cndmask_b32_e32 v6, v12, v6, vcc
	v_cndmask_b32_e32 v12, v15, v16, vcc
	v_mov_b32_e32 v14, 0x3b800000
	v_lshlrev_b32_e32 v6, 20, v6
	v_lshl_add_u32 v12, v12, 23, v14
	v_or3_b32 v12, v13, v12, v6
.LBB1_1436:
	s_or_b64 exec, exec, s[6:7]
	s_movk_i32 s4, 0x7f
	v_cmp_gt_i16_sdwa s[6:7], v2, s4 src0_sel:BYTE_3 src1_sel:DWORD
	s_mov_b64 s[4:5], 0
                                        ; implicit-def: $sgpr10
	s_and_saveexec_b64 s[8:9], s[6:7]
	s_xor_b64 s[6:7], exec, s[8:9]
	s_cbranch_execnz .LBB1_3485
; %bb.1437:
	s_or_saveexec_b64 s[6:7], s[6:7]
	v_mov_b32_e32 v6, s10
	s_xor_b64 exec, exec, s[6:7]
	s_cbranch_execnz .LBB1_3488
.LBB1_1438:
	s_or_b64 exec, exec, s[6:7]
	s_and_saveexec_b64 s[6:7], s[4:5]
	s_cbranch_execz .LBB1_1440
.LBB1_1439:
	v_bfe_u32 v6, v2, 24, 3
	v_ffbh_u32_e32 v16, v6
	v_min_u32_e32 v16, 32, v16
	v_lshrrev_b32_e32 v14, 27, v2
	v_subrev_u32_e32 v17, 28, v16
	v_and_b32_e32 v13, 0x80000000, v2
	v_and_b32_e32 v14, 15, v14
	v_bfe_u32 v15, v2, 27, 4
	v_lshlrev_b32_sdwa v2, v17, v2 dst_sel:DWORD dst_unused:UNUSED_PAD src0_sel:DWORD src1_sel:BYTE_3
	v_sub_u32_e32 v16, 29, v16
	v_and_b32_e32 v2, 7, v2
	v_cmp_eq_u16_e32 vcc, 0, v14
	v_cndmask_b32_e32 v2, v6, v2, vcc
	v_cndmask_b32_e32 v6, v15, v16, vcc
	v_mov_b32_e32 v14, 0x3b800000
	v_lshlrev_b32_e32 v2, 20, v2
	v_lshl_add_u32 v6, v6, 23, v14
	v_or3_b32 v6, v13, v6, v2
.LBB1_1440:
	s_or_b64 exec, exec, s[6:7]
	s_nop 0
	v_mfma_f32_16x16x4f32 a[0:3], v12, v6, a[0:3]
	s_movk_i32 s4, 0x7f
	v_cmp_gt_i16_sdwa s[6:7], v7, s4 src0_sel:BYTE_0 src1_sel:DWORD
	s_mov_b64 s[4:5], 0
                                        ; implicit-def: $sgpr10
	s_and_saveexec_b64 s[8:9], s[6:7]
	s_xor_b64 s[6:7], exec, s[8:9]
	s_cbranch_execnz .LBB1_3489
; %bb.1441:
	s_or_saveexec_b64 s[6:7], s[6:7]
	v_mov_b32_e32 v2, s10
	s_xor_b64 exec, exec, s[6:7]
	s_cbranch_execnz .LBB1_3492
.LBB1_1442:
	s_or_b64 exec, exec, s[6:7]
	s_and_saveexec_b64 s[6:7], s[4:5]
	s_cbranch_execz .LBB1_1444
.LBB1_1443:
	v_and_b32_e32 v2, 7, v7
	v_ffbh_u32_e32 v12, v2
	v_min_u32_e32 v12, 32, v12
	v_lshrrev_b16_e32 v6, 3, v7
	v_subrev_u32_e32 v13, 28, v12
	v_and_b32_e32 v6, 15, v6
	v_lshlrev_b32_e32 v13, v13, v7
	v_sub_u32_e32 v12, 29, v12
	v_and_b32_e32 v13, 7, v13
	v_cmp_eq_u16_e32 vcc, 0, v6
	v_cndmask_b32_e32 v2, v2, v13, vcc
	v_cndmask_b32_e32 v6, v6, v12, vcc
	v_lshlrev_b32_e32 v12, 24, v7
	v_mov_b32_e32 v13, 0x3b800000
	v_lshlrev_b32_e32 v2, 20, v2
	v_and_b32_e32 v12, 0x80000000, v12
	v_lshl_add_u32 v6, v6, 23, v13
	v_or3_b32 v2, v12, v6, v2
.LBB1_1444:
	s_or_b64 exec, exec, s[6:7]
	s_movk_i32 s4, 0x7f
	v_cmp_gt_i16_sdwa s[6:7], v3, s4 src0_sel:BYTE_0 src1_sel:DWORD
	s_mov_b64 s[4:5], 0
                                        ; implicit-def: $sgpr10
	s_and_saveexec_b64 s[8:9], s[6:7]
	s_xor_b64 s[6:7], exec, s[8:9]
	s_cbranch_execnz .LBB1_3493
; %bb.1445:
	s_or_saveexec_b64 s[6:7], s[6:7]
	v_mov_b32_e32 v6, s10
	s_xor_b64 exec, exec, s[6:7]
	s_cbranch_execnz .LBB1_3496
.LBB1_1446:
	s_or_b64 exec, exec, s[6:7]
	s_and_saveexec_b64 s[6:7], s[4:5]
	s_cbranch_execz .LBB1_1448
.LBB1_1447:
	v_and_b32_e32 v6, 7, v3
	v_ffbh_u32_e32 v13, v6
	v_min_u32_e32 v13, 32, v13
	v_lshrrev_b16_e32 v12, 3, v3
	v_subrev_u32_e32 v14, 28, v13
	v_and_b32_e32 v12, 15, v12
	v_lshlrev_b32_e32 v14, v14, v3
	v_sub_u32_e32 v13, 29, v13
	v_and_b32_e32 v14, 7, v14
	v_cmp_eq_u16_e32 vcc, 0, v12
	v_cndmask_b32_e32 v6, v6, v14, vcc
	v_cndmask_b32_e32 v12, v12, v13, vcc
	v_lshlrev_b32_e32 v13, 24, v3
	v_mov_b32_e32 v14, 0x3b800000
	v_lshlrev_b32_e32 v6, 20, v6
	v_and_b32_e32 v13, 0x80000000, v13
	v_lshl_add_u32 v12, v12, 23, v14
	v_or3_b32 v6, v13, v12, v6
.LBB1_1448:
	s_or_b64 exec, exec, s[6:7]
	s_nop 0
	v_mfma_f32_16x16x4f32 a[0:3], v2, v6, a[0:3]
	v_lshrrev_b32_e32 v6, 8, v7
	s_movk_i32 s4, 0x7f
	v_cmp_gt_i16_sdwa s[6:7], v6, s4 src0_sel:BYTE_0 src1_sel:DWORD
	s_mov_b64 s[4:5], 0
                                        ; implicit-def: $sgpr10
	s_and_saveexec_b64 s[8:9], s[6:7]
	s_xor_b64 s[6:7], exec, s[8:9]
	s_cbranch_execnz .LBB1_3497
; %bb.1449:
	s_or_saveexec_b64 s[6:7], s[6:7]
	v_mov_b32_e32 v2, s10
	s_xor_b64 exec, exec, s[6:7]
	s_cbranch_execnz .LBB1_3500
.LBB1_1450:
	s_or_b64 exec, exec, s[6:7]
	s_and_saveexec_b64 s[6:7], s[4:5]
	s_cbranch_execz .LBB1_1452
.LBB1_1451:
	v_bfe_u32 v2, v7, 8, 3
	v_ffbh_u32_e32 v13, v2
	v_min_u32_e32 v13, 32, v13
	v_lshrrev_b16_e32 v12, 3, v6
	v_subrev_u32_e32 v14, 28, v13
	v_and_b32_e32 v12, 15, v12
	v_lshlrev_b32_e32 v6, v14, v6
	v_sub_u32_e32 v13, 29, v13
	v_and_b32_e32 v6, 7, v6
	v_cmp_eq_u16_e32 vcc, 0, v12
	v_cndmask_b32_e32 v2, v2, v6, vcc
	v_cndmask_b32_e32 v6, v12, v13, vcc
	v_lshlrev_b32_e32 v12, 16, v7
	v_mov_b32_e32 v13, 0x3b800000
	v_lshlrev_b32_e32 v2, 20, v2
	v_and_b32_e32 v12, 0x80000000, v12
	v_lshl_add_u32 v6, v6, 23, v13
	v_or3_b32 v2, v12, v6, v2
.LBB1_1452:
	s_or_b64 exec, exec, s[6:7]
	v_lshrrev_b32_e32 v6, 8, v3
	s_movk_i32 s4, 0x7f
	v_cmp_gt_i16_sdwa s[6:7], v6, s4 src0_sel:BYTE_0 src1_sel:DWORD
	s_mov_b64 s[4:5], 0
                                        ; implicit-def: $sgpr10
	s_and_saveexec_b64 s[8:9], s[6:7]
	s_xor_b64 s[6:7], exec, s[8:9]
	s_cbranch_execnz .LBB1_3501
; %bb.1453:
	s_or_saveexec_b64 s[6:7], s[6:7]
	v_mov_b32_e32 v12, s10
	s_xor_b64 exec, exec, s[6:7]
	s_cbranch_execnz .LBB1_3504
.LBB1_1454:
	s_or_b64 exec, exec, s[6:7]
	s_and_saveexec_b64 s[6:7], s[4:5]
	s_cbranch_execz .LBB1_1456
.LBB1_1455:
	v_bfe_u32 v12, v3, 8, 3
	v_ffbh_u32_e32 v14, v12
	v_min_u32_e32 v14, 32, v14
	v_lshrrev_b16_e32 v13, 3, v6
	v_subrev_u32_e32 v15, 28, v14
	v_and_b32_e32 v13, 15, v13
	v_lshlrev_b32_e32 v6, v15, v6
	v_sub_u32_e32 v14, 29, v14
	v_and_b32_e32 v6, 7, v6
	v_cmp_eq_u16_e32 vcc, 0, v13
	v_cndmask_b32_e32 v6, v12, v6, vcc
	v_cndmask_b32_e32 v12, v13, v14, vcc
	v_lshlrev_b32_e32 v13, 16, v3
	v_mov_b32_e32 v14, 0x3b800000
	v_lshlrev_b32_e32 v6, 20, v6
	v_and_b32_e32 v13, 0x80000000, v13
	v_lshl_add_u32 v12, v12, 23, v14
	v_or3_b32 v12, v13, v12, v6
.LBB1_1456:
	s_or_b64 exec, exec, s[6:7]
	s_nop 0
	v_mfma_f32_16x16x4f32 a[0:3], v2, v12, a[0:3]
	s_movk_i32 s4, 0xff
	v_and_b32_sdwa v6, v7, s4 dst_sel:DWORD dst_unused:UNUSED_PAD src0_sel:WORD_1 src1_sel:DWORD
	s_movk_i32 s4, 0x7f
	v_cmp_lt_i16_e32 vcc, s4, v6
	s_mov_b64 s[4:5], 0
                                        ; implicit-def: $sgpr10
	s_and_saveexec_b64 s[6:7], vcc
	s_xor_b64 s[6:7], exec, s[6:7]
	s_cbranch_execnz .LBB1_3505
; %bb.1457:
	s_or_saveexec_b64 s[6:7], s[6:7]
	v_mov_b32_e32 v2, s10
	s_xor_b64 exec, exec, s[6:7]
	s_cbranch_execnz .LBB1_3508
.LBB1_1458:
	s_or_b64 exec, exec, s[6:7]
	s_and_saveexec_b64 s[6:7], s[4:5]
	s_cbranch_execz .LBB1_1460
.LBB1_1459:
	v_bfe_u32 v2, v7, 16, 3
	v_ffbh_u32_e32 v13, v2
	v_min_u32_e32 v13, 32, v13
	v_lshrrev_b32_e32 v6, 19, v7
	v_subrev_u32_e32 v14, 28, v13
	v_and_b32_e32 v6, 15, v6
	v_lshlrev_b32_sdwa v14, v14, v7 dst_sel:DWORD dst_unused:UNUSED_PAD src0_sel:DWORD src1_sel:WORD_1
	v_bfe_u32 v12, v7, 19, 4
	v_sub_u32_e32 v13, 29, v13
	v_and_b32_e32 v14, 7, v14
	v_cmp_eq_u16_e32 vcc, 0, v6
	v_cndmask_b32_e32 v2, v2, v14, vcc
	v_cndmask_b32_e32 v6, v12, v13, vcc
	v_lshlrev_b32_e32 v12, 8, v7
	v_mov_b32_e32 v13, 0x3b800000
	v_lshlrev_b32_e32 v2, 20, v2
	v_and_b32_e32 v12, 0x80000000, v12
	v_lshl_add_u32 v6, v6, 23, v13
	v_or3_b32 v2, v12, v6, v2
.LBB1_1460:
	s_or_b64 exec, exec, s[6:7]
	s_movk_i32 s4, 0xff
	v_and_b32_sdwa v6, v3, s4 dst_sel:DWORD dst_unused:UNUSED_PAD src0_sel:WORD_1 src1_sel:DWORD
	s_movk_i32 s4, 0x7f
	v_cmp_lt_i16_e32 vcc, s4, v6
	s_mov_b64 s[4:5], 0
                                        ; implicit-def: $sgpr10
	s_and_saveexec_b64 s[6:7], vcc
	s_xor_b64 s[6:7], exec, s[6:7]
	s_cbranch_execnz .LBB1_3509
; %bb.1461:
	s_or_saveexec_b64 s[6:7], s[6:7]
	v_mov_b32_e32 v12, s10
	s_xor_b64 exec, exec, s[6:7]
	s_cbranch_execnz .LBB1_3512
.LBB1_1462:
	s_or_b64 exec, exec, s[6:7]
	s_and_saveexec_b64 s[6:7], s[4:5]
	s_cbranch_execz .LBB1_1464
.LBB1_1463:
	v_bfe_u32 v6, v3, 16, 3
	v_ffbh_u32_e32 v14, v6
	v_min_u32_e32 v14, 32, v14
	v_lshrrev_b32_e32 v12, 19, v3
	v_subrev_u32_e32 v15, 28, v14
	v_and_b32_e32 v12, 15, v12
	v_lshlrev_b32_sdwa v15, v15, v3 dst_sel:DWORD dst_unused:UNUSED_PAD src0_sel:DWORD src1_sel:WORD_1
	v_bfe_u32 v13, v3, 19, 4
	v_sub_u32_e32 v14, 29, v14
	v_and_b32_e32 v15, 7, v15
	v_cmp_eq_u16_e32 vcc, 0, v12
	v_cndmask_b32_e32 v6, v6, v15, vcc
	v_cndmask_b32_e32 v12, v13, v14, vcc
	v_lshlrev_b32_e32 v13, 8, v3
	v_mov_b32_e32 v14, 0x3b800000
	v_lshlrev_b32_e32 v6, 20, v6
	v_and_b32_e32 v13, 0x80000000, v13
	v_lshl_add_u32 v12, v12, 23, v14
	v_or3_b32 v12, v13, v12, v6
.LBB1_1464:
	s_or_b64 exec, exec, s[6:7]
	s_nop 0
	v_mfma_f32_16x16x4f32 a[0:3], v2, v12, a[0:3]
	s_movk_i32 s4, 0x7f
	v_cmp_gt_i16_sdwa s[6:7], v7, s4 src0_sel:BYTE_3 src1_sel:DWORD
	s_mov_b64 s[4:5], 0
                                        ; implicit-def: $sgpr10
	s_and_saveexec_b64 s[8:9], s[6:7]
	s_xor_b64 s[6:7], exec, s[8:9]
	s_cbranch_execnz .LBB1_3513
; %bb.1465:
	s_or_saveexec_b64 s[6:7], s[6:7]
	v_mov_b32_e32 v2, s10
	s_xor_b64 exec, exec, s[6:7]
	s_cbranch_execnz .LBB1_3516
.LBB1_1466:
	s_or_b64 exec, exec, s[6:7]
	s_and_saveexec_b64 s[6:7], s[4:5]
	s_cbranch_execz .LBB1_1468
.LBB1_1467:
	v_bfe_u32 v2, v7, 24, 3
	v_ffbh_u32_e32 v14, v2
	v_min_u32_e32 v14, 32, v14
	v_lshrrev_b32_e32 v12, 27, v7
	v_subrev_u32_e32 v15, 28, v14
	v_and_b32_e32 v6, 0x80000000, v7
	v_and_b32_e32 v12, 15, v12
	v_bfe_u32 v13, v7, 27, 4
	v_lshlrev_b32_sdwa v7, v15, v7 dst_sel:DWORD dst_unused:UNUSED_PAD src0_sel:DWORD src1_sel:BYTE_3
	v_sub_u32_e32 v14, 29, v14
	v_and_b32_e32 v7, 7, v7
	v_cmp_eq_u16_e32 vcc, 0, v12
	v_cndmask_b32_e32 v2, v2, v7, vcc
	v_cndmask_b32_e32 v7, v13, v14, vcc
	v_mov_b32_e32 v12, 0x3b800000
	v_lshlrev_b32_e32 v2, 20, v2
	v_lshl_add_u32 v7, v7, 23, v12
	v_or3_b32 v2, v6, v7, v2
.LBB1_1468:
	s_or_b64 exec, exec, s[6:7]
	s_movk_i32 s4, 0x7f
	v_cmp_gt_i16_sdwa s[6:7], v3, s4 src0_sel:BYTE_3 src1_sel:DWORD
	s_mov_b64 s[4:5], 0
                                        ; implicit-def: $sgpr10
	s_and_saveexec_b64 s[8:9], s[6:7]
	s_xor_b64 s[6:7], exec, s[8:9]
	s_cbranch_execnz .LBB1_3517
; %bb.1469:
	s_or_saveexec_b64 s[6:7], s[6:7]
	v_mov_b32_e32 v6, s10
	s_xor_b64 exec, exec, s[6:7]
	s_cbranch_execnz .LBB1_3520
.LBB1_1470:
	s_or_b64 exec, exec, s[6:7]
	s_and_saveexec_b64 s[6:7], s[4:5]
	s_cbranch_execz .LBB1_1472
.LBB1_1471:
	v_bfe_u32 v6, v3, 24, 3
	v_ffbh_u32_e32 v14, v6
	v_min_u32_e32 v14, 32, v14
	v_lshrrev_b32_e32 v12, 27, v3
	v_subrev_u32_e32 v15, 28, v14
	v_and_b32_e32 v7, 0x80000000, v3
	v_and_b32_e32 v12, 15, v12
	v_bfe_u32 v13, v3, 27, 4
	v_lshlrev_b32_sdwa v3, v15, v3 dst_sel:DWORD dst_unused:UNUSED_PAD src0_sel:DWORD src1_sel:BYTE_3
	v_sub_u32_e32 v14, 29, v14
	v_and_b32_e32 v3, 7, v3
	v_cmp_eq_u16_e32 vcc, 0, v12
	v_cndmask_b32_e32 v3, v6, v3, vcc
	v_cndmask_b32_e32 v6, v13, v14, vcc
	v_mov_b32_e32 v12, 0x3b800000
	v_lshlrev_b32_e32 v3, 20, v3
	v_lshl_add_u32 v6, v6, 23, v12
	v_or3_b32 v6, v7, v6, v3
.LBB1_1472:
	s_or_b64 exec, exec, s[6:7]
	s_nop 0
	v_mfma_f32_16x16x4f32 a[0:3], v2, v6, a[0:3]
	s_movk_i32 s4, 0x7f
	v_cmp_gt_i16_sdwa s[6:7], v8, s4 src0_sel:BYTE_0 src1_sel:DWORD
	s_mov_b64 s[4:5], 0
                                        ; implicit-def: $sgpr10
	s_and_saveexec_b64 s[8:9], s[6:7]
	s_xor_b64 s[6:7], exec, s[8:9]
	s_cbranch_execnz .LBB1_3521
; %bb.1473:
	s_or_saveexec_b64 s[6:7], s[6:7]
	v_mov_b32_e32 v2, s10
	s_xor_b64 exec, exec, s[6:7]
	s_cbranch_execnz .LBB1_3524
.LBB1_1474:
	s_or_b64 exec, exec, s[6:7]
	s_and_saveexec_b64 s[6:7], s[4:5]
	s_cbranch_execz .LBB1_1476
.LBB1_1475:
	v_and_b32_e32 v2, 7, v8
	v_ffbh_u32_e32 v6, v2
	v_min_u32_e32 v6, 32, v6
	v_lshrrev_b16_e32 v3, 3, v8
	v_subrev_u32_e32 v7, 28, v6
	v_and_b32_e32 v3, 15, v3
	v_lshlrev_b32_e32 v7, v7, v8
	v_sub_u32_e32 v6, 29, v6
	v_and_b32_e32 v7, 7, v7
	v_cmp_eq_u16_e32 vcc, 0, v3
	v_cndmask_b32_e32 v2, v2, v7, vcc
	v_cndmask_b32_e32 v3, v3, v6, vcc
	v_lshlrev_b32_e32 v6, 24, v8
	v_mov_b32_e32 v7, 0x3b800000
	v_lshlrev_b32_e32 v2, 20, v2
	v_and_b32_e32 v6, 0x80000000, v6
	v_lshl_add_u32 v3, v3, 23, v7
	v_or3_b32 v2, v6, v3, v2
.LBB1_1476:
	s_or_b64 exec, exec, s[6:7]
	s_movk_i32 s4, 0x7f
	v_cmp_gt_i16_sdwa s[6:7], v4, s4 src0_sel:BYTE_0 src1_sel:DWORD
	s_mov_b64 s[4:5], 0
                                        ; implicit-def: $sgpr10
	s_and_saveexec_b64 s[8:9], s[6:7]
	s_xor_b64 s[6:7], exec, s[8:9]
	s_cbranch_execnz .LBB1_3525
; %bb.1477:
	s_or_saveexec_b64 s[6:7], s[6:7]
	v_mov_b32_e32 v3, s10
	s_xor_b64 exec, exec, s[6:7]
	s_cbranch_execnz .LBB1_3528
.LBB1_1478:
	s_or_b64 exec, exec, s[6:7]
	s_and_saveexec_b64 s[6:7], s[4:5]
	s_cbranch_execz .LBB1_1480
.LBB1_1479:
	v_and_b32_e32 v3, 7, v4
	v_ffbh_u32_e32 v7, v3
	v_min_u32_e32 v7, 32, v7
	v_lshrrev_b16_e32 v6, 3, v4
	v_subrev_u32_e32 v12, 28, v7
	v_and_b32_e32 v6, 15, v6
	v_lshlrev_b32_e32 v12, v12, v4
	v_sub_u32_e32 v7, 29, v7
	v_and_b32_e32 v12, 7, v12
	v_cmp_eq_u16_e32 vcc, 0, v6
	v_cndmask_b32_e32 v3, v3, v12, vcc
	v_cndmask_b32_e32 v6, v6, v7, vcc
	v_lshlrev_b32_e32 v7, 24, v4
	v_mov_b32_e32 v12, 0x3b800000
	v_lshlrev_b32_e32 v3, 20, v3
	v_and_b32_e32 v7, 0x80000000, v7
	v_lshl_add_u32 v6, v6, 23, v12
	v_or3_b32 v3, v7, v6, v3
.LBB1_1480:
	s_or_b64 exec, exec, s[6:7]
	s_nop 0
	v_mfma_f32_16x16x4f32 a[0:3], v2, v3, a[0:3]
	v_lshrrev_b32_e32 v3, 8, v8
	s_movk_i32 s4, 0x7f
	v_cmp_gt_i16_sdwa s[6:7], v3, s4 src0_sel:BYTE_0 src1_sel:DWORD
	s_mov_b64 s[4:5], 0
                                        ; implicit-def: $sgpr10
	s_and_saveexec_b64 s[8:9], s[6:7]
	s_xor_b64 s[6:7], exec, s[8:9]
	s_cbranch_execnz .LBB1_3529
; %bb.1481:
	s_or_saveexec_b64 s[6:7], s[6:7]
	v_mov_b32_e32 v2, s10
	s_xor_b64 exec, exec, s[6:7]
	s_cbranch_execnz .LBB1_3532
.LBB1_1482:
	s_or_b64 exec, exec, s[6:7]
	s_and_saveexec_b64 s[6:7], s[4:5]
	s_cbranch_execz .LBB1_1484
.LBB1_1483:
	v_bfe_u32 v2, v8, 8, 3
	v_ffbh_u32_e32 v7, v2
	v_min_u32_e32 v7, 32, v7
	v_lshrrev_b16_e32 v6, 3, v3
	v_subrev_u32_e32 v12, 28, v7
	v_and_b32_e32 v6, 15, v6
	v_lshlrev_b32_e32 v3, v12, v3
	v_sub_u32_e32 v7, 29, v7
	v_and_b32_e32 v3, 7, v3
	v_cmp_eq_u16_e32 vcc, 0, v6
	v_cndmask_b32_e32 v2, v2, v3, vcc
	v_cndmask_b32_e32 v3, v6, v7, vcc
	v_lshlrev_b32_e32 v6, 16, v8
	v_mov_b32_e32 v7, 0x3b800000
	v_lshlrev_b32_e32 v2, 20, v2
	v_and_b32_e32 v6, 0x80000000, v6
	v_lshl_add_u32 v3, v3, 23, v7
	v_or3_b32 v2, v6, v3, v2
.LBB1_1484:
	s_or_b64 exec, exec, s[6:7]
	v_lshrrev_b32_e32 v3, 8, v4
	s_movk_i32 s4, 0x7f
	v_cmp_gt_i16_sdwa s[6:7], v3, s4 src0_sel:BYTE_0 src1_sel:DWORD
	s_mov_b64 s[4:5], 0
                                        ; implicit-def: $sgpr10
	s_and_saveexec_b64 s[8:9], s[6:7]
	s_xor_b64 s[6:7], exec, s[8:9]
	s_cbranch_execnz .LBB1_3533
; %bb.1485:
	s_or_saveexec_b64 s[6:7], s[6:7]
	v_mov_b32_e32 v6, s10
	s_xor_b64 exec, exec, s[6:7]
	s_cbranch_execnz .LBB1_3536
.LBB1_1486:
	s_or_b64 exec, exec, s[6:7]
	s_and_saveexec_b64 s[6:7], s[4:5]
	s_cbranch_execz .LBB1_1488
.LBB1_1487:
	v_bfe_u32 v6, v4, 8, 3
	v_ffbh_u32_e32 v12, v6
	v_min_u32_e32 v12, 32, v12
	v_lshrrev_b16_e32 v7, 3, v3
	v_subrev_u32_e32 v13, 28, v12
	v_and_b32_e32 v7, 15, v7
	v_lshlrev_b32_e32 v3, v13, v3
	v_sub_u32_e32 v12, 29, v12
	v_and_b32_e32 v3, 7, v3
	v_cmp_eq_u16_e32 vcc, 0, v7
	v_cndmask_b32_e32 v3, v6, v3, vcc
	v_cndmask_b32_e32 v6, v7, v12, vcc
	v_lshlrev_b32_e32 v7, 16, v4
	v_mov_b32_e32 v12, 0x3b800000
	v_lshlrev_b32_e32 v3, 20, v3
	v_and_b32_e32 v7, 0x80000000, v7
	v_lshl_add_u32 v6, v6, 23, v12
	v_or3_b32 v6, v7, v6, v3
.LBB1_1488:
	s_or_b64 exec, exec, s[6:7]
	s_nop 0
	v_mfma_f32_16x16x4f32 a[0:3], v2, v6, a[0:3]
	s_movk_i32 s4, 0xff
	v_and_b32_sdwa v3, v8, s4 dst_sel:DWORD dst_unused:UNUSED_PAD src0_sel:WORD_1 src1_sel:DWORD
	s_movk_i32 s4, 0x7f
	v_cmp_lt_i16_e32 vcc, s4, v3
	s_mov_b64 s[4:5], 0
                                        ; implicit-def: $sgpr10
	s_and_saveexec_b64 s[6:7], vcc
	s_xor_b64 s[6:7], exec, s[6:7]
	s_cbranch_execnz .LBB1_3537
; %bb.1489:
	s_or_saveexec_b64 s[6:7], s[6:7]
	v_mov_b32_e32 v2, s10
	s_xor_b64 exec, exec, s[6:7]
	s_cbranch_execnz .LBB1_3540
.LBB1_1490:
	s_or_b64 exec, exec, s[6:7]
	s_and_saveexec_b64 s[6:7], s[4:5]
	s_cbranch_execz .LBB1_1492
.LBB1_1491:
	v_bfe_u32 v2, v8, 16, 3
	v_ffbh_u32_e32 v7, v2
	v_min_u32_e32 v7, 32, v7
	v_lshrrev_b32_e32 v3, 19, v8
	v_subrev_u32_e32 v12, 28, v7
	v_and_b32_e32 v3, 15, v3
	v_lshlrev_b32_sdwa v12, v12, v8 dst_sel:DWORD dst_unused:UNUSED_PAD src0_sel:DWORD src1_sel:WORD_1
	v_bfe_u32 v6, v8, 19, 4
	v_sub_u32_e32 v7, 29, v7
	v_and_b32_e32 v12, 7, v12
	v_cmp_eq_u16_e32 vcc, 0, v3
	v_cndmask_b32_e32 v2, v2, v12, vcc
	v_cndmask_b32_e32 v3, v6, v7, vcc
	v_lshlrev_b32_e32 v6, 8, v8
	v_mov_b32_e32 v7, 0x3b800000
	v_lshlrev_b32_e32 v2, 20, v2
	v_and_b32_e32 v6, 0x80000000, v6
	v_lshl_add_u32 v3, v3, 23, v7
	v_or3_b32 v2, v6, v3, v2
.LBB1_1492:
	s_or_b64 exec, exec, s[6:7]
	s_movk_i32 s4, 0xff
	v_and_b32_sdwa v3, v4, s4 dst_sel:DWORD dst_unused:UNUSED_PAD src0_sel:WORD_1 src1_sel:DWORD
	s_movk_i32 s4, 0x7f
	v_cmp_lt_i16_e32 vcc, s4, v3
	s_mov_b64 s[4:5], 0
                                        ; implicit-def: $sgpr10
	s_and_saveexec_b64 s[6:7], vcc
	s_xor_b64 s[6:7], exec, s[6:7]
	s_cbranch_execnz .LBB1_3541
; %bb.1493:
	s_or_saveexec_b64 s[6:7], s[6:7]
	v_mov_b32_e32 v6, s10
	s_xor_b64 exec, exec, s[6:7]
	s_cbranch_execnz .LBB1_3544
.LBB1_1494:
	s_or_b64 exec, exec, s[6:7]
	s_and_saveexec_b64 s[6:7], s[4:5]
	s_cbranch_execz .LBB1_1496
.LBB1_1495:
	v_bfe_u32 v3, v4, 16, 3
	v_ffbh_u32_e32 v12, v3
	v_min_u32_e32 v12, 32, v12
	v_lshrrev_b32_e32 v6, 19, v4
	v_subrev_u32_e32 v13, 28, v12
	v_and_b32_e32 v6, 15, v6
	v_lshlrev_b32_sdwa v13, v13, v4 dst_sel:DWORD dst_unused:UNUSED_PAD src0_sel:DWORD src1_sel:WORD_1
	v_bfe_u32 v7, v4, 19, 4
	v_sub_u32_e32 v12, 29, v12
	v_and_b32_e32 v13, 7, v13
	v_cmp_eq_u16_e32 vcc, 0, v6
	v_cndmask_b32_e32 v3, v3, v13, vcc
	v_cndmask_b32_e32 v6, v7, v12, vcc
	v_lshlrev_b32_e32 v7, 8, v4
	v_mov_b32_e32 v12, 0x3b800000
	v_lshlrev_b32_e32 v3, 20, v3
	v_and_b32_e32 v7, 0x80000000, v7
	v_lshl_add_u32 v6, v6, 23, v12
	v_or3_b32 v6, v7, v6, v3
.LBB1_1496:
	s_or_b64 exec, exec, s[6:7]
	s_nop 0
	v_mfma_f32_16x16x4f32 a[0:3], v2, v6, a[0:3]
	s_movk_i32 s4, 0x7f
	v_cmp_gt_i16_sdwa s[6:7], v8, s4 src0_sel:BYTE_3 src1_sel:DWORD
	s_mov_b64 s[4:5], 0
                                        ; implicit-def: $sgpr10
	s_and_saveexec_b64 s[8:9], s[6:7]
	s_xor_b64 s[6:7], exec, s[8:9]
	s_cbranch_execnz .LBB1_3545
; %bb.1497:
	s_or_saveexec_b64 s[6:7], s[6:7]
	v_mov_b32_e32 v2, s10
	s_xor_b64 exec, exec, s[6:7]
	s_cbranch_execnz .LBB1_3548
.LBB1_1498:
	s_or_b64 exec, exec, s[6:7]
	s_and_saveexec_b64 s[6:7], s[4:5]
	s_cbranch_execz .LBB1_1500
.LBB1_1499:
	v_bfe_u32 v2, v8, 24, 3
	v_ffbh_u32_e32 v12, v2
	v_min_u32_e32 v12, 32, v12
	v_lshrrev_b32_e32 v6, 27, v8
	v_subrev_u32_e32 v13, 28, v12
	v_and_b32_e32 v3, 0x80000000, v8
	v_and_b32_e32 v6, 15, v6
	v_bfe_u32 v7, v8, 27, 4
	v_lshlrev_b32_sdwa v8, v13, v8 dst_sel:DWORD dst_unused:UNUSED_PAD src0_sel:DWORD src1_sel:BYTE_3
	v_sub_u32_e32 v12, 29, v12
	v_and_b32_e32 v8, 7, v8
	v_cmp_eq_u16_e32 vcc, 0, v6
	v_cndmask_b32_e32 v2, v2, v8, vcc
	v_cndmask_b32_e32 v6, v7, v12, vcc
	v_mov_b32_e32 v7, 0x3b800000
	v_lshlrev_b32_e32 v2, 20, v2
	v_lshl_add_u32 v6, v6, 23, v7
	v_or3_b32 v2, v3, v6, v2
.LBB1_1500:
	s_or_b64 exec, exec, s[6:7]
	s_movk_i32 s4, 0x7f
	v_cmp_gt_i16_sdwa s[6:7], v4, s4 src0_sel:BYTE_3 src1_sel:DWORD
	s_mov_b64 s[4:5], 0
                                        ; implicit-def: $sgpr10
	s_and_saveexec_b64 s[8:9], s[6:7]
	s_xor_b64 s[6:7], exec, s[8:9]
	s_cbranch_execnz .LBB1_3549
; %bb.1501:
	s_or_saveexec_b64 s[6:7], s[6:7]
	v_mov_b32_e32 v3, s10
	s_xor_b64 exec, exec, s[6:7]
	s_cbranch_execnz .LBB1_3552
.LBB1_1502:
	s_or_b64 exec, exec, s[6:7]
	s_and_saveexec_b64 s[6:7], s[4:5]
	s_cbranch_execz .LBB1_1504
.LBB1_1503:
	v_bfe_u32 v3, v4, 24, 3
	v_ffbh_u32_e32 v12, v3
	v_min_u32_e32 v12, 32, v12
	v_lshrrev_b32_e32 v7, 27, v4
	v_subrev_u32_e32 v13, 28, v12
	v_and_b32_e32 v6, 0x80000000, v4
	v_and_b32_e32 v7, 15, v7
	v_bfe_u32 v8, v4, 27, 4
	v_lshlrev_b32_sdwa v4, v13, v4 dst_sel:DWORD dst_unused:UNUSED_PAD src0_sel:DWORD src1_sel:BYTE_3
	v_sub_u32_e32 v12, 29, v12
	v_and_b32_e32 v4, 7, v4
	v_cmp_eq_u16_e32 vcc, 0, v7
	v_cndmask_b32_e32 v3, v3, v4, vcc
	v_cndmask_b32_e32 v4, v8, v12, vcc
	v_mov_b32_e32 v7, 0x3b800000
	v_lshlrev_b32_e32 v3, 20, v3
	v_lshl_add_u32 v4, v4, 23, v7
	v_or3_b32 v3, v6, v4, v3
.LBB1_1504:
	s_or_b64 exec, exec, s[6:7]
	s_nop 0
	v_mfma_f32_16x16x4f32 a[0:3], v2, v3, a[0:3]
	s_movk_i32 s4, 0x7f
	v_cmp_gt_i16_sdwa s[6:7], v9, s4 src0_sel:BYTE_0 src1_sel:DWORD
	s_mov_b64 s[4:5], 0
                                        ; implicit-def: $sgpr10
	s_and_saveexec_b64 s[8:9], s[6:7]
	s_xor_b64 s[6:7], exec, s[8:9]
	s_cbranch_execnz .LBB1_3553
; %bb.1505:
	s_or_saveexec_b64 s[6:7], s[6:7]
	v_mov_b32_e32 v2, s10
	s_xor_b64 exec, exec, s[6:7]
	s_cbranch_execnz .LBB1_3556
.LBB1_1506:
	s_or_b64 exec, exec, s[6:7]
	s_and_saveexec_b64 s[6:7], s[4:5]
	s_cbranch_execz .LBB1_1508
.LBB1_1507:
	v_mov_b32_e32 v2, 8
	v_and_b32_e32 v3, 7, v9
	v_lshrrev_b32_sdwa v2, v2, v9 dst_sel:BYTE_1 dst_unused:UNUSED_PAD src0_sel:DWORD src1_sel:DWORD
	v_ffbh_u32_e32 v4, v3
	v_or_b32_sdwa v2, v9, v2 dst_sel:DWORD dst_unused:UNUSED_PAD src0_sel:BYTE_0 src1_sel:DWORD
	v_min_u32_e32 v4, 32, v4
	v_lshrrev_b16_e32 v2, 3, v2
	v_subrev_u32_e32 v6, 28, v4
	v_and_b32_e32 v2, 15, v2
	v_lshlrev_b32_e32 v6, v6, v9
	v_sub_u32_e32 v4, 29, v4
	v_and_b32_e32 v6, 7, v6
	v_cmp_eq_u16_e32 vcc, 0, v2
	v_cndmask_b32_e32 v3, v3, v6, vcc
	v_cndmask_b32_e32 v2, v2, v4, vcc
	v_lshlrev_b32_e32 v4, 24, v9
	v_mov_b32_e32 v6, 0x3b800000
	v_lshlrev_b32_e32 v3, 20, v3
	v_and_b32_e32 v4, 0x80000000, v4
	v_lshl_add_u32 v2, v2, 23, v6
	v_or3_b32 v2, v4, v2, v3
.LBB1_1508:
	s_or_b64 exec, exec, s[6:7]
	s_movk_i32 s4, 0x7f
	v_cmp_gt_i16_sdwa s[6:7], v5, s4 src0_sel:BYTE_0 src1_sel:DWORD
	s_mov_b64 s[4:5], 0
                                        ; implicit-def: $sgpr10
	s_and_saveexec_b64 s[8:9], s[6:7]
	s_xor_b64 s[6:7], exec, s[8:9]
	s_cbranch_execnz .LBB1_3557
; %bb.1509:
	s_or_saveexec_b64 s[6:7], s[6:7]
	v_mov_b32_e32 v3, s10
	s_xor_b64 exec, exec, s[6:7]
	s_cbranch_execnz .LBB1_3560
.LBB1_1510:
	s_or_b64 exec, exec, s[6:7]
	s_and_saveexec_b64 s[6:7], s[4:5]
	s_cbranch_execz .LBB1_1512
.LBB1_1511:
	v_mov_b32_e32 v3, 8
	v_and_b32_e32 v4, 7, v5
	v_lshrrev_b32_sdwa v3, v3, v5 dst_sel:BYTE_1 dst_unused:UNUSED_PAD src0_sel:DWORD src1_sel:DWORD
	v_ffbh_u32_e32 v6, v4
	v_or_b32_sdwa v3, v5, v3 dst_sel:DWORD dst_unused:UNUSED_PAD src0_sel:BYTE_0 src1_sel:DWORD
	v_min_u32_e32 v6, 32, v6
	v_lshrrev_b16_e32 v3, 3, v3
	v_subrev_u32_e32 v7, 28, v6
	v_and_b32_e32 v3, 15, v3
	v_lshlrev_b32_e32 v7, v7, v5
	v_sub_u32_e32 v6, 29, v6
	v_and_b32_e32 v7, 7, v7
	v_cmp_eq_u16_e32 vcc, 0, v3
	v_cndmask_b32_e32 v4, v4, v7, vcc
	v_cndmask_b32_e32 v3, v3, v6, vcc
	v_lshlrev_b32_e32 v6, 24, v5
	v_mov_b32_e32 v7, 0x3b800000
	v_lshlrev_b32_e32 v4, 20, v4
	v_and_b32_e32 v6, 0x80000000, v6
	v_lshl_add_u32 v3, v3, 23, v7
	v_or3_b32 v3, v6, v3, v4
.LBB1_1512:
	s_or_b64 exec, exec, s[6:7]
	s_nop 0
	v_mfma_f32_16x16x4f32 a[0:3], v2, v3, a[0:3]
	v_lshrrev_b32_e32 v3, 8, v9
	s_movk_i32 s4, 0x7f
	v_cmp_gt_i16_sdwa s[6:7], v3, s4 src0_sel:BYTE_0 src1_sel:DWORD
	s_mov_b64 s[4:5], 0
                                        ; implicit-def: $sgpr10
	s_and_saveexec_b64 s[8:9], s[6:7]
	s_xor_b64 s[6:7], exec, s[8:9]
	s_cbranch_execnz .LBB1_3561
; %bb.1513:
	s_or_saveexec_b64 s[6:7], s[6:7]
	v_mov_b32_e32 v2, s10
	s_xor_b64 exec, exec, s[6:7]
	s_cbranch_execnz .LBB1_3564
.LBB1_1514:
	s_or_b64 exec, exec, s[6:7]
	s_and_saveexec_b64 s[6:7], s[4:5]
	s_cbranch_execz .LBB1_1516
.LBB1_1515:
	v_bfe_u32 v2, v9, 8, 3
	v_ffbh_u32_e32 v6, v2
	v_min_u32_e32 v6, 32, v6
	v_lshrrev_b16_e32 v4, 3, v3
	v_subrev_u32_e32 v7, 28, v6
	v_and_b32_e32 v4, 15, v4
	v_lshlrev_b32_e32 v3, v7, v3
	v_sub_u32_e32 v6, 29, v6
	v_and_b32_e32 v3, 7, v3
	v_cmp_eq_u16_e32 vcc, 0, v4
	v_cndmask_b32_e32 v2, v2, v3, vcc
	v_cndmask_b32_e32 v3, v4, v6, vcc
	v_lshlrev_b32_e32 v4, 16, v9
	v_mov_b32_e32 v6, 0x3b800000
	v_lshlrev_b32_e32 v2, 20, v2
	v_and_b32_e32 v4, 0x80000000, v4
	v_lshl_add_u32 v3, v3, 23, v6
	v_or3_b32 v2, v4, v3, v2
.LBB1_1516:
	s_or_b64 exec, exec, s[6:7]
	v_lshrrev_b32_e32 v3, 8, v5
	s_movk_i32 s4, 0x7f
	v_cmp_gt_i16_sdwa s[6:7], v3, s4 src0_sel:BYTE_0 src1_sel:DWORD
	s_mov_b64 s[4:5], 0
                                        ; implicit-def: $sgpr10
	s_and_saveexec_b64 s[8:9], s[6:7]
	s_xor_b64 s[6:7], exec, s[8:9]
	s_cbranch_execnz .LBB1_3565
; %bb.1517:
	s_or_saveexec_b64 s[6:7], s[6:7]
	v_mov_b32_e32 v4, s10
	s_xor_b64 exec, exec, s[6:7]
	s_cbranch_execnz .LBB1_3568
.LBB1_1518:
	s_or_b64 exec, exec, s[6:7]
	s_and_saveexec_b64 s[6:7], s[4:5]
	s_cbranch_execz .LBB1_1520
.LBB1_1519:
	v_bfe_u32 v4, v5, 8, 3
	v_ffbh_u32_e32 v7, v4
	v_min_u32_e32 v7, 32, v7
	v_lshrrev_b16_e32 v6, 3, v3
	v_subrev_u32_e32 v8, 28, v7
	v_and_b32_e32 v6, 15, v6
	v_lshlrev_b32_e32 v3, v8, v3
	v_sub_u32_e32 v7, 29, v7
	v_and_b32_e32 v3, 7, v3
	v_cmp_eq_u16_e32 vcc, 0, v6
	v_cndmask_b32_e32 v3, v4, v3, vcc
	v_cndmask_b32_e32 v4, v6, v7, vcc
	v_lshlrev_b32_e32 v6, 16, v5
	v_mov_b32_e32 v7, 0x3b800000
	v_lshlrev_b32_e32 v3, 20, v3
	v_and_b32_e32 v6, 0x80000000, v6
	v_lshl_add_u32 v4, v4, 23, v7
	v_or3_b32 v4, v6, v4, v3
.LBB1_1520:
	s_or_b64 exec, exec, s[6:7]
	s_nop 0
	v_mfma_f32_16x16x4f32 a[0:3], v2, v4, a[0:3]
	s_movk_i32 s4, 0xff
	v_and_b32_sdwa v3, v9, s4 dst_sel:DWORD dst_unused:UNUSED_PAD src0_sel:WORD_1 src1_sel:DWORD
	s_movk_i32 s4, 0x7f
	v_cmp_lt_i16_e32 vcc, s4, v3
	s_mov_b64 s[4:5], 0
                                        ; implicit-def: $sgpr10
	s_and_saveexec_b64 s[6:7], vcc
	s_xor_b64 s[6:7], exec, s[6:7]
	s_cbranch_execnz .LBB1_3569
; %bb.1521:
	s_or_saveexec_b64 s[6:7], s[6:7]
	v_mov_b32_e32 v2, s10
	s_xor_b64 exec, exec, s[6:7]
	s_cbranch_execnz .LBB1_3572
.LBB1_1522:
	s_or_b64 exec, exec, s[6:7]
	s_and_saveexec_b64 s[6:7], s[4:5]
	s_cbranch_execz .LBB1_1524
.LBB1_1523:
	v_bfe_u32 v2, v9, 16, 3
	v_ffbh_u32_e32 v6, v2
	v_min_u32_e32 v6, 32, v6
	v_lshrrev_b32_e32 v3, 19, v9
	v_subrev_u32_e32 v7, 28, v6
	v_and_b32_e32 v3, 15, v3
	v_lshlrev_b32_sdwa v7, v7, v9 dst_sel:DWORD dst_unused:UNUSED_PAD src0_sel:DWORD src1_sel:WORD_1
	v_bfe_u32 v4, v9, 19, 4
	v_sub_u32_e32 v6, 29, v6
	v_and_b32_e32 v7, 7, v7
	v_cmp_eq_u16_e32 vcc, 0, v3
	v_cndmask_b32_e32 v2, v2, v7, vcc
	v_cndmask_b32_e32 v3, v4, v6, vcc
	v_lshlrev_b32_e32 v4, 8, v9
	v_mov_b32_e32 v6, 0x3b800000
	v_lshlrev_b32_e32 v2, 20, v2
	v_and_b32_e32 v4, 0x80000000, v4
	v_lshl_add_u32 v3, v3, 23, v6
	v_or3_b32 v2, v4, v3, v2
.LBB1_1524:
	s_or_b64 exec, exec, s[6:7]
	s_movk_i32 s4, 0xff
	v_and_b32_sdwa v3, v5, s4 dst_sel:DWORD dst_unused:UNUSED_PAD src0_sel:WORD_1 src1_sel:DWORD
	s_movk_i32 s4, 0x7f
	v_cmp_lt_i16_e32 vcc, s4, v3
	s_mov_b64 s[4:5], 0
                                        ; implicit-def: $sgpr10
	s_and_saveexec_b64 s[6:7], vcc
	s_xor_b64 s[6:7], exec, s[6:7]
	s_cbranch_execnz .LBB1_3573
; %bb.1525:
	s_or_saveexec_b64 s[6:7], s[6:7]
	v_mov_b32_e32 v4, s10
	s_xor_b64 exec, exec, s[6:7]
	s_cbranch_execnz .LBB1_3576
.LBB1_1526:
	s_or_b64 exec, exec, s[6:7]
	s_and_saveexec_b64 s[6:7], s[4:5]
	s_cbranch_execz .LBB1_1528
.LBB1_1527:
	v_bfe_u32 v3, v5, 16, 3
	v_ffbh_u32_e32 v7, v3
	v_min_u32_e32 v7, 32, v7
	v_lshrrev_b32_e32 v4, 19, v5
	v_subrev_u32_e32 v8, 28, v7
	v_and_b32_e32 v4, 15, v4
	v_lshlrev_b32_sdwa v8, v8, v5 dst_sel:DWORD dst_unused:UNUSED_PAD src0_sel:DWORD src1_sel:WORD_1
	v_bfe_u32 v6, v5, 19, 4
	v_sub_u32_e32 v7, 29, v7
	v_and_b32_e32 v8, 7, v8
	v_cmp_eq_u16_e32 vcc, 0, v4
	v_cndmask_b32_e32 v3, v3, v8, vcc
	v_cndmask_b32_e32 v4, v6, v7, vcc
	v_lshlrev_b32_e32 v6, 8, v5
	v_mov_b32_e32 v7, 0x3b800000
	v_lshlrev_b32_e32 v3, 20, v3
	v_and_b32_e32 v6, 0x80000000, v6
	v_lshl_add_u32 v4, v4, 23, v7
	v_or3_b32 v4, v6, v4, v3
.LBB1_1528:
	s_or_b64 exec, exec, s[6:7]
	s_nop 0
	v_mfma_f32_16x16x4f32 a[0:3], v2, v4, a[0:3]
	s_movk_i32 s4, 0x7f
	v_cmp_gt_i16_sdwa s[6:7], v9, s4 src0_sel:BYTE_3 src1_sel:DWORD
	s_mov_b64 s[4:5], 0
                                        ; implicit-def: $sgpr10
	s_and_saveexec_b64 s[8:9], s[6:7]
	s_xor_b64 s[6:7], exec, s[8:9]
	s_cbranch_execnz .LBB1_3577
; %bb.1529:
	s_or_saveexec_b64 s[6:7], s[6:7]
	v_mov_b32_e32 v2, s10
	s_xor_b64 exec, exec, s[6:7]
	s_cbranch_execnz .LBB1_3580
.LBB1_1530:
	s_or_b64 exec, exec, s[6:7]
	s_and_saveexec_b64 s[6:7], s[4:5]
	s_cbranch_execz .LBB1_1532
.LBB1_1531:
	v_bfe_u32 v2, v9, 24, 3
	v_ffbh_u32_e32 v7, v2
	v_min_u32_e32 v7, 32, v7
	v_lshrrev_b32_e32 v4, 27, v9
	v_subrev_u32_e32 v8, 28, v7
	v_and_b32_e32 v4, 15, v4
	v_lshlrev_b32_sdwa v8, v8, v9 dst_sel:DWORD dst_unused:UNUSED_PAD src0_sel:DWORD src1_sel:BYTE_3
	v_bfe_u32 v6, v9, 27, 4
	v_sub_u32_e32 v7, 29, v7
	v_and_b32_e32 v8, 7, v8
	v_cmp_eq_u16_e32 vcc, 0, v4
	v_cndmask_b32_e32 v2, v2, v8, vcc
	v_cndmask_b32_e32 v4, v6, v7, vcc
	v_mov_b32_e32 v6, 0x3b800000
	v_and_b32_e32 v3, 0x80000000, v9
	v_lshlrev_b32_e32 v2, 20, v2
	v_lshl_add_u32 v4, v4, 23, v6
	v_or3_b32 v2, v3, v4, v2
.LBB1_1532:
	s_or_b64 exec, exec, s[6:7]
	s_movk_i32 s4, 0x7f
	v_cmp_gt_i16_sdwa s[6:7], v5, s4 src0_sel:BYTE_3 src1_sel:DWORD
	s_mov_b64 s[4:5], 0
                                        ; implicit-def: $sgpr10
	s_and_saveexec_b64 s[8:9], s[6:7]
	s_xor_b64 s[6:7], exec, s[8:9]
	s_cbranch_execnz .LBB1_3581
; %bb.1533:
	s_or_saveexec_b64 s[6:7], s[6:7]
	v_mov_b32_e32 v3, s10
	s_xor_b64 exec, exec, s[6:7]
	s_cbranch_execnz .LBB1_3584
.LBB1_1534:
	s_or_b64 exec, exec, s[6:7]
	s_and_saveexec_b64 s[6:7], s[4:5]
	s_cbranch_execz .LBB1_1536
.LBB1_1535:
	v_bfe_u32 v3, v5, 24, 3
	v_ffbh_u32_e32 v8, v3
	v_min_u32_e32 v8, 32, v8
	v_lshrrev_b32_e32 v6, 27, v5
	v_subrev_u32_e32 v9, 28, v8
	v_and_b32_e32 v4, 0x80000000, v5
	v_and_b32_e32 v6, 15, v6
	v_bfe_u32 v7, v5, 27, 4
	v_lshlrev_b32_sdwa v5, v9, v5 dst_sel:DWORD dst_unused:UNUSED_PAD src0_sel:DWORD src1_sel:BYTE_3
	v_sub_u32_e32 v8, 29, v8
	v_and_b32_e32 v5, 7, v5
	v_cmp_eq_u16_e32 vcc, 0, v6
	v_cndmask_b32_e32 v3, v3, v5, vcc
	v_cndmask_b32_e32 v5, v7, v8, vcc
	v_mov_b32_e32 v6, 0x3b800000
	v_lshlrev_b32_e32 v3, 20, v3
	v_lshl_add_u32 v5, v5, 23, v6
	v_or3_b32 v3, v4, v5, v3
.LBB1_1536:
	s_or_b64 exec, exec, s[6:7]
	s_nop 0
	v_mfma_f32_16x16x4f32 a[0:3], v2, v3, a[0:3]
	s_movk_i32 s4, 0x7f
                                        ; implicit-def: $sgpr10
	s_nop 7
	s_nop 1
	flat_store_dwordx4 v[10:11], a[0:3] offset:176
	flat_load_dwordx4 v[12:15], v[0:1] offset:8
	s_nop 0
	flat_load_dwordx2 v[10:11], v[0:1] offset:32
	s_waitcnt vmcnt(0) lgkmcnt(0)
	flat_load_dwordx4 v[6:9], v[12:13] offset:96
	flat_load_dwordx4 v[2:5], v[14:15]
	s_waitcnt vmcnt(0) lgkmcnt(0)
	v_cmp_gt_i16_sdwa s[6:7], v6, s4 src0_sel:BYTE_0 src1_sel:DWORD
	s_mov_b64 s[4:5], 0
	s_and_saveexec_b64 s[8:9], s[6:7]
	s_xor_b64 s[6:7], exec, s[8:9]
	s_cbranch_execnz .LBB1_3585
; %bb.1537:
	s_or_saveexec_b64 s[6:7], s[6:7]
	v_mov_b32_e32 v12, s10
	s_xor_b64 exec, exec, s[6:7]
	s_cbranch_execnz .LBB1_3588
.LBB1_1538:
	s_or_b64 exec, exec, s[6:7]
	s_and_saveexec_b64 s[6:7], s[4:5]
	s_cbranch_execz .LBB1_1540
.LBB1_1539:
	v_and_b32_e32 v12, 7, v6
	v_ffbh_u32_e32 v14, v12
	v_min_u32_e32 v14, 32, v14
	v_lshrrev_b16_e32 v13, 3, v6
	v_subrev_u32_e32 v15, 28, v14
	v_and_b32_e32 v13, 15, v13
	v_lshlrev_b32_e32 v15, v15, v6
	v_sub_u32_e32 v14, 29, v14
	v_and_b32_e32 v15, 7, v15
	v_cmp_eq_u16_e32 vcc, 0, v13
	v_cndmask_b32_e32 v12, v12, v15, vcc
	v_cndmask_b32_e32 v13, v13, v14, vcc
	v_lshlrev_b32_e32 v14, 24, v6
	v_mov_b32_e32 v15, 0x3b800000
	v_lshlrev_b32_e32 v12, 20, v12
	v_and_b32_e32 v14, 0x80000000, v14
	v_lshl_add_u32 v13, v13, 23, v15
	v_or3_b32 v12, v14, v13, v12
.LBB1_1540:
	s_or_b64 exec, exec, s[6:7]
	s_movk_i32 s4, 0x7f
	v_cmp_gt_i16_sdwa s[6:7], v2, s4 src0_sel:BYTE_0 src1_sel:DWORD
	s_mov_b64 s[4:5], 0
                                        ; implicit-def: $sgpr10
	s_and_saveexec_b64 s[8:9], s[6:7]
	s_xor_b64 s[6:7], exec, s[8:9]
	s_cbranch_execnz .LBB1_3589
; %bb.1541:
	s_or_saveexec_b64 s[6:7], s[6:7]
	v_mov_b32_e32 v13, s10
	s_xor_b64 exec, exec, s[6:7]
	s_cbranch_execnz .LBB1_3592
.LBB1_1542:
	s_or_b64 exec, exec, s[6:7]
	s_and_saveexec_b64 s[6:7], s[4:5]
	s_cbranch_execz .LBB1_1544
.LBB1_1543:
	v_and_b32_e32 v13, 7, v2
	v_ffbh_u32_e32 v15, v13
	v_min_u32_e32 v15, 32, v15
	v_lshrrev_b16_e32 v14, 3, v2
	v_subrev_u32_e32 v16, 28, v15
	v_and_b32_e32 v14, 15, v14
	v_lshlrev_b32_e32 v16, v16, v2
	v_sub_u32_e32 v15, 29, v15
	v_and_b32_e32 v16, 7, v16
	v_cmp_eq_u16_e32 vcc, 0, v14
	v_cndmask_b32_e32 v13, v13, v16, vcc
	v_cndmask_b32_e32 v14, v14, v15, vcc
	v_lshlrev_b32_e32 v15, 24, v2
	v_mov_b32_e32 v16, 0x3b800000
	v_lshlrev_b32_e32 v13, 20, v13
	v_and_b32_e32 v15, 0x80000000, v15
	v_lshl_add_u32 v14, v14, 23, v16
	v_or3_b32 v13, v15, v14, v13
.LBB1_1544:
	s_or_b64 exec, exec, s[6:7]
	flat_load_dwordx4 a[0:3], v[10:11] offset:192
	s_movk_i32 s4, 0x7f
                                        ; implicit-def: $sgpr10
	s_waitcnt vmcnt(0) lgkmcnt(0)
	v_mfma_f32_16x16x4f32 a[0:3], v12, v13, a[0:3]
	v_lshrrev_b32_e32 v13, 8, v6
	v_cmp_gt_i16_sdwa s[6:7], v13, s4 src0_sel:BYTE_0 src1_sel:DWORD
	s_mov_b64 s[4:5], 0
	s_and_saveexec_b64 s[8:9], s[6:7]
	s_xor_b64 s[6:7], exec, s[8:9]
	s_cbranch_execnz .LBB1_3593
; %bb.1545:
	s_or_saveexec_b64 s[6:7], s[6:7]
	v_mov_b32_e32 v12, s10
	s_xor_b64 exec, exec, s[6:7]
	s_cbranch_execnz .LBB1_3596
.LBB1_1546:
	s_or_b64 exec, exec, s[6:7]
	s_and_saveexec_b64 s[6:7], s[4:5]
	s_cbranch_execz .LBB1_1548
.LBB1_1547:
	v_bfe_u32 v12, v6, 8, 3
	v_ffbh_u32_e32 v15, v12
	v_min_u32_e32 v15, 32, v15
	v_lshrrev_b16_e32 v14, 3, v13
	v_subrev_u32_e32 v16, 28, v15
	v_and_b32_e32 v14, 15, v14
	v_lshlrev_b32_e32 v13, v16, v13
	v_sub_u32_e32 v15, 29, v15
	v_and_b32_e32 v13, 7, v13
	v_cmp_eq_u16_e32 vcc, 0, v14
	v_cndmask_b32_e32 v12, v12, v13, vcc
	v_cndmask_b32_e32 v13, v14, v15, vcc
	v_lshlrev_b32_e32 v14, 16, v6
	v_mov_b32_e32 v15, 0x3b800000
	v_lshlrev_b32_e32 v12, 20, v12
	v_and_b32_e32 v14, 0x80000000, v14
	v_lshl_add_u32 v13, v13, 23, v15
	v_or3_b32 v12, v14, v13, v12
.LBB1_1548:
	s_or_b64 exec, exec, s[6:7]
	v_lshrrev_b32_e32 v13, 8, v2
	s_movk_i32 s4, 0x7f
	v_cmp_gt_i16_sdwa s[6:7], v13, s4 src0_sel:BYTE_0 src1_sel:DWORD
	s_mov_b64 s[4:5], 0
                                        ; implicit-def: $sgpr10
	s_and_saveexec_b64 s[8:9], s[6:7]
	s_xor_b64 s[6:7], exec, s[8:9]
	s_cbranch_execnz .LBB1_3597
; %bb.1549:
	s_or_saveexec_b64 s[6:7], s[6:7]
	v_mov_b32_e32 v14, s10
	s_xor_b64 exec, exec, s[6:7]
	s_cbranch_execnz .LBB1_3600
.LBB1_1550:
	s_or_b64 exec, exec, s[6:7]
	s_and_saveexec_b64 s[6:7], s[4:5]
	s_cbranch_execz .LBB1_1552
.LBB1_1551:
	v_bfe_u32 v14, v2, 8, 3
	v_ffbh_u32_e32 v16, v14
	v_min_u32_e32 v16, 32, v16
	v_lshrrev_b16_e32 v15, 3, v13
	v_subrev_u32_e32 v17, 28, v16
	v_and_b32_e32 v15, 15, v15
	v_lshlrev_b32_e32 v13, v17, v13
	v_sub_u32_e32 v16, 29, v16
	v_and_b32_e32 v13, 7, v13
	v_cmp_eq_u16_e32 vcc, 0, v15
	v_cndmask_b32_e32 v13, v14, v13, vcc
	v_cndmask_b32_e32 v14, v15, v16, vcc
	v_lshlrev_b32_e32 v15, 16, v2
	v_mov_b32_e32 v16, 0x3b800000
	v_lshlrev_b32_e32 v13, 20, v13
	v_and_b32_e32 v15, 0x80000000, v15
	v_lshl_add_u32 v14, v14, 23, v16
	v_or3_b32 v14, v15, v14, v13
.LBB1_1552:
	s_or_b64 exec, exec, s[6:7]
	s_nop 0
	v_mfma_f32_16x16x4f32 a[0:3], v12, v14, a[0:3]
	s_movk_i32 s4, 0xff
	v_and_b32_sdwa v13, v6, s4 dst_sel:DWORD dst_unused:UNUSED_PAD src0_sel:WORD_1 src1_sel:DWORD
	s_movk_i32 s4, 0x7f
	v_cmp_lt_i16_e32 vcc, s4, v13
	s_mov_b64 s[4:5], 0
                                        ; implicit-def: $sgpr10
	s_and_saveexec_b64 s[6:7], vcc
	s_xor_b64 s[6:7], exec, s[6:7]
	s_cbranch_execnz .LBB1_3601
; %bb.1553:
	s_or_saveexec_b64 s[6:7], s[6:7]
	v_mov_b32_e32 v12, s10
	s_xor_b64 exec, exec, s[6:7]
	s_cbranch_execnz .LBB1_3604
.LBB1_1554:
	s_or_b64 exec, exec, s[6:7]
	s_and_saveexec_b64 s[6:7], s[4:5]
	s_cbranch_execz .LBB1_1556
.LBB1_1555:
	v_bfe_u32 v12, v6, 16, 3
	v_ffbh_u32_e32 v15, v12
	v_min_u32_e32 v15, 32, v15
	v_lshrrev_b32_e32 v13, 19, v6
	v_subrev_u32_e32 v16, 28, v15
	v_and_b32_e32 v13, 15, v13
	v_lshlrev_b32_sdwa v16, v16, v6 dst_sel:DWORD dst_unused:UNUSED_PAD src0_sel:DWORD src1_sel:WORD_1
	v_bfe_u32 v14, v6, 19, 4
	v_sub_u32_e32 v15, 29, v15
	v_and_b32_e32 v16, 7, v16
	v_cmp_eq_u16_e32 vcc, 0, v13
	v_cndmask_b32_e32 v12, v12, v16, vcc
	v_cndmask_b32_e32 v13, v14, v15, vcc
	v_lshlrev_b32_e32 v14, 8, v6
	v_mov_b32_e32 v15, 0x3b800000
	v_lshlrev_b32_e32 v12, 20, v12
	v_and_b32_e32 v14, 0x80000000, v14
	v_lshl_add_u32 v13, v13, 23, v15
	v_or3_b32 v12, v14, v13, v12
.LBB1_1556:
	s_or_b64 exec, exec, s[6:7]
	s_movk_i32 s4, 0xff
	v_and_b32_sdwa v13, v2, s4 dst_sel:DWORD dst_unused:UNUSED_PAD src0_sel:WORD_1 src1_sel:DWORD
	s_movk_i32 s4, 0x7f
	v_cmp_lt_i16_e32 vcc, s4, v13
	s_mov_b64 s[4:5], 0
                                        ; implicit-def: $sgpr10
	s_and_saveexec_b64 s[6:7], vcc
	s_xor_b64 s[6:7], exec, s[6:7]
	s_cbranch_execnz .LBB1_3605
; %bb.1557:
	s_or_saveexec_b64 s[6:7], s[6:7]
	v_mov_b32_e32 v14, s10
	s_xor_b64 exec, exec, s[6:7]
	s_cbranch_execnz .LBB1_3608
.LBB1_1558:
	s_or_b64 exec, exec, s[6:7]
	s_and_saveexec_b64 s[6:7], s[4:5]
	s_cbranch_execz .LBB1_1560
.LBB1_1559:
	v_bfe_u32 v13, v2, 16, 3
	v_ffbh_u32_e32 v16, v13
	v_min_u32_e32 v16, 32, v16
	v_lshrrev_b32_e32 v14, 19, v2
	v_subrev_u32_e32 v17, 28, v16
	v_and_b32_e32 v14, 15, v14
	v_lshlrev_b32_sdwa v17, v17, v2 dst_sel:DWORD dst_unused:UNUSED_PAD src0_sel:DWORD src1_sel:WORD_1
	v_bfe_u32 v15, v2, 19, 4
	v_sub_u32_e32 v16, 29, v16
	v_and_b32_e32 v17, 7, v17
	v_cmp_eq_u16_e32 vcc, 0, v14
	v_cndmask_b32_e32 v13, v13, v17, vcc
	v_cndmask_b32_e32 v14, v15, v16, vcc
	v_lshlrev_b32_e32 v15, 8, v2
	v_mov_b32_e32 v16, 0x3b800000
	v_lshlrev_b32_e32 v13, 20, v13
	v_and_b32_e32 v15, 0x80000000, v15
	v_lshl_add_u32 v14, v14, 23, v16
	v_or3_b32 v14, v15, v14, v13
.LBB1_1560:
	s_or_b64 exec, exec, s[6:7]
	s_nop 0
	v_mfma_f32_16x16x4f32 a[0:3], v12, v14, a[0:3]
	s_movk_i32 s4, 0x7f
	v_cmp_gt_i16_sdwa s[6:7], v6, s4 src0_sel:BYTE_3 src1_sel:DWORD
	s_mov_b64 s[4:5], 0
                                        ; implicit-def: $sgpr10
	s_and_saveexec_b64 s[8:9], s[6:7]
	s_xor_b64 s[6:7], exec, s[8:9]
	s_cbranch_execnz .LBB1_3609
; %bb.1561:
	s_or_saveexec_b64 s[6:7], s[6:7]
	v_mov_b32_e32 v12, s10
	s_xor_b64 exec, exec, s[6:7]
	s_cbranch_execnz .LBB1_3612
.LBB1_1562:
	s_or_b64 exec, exec, s[6:7]
	s_and_saveexec_b64 s[6:7], s[4:5]
	s_cbranch_execz .LBB1_1564
.LBB1_1563:
	v_bfe_u32 v12, v6, 24, 3
	v_ffbh_u32_e32 v16, v12
	v_min_u32_e32 v16, 32, v16
	v_lshrrev_b32_e32 v14, 27, v6
	v_subrev_u32_e32 v17, 28, v16
	v_and_b32_e32 v13, 0x80000000, v6
	v_and_b32_e32 v14, 15, v14
	v_bfe_u32 v15, v6, 27, 4
	v_lshlrev_b32_sdwa v6, v17, v6 dst_sel:DWORD dst_unused:UNUSED_PAD src0_sel:DWORD src1_sel:BYTE_3
	v_sub_u32_e32 v16, 29, v16
	v_and_b32_e32 v6, 7, v6
	v_cmp_eq_u16_e32 vcc, 0, v14
	v_cndmask_b32_e32 v6, v12, v6, vcc
	v_cndmask_b32_e32 v12, v15, v16, vcc
	v_mov_b32_e32 v14, 0x3b800000
	v_lshlrev_b32_e32 v6, 20, v6
	v_lshl_add_u32 v12, v12, 23, v14
	v_or3_b32 v12, v13, v12, v6
.LBB1_1564:
	s_or_b64 exec, exec, s[6:7]
	s_movk_i32 s4, 0x7f
	v_cmp_gt_i16_sdwa s[6:7], v2, s4 src0_sel:BYTE_3 src1_sel:DWORD
	s_mov_b64 s[4:5], 0
                                        ; implicit-def: $sgpr10
	s_and_saveexec_b64 s[8:9], s[6:7]
	s_xor_b64 s[6:7], exec, s[8:9]
	s_cbranch_execnz .LBB1_3613
; %bb.1565:
	s_or_saveexec_b64 s[6:7], s[6:7]
	v_mov_b32_e32 v6, s10
	s_xor_b64 exec, exec, s[6:7]
	s_cbranch_execnz .LBB1_3616
.LBB1_1566:
	s_or_b64 exec, exec, s[6:7]
	s_and_saveexec_b64 s[6:7], s[4:5]
	s_cbranch_execz .LBB1_1568
.LBB1_1567:
	v_bfe_u32 v6, v2, 24, 3
	v_ffbh_u32_e32 v16, v6
	v_min_u32_e32 v16, 32, v16
	v_lshrrev_b32_e32 v14, 27, v2
	v_subrev_u32_e32 v17, 28, v16
	v_and_b32_e32 v13, 0x80000000, v2
	v_and_b32_e32 v14, 15, v14
	v_bfe_u32 v15, v2, 27, 4
	v_lshlrev_b32_sdwa v2, v17, v2 dst_sel:DWORD dst_unused:UNUSED_PAD src0_sel:DWORD src1_sel:BYTE_3
	v_sub_u32_e32 v16, 29, v16
	v_and_b32_e32 v2, 7, v2
	v_cmp_eq_u16_e32 vcc, 0, v14
	v_cndmask_b32_e32 v2, v6, v2, vcc
	v_cndmask_b32_e32 v6, v15, v16, vcc
	v_mov_b32_e32 v14, 0x3b800000
	v_lshlrev_b32_e32 v2, 20, v2
	v_lshl_add_u32 v6, v6, 23, v14
	v_or3_b32 v6, v13, v6, v2
.LBB1_1568:
	s_or_b64 exec, exec, s[6:7]
	s_nop 0
	v_mfma_f32_16x16x4f32 a[0:3], v12, v6, a[0:3]
	s_movk_i32 s4, 0x7f
	v_cmp_gt_i16_sdwa s[6:7], v7, s4 src0_sel:BYTE_0 src1_sel:DWORD
	s_mov_b64 s[4:5], 0
                                        ; implicit-def: $sgpr10
	s_and_saveexec_b64 s[8:9], s[6:7]
	s_xor_b64 s[6:7], exec, s[8:9]
	s_cbranch_execnz .LBB1_3617
; %bb.1569:
	s_or_saveexec_b64 s[6:7], s[6:7]
	v_mov_b32_e32 v2, s10
	s_xor_b64 exec, exec, s[6:7]
	s_cbranch_execnz .LBB1_3620
.LBB1_1570:
	s_or_b64 exec, exec, s[6:7]
	s_and_saveexec_b64 s[6:7], s[4:5]
	s_cbranch_execz .LBB1_1572
.LBB1_1571:
	v_and_b32_e32 v2, 7, v7
	v_ffbh_u32_e32 v12, v2
	v_min_u32_e32 v12, 32, v12
	v_lshrrev_b16_e32 v6, 3, v7
	v_subrev_u32_e32 v13, 28, v12
	v_and_b32_e32 v6, 15, v6
	v_lshlrev_b32_e32 v13, v13, v7
	v_sub_u32_e32 v12, 29, v12
	v_and_b32_e32 v13, 7, v13
	v_cmp_eq_u16_e32 vcc, 0, v6
	v_cndmask_b32_e32 v2, v2, v13, vcc
	v_cndmask_b32_e32 v6, v6, v12, vcc
	v_lshlrev_b32_e32 v12, 24, v7
	v_mov_b32_e32 v13, 0x3b800000
	v_lshlrev_b32_e32 v2, 20, v2
	v_and_b32_e32 v12, 0x80000000, v12
	v_lshl_add_u32 v6, v6, 23, v13
	v_or3_b32 v2, v12, v6, v2
.LBB1_1572:
	s_or_b64 exec, exec, s[6:7]
	s_movk_i32 s4, 0x7f
	v_cmp_gt_i16_sdwa s[6:7], v3, s4 src0_sel:BYTE_0 src1_sel:DWORD
	s_mov_b64 s[4:5], 0
                                        ; implicit-def: $sgpr10
	s_and_saveexec_b64 s[8:9], s[6:7]
	s_xor_b64 s[6:7], exec, s[8:9]
	s_cbranch_execnz .LBB1_3621
; %bb.1573:
	s_or_saveexec_b64 s[6:7], s[6:7]
	v_mov_b32_e32 v6, s10
	s_xor_b64 exec, exec, s[6:7]
	s_cbranch_execnz .LBB1_3624
.LBB1_1574:
	s_or_b64 exec, exec, s[6:7]
	s_and_saveexec_b64 s[6:7], s[4:5]
	s_cbranch_execz .LBB1_1576
.LBB1_1575:
	v_and_b32_e32 v6, 7, v3
	v_ffbh_u32_e32 v13, v6
	v_min_u32_e32 v13, 32, v13
	v_lshrrev_b16_e32 v12, 3, v3
	v_subrev_u32_e32 v14, 28, v13
	v_and_b32_e32 v12, 15, v12
	v_lshlrev_b32_e32 v14, v14, v3
	v_sub_u32_e32 v13, 29, v13
	v_and_b32_e32 v14, 7, v14
	v_cmp_eq_u16_e32 vcc, 0, v12
	v_cndmask_b32_e32 v6, v6, v14, vcc
	v_cndmask_b32_e32 v12, v12, v13, vcc
	v_lshlrev_b32_e32 v13, 24, v3
	v_mov_b32_e32 v14, 0x3b800000
	v_lshlrev_b32_e32 v6, 20, v6
	v_and_b32_e32 v13, 0x80000000, v13
	v_lshl_add_u32 v12, v12, 23, v14
	v_or3_b32 v6, v13, v12, v6
.LBB1_1576:
	s_or_b64 exec, exec, s[6:7]
	s_nop 0
	v_mfma_f32_16x16x4f32 a[0:3], v2, v6, a[0:3]
	v_lshrrev_b32_e32 v6, 8, v7
	s_movk_i32 s4, 0x7f
	v_cmp_gt_i16_sdwa s[6:7], v6, s4 src0_sel:BYTE_0 src1_sel:DWORD
	s_mov_b64 s[4:5], 0
                                        ; implicit-def: $sgpr10
	s_and_saveexec_b64 s[8:9], s[6:7]
	s_xor_b64 s[6:7], exec, s[8:9]
	s_cbranch_execnz .LBB1_3625
; %bb.1577:
	s_or_saveexec_b64 s[6:7], s[6:7]
	v_mov_b32_e32 v2, s10
	s_xor_b64 exec, exec, s[6:7]
	s_cbranch_execnz .LBB1_3628
.LBB1_1578:
	s_or_b64 exec, exec, s[6:7]
	s_and_saveexec_b64 s[6:7], s[4:5]
	s_cbranch_execz .LBB1_1580
.LBB1_1579:
	v_bfe_u32 v2, v7, 8, 3
	v_ffbh_u32_e32 v13, v2
	v_min_u32_e32 v13, 32, v13
	v_lshrrev_b16_e32 v12, 3, v6
	v_subrev_u32_e32 v14, 28, v13
	v_and_b32_e32 v12, 15, v12
	v_lshlrev_b32_e32 v6, v14, v6
	v_sub_u32_e32 v13, 29, v13
	v_and_b32_e32 v6, 7, v6
	v_cmp_eq_u16_e32 vcc, 0, v12
	v_cndmask_b32_e32 v2, v2, v6, vcc
	v_cndmask_b32_e32 v6, v12, v13, vcc
	v_lshlrev_b32_e32 v12, 16, v7
	v_mov_b32_e32 v13, 0x3b800000
	v_lshlrev_b32_e32 v2, 20, v2
	v_and_b32_e32 v12, 0x80000000, v12
	v_lshl_add_u32 v6, v6, 23, v13
	v_or3_b32 v2, v12, v6, v2
.LBB1_1580:
	s_or_b64 exec, exec, s[6:7]
	v_lshrrev_b32_e32 v6, 8, v3
	s_movk_i32 s4, 0x7f
	v_cmp_gt_i16_sdwa s[6:7], v6, s4 src0_sel:BYTE_0 src1_sel:DWORD
	s_mov_b64 s[4:5], 0
                                        ; implicit-def: $sgpr10
	s_and_saveexec_b64 s[8:9], s[6:7]
	s_xor_b64 s[6:7], exec, s[8:9]
	s_cbranch_execnz .LBB1_3629
; %bb.1581:
	s_or_saveexec_b64 s[6:7], s[6:7]
	v_mov_b32_e32 v12, s10
	s_xor_b64 exec, exec, s[6:7]
	s_cbranch_execnz .LBB1_3632
.LBB1_1582:
	s_or_b64 exec, exec, s[6:7]
	s_and_saveexec_b64 s[6:7], s[4:5]
	s_cbranch_execz .LBB1_1584
.LBB1_1583:
	v_bfe_u32 v12, v3, 8, 3
	v_ffbh_u32_e32 v14, v12
	v_min_u32_e32 v14, 32, v14
	v_lshrrev_b16_e32 v13, 3, v6
	v_subrev_u32_e32 v15, 28, v14
	v_and_b32_e32 v13, 15, v13
	v_lshlrev_b32_e32 v6, v15, v6
	v_sub_u32_e32 v14, 29, v14
	v_and_b32_e32 v6, 7, v6
	v_cmp_eq_u16_e32 vcc, 0, v13
	v_cndmask_b32_e32 v6, v12, v6, vcc
	v_cndmask_b32_e32 v12, v13, v14, vcc
	v_lshlrev_b32_e32 v13, 16, v3
	v_mov_b32_e32 v14, 0x3b800000
	v_lshlrev_b32_e32 v6, 20, v6
	v_and_b32_e32 v13, 0x80000000, v13
	v_lshl_add_u32 v12, v12, 23, v14
	v_or3_b32 v12, v13, v12, v6
.LBB1_1584:
	s_or_b64 exec, exec, s[6:7]
	s_nop 0
	v_mfma_f32_16x16x4f32 a[0:3], v2, v12, a[0:3]
	s_movk_i32 s4, 0xff
	v_and_b32_sdwa v6, v7, s4 dst_sel:DWORD dst_unused:UNUSED_PAD src0_sel:WORD_1 src1_sel:DWORD
	s_movk_i32 s4, 0x7f
	v_cmp_lt_i16_e32 vcc, s4, v6
	s_mov_b64 s[4:5], 0
                                        ; implicit-def: $sgpr10
	s_and_saveexec_b64 s[6:7], vcc
	s_xor_b64 s[6:7], exec, s[6:7]
	s_cbranch_execnz .LBB1_3633
; %bb.1585:
	s_or_saveexec_b64 s[6:7], s[6:7]
	v_mov_b32_e32 v2, s10
	s_xor_b64 exec, exec, s[6:7]
	s_cbranch_execnz .LBB1_3636
.LBB1_1586:
	s_or_b64 exec, exec, s[6:7]
	s_and_saveexec_b64 s[6:7], s[4:5]
	s_cbranch_execz .LBB1_1588
.LBB1_1587:
	v_bfe_u32 v2, v7, 16, 3
	v_ffbh_u32_e32 v13, v2
	v_min_u32_e32 v13, 32, v13
	v_lshrrev_b32_e32 v6, 19, v7
	v_subrev_u32_e32 v14, 28, v13
	v_and_b32_e32 v6, 15, v6
	v_lshlrev_b32_sdwa v14, v14, v7 dst_sel:DWORD dst_unused:UNUSED_PAD src0_sel:DWORD src1_sel:WORD_1
	v_bfe_u32 v12, v7, 19, 4
	v_sub_u32_e32 v13, 29, v13
	v_and_b32_e32 v14, 7, v14
	v_cmp_eq_u16_e32 vcc, 0, v6
	v_cndmask_b32_e32 v2, v2, v14, vcc
	v_cndmask_b32_e32 v6, v12, v13, vcc
	v_lshlrev_b32_e32 v12, 8, v7
	v_mov_b32_e32 v13, 0x3b800000
	v_lshlrev_b32_e32 v2, 20, v2
	v_and_b32_e32 v12, 0x80000000, v12
	v_lshl_add_u32 v6, v6, 23, v13
	v_or3_b32 v2, v12, v6, v2
.LBB1_1588:
	s_or_b64 exec, exec, s[6:7]
	s_movk_i32 s4, 0xff
	v_and_b32_sdwa v6, v3, s4 dst_sel:DWORD dst_unused:UNUSED_PAD src0_sel:WORD_1 src1_sel:DWORD
	s_movk_i32 s4, 0x7f
	v_cmp_lt_i16_e32 vcc, s4, v6
	s_mov_b64 s[4:5], 0
                                        ; implicit-def: $sgpr10
	s_and_saveexec_b64 s[6:7], vcc
	s_xor_b64 s[6:7], exec, s[6:7]
	s_cbranch_execnz .LBB1_3637
; %bb.1589:
	s_or_saveexec_b64 s[6:7], s[6:7]
	v_mov_b32_e32 v12, s10
	s_xor_b64 exec, exec, s[6:7]
	s_cbranch_execnz .LBB1_3640
.LBB1_1590:
	s_or_b64 exec, exec, s[6:7]
	s_and_saveexec_b64 s[6:7], s[4:5]
	s_cbranch_execz .LBB1_1592
.LBB1_1591:
	v_bfe_u32 v6, v3, 16, 3
	v_ffbh_u32_e32 v14, v6
	v_min_u32_e32 v14, 32, v14
	v_lshrrev_b32_e32 v12, 19, v3
	v_subrev_u32_e32 v15, 28, v14
	v_and_b32_e32 v12, 15, v12
	v_lshlrev_b32_sdwa v15, v15, v3 dst_sel:DWORD dst_unused:UNUSED_PAD src0_sel:DWORD src1_sel:WORD_1
	v_bfe_u32 v13, v3, 19, 4
	v_sub_u32_e32 v14, 29, v14
	v_and_b32_e32 v15, 7, v15
	v_cmp_eq_u16_e32 vcc, 0, v12
	v_cndmask_b32_e32 v6, v6, v15, vcc
	v_cndmask_b32_e32 v12, v13, v14, vcc
	v_lshlrev_b32_e32 v13, 8, v3
	v_mov_b32_e32 v14, 0x3b800000
	v_lshlrev_b32_e32 v6, 20, v6
	v_and_b32_e32 v13, 0x80000000, v13
	v_lshl_add_u32 v12, v12, 23, v14
	v_or3_b32 v12, v13, v12, v6
.LBB1_1592:
	s_or_b64 exec, exec, s[6:7]
	s_nop 0
	v_mfma_f32_16x16x4f32 a[0:3], v2, v12, a[0:3]
	s_movk_i32 s4, 0x7f
	v_cmp_gt_i16_sdwa s[6:7], v7, s4 src0_sel:BYTE_3 src1_sel:DWORD
	s_mov_b64 s[4:5], 0
                                        ; implicit-def: $sgpr10
	s_and_saveexec_b64 s[8:9], s[6:7]
	s_xor_b64 s[6:7], exec, s[8:9]
	s_cbranch_execnz .LBB1_3641
; %bb.1593:
	s_or_saveexec_b64 s[6:7], s[6:7]
	v_mov_b32_e32 v2, s10
	s_xor_b64 exec, exec, s[6:7]
	s_cbranch_execnz .LBB1_3644
.LBB1_1594:
	s_or_b64 exec, exec, s[6:7]
	s_and_saveexec_b64 s[6:7], s[4:5]
	s_cbranch_execz .LBB1_1596
.LBB1_1595:
	v_bfe_u32 v2, v7, 24, 3
	v_ffbh_u32_e32 v14, v2
	v_min_u32_e32 v14, 32, v14
	v_lshrrev_b32_e32 v12, 27, v7
	v_subrev_u32_e32 v15, 28, v14
	v_and_b32_e32 v6, 0x80000000, v7
	v_and_b32_e32 v12, 15, v12
	v_bfe_u32 v13, v7, 27, 4
	v_lshlrev_b32_sdwa v7, v15, v7 dst_sel:DWORD dst_unused:UNUSED_PAD src0_sel:DWORD src1_sel:BYTE_3
	v_sub_u32_e32 v14, 29, v14
	v_and_b32_e32 v7, 7, v7
	v_cmp_eq_u16_e32 vcc, 0, v12
	v_cndmask_b32_e32 v2, v2, v7, vcc
	v_cndmask_b32_e32 v7, v13, v14, vcc
	v_mov_b32_e32 v12, 0x3b800000
	v_lshlrev_b32_e32 v2, 20, v2
	v_lshl_add_u32 v7, v7, 23, v12
	v_or3_b32 v2, v6, v7, v2
.LBB1_1596:
	s_or_b64 exec, exec, s[6:7]
	s_movk_i32 s4, 0x7f
	v_cmp_gt_i16_sdwa s[6:7], v3, s4 src0_sel:BYTE_3 src1_sel:DWORD
	s_mov_b64 s[4:5], 0
                                        ; implicit-def: $sgpr10
	s_and_saveexec_b64 s[8:9], s[6:7]
	s_xor_b64 s[6:7], exec, s[8:9]
	s_cbranch_execnz .LBB1_3645
; %bb.1597:
	s_or_saveexec_b64 s[6:7], s[6:7]
	v_mov_b32_e32 v6, s10
	s_xor_b64 exec, exec, s[6:7]
	s_cbranch_execnz .LBB1_3648
.LBB1_1598:
	s_or_b64 exec, exec, s[6:7]
	s_and_saveexec_b64 s[6:7], s[4:5]
	s_cbranch_execz .LBB1_1600
.LBB1_1599:
	v_bfe_u32 v6, v3, 24, 3
	v_ffbh_u32_e32 v14, v6
	v_min_u32_e32 v14, 32, v14
	v_lshrrev_b32_e32 v12, 27, v3
	v_subrev_u32_e32 v15, 28, v14
	v_and_b32_e32 v7, 0x80000000, v3
	v_and_b32_e32 v12, 15, v12
	v_bfe_u32 v13, v3, 27, 4
	v_lshlrev_b32_sdwa v3, v15, v3 dst_sel:DWORD dst_unused:UNUSED_PAD src0_sel:DWORD src1_sel:BYTE_3
	v_sub_u32_e32 v14, 29, v14
	v_and_b32_e32 v3, 7, v3
	v_cmp_eq_u16_e32 vcc, 0, v12
	v_cndmask_b32_e32 v3, v6, v3, vcc
	v_cndmask_b32_e32 v6, v13, v14, vcc
	v_mov_b32_e32 v12, 0x3b800000
	v_lshlrev_b32_e32 v3, 20, v3
	v_lshl_add_u32 v6, v6, 23, v12
	v_or3_b32 v6, v7, v6, v3
.LBB1_1600:
	s_or_b64 exec, exec, s[6:7]
	s_nop 0
	v_mfma_f32_16x16x4f32 a[0:3], v2, v6, a[0:3]
	s_movk_i32 s4, 0x7f
	v_cmp_gt_i16_sdwa s[6:7], v8, s4 src0_sel:BYTE_0 src1_sel:DWORD
	s_mov_b64 s[4:5], 0
                                        ; implicit-def: $sgpr10
	s_and_saveexec_b64 s[8:9], s[6:7]
	s_xor_b64 s[6:7], exec, s[8:9]
	s_cbranch_execnz .LBB1_3649
; %bb.1601:
	s_or_saveexec_b64 s[6:7], s[6:7]
	v_mov_b32_e32 v2, s10
	s_xor_b64 exec, exec, s[6:7]
	s_cbranch_execnz .LBB1_3652
.LBB1_1602:
	s_or_b64 exec, exec, s[6:7]
	s_and_saveexec_b64 s[6:7], s[4:5]
	s_cbranch_execz .LBB1_1604
.LBB1_1603:
	v_and_b32_e32 v2, 7, v8
	v_ffbh_u32_e32 v6, v2
	v_min_u32_e32 v6, 32, v6
	v_lshrrev_b16_e32 v3, 3, v8
	v_subrev_u32_e32 v7, 28, v6
	v_and_b32_e32 v3, 15, v3
	v_lshlrev_b32_e32 v7, v7, v8
	v_sub_u32_e32 v6, 29, v6
	v_and_b32_e32 v7, 7, v7
	v_cmp_eq_u16_e32 vcc, 0, v3
	v_cndmask_b32_e32 v2, v2, v7, vcc
	v_cndmask_b32_e32 v3, v3, v6, vcc
	v_lshlrev_b32_e32 v6, 24, v8
	v_mov_b32_e32 v7, 0x3b800000
	v_lshlrev_b32_e32 v2, 20, v2
	v_and_b32_e32 v6, 0x80000000, v6
	v_lshl_add_u32 v3, v3, 23, v7
	v_or3_b32 v2, v6, v3, v2
.LBB1_1604:
	s_or_b64 exec, exec, s[6:7]
	s_movk_i32 s4, 0x7f
	v_cmp_gt_i16_sdwa s[6:7], v4, s4 src0_sel:BYTE_0 src1_sel:DWORD
	s_mov_b64 s[4:5], 0
                                        ; implicit-def: $sgpr10
	s_and_saveexec_b64 s[8:9], s[6:7]
	s_xor_b64 s[6:7], exec, s[8:9]
	s_cbranch_execnz .LBB1_3653
; %bb.1605:
	s_or_saveexec_b64 s[6:7], s[6:7]
	v_mov_b32_e32 v3, s10
	s_xor_b64 exec, exec, s[6:7]
	s_cbranch_execnz .LBB1_3656
.LBB1_1606:
	s_or_b64 exec, exec, s[6:7]
	s_and_saveexec_b64 s[6:7], s[4:5]
	s_cbranch_execz .LBB1_1608
.LBB1_1607:
	v_and_b32_e32 v3, 7, v4
	v_ffbh_u32_e32 v7, v3
	v_min_u32_e32 v7, 32, v7
	v_lshrrev_b16_e32 v6, 3, v4
	v_subrev_u32_e32 v12, 28, v7
	v_and_b32_e32 v6, 15, v6
	v_lshlrev_b32_e32 v12, v12, v4
	v_sub_u32_e32 v7, 29, v7
	v_and_b32_e32 v12, 7, v12
	v_cmp_eq_u16_e32 vcc, 0, v6
	v_cndmask_b32_e32 v3, v3, v12, vcc
	v_cndmask_b32_e32 v6, v6, v7, vcc
	v_lshlrev_b32_e32 v7, 24, v4
	v_mov_b32_e32 v12, 0x3b800000
	v_lshlrev_b32_e32 v3, 20, v3
	v_and_b32_e32 v7, 0x80000000, v7
	v_lshl_add_u32 v6, v6, 23, v12
	v_or3_b32 v3, v7, v6, v3
.LBB1_1608:
	s_or_b64 exec, exec, s[6:7]
	s_nop 0
	v_mfma_f32_16x16x4f32 a[0:3], v2, v3, a[0:3]
	v_lshrrev_b32_e32 v3, 8, v8
	s_movk_i32 s4, 0x7f
	v_cmp_gt_i16_sdwa s[6:7], v3, s4 src0_sel:BYTE_0 src1_sel:DWORD
	s_mov_b64 s[4:5], 0
                                        ; implicit-def: $sgpr10
	s_and_saveexec_b64 s[8:9], s[6:7]
	s_xor_b64 s[6:7], exec, s[8:9]
	s_cbranch_execnz .LBB1_3657
; %bb.1609:
	s_or_saveexec_b64 s[6:7], s[6:7]
	v_mov_b32_e32 v2, s10
	s_xor_b64 exec, exec, s[6:7]
	s_cbranch_execnz .LBB1_3660
.LBB1_1610:
	s_or_b64 exec, exec, s[6:7]
	s_and_saveexec_b64 s[6:7], s[4:5]
	s_cbranch_execz .LBB1_1612
.LBB1_1611:
	v_bfe_u32 v2, v8, 8, 3
	v_ffbh_u32_e32 v7, v2
	v_min_u32_e32 v7, 32, v7
	v_lshrrev_b16_e32 v6, 3, v3
	v_subrev_u32_e32 v12, 28, v7
	v_and_b32_e32 v6, 15, v6
	v_lshlrev_b32_e32 v3, v12, v3
	v_sub_u32_e32 v7, 29, v7
	v_and_b32_e32 v3, 7, v3
	v_cmp_eq_u16_e32 vcc, 0, v6
	v_cndmask_b32_e32 v2, v2, v3, vcc
	v_cndmask_b32_e32 v3, v6, v7, vcc
	v_lshlrev_b32_e32 v6, 16, v8
	v_mov_b32_e32 v7, 0x3b800000
	v_lshlrev_b32_e32 v2, 20, v2
	v_and_b32_e32 v6, 0x80000000, v6
	v_lshl_add_u32 v3, v3, 23, v7
	v_or3_b32 v2, v6, v3, v2
.LBB1_1612:
	s_or_b64 exec, exec, s[6:7]
	v_lshrrev_b32_e32 v3, 8, v4
	s_movk_i32 s4, 0x7f
	v_cmp_gt_i16_sdwa s[6:7], v3, s4 src0_sel:BYTE_0 src1_sel:DWORD
	s_mov_b64 s[4:5], 0
                                        ; implicit-def: $sgpr10
	s_and_saveexec_b64 s[8:9], s[6:7]
	s_xor_b64 s[6:7], exec, s[8:9]
	s_cbranch_execnz .LBB1_3661
; %bb.1613:
	s_or_saveexec_b64 s[6:7], s[6:7]
	v_mov_b32_e32 v6, s10
	s_xor_b64 exec, exec, s[6:7]
	s_cbranch_execnz .LBB1_3664
.LBB1_1614:
	s_or_b64 exec, exec, s[6:7]
	s_and_saveexec_b64 s[6:7], s[4:5]
	s_cbranch_execz .LBB1_1616
.LBB1_1615:
	v_bfe_u32 v6, v4, 8, 3
	v_ffbh_u32_e32 v12, v6
	v_min_u32_e32 v12, 32, v12
	v_lshrrev_b16_e32 v7, 3, v3
	v_subrev_u32_e32 v13, 28, v12
	v_and_b32_e32 v7, 15, v7
	v_lshlrev_b32_e32 v3, v13, v3
	v_sub_u32_e32 v12, 29, v12
	v_and_b32_e32 v3, 7, v3
	v_cmp_eq_u16_e32 vcc, 0, v7
	v_cndmask_b32_e32 v3, v6, v3, vcc
	v_cndmask_b32_e32 v6, v7, v12, vcc
	v_lshlrev_b32_e32 v7, 16, v4
	v_mov_b32_e32 v12, 0x3b800000
	v_lshlrev_b32_e32 v3, 20, v3
	v_and_b32_e32 v7, 0x80000000, v7
	v_lshl_add_u32 v6, v6, 23, v12
	v_or3_b32 v6, v7, v6, v3
.LBB1_1616:
	s_or_b64 exec, exec, s[6:7]
	s_nop 0
	v_mfma_f32_16x16x4f32 a[0:3], v2, v6, a[0:3]
	s_movk_i32 s4, 0xff
	v_and_b32_sdwa v3, v8, s4 dst_sel:DWORD dst_unused:UNUSED_PAD src0_sel:WORD_1 src1_sel:DWORD
	s_movk_i32 s4, 0x7f
	v_cmp_lt_i16_e32 vcc, s4, v3
	s_mov_b64 s[4:5], 0
                                        ; implicit-def: $sgpr10
	s_and_saveexec_b64 s[6:7], vcc
	s_xor_b64 s[6:7], exec, s[6:7]
	s_cbranch_execnz .LBB1_3665
; %bb.1617:
	s_or_saveexec_b64 s[6:7], s[6:7]
	v_mov_b32_e32 v2, s10
	s_xor_b64 exec, exec, s[6:7]
	s_cbranch_execnz .LBB1_3668
.LBB1_1618:
	s_or_b64 exec, exec, s[6:7]
	s_and_saveexec_b64 s[6:7], s[4:5]
	s_cbranch_execz .LBB1_1620
.LBB1_1619:
	v_bfe_u32 v2, v8, 16, 3
	v_ffbh_u32_e32 v7, v2
	v_min_u32_e32 v7, 32, v7
	v_lshrrev_b32_e32 v3, 19, v8
	v_subrev_u32_e32 v12, 28, v7
	v_and_b32_e32 v3, 15, v3
	v_lshlrev_b32_sdwa v12, v12, v8 dst_sel:DWORD dst_unused:UNUSED_PAD src0_sel:DWORD src1_sel:WORD_1
	v_bfe_u32 v6, v8, 19, 4
	v_sub_u32_e32 v7, 29, v7
	v_and_b32_e32 v12, 7, v12
	v_cmp_eq_u16_e32 vcc, 0, v3
	v_cndmask_b32_e32 v2, v2, v12, vcc
	v_cndmask_b32_e32 v3, v6, v7, vcc
	v_lshlrev_b32_e32 v6, 8, v8
	v_mov_b32_e32 v7, 0x3b800000
	v_lshlrev_b32_e32 v2, 20, v2
	v_and_b32_e32 v6, 0x80000000, v6
	v_lshl_add_u32 v3, v3, 23, v7
	v_or3_b32 v2, v6, v3, v2
.LBB1_1620:
	s_or_b64 exec, exec, s[6:7]
	s_movk_i32 s4, 0xff
	v_and_b32_sdwa v3, v4, s4 dst_sel:DWORD dst_unused:UNUSED_PAD src0_sel:WORD_1 src1_sel:DWORD
	s_movk_i32 s4, 0x7f
	v_cmp_lt_i16_e32 vcc, s4, v3
	s_mov_b64 s[4:5], 0
                                        ; implicit-def: $sgpr10
	s_and_saveexec_b64 s[6:7], vcc
	s_xor_b64 s[6:7], exec, s[6:7]
	s_cbranch_execnz .LBB1_3669
; %bb.1621:
	s_or_saveexec_b64 s[6:7], s[6:7]
	v_mov_b32_e32 v6, s10
	s_xor_b64 exec, exec, s[6:7]
	s_cbranch_execnz .LBB1_3672
.LBB1_1622:
	s_or_b64 exec, exec, s[6:7]
	s_and_saveexec_b64 s[6:7], s[4:5]
	s_cbranch_execz .LBB1_1624
.LBB1_1623:
	v_bfe_u32 v3, v4, 16, 3
	v_ffbh_u32_e32 v12, v3
	v_min_u32_e32 v12, 32, v12
	v_lshrrev_b32_e32 v6, 19, v4
	v_subrev_u32_e32 v13, 28, v12
	v_and_b32_e32 v6, 15, v6
	v_lshlrev_b32_sdwa v13, v13, v4 dst_sel:DWORD dst_unused:UNUSED_PAD src0_sel:DWORD src1_sel:WORD_1
	v_bfe_u32 v7, v4, 19, 4
	v_sub_u32_e32 v12, 29, v12
	v_and_b32_e32 v13, 7, v13
	v_cmp_eq_u16_e32 vcc, 0, v6
	v_cndmask_b32_e32 v3, v3, v13, vcc
	v_cndmask_b32_e32 v6, v7, v12, vcc
	v_lshlrev_b32_e32 v7, 8, v4
	v_mov_b32_e32 v12, 0x3b800000
	v_lshlrev_b32_e32 v3, 20, v3
	v_and_b32_e32 v7, 0x80000000, v7
	v_lshl_add_u32 v6, v6, 23, v12
	v_or3_b32 v6, v7, v6, v3
.LBB1_1624:
	s_or_b64 exec, exec, s[6:7]
	s_nop 0
	v_mfma_f32_16x16x4f32 a[0:3], v2, v6, a[0:3]
	s_movk_i32 s4, 0x7f
	v_cmp_gt_i16_sdwa s[6:7], v8, s4 src0_sel:BYTE_3 src1_sel:DWORD
	s_mov_b64 s[4:5], 0
                                        ; implicit-def: $sgpr10
	s_and_saveexec_b64 s[8:9], s[6:7]
	s_xor_b64 s[6:7], exec, s[8:9]
	s_cbranch_execnz .LBB1_3673
; %bb.1625:
	s_or_saveexec_b64 s[6:7], s[6:7]
	v_mov_b32_e32 v2, s10
	s_xor_b64 exec, exec, s[6:7]
	s_cbranch_execnz .LBB1_3676
.LBB1_1626:
	s_or_b64 exec, exec, s[6:7]
	s_and_saveexec_b64 s[6:7], s[4:5]
	s_cbranch_execz .LBB1_1628
.LBB1_1627:
	v_bfe_u32 v2, v8, 24, 3
	v_ffbh_u32_e32 v12, v2
	v_min_u32_e32 v12, 32, v12
	v_lshrrev_b32_e32 v6, 27, v8
	v_subrev_u32_e32 v13, 28, v12
	v_and_b32_e32 v3, 0x80000000, v8
	v_and_b32_e32 v6, 15, v6
	v_bfe_u32 v7, v8, 27, 4
	v_lshlrev_b32_sdwa v8, v13, v8 dst_sel:DWORD dst_unused:UNUSED_PAD src0_sel:DWORD src1_sel:BYTE_3
	v_sub_u32_e32 v12, 29, v12
	v_and_b32_e32 v8, 7, v8
	v_cmp_eq_u16_e32 vcc, 0, v6
	v_cndmask_b32_e32 v2, v2, v8, vcc
	v_cndmask_b32_e32 v6, v7, v12, vcc
	v_mov_b32_e32 v7, 0x3b800000
	v_lshlrev_b32_e32 v2, 20, v2
	v_lshl_add_u32 v6, v6, 23, v7
	v_or3_b32 v2, v3, v6, v2
.LBB1_1628:
	s_or_b64 exec, exec, s[6:7]
	s_movk_i32 s4, 0x7f
	v_cmp_gt_i16_sdwa s[6:7], v4, s4 src0_sel:BYTE_3 src1_sel:DWORD
	s_mov_b64 s[4:5], 0
                                        ; implicit-def: $sgpr10
	s_and_saveexec_b64 s[8:9], s[6:7]
	s_xor_b64 s[6:7], exec, s[8:9]
	s_cbranch_execnz .LBB1_3677
; %bb.1629:
	s_or_saveexec_b64 s[6:7], s[6:7]
	v_mov_b32_e32 v3, s10
	s_xor_b64 exec, exec, s[6:7]
	s_cbranch_execnz .LBB1_3680
.LBB1_1630:
	s_or_b64 exec, exec, s[6:7]
	s_and_saveexec_b64 s[6:7], s[4:5]
	s_cbranch_execz .LBB1_1632
.LBB1_1631:
	v_bfe_u32 v3, v4, 24, 3
	v_ffbh_u32_e32 v12, v3
	v_min_u32_e32 v12, 32, v12
	v_lshrrev_b32_e32 v7, 27, v4
	v_subrev_u32_e32 v13, 28, v12
	v_and_b32_e32 v6, 0x80000000, v4
	v_and_b32_e32 v7, 15, v7
	v_bfe_u32 v8, v4, 27, 4
	v_lshlrev_b32_sdwa v4, v13, v4 dst_sel:DWORD dst_unused:UNUSED_PAD src0_sel:DWORD src1_sel:BYTE_3
	v_sub_u32_e32 v12, 29, v12
	v_and_b32_e32 v4, 7, v4
	v_cmp_eq_u16_e32 vcc, 0, v7
	v_cndmask_b32_e32 v3, v3, v4, vcc
	v_cndmask_b32_e32 v4, v8, v12, vcc
	v_mov_b32_e32 v7, 0x3b800000
	v_lshlrev_b32_e32 v3, 20, v3
	v_lshl_add_u32 v4, v4, 23, v7
	v_or3_b32 v3, v6, v4, v3
.LBB1_1632:
	s_or_b64 exec, exec, s[6:7]
	s_nop 0
	v_mfma_f32_16x16x4f32 a[0:3], v2, v3, a[0:3]
	s_movk_i32 s4, 0x7f
	v_cmp_gt_i16_sdwa s[6:7], v9, s4 src0_sel:BYTE_0 src1_sel:DWORD
	s_mov_b64 s[4:5], 0
                                        ; implicit-def: $sgpr10
	s_and_saveexec_b64 s[8:9], s[6:7]
	s_xor_b64 s[6:7], exec, s[8:9]
	s_cbranch_execnz .LBB1_3681
; %bb.1633:
	s_or_saveexec_b64 s[6:7], s[6:7]
	v_mov_b32_e32 v2, s10
	s_xor_b64 exec, exec, s[6:7]
	s_cbranch_execnz .LBB1_3684
.LBB1_1634:
	s_or_b64 exec, exec, s[6:7]
	s_and_saveexec_b64 s[6:7], s[4:5]
	s_cbranch_execz .LBB1_1636
.LBB1_1635:
	v_mov_b32_e32 v2, 8
	v_and_b32_e32 v3, 7, v9
	v_lshrrev_b32_sdwa v2, v2, v9 dst_sel:BYTE_1 dst_unused:UNUSED_PAD src0_sel:DWORD src1_sel:DWORD
	v_ffbh_u32_e32 v4, v3
	v_or_b32_sdwa v2, v9, v2 dst_sel:DWORD dst_unused:UNUSED_PAD src0_sel:BYTE_0 src1_sel:DWORD
	v_min_u32_e32 v4, 32, v4
	v_lshrrev_b16_e32 v2, 3, v2
	v_subrev_u32_e32 v6, 28, v4
	v_and_b32_e32 v2, 15, v2
	v_lshlrev_b32_e32 v6, v6, v9
	v_sub_u32_e32 v4, 29, v4
	v_and_b32_e32 v6, 7, v6
	v_cmp_eq_u16_e32 vcc, 0, v2
	v_cndmask_b32_e32 v3, v3, v6, vcc
	v_cndmask_b32_e32 v2, v2, v4, vcc
	v_lshlrev_b32_e32 v4, 24, v9
	v_mov_b32_e32 v6, 0x3b800000
	v_lshlrev_b32_e32 v3, 20, v3
	v_and_b32_e32 v4, 0x80000000, v4
	v_lshl_add_u32 v2, v2, 23, v6
	v_or3_b32 v2, v4, v2, v3
.LBB1_1636:
	s_or_b64 exec, exec, s[6:7]
	s_movk_i32 s4, 0x7f
	v_cmp_gt_i16_sdwa s[6:7], v5, s4 src0_sel:BYTE_0 src1_sel:DWORD
	s_mov_b64 s[4:5], 0
                                        ; implicit-def: $sgpr10
	s_and_saveexec_b64 s[8:9], s[6:7]
	s_xor_b64 s[6:7], exec, s[8:9]
	s_cbranch_execnz .LBB1_3685
; %bb.1637:
	s_or_saveexec_b64 s[6:7], s[6:7]
	v_mov_b32_e32 v3, s10
	s_xor_b64 exec, exec, s[6:7]
	s_cbranch_execnz .LBB1_3688
.LBB1_1638:
	s_or_b64 exec, exec, s[6:7]
	s_and_saveexec_b64 s[6:7], s[4:5]
	s_cbranch_execz .LBB1_1640
.LBB1_1639:
	v_mov_b32_e32 v3, 8
	v_and_b32_e32 v4, 7, v5
	v_lshrrev_b32_sdwa v3, v3, v5 dst_sel:BYTE_1 dst_unused:UNUSED_PAD src0_sel:DWORD src1_sel:DWORD
	v_ffbh_u32_e32 v6, v4
	v_or_b32_sdwa v3, v5, v3 dst_sel:DWORD dst_unused:UNUSED_PAD src0_sel:BYTE_0 src1_sel:DWORD
	v_min_u32_e32 v6, 32, v6
	v_lshrrev_b16_e32 v3, 3, v3
	v_subrev_u32_e32 v7, 28, v6
	v_and_b32_e32 v3, 15, v3
	v_lshlrev_b32_e32 v7, v7, v5
	v_sub_u32_e32 v6, 29, v6
	v_and_b32_e32 v7, 7, v7
	v_cmp_eq_u16_e32 vcc, 0, v3
	v_cndmask_b32_e32 v4, v4, v7, vcc
	v_cndmask_b32_e32 v3, v3, v6, vcc
	v_lshlrev_b32_e32 v6, 24, v5
	v_mov_b32_e32 v7, 0x3b800000
	v_lshlrev_b32_e32 v4, 20, v4
	v_and_b32_e32 v6, 0x80000000, v6
	v_lshl_add_u32 v3, v3, 23, v7
	v_or3_b32 v3, v6, v3, v4
.LBB1_1640:
	s_or_b64 exec, exec, s[6:7]
	s_nop 0
	v_mfma_f32_16x16x4f32 a[0:3], v2, v3, a[0:3]
	v_lshrrev_b32_e32 v3, 8, v9
	s_movk_i32 s4, 0x7f
	v_cmp_gt_i16_sdwa s[6:7], v3, s4 src0_sel:BYTE_0 src1_sel:DWORD
	s_mov_b64 s[4:5], 0
                                        ; implicit-def: $sgpr10
	s_and_saveexec_b64 s[8:9], s[6:7]
	s_xor_b64 s[6:7], exec, s[8:9]
	s_cbranch_execnz .LBB1_3689
; %bb.1641:
	s_or_saveexec_b64 s[6:7], s[6:7]
	v_mov_b32_e32 v2, s10
	s_xor_b64 exec, exec, s[6:7]
	s_cbranch_execnz .LBB1_3692
.LBB1_1642:
	s_or_b64 exec, exec, s[6:7]
	s_and_saveexec_b64 s[6:7], s[4:5]
	s_cbranch_execz .LBB1_1644
.LBB1_1643:
	v_bfe_u32 v2, v9, 8, 3
	v_ffbh_u32_e32 v6, v2
	v_min_u32_e32 v6, 32, v6
	v_lshrrev_b16_e32 v4, 3, v3
	v_subrev_u32_e32 v7, 28, v6
	v_and_b32_e32 v4, 15, v4
	v_lshlrev_b32_e32 v3, v7, v3
	v_sub_u32_e32 v6, 29, v6
	v_and_b32_e32 v3, 7, v3
	v_cmp_eq_u16_e32 vcc, 0, v4
	v_cndmask_b32_e32 v2, v2, v3, vcc
	v_cndmask_b32_e32 v3, v4, v6, vcc
	v_lshlrev_b32_e32 v4, 16, v9
	v_mov_b32_e32 v6, 0x3b800000
	v_lshlrev_b32_e32 v2, 20, v2
	v_and_b32_e32 v4, 0x80000000, v4
	v_lshl_add_u32 v3, v3, 23, v6
	v_or3_b32 v2, v4, v3, v2
.LBB1_1644:
	s_or_b64 exec, exec, s[6:7]
	v_lshrrev_b32_e32 v3, 8, v5
	s_movk_i32 s4, 0x7f
	v_cmp_gt_i16_sdwa s[6:7], v3, s4 src0_sel:BYTE_0 src1_sel:DWORD
	s_mov_b64 s[4:5], 0
                                        ; implicit-def: $sgpr10
	s_and_saveexec_b64 s[8:9], s[6:7]
	s_xor_b64 s[6:7], exec, s[8:9]
	s_cbranch_execnz .LBB1_3693
; %bb.1645:
	s_or_saveexec_b64 s[6:7], s[6:7]
	v_mov_b32_e32 v4, s10
	s_xor_b64 exec, exec, s[6:7]
	s_cbranch_execnz .LBB1_3696
.LBB1_1646:
	s_or_b64 exec, exec, s[6:7]
	s_and_saveexec_b64 s[6:7], s[4:5]
	s_cbranch_execz .LBB1_1648
.LBB1_1647:
	v_bfe_u32 v4, v5, 8, 3
	v_ffbh_u32_e32 v7, v4
	v_min_u32_e32 v7, 32, v7
	v_lshrrev_b16_e32 v6, 3, v3
	v_subrev_u32_e32 v8, 28, v7
	v_and_b32_e32 v6, 15, v6
	v_lshlrev_b32_e32 v3, v8, v3
	v_sub_u32_e32 v7, 29, v7
	v_and_b32_e32 v3, 7, v3
	v_cmp_eq_u16_e32 vcc, 0, v6
	v_cndmask_b32_e32 v3, v4, v3, vcc
	v_cndmask_b32_e32 v4, v6, v7, vcc
	v_lshlrev_b32_e32 v6, 16, v5
	v_mov_b32_e32 v7, 0x3b800000
	v_lshlrev_b32_e32 v3, 20, v3
	v_and_b32_e32 v6, 0x80000000, v6
	v_lshl_add_u32 v4, v4, 23, v7
	v_or3_b32 v4, v6, v4, v3
.LBB1_1648:
	s_or_b64 exec, exec, s[6:7]
	s_nop 0
	v_mfma_f32_16x16x4f32 a[0:3], v2, v4, a[0:3]
	s_movk_i32 s4, 0xff
	v_and_b32_sdwa v3, v9, s4 dst_sel:DWORD dst_unused:UNUSED_PAD src0_sel:WORD_1 src1_sel:DWORD
	s_movk_i32 s4, 0x7f
	v_cmp_lt_i16_e32 vcc, s4, v3
	s_mov_b64 s[4:5], 0
                                        ; implicit-def: $sgpr10
	s_and_saveexec_b64 s[6:7], vcc
	s_xor_b64 s[6:7], exec, s[6:7]
	s_cbranch_execnz .LBB1_3697
; %bb.1649:
	s_or_saveexec_b64 s[6:7], s[6:7]
	v_mov_b32_e32 v2, s10
	s_xor_b64 exec, exec, s[6:7]
	s_cbranch_execnz .LBB1_3700
.LBB1_1650:
	s_or_b64 exec, exec, s[6:7]
	s_and_saveexec_b64 s[6:7], s[4:5]
	s_cbranch_execz .LBB1_1652
.LBB1_1651:
	v_bfe_u32 v2, v9, 16, 3
	v_ffbh_u32_e32 v6, v2
	v_min_u32_e32 v6, 32, v6
	v_lshrrev_b32_e32 v3, 19, v9
	v_subrev_u32_e32 v7, 28, v6
	v_and_b32_e32 v3, 15, v3
	v_lshlrev_b32_sdwa v7, v7, v9 dst_sel:DWORD dst_unused:UNUSED_PAD src0_sel:DWORD src1_sel:WORD_1
	v_bfe_u32 v4, v9, 19, 4
	v_sub_u32_e32 v6, 29, v6
	v_and_b32_e32 v7, 7, v7
	v_cmp_eq_u16_e32 vcc, 0, v3
	v_cndmask_b32_e32 v2, v2, v7, vcc
	v_cndmask_b32_e32 v3, v4, v6, vcc
	v_lshlrev_b32_e32 v4, 8, v9
	v_mov_b32_e32 v6, 0x3b800000
	v_lshlrev_b32_e32 v2, 20, v2
	v_and_b32_e32 v4, 0x80000000, v4
	v_lshl_add_u32 v3, v3, 23, v6
	v_or3_b32 v2, v4, v3, v2
.LBB1_1652:
	s_or_b64 exec, exec, s[6:7]
	s_movk_i32 s4, 0xff
	v_and_b32_sdwa v3, v5, s4 dst_sel:DWORD dst_unused:UNUSED_PAD src0_sel:WORD_1 src1_sel:DWORD
	s_movk_i32 s4, 0x7f
	v_cmp_lt_i16_e32 vcc, s4, v3
	s_mov_b64 s[4:5], 0
                                        ; implicit-def: $sgpr10
	s_and_saveexec_b64 s[6:7], vcc
	s_xor_b64 s[6:7], exec, s[6:7]
	s_cbranch_execnz .LBB1_3701
; %bb.1653:
	s_or_saveexec_b64 s[6:7], s[6:7]
	v_mov_b32_e32 v4, s10
	s_xor_b64 exec, exec, s[6:7]
	s_cbranch_execnz .LBB1_3704
.LBB1_1654:
	s_or_b64 exec, exec, s[6:7]
	s_and_saveexec_b64 s[6:7], s[4:5]
	s_cbranch_execz .LBB1_1656
.LBB1_1655:
	v_bfe_u32 v3, v5, 16, 3
	v_ffbh_u32_e32 v7, v3
	v_min_u32_e32 v7, 32, v7
	v_lshrrev_b32_e32 v4, 19, v5
	v_subrev_u32_e32 v8, 28, v7
	v_and_b32_e32 v4, 15, v4
	v_lshlrev_b32_sdwa v8, v8, v5 dst_sel:DWORD dst_unused:UNUSED_PAD src0_sel:DWORD src1_sel:WORD_1
	v_bfe_u32 v6, v5, 19, 4
	v_sub_u32_e32 v7, 29, v7
	v_and_b32_e32 v8, 7, v8
	v_cmp_eq_u16_e32 vcc, 0, v4
	v_cndmask_b32_e32 v3, v3, v8, vcc
	v_cndmask_b32_e32 v4, v6, v7, vcc
	v_lshlrev_b32_e32 v6, 8, v5
	v_mov_b32_e32 v7, 0x3b800000
	v_lshlrev_b32_e32 v3, 20, v3
	v_and_b32_e32 v6, 0x80000000, v6
	v_lshl_add_u32 v4, v4, 23, v7
	v_or3_b32 v4, v6, v4, v3
.LBB1_1656:
	s_or_b64 exec, exec, s[6:7]
	s_nop 0
	v_mfma_f32_16x16x4f32 a[0:3], v2, v4, a[0:3]
	s_movk_i32 s4, 0x7f
	v_cmp_gt_i16_sdwa s[6:7], v9, s4 src0_sel:BYTE_3 src1_sel:DWORD
	s_mov_b64 s[4:5], 0
                                        ; implicit-def: $sgpr10
	s_and_saveexec_b64 s[8:9], s[6:7]
	s_xor_b64 s[6:7], exec, s[8:9]
	s_cbranch_execnz .LBB1_3705
; %bb.1657:
	s_or_saveexec_b64 s[6:7], s[6:7]
	v_mov_b32_e32 v2, s10
	s_xor_b64 exec, exec, s[6:7]
	s_cbranch_execnz .LBB1_3708
.LBB1_1658:
	s_or_b64 exec, exec, s[6:7]
	s_and_saveexec_b64 s[6:7], s[4:5]
	s_cbranch_execz .LBB1_1660
.LBB1_1659:
	v_bfe_u32 v2, v9, 24, 3
	v_ffbh_u32_e32 v7, v2
	v_min_u32_e32 v7, 32, v7
	v_lshrrev_b32_e32 v4, 27, v9
	v_subrev_u32_e32 v8, 28, v7
	v_and_b32_e32 v4, 15, v4
	v_lshlrev_b32_sdwa v8, v8, v9 dst_sel:DWORD dst_unused:UNUSED_PAD src0_sel:DWORD src1_sel:BYTE_3
	v_bfe_u32 v6, v9, 27, 4
	v_sub_u32_e32 v7, 29, v7
	v_and_b32_e32 v8, 7, v8
	v_cmp_eq_u16_e32 vcc, 0, v4
	v_cndmask_b32_e32 v2, v2, v8, vcc
	v_cndmask_b32_e32 v4, v6, v7, vcc
	v_mov_b32_e32 v6, 0x3b800000
	v_and_b32_e32 v3, 0x80000000, v9
	v_lshlrev_b32_e32 v2, 20, v2
	v_lshl_add_u32 v4, v4, 23, v6
	v_or3_b32 v2, v3, v4, v2
.LBB1_1660:
	s_or_b64 exec, exec, s[6:7]
	s_movk_i32 s4, 0x7f
	v_cmp_gt_i16_sdwa s[6:7], v5, s4 src0_sel:BYTE_3 src1_sel:DWORD
	s_mov_b64 s[4:5], 0
                                        ; implicit-def: $sgpr10
	s_and_saveexec_b64 s[8:9], s[6:7]
	s_xor_b64 s[6:7], exec, s[8:9]
	s_cbranch_execnz .LBB1_3709
; %bb.1661:
	s_or_saveexec_b64 s[6:7], s[6:7]
	v_mov_b32_e32 v3, s10
	s_xor_b64 exec, exec, s[6:7]
	s_cbranch_execnz .LBB1_3712
.LBB1_1662:
	s_or_b64 exec, exec, s[6:7]
	s_and_saveexec_b64 s[6:7], s[4:5]
	s_cbranch_execz .LBB1_1664
.LBB1_1663:
	v_bfe_u32 v3, v5, 24, 3
	v_ffbh_u32_e32 v8, v3
	v_min_u32_e32 v8, 32, v8
	v_lshrrev_b32_e32 v6, 27, v5
	v_subrev_u32_e32 v9, 28, v8
	v_and_b32_e32 v4, 0x80000000, v5
	v_and_b32_e32 v6, 15, v6
	v_bfe_u32 v7, v5, 27, 4
	v_lshlrev_b32_sdwa v5, v9, v5 dst_sel:DWORD dst_unused:UNUSED_PAD src0_sel:DWORD src1_sel:BYTE_3
	v_sub_u32_e32 v8, 29, v8
	v_and_b32_e32 v5, 7, v5
	v_cmp_eq_u16_e32 vcc, 0, v6
	v_cndmask_b32_e32 v3, v3, v5, vcc
	v_cndmask_b32_e32 v5, v7, v8, vcc
	v_mov_b32_e32 v6, 0x3b800000
	v_lshlrev_b32_e32 v3, 20, v3
	v_lshl_add_u32 v5, v5, 23, v6
	v_or3_b32 v3, v4, v5, v3
.LBB1_1664:
	s_or_b64 exec, exec, s[6:7]
	s_nop 0
	v_mfma_f32_16x16x4f32 a[0:3], v2, v3, a[0:3]
	s_movk_i32 s4, 0x7f
                                        ; implicit-def: $sgpr10
	s_nop 7
	s_nop 1
	flat_store_dwordx4 v[10:11], a[0:3] offset:192
	flat_load_dwordx4 v[12:15], v[0:1] offset:8
	s_nop 0
	flat_load_dwordx2 v[10:11], v[0:1] offset:32
	s_waitcnt vmcnt(0) lgkmcnt(0)
	flat_load_dwordx4 v[6:9], v[12:13] offset:96
	flat_load_dwordx4 v[2:5], v[14:15] offset:32
	s_waitcnt vmcnt(0) lgkmcnt(0)
	v_cmp_gt_i16_sdwa s[6:7], v6, s4 src0_sel:BYTE_0 src1_sel:DWORD
	s_mov_b64 s[4:5], 0
	s_and_saveexec_b64 s[8:9], s[6:7]
	s_xor_b64 s[6:7], exec, s[8:9]
	s_cbranch_execnz .LBB1_3713
; %bb.1665:
	s_or_saveexec_b64 s[6:7], s[6:7]
	v_mov_b32_e32 v12, s10
	s_xor_b64 exec, exec, s[6:7]
	s_cbranch_execnz .LBB1_3716
.LBB1_1666:
	s_or_b64 exec, exec, s[6:7]
	s_and_saveexec_b64 s[6:7], s[4:5]
	s_cbranch_execz .LBB1_1668
.LBB1_1667:
	v_and_b32_e32 v12, 7, v6
	v_ffbh_u32_e32 v14, v12
	v_min_u32_e32 v14, 32, v14
	v_lshrrev_b16_e32 v13, 3, v6
	v_subrev_u32_e32 v15, 28, v14
	v_and_b32_e32 v13, 15, v13
	v_lshlrev_b32_e32 v15, v15, v6
	v_sub_u32_e32 v14, 29, v14
	v_and_b32_e32 v15, 7, v15
	v_cmp_eq_u16_e32 vcc, 0, v13
	v_cndmask_b32_e32 v12, v12, v15, vcc
	v_cndmask_b32_e32 v13, v13, v14, vcc
	v_lshlrev_b32_e32 v14, 24, v6
	v_mov_b32_e32 v15, 0x3b800000
	v_lshlrev_b32_e32 v12, 20, v12
	v_and_b32_e32 v14, 0x80000000, v14
	v_lshl_add_u32 v13, v13, 23, v15
	v_or3_b32 v12, v14, v13, v12
.LBB1_1668:
	s_or_b64 exec, exec, s[6:7]
	s_movk_i32 s4, 0x7f
	v_cmp_gt_i16_sdwa s[6:7], v2, s4 src0_sel:BYTE_0 src1_sel:DWORD
	s_mov_b64 s[4:5], 0
                                        ; implicit-def: $sgpr10
	s_and_saveexec_b64 s[8:9], s[6:7]
	s_xor_b64 s[6:7], exec, s[8:9]
	s_cbranch_execnz .LBB1_3717
; %bb.1669:
	s_or_saveexec_b64 s[6:7], s[6:7]
	v_mov_b32_e32 v13, s10
	s_xor_b64 exec, exec, s[6:7]
	s_cbranch_execnz .LBB1_3720
.LBB1_1670:
	s_or_b64 exec, exec, s[6:7]
	s_and_saveexec_b64 s[6:7], s[4:5]
	s_cbranch_execz .LBB1_1672
.LBB1_1671:
	v_and_b32_e32 v13, 7, v2
	v_ffbh_u32_e32 v15, v13
	v_min_u32_e32 v15, 32, v15
	v_lshrrev_b16_e32 v14, 3, v2
	v_subrev_u32_e32 v16, 28, v15
	v_and_b32_e32 v14, 15, v14
	v_lshlrev_b32_e32 v16, v16, v2
	v_sub_u32_e32 v15, 29, v15
	v_and_b32_e32 v16, 7, v16
	v_cmp_eq_u16_e32 vcc, 0, v14
	v_cndmask_b32_e32 v13, v13, v16, vcc
	v_cndmask_b32_e32 v14, v14, v15, vcc
	v_lshlrev_b32_e32 v15, 24, v2
	v_mov_b32_e32 v16, 0x3b800000
	v_lshlrev_b32_e32 v13, 20, v13
	v_and_b32_e32 v15, 0x80000000, v15
	v_lshl_add_u32 v14, v14, 23, v16
	v_or3_b32 v13, v15, v14, v13
.LBB1_1672:
	s_or_b64 exec, exec, s[6:7]
	flat_load_dwordx4 a[0:3], v[10:11] offset:208
	s_movk_i32 s4, 0x7f
                                        ; implicit-def: $sgpr10
	s_waitcnt vmcnt(0) lgkmcnt(0)
	v_mfma_f32_16x16x4f32 a[0:3], v12, v13, a[0:3]
	v_lshrrev_b32_e32 v13, 8, v6
	v_cmp_gt_i16_sdwa s[6:7], v13, s4 src0_sel:BYTE_0 src1_sel:DWORD
	s_mov_b64 s[4:5], 0
	s_and_saveexec_b64 s[8:9], s[6:7]
	s_xor_b64 s[6:7], exec, s[8:9]
	s_cbranch_execnz .LBB1_3721
; %bb.1673:
	s_or_saveexec_b64 s[6:7], s[6:7]
	v_mov_b32_e32 v12, s10
	s_xor_b64 exec, exec, s[6:7]
	s_cbranch_execnz .LBB1_3724
.LBB1_1674:
	s_or_b64 exec, exec, s[6:7]
	s_and_saveexec_b64 s[6:7], s[4:5]
	s_cbranch_execz .LBB1_1676
.LBB1_1675:
	v_bfe_u32 v12, v6, 8, 3
	v_ffbh_u32_e32 v15, v12
	v_min_u32_e32 v15, 32, v15
	v_lshrrev_b16_e32 v14, 3, v13
	v_subrev_u32_e32 v16, 28, v15
	v_and_b32_e32 v14, 15, v14
	v_lshlrev_b32_e32 v13, v16, v13
	v_sub_u32_e32 v15, 29, v15
	v_and_b32_e32 v13, 7, v13
	v_cmp_eq_u16_e32 vcc, 0, v14
	v_cndmask_b32_e32 v12, v12, v13, vcc
	v_cndmask_b32_e32 v13, v14, v15, vcc
	v_lshlrev_b32_e32 v14, 16, v6
	v_mov_b32_e32 v15, 0x3b800000
	v_lshlrev_b32_e32 v12, 20, v12
	v_and_b32_e32 v14, 0x80000000, v14
	v_lshl_add_u32 v13, v13, 23, v15
	v_or3_b32 v12, v14, v13, v12
.LBB1_1676:
	s_or_b64 exec, exec, s[6:7]
	v_lshrrev_b32_e32 v13, 8, v2
	s_movk_i32 s4, 0x7f
	v_cmp_gt_i16_sdwa s[6:7], v13, s4 src0_sel:BYTE_0 src1_sel:DWORD
	s_mov_b64 s[4:5], 0
                                        ; implicit-def: $sgpr10
	s_and_saveexec_b64 s[8:9], s[6:7]
	s_xor_b64 s[6:7], exec, s[8:9]
	s_cbranch_execnz .LBB1_3725
; %bb.1677:
	s_or_saveexec_b64 s[6:7], s[6:7]
	v_mov_b32_e32 v14, s10
	s_xor_b64 exec, exec, s[6:7]
	s_cbranch_execnz .LBB1_3728
.LBB1_1678:
	s_or_b64 exec, exec, s[6:7]
	s_and_saveexec_b64 s[6:7], s[4:5]
	s_cbranch_execz .LBB1_1680
.LBB1_1679:
	v_bfe_u32 v14, v2, 8, 3
	v_ffbh_u32_e32 v16, v14
	v_min_u32_e32 v16, 32, v16
	v_lshrrev_b16_e32 v15, 3, v13
	v_subrev_u32_e32 v17, 28, v16
	v_and_b32_e32 v15, 15, v15
	v_lshlrev_b32_e32 v13, v17, v13
	v_sub_u32_e32 v16, 29, v16
	v_and_b32_e32 v13, 7, v13
	v_cmp_eq_u16_e32 vcc, 0, v15
	v_cndmask_b32_e32 v13, v14, v13, vcc
	v_cndmask_b32_e32 v14, v15, v16, vcc
	v_lshlrev_b32_e32 v15, 16, v2
	v_mov_b32_e32 v16, 0x3b800000
	v_lshlrev_b32_e32 v13, 20, v13
	v_and_b32_e32 v15, 0x80000000, v15
	v_lshl_add_u32 v14, v14, 23, v16
	v_or3_b32 v14, v15, v14, v13
.LBB1_1680:
	s_or_b64 exec, exec, s[6:7]
	s_nop 0
	v_mfma_f32_16x16x4f32 a[0:3], v12, v14, a[0:3]
	s_movk_i32 s4, 0xff
	v_and_b32_sdwa v13, v6, s4 dst_sel:DWORD dst_unused:UNUSED_PAD src0_sel:WORD_1 src1_sel:DWORD
	s_movk_i32 s4, 0x7f
	v_cmp_lt_i16_e32 vcc, s4, v13
	s_mov_b64 s[4:5], 0
                                        ; implicit-def: $sgpr10
	s_and_saveexec_b64 s[6:7], vcc
	s_xor_b64 s[6:7], exec, s[6:7]
	s_cbranch_execnz .LBB1_3729
; %bb.1681:
	s_or_saveexec_b64 s[6:7], s[6:7]
	v_mov_b32_e32 v12, s10
	s_xor_b64 exec, exec, s[6:7]
	s_cbranch_execnz .LBB1_3732
.LBB1_1682:
	s_or_b64 exec, exec, s[6:7]
	s_and_saveexec_b64 s[6:7], s[4:5]
	s_cbranch_execz .LBB1_1684
.LBB1_1683:
	v_bfe_u32 v12, v6, 16, 3
	v_ffbh_u32_e32 v15, v12
	v_min_u32_e32 v15, 32, v15
	v_lshrrev_b32_e32 v13, 19, v6
	v_subrev_u32_e32 v16, 28, v15
	v_and_b32_e32 v13, 15, v13
	v_lshlrev_b32_sdwa v16, v16, v6 dst_sel:DWORD dst_unused:UNUSED_PAD src0_sel:DWORD src1_sel:WORD_1
	v_bfe_u32 v14, v6, 19, 4
	v_sub_u32_e32 v15, 29, v15
	v_and_b32_e32 v16, 7, v16
	v_cmp_eq_u16_e32 vcc, 0, v13
	v_cndmask_b32_e32 v12, v12, v16, vcc
	v_cndmask_b32_e32 v13, v14, v15, vcc
	v_lshlrev_b32_e32 v14, 8, v6
	v_mov_b32_e32 v15, 0x3b800000
	v_lshlrev_b32_e32 v12, 20, v12
	v_and_b32_e32 v14, 0x80000000, v14
	v_lshl_add_u32 v13, v13, 23, v15
	v_or3_b32 v12, v14, v13, v12
.LBB1_1684:
	s_or_b64 exec, exec, s[6:7]
	s_movk_i32 s4, 0xff
	v_and_b32_sdwa v13, v2, s4 dst_sel:DWORD dst_unused:UNUSED_PAD src0_sel:WORD_1 src1_sel:DWORD
	s_movk_i32 s4, 0x7f
	v_cmp_lt_i16_e32 vcc, s4, v13
	s_mov_b64 s[4:5], 0
                                        ; implicit-def: $sgpr10
	s_and_saveexec_b64 s[6:7], vcc
	s_xor_b64 s[6:7], exec, s[6:7]
	s_cbranch_execnz .LBB1_3733
; %bb.1685:
	s_or_saveexec_b64 s[6:7], s[6:7]
	v_mov_b32_e32 v14, s10
	s_xor_b64 exec, exec, s[6:7]
	s_cbranch_execnz .LBB1_3736
.LBB1_1686:
	s_or_b64 exec, exec, s[6:7]
	s_and_saveexec_b64 s[6:7], s[4:5]
	s_cbranch_execz .LBB1_1688
.LBB1_1687:
	v_bfe_u32 v13, v2, 16, 3
	v_ffbh_u32_e32 v16, v13
	v_min_u32_e32 v16, 32, v16
	v_lshrrev_b32_e32 v14, 19, v2
	v_subrev_u32_e32 v17, 28, v16
	v_and_b32_e32 v14, 15, v14
	v_lshlrev_b32_sdwa v17, v17, v2 dst_sel:DWORD dst_unused:UNUSED_PAD src0_sel:DWORD src1_sel:WORD_1
	v_bfe_u32 v15, v2, 19, 4
	v_sub_u32_e32 v16, 29, v16
	v_and_b32_e32 v17, 7, v17
	v_cmp_eq_u16_e32 vcc, 0, v14
	v_cndmask_b32_e32 v13, v13, v17, vcc
	v_cndmask_b32_e32 v14, v15, v16, vcc
	v_lshlrev_b32_e32 v15, 8, v2
	v_mov_b32_e32 v16, 0x3b800000
	v_lshlrev_b32_e32 v13, 20, v13
	v_and_b32_e32 v15, 0x80000000, v15
	v_lshl_add_u32 v14, v14, 23, v16
	v_or3_b32 v14, v15, v14, v13
.LBB1_1688:
	s_or_b64 exec, exec, s[6:7]
	s_nop 0
	v_mfma_f32_16x16x4f32 a[0:3], v12, v14, a[0:3]
	s_movk_i32 s4, 0x7f
	v_cmp_gt_i16_sdwa s[6:7], v6, s4 src0_sel:BYTE_3 src1_sel:DWORD
	s_mov_b64 s[4:5], 0
                                        ; implicit-def: $sgpr10
	s_and_saveexec_b64 s[8:9], s[6:7]
	s_xor_b64 s[6:7], exec, s[8:9]
	s_cbranch_execnz .LBB1_3737
; %bb.1689:
	s_or_saveexec_b64 s[6:7], s[6:7]
	v_mov_b32_e32 v12, s10
	s_xor_b64 exec, exec, s[6:7]
	s_cbranch_execnz .LBB1_3740
.LBB1_1690:
	s_or_b64 exec, exec, s[6:7]
	s_and_saveexec_b64 s[6:7], s[4:5]
	s_cbranch_execz .LBB1_1692
.LBB1_1691:
	v_bfe_u32 v12, v6, 24, 3
	v_ffbh_u32_e32 v16, v12
	v_min_u32_e32 v16, 32, v16
	v_lshrrev_b32_e32 v14, 27, v6
	v_subrev_u32_e32 v17, 28, v16
	v_and_b32_e32 v13, 0x80000000, v6
	v_and_b32_e32 v14, 15, v14
	v_bfe_u32 v15, v6, 27, 4
	v_lshlrev_b32_sdwa v6, v17, v6 dst_sel:DWORD dst_unused:UNUSED_PAD src0_sel:DWORD src1_sel:BYTE_3
	v_sub_u32_e32 v16, 29, v16
	v_and_b32_e32 v6, 7, v6
	v_cmp_eq_u16_e32 vcc, 0, v14
	v_cndmask_b32_e32 v6, v12, v6, vcc
	v_cndmask_b32_e32 v12, v15, v16, vcc
	v_mov_b32_e32 v14, 0x3b800000
	v_lshlrev_b32_e32 v6, 20, v6
	v_lshl_add_u32 v12, v12, 23, v14
	v_or3_b32 v12, v13, v12, v6
.LBB1_1692:
	s_or_b64 exec, exec, s[6:7]
	s_movk_i32 s4, 0x7f
	v_cmp_gt_i16_sdwa s[6:7], v2, s4 src0_sel:BYTE_3 src1_sel:DWORD
	s_mov_b64 s[4:5], 0
                                        ; implicit-def: $sgpr10
	s_and_saveexec_b64 s[8:9], s[6:7]
	s_xor_b64 s[6:7], exec, s[8:9]
	s_cbranch_execnz .LBB1_3741
; %bb.1693:
	s_or_saveexec_b64 s[6:7], s[6:7]
	v_mov_b32_e32 v6, s10
	s_xor_b64 exec, exec, s[6:7]
	s_cbranch_execnz .LBB1_3744
.LBB1_1694:
	s_or_b64 exec, exec, s[6:7]
	s_and_saveexec_b64 s[6:7], s[4:5]
	s_cbranch_execz .LBB1_1696
.LBB1_1695:
	v_bfe_u32 v6, v2, 24, 3
	v_ffbh_u32_e32 v16, v6
	v_min_u32_e32 v16, 32, v16
	v_lshrrev_b32_e32 v14, 27, v2
	v_subrev_u32_e32 v17, 28, v16
	v_and_b32_e32 v13, 0x80000000, v2
	v_and_b32_e32 v14, 15, v14
	v_bfe_u32 v15, v2, 27, 4
	v_lshlrev_b32_sdwa v2, v17, v2 dst_sel:DWORD dst_unused:UNUSED_PAD src0_sel:DWORD src1_sel:BYTE_3
	v_sub_u32_e32 v16, 29, v16
	v_and_b32_e32 v2, 7, v2
	v_cmp_eq_u16_e32 vcc, 0, v14
	v_cndmask_b32_e32 v2, v6, v2, vcc
	v_cndmask_b32_e32 v6, v15, v16, vcc
	v_mov_b32_e32 v14, 0x3b800000
	v_lshlrev_b32_e32 v2, 20, v2
	v_lshl_add_u32 v6, v6, 23, v14
	v_or3_b32 v6, v13, v6, v2
.LBB1_1696:
	s_or_b64 exec, exec, s[6:7]
	s_nop 0
	v_mfma_f32_16x16x4f32 a[0:3], v12, v6, a[0:3]
	s_movk_i32 s4, 0x7f
	v_cmp_gt_i16_sdwa s[6:7], v7, s4 src0_sel:BYTE_0 src1_sel:DWORD
	s_mov_b64 s[4:5], 0
                                        ; implicit-def: $sgpr10
	s_and_saveexec_b64 s[8:9], s[6:7]
	s_xor_b64 s[6:7], exec, s[8:9]
	s_cbranch_execnz .LBB1_3745
; %bb.1697:
	s_or_saveexec_b64 s[6:7], s[6:7]
	v_mov_b32_e32 v2, s10
	s_xor_b64 exec, exec, s[6:7]
	s_cbranch_execnz .LBB1_3748
.LBB1_1698:
	s_or_b64 exec, exec, s[6:7]
	s_and_saveexec_b64 s[6:7], s[4:5]
	s_cbranch_execz .LBB1_1700
.LBB1_1699:
	v_and_b32_e32 v2, 7, v7
	v_ffbh_u32_e32 v12, v2
	v_min_u32_e32 v12, 32, v12
	v_lshrrev_b16_e32 v6, 3, v7
	v_subrev_u32_e32 v13, 28, v12
	v_and_b32_e32 v6, 15, v6
	v_lshlrev_b32_e32 v13, v13, v7
	v_sub_u32_e32 v12, 29, v12
	v_and_b32_e32 v13, 7, v13
	v_cmp_eq_u16_e32 vcc, 0, v6
	v_cndmask_b32_e32 v2, v2, v13, vcc
	v_cndmask_b32_e32 v6, v6, v12, vcc
	v_lshlrev_b32_e32 v12, 24, v7
	v_mov_b32_e32 v13, 0x3b800000
	v_lshlrev_b32_e32 v2, 20, v2
	v_and_b32_e32 v12, 0x80000000, v12
	v_lshl_add_u32 v6, v6, 23, v13
	v_or3_b32 v2, v12, v6, v2
.LBB1_1700:
	s_or_b64 exec, exec, s[6:7]
	s_movk_i32 s4, 0x7f
	v_cmp_gt_i16_sdwa s[6:7], v3, s4 src0_sel:BYTE_0 src1_sel:DWORD
	s_mov_b64 s[4:5], 0
                                        ; implicit-def: $sgpr10
	s_and_saveexec_b64 s[8:9], s[6:7]
	s_xor_b64 s[6:7], exec, s[8:9]
	s_cbranch_execnz .LBB1_3749
; %bb.1701:
	s_or_saveexec_b64 s[6:7], s[6:7]
	v_mov_b32_e32 v6, s10
	s_xor_b64 exec, exec, s[6:7]
	s_cbranch_execnz .LBB1_3752
.LBB1_1702:
	s_or_b64 exec, exec, s[6:7]
	s_and_saveexec_b64 s[6:7], s[4:5]
	s_cbranch_execz .LBB1_1704
.LBB1_1703:
	v_and_b32_e32 v6, 7, v3
	v_ffbh_u32_e32 v13, v6
	v_min_u32_e32 v13, 32, v13
	v_lshrrev_b16_e32 v12, 3, v3
	v_subrev_u32_e32 v14, 28, v13
	v_and_b32_e32 v12, 15, v12
	v_lshlrev_b32_e32 v14, v14, v3
	v_sub_u32_e32 v13, 29, v13
	v_and_b32_e32 v14, 7, v14
	v_cmp_eq_u16_e32 vcc, 0, v12
	v_cndmask_b32_e32 v6, v6, v14, vcc
	v_cndmask_b32_e32 v12, v12, v13, vcc
	v_lshlrev_b32_e32 v13, 24, v3
	v_mov_b32_e32 v14, 0x3b800000
	v_lshlrev_b32_e32 v6, 20, v6
	v_and_b32_e32 v13, 0x80000000, v13
	v_lshl_add_u32 v12, v12, 23, v14
	v_or3_b32 v6, v13, v12, v6
.LBB1_1704:
	s_or_b64 exec, exec, s[6:7]
	s_nop 0
	v_mfma_f32_16x16x4f32 a[0:3], v2, v6, a[0:3]
	v_lshrrev_b32_e32 v6, 8, v7
	s_movk_i32 s4, 0x7f
	v_cmp_gt_i16_sdwa s[6:7], v6, s4 src0_sel:BYTE_0 src1_sel:DWORD
	s_mov_b64 s[4:5], 0
                                        ; implicit-def: $sgpr10
	s_and_saveexec_b64 s[8:9], s[6:7]
	s_xor_b64 s[6:7], exec, s[8:9]
	s_cbranch_execnz .LBB1_3753
; %bb.1705:
	s_or_saveexec_b64 s[6:7], s[6:7]
	v_mov_b32_e32 v2, s10
	s_xor_b64 exec, exec, s[6:7]
	s_cbranch_execnz .LBB1_3756
.LBB1_1706:
	s_or_b64 exec, exec, s[6:7]
	s_and_saveexec_b64 s[6:7], s[4:5]
	s_cbranch_execz .LBB1_1708
.LBB1_1707:
	v_bfe_u32 v2, v7, 8, 3
	v_ffbh_u32_e32 v13, v2
	v_min_u32_e32 v13, 32, v13
	v_lshrrev_b16_e32 v12, 3, v6
	v_subrev_u32_e32 v14, 28, v13
	v_and_b32_e32 v12, 15, v12
	v_lshlrev_b32_e32 v6, v14, v6
	v_sub_u32_e32 v13, 29, v13
	v_and_b32_e32 v6, 7, v6
	v_cmp_eq_u16_e32 vcc, 0, v12
	v_cndmask_b32_e32 v2, v2, v6, vcc
	v_cndmask_b32_e32 v6, v12, v13, vcc
	v_lshlrev_b32_e32 v12, 16, v7
	v_mov_b32_e32 v13, 0x3b800000
	v_lshlrev_b32_e32 v2, 20, v2
	v_and_b32_e32 v12, 0x80000000, v12
	v_lshl_add_u32 v6, v6, 23, v13
	v_or3_b32 v2, v12, v6, v2
.LBB1_1708:
	s_or_b64 exec, exec, s[6:7]
	v_lshrrev_b32_e32 v6, 8, v3
	s_movk_i32 s4, 0x7f
	v_cmp_gt_i16_sdwa s[6:7], v6, s4 src0_sel:BYTE_0 src1_sel:DWORD
	s_mov_b64 s[4:5], 0
                                        ; implicit-def: $sgpr10
	s_and_saveexec_b64 s[8:9], s[6:7]
	s_xor_b64 s[6:7], exec, s[8:9]
	s_cbranch_execnz .LBB1_3757
; %bb.1709:
	s_or_saveexec_b64 s[6:7], s[6:7]
	v_mov_b32_e32 v12, s10
	s_xor_b64 exec, exec, s[6:7]
	s_cbranch_execnz .LBB1_3760
.LBB1_1710:
	s_or_b64 exec, exec, s[6:7]
	s_and_saveexec_b64 s[6:7], s[4:5]
	s_cbranch_execz .LBB1_1712
.LBB1_1711:
	v_bfe_u32 v12, v3, 8, 3
	v_ffbh_u32_e32 v14, v12
	v_min_u32_e32 v14, 32, v14
	v_lshrrev_b16_e32 v13, 3, v6
	v_subrev_u32_e32 v15, 28, v14
	v_and_b32_e32 v13, 15, v13
	v_lshlrev_b32_e32 v6, v15, v6
	v_sub_u32_e32 v14, 29, v14
	v_and_b32_e32 v6, 7, v6
	v_cmp_eq_u16_e32 vcc, 0, v13
	v_cndmask_b32_e32 v6, v12, v6, vcc
	v_cndmask_b32_e32 v12, v13, v14, vcc
	v_lshlrev_b32_e32 v13, 16, v3
	v_mov_b32_e32 v14, 0x3b800000
	v_lshlrev_b32_e32 v6, 20, v6
	v_and_b32_e32 v13, 0x80000000, v13
	v_lshl_add_u32 v12, v12, 23, v14
	v_or3_b32 v12, v13, v12, v6
.LBB1_1712:
	s_or_b64 exec, exec, s[6:7]
	s_nop 0
	v_mfma_f32_16x16x4f32 a[0:3], v2, v12, a[0:3]
	s_movk_i32 s4, 0xff
	v_and_b32_sdwa v6, v7, s4 dst_sel:DWORD dst_unused:UNUSED_PAD src0_sel:WORD_1 src1_sel:DWORD
	s_movk_i32 s4, 0x7f
	v_cmp_lt_i16_e32 vcc, s4, v6
	s_mov_b64 s[4:5], 0
                                        ; implicit-def: $sgpr10
	s_and_saveexec_b64 s[6:7], vcc
	s_xor_b64 s[6:7], exec, s[6:7]
	s_cbranch_execnz .LBB1_3761
; %bb.1713:
	s_or_saveexec_b64 s[6:7], s[6:7]
	v_mov_b32_e32 v2, s10
	s_xor_b64 exec, exec, s[6:7]
	s_cbranch_execnz .LBB1_3764
.LBB1_1714:
	s_or_b64 exec, exec, s[6:7]
	s_and_saveexec_b64 s[6:7], s[4:5]
	s_cbranch_execz .LBB1_1716
.LBB1_1715:
	v_bfe_u32 v2, v7, 16, 3
	v_ffbh_u32_e32 v13, v2
	v_min_u32_e32 v13, 32, v13
	v_lshrrev_b32_e32 v6, 19, v7
	v_subrev_u32_e32 v14, 28, v13
	v_and_b32_e32 v6, 15, v6
	v_lshlrev_b32_sdwa v14, v14, v7 dst_sel:DWORD dst_unused:UNUSED_PAD src0_sel:DWORD src1_sel:WORD_1
	v_bfe_u32 v12, v7, 19, 4
	v_sub_u32_e32 v13, 29, v13
	v_and_b32_e32 v14, 7, v14
	v_cmp_eq_u16_e32 vcc, 0, v6
	v_cndmask_b32_e32 v2, v2, v14, vcc
	v_cndmask_b32_e32 v6, v12, v13, vcc
	v_lshlrev_b32_e32 v12, 8, v7
	v_mov_b32_e32 v13, 0x3b800000
	v_lshlrev_b32_e32 v2, 20, v2
	v_and_b32_e32 v12, 0x80000000, v12
	v_lshl_add_u32 v6, v6, 23, v13
	v_or3_b32 v2, v12, v6, v2
.LBB1_1716:
	s_or_b64 exec, exec, s[6:7]
	s_movk_i32 s4, 0xff
	v_and_b32_sdwa v6, v3, s4 dst_sel:DWORD dst_unused:UNUSED_PAD src0_sel:WORD_1 src1_sel:DWORD
	s_movk_i32 s4, 0x7f
	v_cmp_lt_i16_e32 vcc, s4, v6
	s_mov_b64 s[4:5], 0
                                        ; implicit-def: $sgpr10
	s_and_saveexec_b64 s[6:7], vcc
	s_xor_b64 s[6:7], exec, s[6:7]
	s_cbranch_execnz .LBB1_3765
; %bb.1717:
	s_or_saveexec_b64 s[6:7], s[6:7]
	v_mov_b32_e32 v12, s10
	s_xor_b64 exec, exec, s[6:7]
	s_cbranch_execnz .LBB1_3768
.LBB1_1718:
	s_or_b64 exec, exec, s[6:7]
	s_and_saveexec_b64 s[6:7], s[4:5]
	s_cbranch_execz .LBB1_1720
.LBB1_1719:
	v_bfe_u32 v6, v3, 16, 3
	v_ffbh_u32_e32 v14, v6
	v_min_u32_e32 v14, 32, v14
	v_lshrrev_b32_e32 v12, 19, v3
	v_subrev_u32_e32 v15, 28, v14
	v_and_b32_e32 v12, 15, v12
	v_lshlrev_b32_sdwa v15, v15, v3 dst_sel:DWORD dst_unused:UNUSED_PAD src0_sel:DWORD src1_sel:WORD_1
	v_bfe_u32 v13, v3, 19, 4
	v_sub_u32_e32 v14, 29, v14
	v_and_b32_e32 v15, 7, v15
	v_cmp_eq_u16_e32 vcc, 0, v12
	v_cndmask_b32_e32 v6, v6, v15, vcc
	v_cndmask_b32_e32 v12, v13, v14, vcc
	v_lshlrev_b32_e32 v13, 8, v3
	v_mov_b32_e32 v14, 0x3b800000
	v_lshlrev_b32_e32 v6, 20, v6
	v_and_b32_e32 v13, 0x80000000, v13
	v_lshl_add_u32 v12, v12, 23, v14
	v_or3_b32 v12, v13, v12, v6
.LBB1_1720:
	s_or_b64 exec, exec, s[6:7]
	s_nop 0
	v_mfma_f32_16x16x4f32 a[0:3], v2, v12, a[0:3]
	s_movk_i32 s4, 0x7f
	v_cmp_gt_i16_sdwa s[6:7], v7, s4 src0_sel:BYTE_3 src1_sel:DWORD
	s_mov_b64 s[4:5], 0
                                        ; implicit-def: $sgpr10
	s_and_saveexec_b64 s[8:9], s[6:7]
	s_xor_b64 s[6:7], exec, s[8:9]
	s_cbranch_execnz .LBB1_3769
; %bb.1721:
	s_or_saveexec_b64 s[6:7], s[6:7]
	v_mov_b32_e32 v2, s10
	s_xor_b64 exec, exec, s[6:7]
	s_cbranch_execnz .LBB1_3772
.LBB1_1722:
	s_or_b64 exec, exec, s[6:7]
	s_and_saveexec_b64 s[6:7], s[4:5]
	s_cbranch_execz .LBB1_1724
.LBB1_1723:
	v_bfe_u32 v2, v7, 24, 3
	v_ffbh_u32_e32 v14, v2
	v_min_u32_e32 v14, 32, v14
	v_lshrrev_b32_e32 v12, 27, v7
	v_subrev_u32_e32 v15, 28, v14
	v_and_b32_e32 v6, 0x80000000, v7
	v_and_b32_e32 v12, 15, v12
	v_bfe_u32 v13, v7, 27, 4
	v_lshlrev_b32_sdwa v7, v15, v7 dst_sel:DWORD dst_unused:UNUSED_PAD src0_sel:DWORD src1_sel:BYTE_3
	v_sub_u32_e32 v14, 29, v14
	v_and_b32_e32 v7, 7, v7
	v_cmp_eq_u16_e32 vcc, 0, v12
	v_cndmask_b32_e32 v2, v2, v7, vcc
	v_cndmask_b32_e32 v7, v13, v14, vcc
	v_mov_b32_e32 v12, 0x3b800000
	v_lshlrev_b32_e32 v2, 20, v2
	v_lshl_add_u32 v7, v7, 23, v12
	v_or3_b32 v2, v6, v7, v2
.LBB1_1724:
	s_or_b64 exec, exec, s[6:7]
	s_movk_i32 s4, 0x7f
	v_cmp_gt_i16_sdwa s[6:7], v3, s4 src0_sel:BYTE_3 src1_sel:DWORD
	s_mov_b64 s[4:5], 0
                                        ; implicit-def: $sgpr10
	s_and_saveexec_b64 s[8:9], s[6:7]
	s_xor_b64 s[6:7], exec, s[8:9]
	s_cbranch_execnz .LBB1_3773
; %bb.1725:
	s_or_saveexec_b64 s[6:7], s[6:7]
	v_mov_b32_e32 v6, s10
	s_xor_b64 exec, exec, s[6:7]
	s_cbranch_execnz .LBB1_3776
.LBB1_1726:
	s_or_b64 exec, exec, s[6:7]
	s_and_saveexec_b64 s[6:7], s[4:5]
	s_cbranch_execz .LBB1_1728
.LBB1_1727:
	v_bfe_u32 v6, v3, 24, 3
	v_ffbh_u32_e32 v14, v6
	v_min_u32_e32 v14, 32, v14
	v_lshrrev_b32_e32 v12, 27, v3
	v_subrev_u32_e32 v15, 28, v14
	v_and_b32_e32 v7, 0x80000000, v3
	v_and_b32_e32 v12, 15, v12
	v_bfe_u32 v13, v3, 27, 4
	v_lshlrev_b32_sdwa v3, v15, v3 dst_sel:DWORD dst_unused:UNUSED_PAD src0_sel:DWORD src1_sel:BYTE_3
	v_sub_u32_e32 v14, 29, v14
	v_and_b32_e32 v3, 7, v3
	v_cmp_eq_u16_e32 vcc, 0, v12
	v_cndmask_b32_e32 v3, v6, v3, vcc
	v_cndmask_b32_e32 v6, v13, v14, vcc
	v_mov_b32_e32 v12, 0x3b800000
	v_lshlrev_b32_e32 v3, 20, v3
	v_lshl_add_u32 v6, v6, 23, v12
	v_or3_b32 v6, v7, v6, v3
.LBB1_1728:
	s_or_b64 exec, exec, s[6:7]
	s_nop 0
	v_mfma_f32_16x16x4f32 a[0:3], v2, v6, a[0:3]
	s_movk_i32 s4, 0x7f
	v_cmp_gt_i16_sdwa s[6:7], v8, s4 src0_sel:BYTE_0 src1_sel:DWORD
	s_mov_b64 s[4:5], 0
                                        ; implicit-def: $sgpr10
	s_and_saveexec_b64 s[8:9], s[6:7]
	s_xor_b64 s[6:7], exec, s[8:9]
	s_cbranch_execnz .LBB1_3777
; %bb.1729:
	s_or_saveexec_b64 s[6:7], s[6:7]
	v_mov_b32_e32 v2, s10
	s_xor_b64 exec, exec, s[6:7]
	s_cbranch_execnz .LBB1_3780
.LBB1_1730:
	s_or_b64 exec, exec, s[6:7]
	s_and_saveexec_b64 s[6:7], s[4:5]
	s_cbranch_execz .LBB1_1732
.LBB1_1731:
	v_and_b32_e32 v2, 7, v8
	v_ffbh_u32_e32 v6, v2
	v_min_u32_e32 v6, 32, v6
	v_lshrrev_b16_e32 v3, 3, v8
	v_subrev_u32_e32 v7, 28, v6
	v_and_b32_e32 v3, 15, v3
	v_lshlrev_b32_e32 v7, v7, v8
	v_sub_u32_e32 v6, 29, v6
	v_and_b32_e32 v7, 7, v7
	v_cmp_eq_u16_e32 vcc, 0, v3
	v_cndmask_b32_e32 v2, v2, v7, vcc
	v_cndmask_b32_e32 v3, v3, v6, vcc
	v_lshlrev_b32_e32 v6, 24, v8
	v_mov_b32_e32 v7, 0x3b800000
	v_lshlrev_b32_e32 v2, 20, v2
	v_and_b32_e32 v6, 0x80000000, v6
	v_lshl_add_u32 v3, v3, 23, v7
	v_or3_b32 v2, v6, v3, v2
.LBB1_1732:
	s_or_b64 exec, exec, s[6:7]
	s_movk_i32 s4, 0x7f
	v_cmp_gt_i16_sdwa s[6:7], v4, s4 src0_sel:BYTE_0 src1_sel:DWORD
	s_mov_b64 s[4:5], 0
                                        ; implicit-def: $sgpr10
	s_and_saveexec_b64 s[8:9], s[6:7]
	s_xor_b64 s[6:7], exec, s[8:9]
	s_cbranch_execnz .LBB1_3781
; %bb.1733:
	s_or_saveexec_b64 s[6:7], s[6:7]
	v_mov_b32_e32 v3, s10
	s_xor_b64 exec, exec, s[6:7]
	s_cbranch_execnz .LBB1_3784
.LBB1_1734:
	s_or_b64 exec, exec, s[6:7]
	s_and_saveexec_b64 s[6:7], s[4:5]
	s_cbranch_execz .LBB1_1736
.LBB1_1735:
	v_and_b32_e32 v3, 7, v4
	v_ffbh_u32_e32 v7, v3
	v_min_u32_e32 v7, 32, v7
	v_lshrrev_b16_e32 v6, 3, v4
	v_subrev_u32_e32 v12, 28, v7
	v_and_b32_e32 v6, 15, v6
	v_lshlrev_b32_e32 v12, v12, v4
	v_sub_u32_e32 v7, 29, v7
	v_and_b32_e32 v12, 7, v12
	v_cmp_eq_u16_e32 vcc, 0, v6
	v_cndmask_b32_e32 v3, v3, v12, vcc
	v_cndmask_b32_e32 v6, v6, v7, vcc
	v_lshlrev_b32_e32 v7, 24, v4
	v_mov_b32_e32 v12, 0x3b800000
	v_lshlrev_b32_e32 v3, 20, v3
	v_and_b32_e32 v7, 0x80000000, v7
	v_lshl_add_u32 v6, v6, 23, v12
	v_or3_b32 v3, v7, v6, v3
.LBB1_1736:
	s_or_b64 exec, exec, s[6:7]
	s_nop 0
	v_mfma_f32_16x16x4f32 a[0:3], v2, v3, a[0:3]
	v_lshrrev_b32_e32 v3, 8, v8
	s_movk_i32 s4, 0x7f
	v_cmp_gt_i16_sdwa s[6:7], v3, s4 src0_sel:BYTE_0 src1_sel:DWORD
	s_mov_b64 s[4:5], 0
                                        ; implicit-def: $sgpr10
	s_and_saveexec_b64 s[8:9], s[6:7]
	s_xor_b64 s[6:7], exec, s[8:9]
	s_cbranch_execnz .LBB1_3785
; %bb.1737:
	s_or_saveexec_b64 s[6:7], s[6:7]
	v_mov_b32_e32 v2, s10
	s_xor_b64 exec, exec, s[6:7]
	s_cbranch_execnz .LBB1_3788
.LBB1_1738:
	s_or_b64 exec, exec, s[6:7]
	s_and_saveexec_b64 s[6:7], s[4:5]
	s_cbranch_execz .LBB1_1740
.LBB1_1739:
	v_bfe_u32 v2, v8, 8, 3
	v_ffbh_u32_e32 v7, v2
	v_min_u32_e32 v7, 32, v7
	v_lshrrev_b16_e32 v6, 3, v3
	v_subrev_u32_e32 v12, 28, v7
	v_and_b32_e32 v6, 15, v6
	v_lshlrev_b32_e32 v3, v12, v3
	v_sub_u32_e32 v7, 29, v7
	v_and_b32_e32 v3, 7, v3
	v_cmp_eq_u16_e32 vcc, 0, v6
	v_cndmask_b32_e32 v2, v2, v3, vcc
	v_cndmask_b32_e32 v3, v6, v7, vcc
	v_lshlrev_b32_e32 v6, 16, v8
	v_mov_b32_e32 v7, 0x3b800000
	v_lshlrev_b32_e32 v2, 20, v2
	v_and_b32_e32 v6, 0x80000000, v6
	v_lshl_add_u32 v3, v3, 23, v7
	v_or3_b32 v2, v6, v3, v2
.LBB1_1740:
	s_or_b64 exec, exec, s[6:7]
	v_lshrrev_b32_e32 v3, 8, v4
	s_movk_i32 s4, 0x7f
	v_cmp_gt_i16_sdwa s[6:7], v3, s4 src0_sel:BYTE_0 src1_sel:DWORD
	s_mov_b64 s[4:5], 0
                                        ; implicit-def: $sgpr10
	s_and_saveexec_b64 s[8:9], s[6:7]
	s_xor_b64 s[6:7], exec, s[8:9]
	s_cbranch_execnz .LBB1_3789
; %bb.1741:
	s_or_saveexec_b64 s[6:7], s[6:7]
	v_mov_b32_e32 v6, s10
	s_xor_b64 exec, exec, s[6:7]
	s_cbranch_execnz .LBB1_3792
.LBB1_1742:
	s_or_b64 exec, exec, s[6:7]
	s_and_saveexec_b64 s[6:7], s[4:5]
	s_cbranch_execz .LBB1_1744
.LBB1_1743:
	v_bfe_u32 v6, v4, 8, 3
	v_ffbh_u32_e32 v12, v6
	v_min_u32_e32 v12, 32, v12
	v_lshrrev_b16_e32 v7, 3, v3
	v_subrev_u32_e32 v13, 28, v12
	v_and_b32_e32 v7, 15, v7
	v_lshlrev_b32_e32 v3, v13, v3
	v_sub_u32_e32 v12, 29, v12
	v_and_b32_e32 v3, 7, v3
	v_cmp_eq_u16_e32 vcc, 0, v7
	v_cndmask_b32_e32 v3, v6, v3, vcc
	v_cndmask_b32_e32 v6, v7, v12, vcc
	v_lshlrev_b32_e32 v7, 16, v4
	v_mov_b32_e32 v12, 0x3b800000
	v_lshlrev_b32_e32 v3, 20, v3
	v_and_b32_e32 v7, 0x80000000, v7
	v_lshl_add_u32 v6, v6, 23, v12
	v_or3_b32 v6, v7, v6, v3
.LBB1_1744:
	s_or_b64 exec, exec, s[6:7]
	s_nop 0
	v_mfma_f32_16x16x4f32 a[0:3], v2, v6, a[0:3]
	s_movk_i32 s4, 0xff
	v_and_b32_sdwa v3, v8, s4 dst_sel:DWORD dst_unused:UNUSED_PAD src0_sel:WORD_1 src1_sel:DWORD
	s_movk_i32 s4, 0x7f
	v_cmp_lt_i16_e32 vcc, s4, v3
	s_mov_b64 s[4:5], 0
                                        ; implicit-def: $sgpr10
	s_and_saveexec_b64 s[6:7], vcc
	s_xor_b64 s[6:7], exec, s[6:7]
	s_cbranch_execnz .LBB1_3793
; %bb.1745:
	s_or_saveexec_b64 s[6:7], s[6:7]
	v_mov_b32_e32 v2, s10
	s_xor_b64 exec, exec, s[6:7]
	s_cbranch_execnz .LBB1_3796
.LBB1_1746:
	s_or_b64 exec, exec, s[6:7]
	s_and_saveexec_b64 s[6:7], s[4:5]
	s_cbranch_execz .LBB1_1748
.LBB1_1747:
	v_bfe_u32 v2, v8, 16, 3
	v_ffbh_u32_e32 v7, v2
	v_min_u32_e32 v7, 32, v7
	v_lshrrev_b32_e32 v3, 19, v8
	v_subrev_u32_e32 v12, 28, v7
	v_and_b32_e32 v3, 15, v3
	v_lshlrev_b32_sdwa v12, v12, v8 dst_sel:DWORD dst_unused:UNUSED_PAD src0_sel:DWORD src1_sel:WORD_1
	v_bfe_u32 v6, v8, 19, 4
	v_sub_u32_e32 v7, 29, v7
	v_and_b32_e32 v12, 7, v12
	v_cmp_eq_u16_e32 vcc, 0, v3
	v_cndmask_b32_e32 v2, v2, v12, vcc
	v_cndmask_b32_e32 v3, v6, v7, vcc
	v_lshlrev_b32_e32 v6, 8, v8
	v_mov_b32_e32 v7, 0x3b800000
	v_lshlrev_b32_e32 v2, 20, v2
	v_and_b32_e32 v6, 0x80000000, v6
	v_lshl_add_u32 v3, v3, 23, v7
	v_or3_b32 v2, v6, v3, v2
.LBB1_1748:
	s_or_b64 exec, exec, s[6:7]
	s_movk_i32 s4, 0xff
	v_and_b32_sdwa v3, v4, s4 dst_sel:DWORD dst_unused:UNUSED_PAD src0_sel:WORD_1 src1_sel:DWORD
	s_movk_i32 s4, 0x7f
	v_cmp_lt_i16_e32 vcc, s4, v3
	s_mov_b64 s[4:5], 0
                                        ; implicit-def: $sgpr10
	s_and_saveexec_b64 s[6:7], vcc
	s_xor_b64 s[6:7], exec, s[6:7]
	s_cbranch_execnz .LBB1_3797
; %bb.1749:
	s_or_saveexec_b64 s[6:7], s[6:7]
	v_mov_b32_e32 v6, s10
	s_xor_b64 exec, exec, s[6:7]
	s_cbranch_execnz .LBB1_3800
.LBB1_1750:
	s_or_b64 exec, exec, s[6:7]
	s_and_saveexec_b64 s[6:7], s[4:5]
	s_cbranch_execz .LBB1_1752
.LBB1_1751:
	v_bfe_u32 v3, v4, 16, 3
	v_ffbh_u32_e32 v12, v3
	v_min_u32_e32 v12, 32, v12
	v_lshrrev_b32_e32 v6, 19, v4
	v_subrev_u32_e32 v13, 28, v12
	v_and_b32_e32 v6, 15, v6
	v_lshlrev_b32_sdwa v13, v13, v4 dst_sel:DWORD dst_unused:UNUSED_PAD src0_sel:DWORD src1_sel:WORD_1
	v_bfe_u32 v7, v4, 19, 4
	v_sub_u32_e32 v12, 29, v12
	v_and_b32_e32 v13, 7, v13
	v_cmp_eq_u16_e32 vcc, 0, v6
	v_cndmask_b32_e32 v3, v3, v13, vcc
	v_cndmask_b32_e32 v6, v7, v12, vcc
	v_lshlrev_b32_e32 v7, 8, v4
	v_mov_b32_e32 v12, 0x3b800000
	v_lshlrev_b32_e32 v3, 20, v3
	v_and_b32_e32 v7, 0x80000000, v7
	v_lshl_add_u32 v6, v6, 23, v12
	v_or3_b32 v6, v7, v6, v3
.LBB1_1752:
	s_or_b64 exec, exec, s[6:7]
	s_nop 0
	v_mfma_f32_16x16x4f32 a[0:3], v2, v6, a[0:3]
	s_movk_i32 s4, 0x7f
	v_cmp_gt_i16_sdwa s[6:7], v8, s4 src0_sel:BYTE_3 src1_sel:DWORD
	s_mov_b64 s[4:5], 0
                                        ; implicit-def: $sgpr10
	s_and_saveexec_b64 s[8:9], s[6:7]
	s_xor_b64 s[6:7], exec, s[8:9]
	s_cbranch_execnz .LBB1_3801
; %bb.1753:
	s_or_saveexec_b64 s[6:7], s[6:7]
	v_mov_b32_e32 v2, s10
	s_xor_b64 exec, exec, s[6:7]
	s_cbranch_execnz .LBB1_3804
.LBB1_1754:
	s_or_b64 exec, exec, s[6:7]
	s_and_saveexec_b64 s[6:7], s[4:5]
	s_cbranch_execz .LBB1_1756
.LBB1_1755:
	v_bfe_u32 v2, v8, 24, 3
	v_ffbh_u32_e32 v12, v2
	v_min_u32_e32 v12, 32, v12
	v_lshrrev_b32_e32 v6, 27, v8
	v_subrev_u32_e32 v13, 28, v12
	v_and_b32_e32 v3, 0x80000000, v8
	v_and_b32_e32 v6, 15, v6
	v_bfe_u32 v7, v8, 27, 4
	v_lshlrev_b32_sdwa v8, v13, v8 dst_sel:DWORD dst_unused:UNUSED_PAD src0_sel:DWORD src1_sel:BYTE_3
	v_sub_u32_e32 v12, 29, v12
	v_and_b32_e32 v8, 7, v8
	v_cmp_eq_u16_e32 vcc, 0, v6
	v_cndmask_b32_e32 v2, v2, v8, vcc
	v_cndmask_b32_e32 v6, v7, v12, vcc
	v_mov_b32_e32 v7, 0x3b800000
	v_lshlrev_b32_e32 v2, 20, v2
	v_lshl_add_u32 v6, v6, 23, v7
	v_or3_b32 v2, v3, v6, v2
.LBB1_1756:
	s_or_b64 exec, exec, s[6:7]
	s_movk_i32 s4, 0x7f
	v_cmp_gt_i16_sdwa s[6:7], v4, s4 src0_sel:BYTE_3 src1_sel:DWORD
	s_mov_b64 s[4:5], 0
                                        ; implicit-def: $sgpr10
	s_and_saveexec_b64 s[8:9], s[6:7]
	s_xor_b64 s[6:7], exec, s[8:9]
	s_cbranch_execnz .LBB1_3805
; %bb.1757:
	s_or_saveexec_b64 s[6:7], s[6:7]
	v_mov_b32_e32 v3, s10
	s_xor_b64 exec, exec, s[6:7]
	s_cbranch_execnz .LBB1_3808
.LBB1_1758:
	s_or_b64 exec, exec, s[6:7]
	s_and_saveexec_b64 s[6:7], s[4:5]
	s_cbranch_execz .LBB1_1760
.LBB1_1759:
	v_bfe_u32 v3, v4, 24, 3
	v_ffbh_u32_e32 v12, v3
	v_min_u32_e32 v12, 32, v12
	v_lshrrev_b32_e32 v7, 27, v4
	v_subrev_u32_e32 v13, 28, v12
	v_and_b32_e32 v6, 0x80000000, v4
	v_and_b32_e32 v7, 15, v7
	v_bfe_u32 v8, v4, 27, 4
	v_lshlrev_b32_sdwa v4, v13, v4 dst_sel:DWORD dst_unused:UNUSED_PAD src0_sel:DWORD src1_sel:BYTE_3
	v_sub_u32_e32 v12, 29, v12
	v_and_b32_e32 v4, 7, v4
	v_cmp_eq_u16_e32 vcc, 0, v7
	v_cndmask_b32_e32 v3, v3, v4, vcc
	v_cndmask_b32_e32 v4, v8, v12, vcc
	v_mov_b32_e32 v7, 0x3b800000
	v_lshlrev_b32_e32 v3, 20, v3
	v_lshl_add_u32 v4, v4, 23, v7
	v_or3_b32 v3, v6, v4, v3
.LBB1_1760:
	s_or_b64 exec, exec, s[6:7]
	s_nop 0
	v_mfma_f32_16x16x4f32 a[0:3], v2, v3, a[0:3]
	s_movk_i32 s4, 0x7f
	v_cmp_gt_i16_sdwa s[6:7], v9, s4 src0_sel:BYTE_0 src1_sel:DWORD
	s_mov_b64 s[4:5], 0
                                        ; implicit-def: $sgpr10
	s_and_saveexec_b64 s[8:9], s[6:7]
	s_xor_b64 s[6:7], exec, s[8:9]
	s_cbranch_execnz .LBB1_3809
; %bb.1761:
	s_or_saveexec_b64 s[6:7], s[6:7]
	v_mov_b32_e32 v2, s10
	s_xor_b64 exec, exec, s[6:7]
	s_cbranch_execnz .LBB1_3812
.LBB1_1762:
	s_or_b64 exec, exec, s[6:7]
	s_and_saveexec_b64 s[6:7], s[4:5]
	s_cbranch_execz .LBB1_1764
.LBB1_1763:
	v_mov_b32_e32 v2, 8
	v_and_b32_e32 v3, 7, v9
	v_lshrrev_b32_sdwa v2, v2, v9 dst_sel:BYTE_1 dst_unused:UNUSED_PAD src0_sel:DWORD src1_sel:DWORD
	v_ffbh_u32_e32 v4, v3
	v_or_b32_sdwa v2, v9, v2 dst_sel:DWORD dst_unused:UNUSED_PAD src0_sel:BYTE_0 src1_sel:DWORD
	v_min_u32_e32 v4, 32, v4
	v_lshrrev_b16_e32 v2, 3, v2
	v_subrev_u32_e32 v6, 28, v4
	v_and_b32_e32 v2, 15, v2
	v_lshlrev_b32_e32 v6, v6, v9
	v_sub_u32_e32 v4, 29, v4
	v_and_b32_e32 v6, 7, v6
	v_cmp_eq_u16_e32 vcc, 0, v2
	v_cndmask_b32_e32 v3, v3, v6, vcc
	v_cndmask_b32_e32 v2, v2, v4, vcc
	v_lshlrev_b32_e32 v4, 24, v9
	v_mov_b32_e32 v6, 0x3b800000
	v_lshlrev_b32_e32 v3, 20, v3
	v_and_b32_e32 v4, 0x80000000, v4
	v_lshl_add_u32 v2, v2, 23, v6
	v_or3_b32 v2, v4, v2, v3
.LBB1_1764:
	s_or_b64 exec, exec, s[6:7]
	s_movk_i32 s4, 0x7f
	v_cmp_gt_i16_sdwa s[6:7], v5, s4 src0_sel:BYTE_0 src1_sel:DWORD
	s_mov_b64 s[4:5], 0
                                        ; implicit-def: $sgpr10
	s_and_saveexec_b64 s[8:9], s[6:7]
	s_xor_b64 s[6:7], exec, s[8:9]
	s_cbranch_execnz .LBB1_3813
; %bb.1765:
	s_or_saveexec_b64 s[6:7], s[6:7]
	v_mov_b32_e32 v3, s10
	s_xor_b64 exec, exec, s[6:7]
	s_cbranch_execnz .LBB1_3816
.LBB1_1766:
	s_or_b64 exec, exec, s[6:7]
	s_and_saveexec_b64 s[6:7], s[4:5]
	s_cbranch_execz .LBB1_1768
.LBB1_1767:
	v_mov_b32_e32 v3, 8
	v_and_b32_e32 v4, 7, v5
	v_lshrrev_b32_sdwa v3, v3, v5 dst_sel:BYTE_1 dst_unused:UNUSED_PAD src0_sel:DWORD src1_sel:DWORD
	v_ffbh_u32_e32 v6, v4
	v_or_b32_sdwa v3, v5, v3 dst_sel:DWORD dst_unused:UNUSED_PAD src0_sel:BYTE_0 src1_sel:DWORD
	v_min_u32_e32 v6, 32, v6
	v_lshrrev_b16_e32 v3, 3, v3
	v_subrev_u32_e32 v7, 28, v6
	v_and_b32_e32 v3, 15, v3
	v_lshlrev_b32_e32 v7, v7, v5
	v_sub_u32_e32 v6, 29, v6
	v_and_b32_e32 v7, 7, v7
	v_cmp_eq_u16_e32 vcc, 0, v3
	v_cndmask_b32_e32 v4, v4, v7, vcc
	v_cndmask_b32_e32 v3, v3, v6, vcc
	v_lshlrev_b32_e32 v6, 24, v5
	v_mov_b32_e32 v7, 0x3b800000
	v_lshlrev_b32_e32 v4, 20, v4
	v_and_b32_e32 v6, 0x80000000, v6
	v_lshl_add_u32 v3, v3, 23, v7
	v_or3_b32 v3, v6, v3, v4
.LBB1_1768:
	s_or_b64 exec, exec, s[6:7]
	s_nop 0
	v_mfma_f32_16x16x4f32 a[0:3], v2, v3, a[0:3]
	v_lshrrev_b32_e32 v3, 8, v9
	s_movk_i32 s4, 0x7f
	v_cmp_gt_i16_sdwa s[6:7], v3, s4 src0_sel:BYTE_0 src1_sel:DWORD
	s_mov_b64 s[4:5], 0
                                        ; implicit-def: $sgpr10
	s_and_saveexec_b64 s[8:9], s[6:7]
	s_xor_b64 s[6:7], exec, s[8:9]
	s_cbranch_execnz .LBB1_3817
; %bb.1769:
	s_or_saveexec_b64 s[6:7], s[6:7]
	v_mov_b32_e32 v2, s10
	s_xor_b64 exec, exec, s[6:7]
	s_cbranch_execnz .LBB1_3820
.LBB1_1770:
	s_or_b64 exec, exec, s[6:7]
	s_and_saveexec_b64 s[6:7], s[4:5]
	s_cbranch_execz .LBB1_1772
.LBB1_1771:
	v_bfe_u32 v2, v9, 8, 3
	v_ffbh_u32_e32 v6, v2
	v_min_u32_e32 v6, 32, v6
	v_lshrrev_b16_e32 v4, 3, v3
	v_subrev_u32_e32 v7, 28, v6
	v_and_b32_e32 v4, 15, v4
	v_lshlrev_b32_e32 v3, v7, v3
	v_sub_u32_e32 v6, 29, v6
	v_and_b32_e32 v3, 7, v3
	v_cmp_eq_u16_e32 vcc, 0, v4
	v_cndmask_b32_e32 v2, v2, v3, vcc
	v_cndmask_b32_e32 v3, v4, v6, vcc
	v_lshlrev_b32_e32 v4, 16, v9
	v_mov_b32_e32 v6, 0x3b800000
	v_lshlrev_b32_e32 v2, 20, v2
	v_and_b32_e32 v4, 0x80000000, v4
	v_lshl_add_u32 v3, v3, 23, v6
	v_or3_b32 v2, v4, v3, v2
.LBB1_1772:
	s_or_b64 exec, exec, s[6:7]
	v_lshrrev_b32_e32 v3, 8, v5
	s_movk_i32 s4, 0x7f
	v_cmp_gt_i16_sdwa s[6:7], v3, s4 src0_sel:BYTE_0 src1_sel:DWORD
	s_mov_b64 s[4:5], 0
                                        ; implicit-def: $sgpr10
	s_and_saveexec_b64 s[8:9], s[6:7]
	s_xor_b64 s[6:7], exec, s[8:9]
	s_cbranch_execnz .LBB1_3821
; %bb.1773:
	s_or_saveexec_b64 s[6:7], s[6:7]
	v_mov_b32_e32 v4, s10
	s_xor_b64 exec, exec, s[6:7]
	s_cbranch_execnz .LBB1_3824
.LBB1_1774:
	s_or_b64 exec, exec, s[6:7]
	s_and_saveexec_b64 s[6:7], s[4:5]
	s_cbranch_execz .LBB1_1776
.LBB1_1775:
	v_bfe_u32 v4, v5, 8, 3
	v_ffbh_u32_e32 v7, v4
	v_min_u32_e32 v7, 32, v7
	v_lshrrev_b16_e32 v6, 3, v3
	v_subrev_u32_e32 v8, 28, v7
	v_and_b32_e32 v6, 15, v6
	v_lshlrev_b32_e32 v3, v8, v3
	v_sub_u32_e32 v7, 29, v7
	v_and_b32_e32 v3, 7, v3
	v_cmp_eq_u16_e32 vcc, 0, v6
	v_cndmask_b32_e32 v3, v4, v3, vcc
	v_cndmask_b32_e32 v4, v6, v7, vcc
	v_lshlrev_b32_e32 v6, 16, v5
	v_mov_b32_e32 v7, 0x3b800000
	v_lshlrev_b32_e32 v3, 20, v3
	v_and_b32_e32 v6, 0x80000000, v6
	v_lshl_add_u32 v4, v4, 23, v7
	v_or3_b32 v4, v6, v4, v3
.LBB1_1776:
	s_or_b64 exec, exec, s[6:7]
	s_nop 0
	v_mfma_f32_16x16x4f32 a[0:3], v2, v4, a[0:3]
	s_movk_i32 s4, 0xff
	v_and_b32_sdwa v3, v9, s4 dst_sel:DWORD dst_unused:UNUSED_PAD src0_sel:WORD_1 src1_sel:DWORD
	s_movk_i32 s4, 0x7f
	v_cmp_lt_i16_e32 vcc, s4, v3
	s_mov_b64 s[4:5], 0
                                        ; implicit-def: $sgpr10
	s_and_saveexec_b64 s[6:7], vcc
	s_xor_b64 s[6:7], exec, s[6:7]
	s_cbranch_execnz .LBB1_3825
; %bb.1777:
	s_or_saveexec_b64 s[6:7], s[6:7]
	v_mov_b32_e32 v2, s10
	s_xor_b64 exec, exec, s[6:7]
	s_cbranch_execnz .LBB1_3828
.LBB1_1778:
	s_or_b64 exec, exec, s[6:7]
	s_and_saveexec_b64 s[6:7], s[4:5]
	s_cbranch_execz .LBB1_1780
.LBB1_1779:
	v_bfe_u32 v2, v9, 16, 3
	v_ffbh_u32_e32 v6, v2
	v_min_u32_e32 v6, 32, v6
	v_lshrrev_b32_e32 v3, 19, v9
	v_subrev_u32_e32 v7, 28, v6
	v_and_b32_e32 v3, 15, v3
	v_lshlrev_b32_sdwa v7, v7, v9 dst_sel:DWORD dst_unused:UNUSED_PAD src0_sel:DWORD src1_sel:WORD_1
	v_bfe_u32 v4, v9, 19, 4
	v_sub_u32_e32 v6, 29, v6
	v_and_b32_e32 v7, 7, v7
	v_cmp_eq_u16_e32 vcc, 0, v3
	v_cndmask_b32_e32 v2, v2, v7, vcc
	v_cndmask_b32_e32 v3, v4, v6, vcc
	v_lshlrev_b32_e32 v4, 8, v9
	v_mov_b32_e32 v6, 0x3b800000
	v_lshlrev_b32_e32 v2, 20, v2
	v_and_b32_e32 v4, 0x80000000, v4
	v_lshl_add_u32 v3, v3, 23, v6
	v_or3_b32 v2, v4, v3, v2
.LBB1_1780:
	s_or_b64 exec, exec, s[6:7]
	s_movk_i32 s4, 0xff
	v_and_b32_sdwa v3, v5, s4 dst_sel:DWORD dst_unused:UNUSED_PAD src0_sel:WORD_1 src1_sel:DWORD
	s_movk_i32 s4, 0x7f
	v_cmp_lt_i16_e32 vcc, s4, v3
	s_mov_b64 s[4:5], 0
                                        ; implicit-def: $sgpr10
	s_and_saveexec_b64 s[6:7], vcc
	s_xor_b64 s[6:7], exec, s[6:7]
	s_cbranch_execnz .LBB1_3829
; %bb.1781:
	s_or_saveexec_b64 s[6:7], s[6:7]
	v_mov_b32_e32 v4, s10
	s_xor_b64 exec, exec, s[6:7]
	s_cbranch_execnz .LBB1_3832
.LBB1_1782:
	s_or_b64 exec, exec, s[6:7]
	s_and_saveexec_b64 s[6:7], s[4:5]
	s_cbranch_execz .LBB1_1784
.LBB1_1783:
	v_bfe_u32 v3, v5, 16, 3
	v_ffbh_u32_e32 v7, v3
	v_min_u32_e32 v7, 32, v7
	v_lshrrev_b32_e32 v4, 19, v5
	v_subrev_u32_e32 v8, 28, v7
	v_and_b32_e32 v4, 15, v4
	v_lshlrev_b32_sdwa v8, v8, v5 dst_sel:DWORD dst_unused:UNUSED_PAD src0_sel:DWORD src1_sel:WORD_1
	v_bfe_u32 v6, v5, 19, 4
	v_sub_u32_e32 v7, 29, v7
	v_and_b32_e32 v8, 7, v8
	v_cmp_eq_u16_e32 vcc, 0, v4
	v_cndmask_b32_e32 v3, v3, v8, vcc
	v_cndmask_b32_e32 v4, v6, v7, vcc
	v_lshlrev_b32_e32 v6, 8, v5
	v_mov_b32_e32 v7, 0x3b800000
	v_lshlrev_b32_e32 v3, 20, v3
	v_and_b32_e32 v6, 0x80000000, v6
	v_lshl_add_u32 v4, v4, 23, v7
	v_or3_b32 v4, v6, v4, v3
.LBB1_1784:
	s_or_b64 exec, exec, s[6:7]
	s_nop 0
	v_mfma_f32_16x16x4f32 a[0:3], v2, v4, a[0:3]
	s_movk_i32 s4, 0x7f
	v_cmp_gt_i16_sdwa s[6:7], v9, s4 src0_sel:BYTE_3 src1_sel:DWORD
	s_mov_b64 s[4:5], 0
                                        ; implicit-def: $sgpr10
	s_and_saveexec_b64 s[8:9], s[6:7]
	s_xor_b64 s[6:7], exec, s[8:9]
	s_cbranch_execnz .LBB1_3833
; %bb.1785:
	s_or_saveexec_b64 s[6:7], s[6:7]
	v_mov_b32_e32 v2, s10
	s_xor_b64 exec, exec, s[6:7]
	s_cbranch_execnz .LBB1_3836
.LBB1_1786:
	s_or_b64 exec, exec, s[6:7]
	s_and_saveexec_b64 s[6:7], s[4:5]
	s_cbranch_execz .LBB1_1788
.LBB1_1787:
	v_bfe_u32 v2, v9, 24, 3
	v_ffbh_u32_e32 v7, v2
	v_min_u32_e32 v7, 32, v7
	v_lshrrev_b32_e32 v4, 27, v9
	v_subrev_u32_e32 v8, 28, v7
	v_and_b32_e32 v4, 15, v4
	v_lshlrev_b32_sdwa v8, v8, v9 dst_sel:DWORD dst_unused:UNUSED_PAD src0_sel:DWORD src1_sel:BYTE_3
	v_bfe_u32 v6, v9, 27, 4
	v_sub_u32_e32 v7, 29, v7
	v_and_b32_e32 v8, 7, v8
	v_cmp_eq_u16_e32 vcc, 0, v4
	v_cndmask_b32_e32 v2, v2, v8, vcc
	v_cndmask_b32_e32 v4, v6, v7, vcc
	v_mov_b32_e32 v6, 0x3b800000
	v_and_b32_e32 v3, 0x80000000, v9
	v_lshlrev_b32_e32 v2, 20, v2
	v_lshl_add_u32 v4, v4, 23, v6
	v_or3_b32 v2, v3, v4, v2
.LBB1_1788:
	s_or_b64 exec, exec, s[6:7]
	s_movk_i32 s4, 0x7f
	v_cmp_gt_i16_sdwa s[6:7], v5, s4 src0_sel:BYTE_3 src1_sel:DWORD
	s_mov_b64 s[4:5], 0
                                        ; implicit-def: $sgpr10
	s_and_saveexec_b64 s[8:9], s[6:7]
	s_xor_b64 s[6:7], exec, s[8:9]
	s_cbranch_execnz .LBB1_3837
; %bb.1789:
	s_or_saveexec_b64 s[6:7], s[6:7]
	v_mov_b32_e32 v3, s10
	s_xor_b64 exec, exec, s[6:7]
	s_cbranch_execnz .LBB1_3840
.LBB1_1790:
	s_or_b64 exec, exec, s[6:7]
	s_and_saveexec_b64 s[6:7], s[4:5]
	s_cbranch_execz .LBB1_1792
.LBB1_1791:
	v_bfe_u32 v3, v5, 24, 3
	v_ffbh_u32_e32 v8, v3
	v_min_u32_e32 v8, 32, v8
	v_lshrrev_b32_e32 v6, 27, v5
	v_subrev_u32_e32 v9, 28, v8
	v_and_b32_e32 v4, 0x80000000, v5
	v_and_b32_e32 v6, 15, v6
	v_bfe_u32 v7, v5, 27, 4
	v_lshlrev_b32_sdwa v5, v9, v5 dst_sel:DWORD dst_unused:UNUSED_PAD src0_sel:DWORD src1_sel:BYTE_3
	v_sub_u32_e32 v8, 29, v8
	v_and_b32_e32 v5, 7, v5
	v_cmp_eq_u16_e32 vcc, 0, v6
	v_cndmask_b32_e32 v3, v3, v5, vcc
	v_cndmask_b32_e32 v5, v7, v8, vcc
	v_mov_b32_e32 v6, 0x3b800000
	v_lshlrev_b32_e32 v3, 20, v3
	v_lshl_add_u32 v5, v5, 23, v6
	v_or3_b32 v3, v4, v5, v3
.LBB1_1792:
	s_or_b64 exec, exec, s[6:7]
	s_nop 0
	v_mfma_f32_16x16x4f32 a[0:3], v2, v3, a[0:3]
	s_movk_i32 s4, 0x7f
                                        ; implicit-def: $sgpr10
	s_nop 7
	s_nop 1
	flat_store_dwordx4 v[10:11], a[0:3] offset:208
	flat_load_dwordx4 v[12:15], v[0:1] offset:8
	s_nop 0
	flat_load_dwordx2 v[10:11], v[0:1] offset:32
	s_waitcnt vmcnt(0) lgkmcnt(0)
	flat_load_dwordx4 v[6:9], v[12:13] offset:96
	flat_load_dwordx4 v[2:5], v[14:15] offset:64
	s_waitcnt vmcnt(0) lgkmcnt(0)
	v_cmp_gt_i16_sdwa s[6:7], v6, s4 src0_sel:BYTE_0 src1_sel:DWORD
	s_mov_b64 s[4:5], 0
	s_and_saveexec_b64 s[8:9], s[6:7]
	s_xor_b64 s[6:7], exec, s[8:9]
	s_cbranch_execnz .LBB1_3841
; %bb.1793:
	s_or_saveexec_b64 s[6:7], s[6:7]
	v_mov_b32_e32 v12, s10
	s_xor_b64 exec, exec, s[6:7]
	s_cbranch_execnz .LBB1_3844
.LBB1_1794:
	s_or_b64 exec, exec, s[6:7]
	s_and_saveexec_b64 s[6:7], s[4:5]
	s_cbranch_execz .LBB1_1796
.LBB1_1795:
	v_and_b32_e32 v12, 7, v6
	v_ffbh_u32_e32 v14, v12
	v_min_u32_e32 v14, 32, v14
	v_lshrrev_b16_e32 v13, 3, v6
	v_subrev_u32_e32 v15, 28, v14
	v_and_b32_e32 v13, 15, v13
	v_lshlrev_b32_e32 v15, v15, v6
	v_sub_u32_e32 v14, 29, v14
	v_and_b32_e32 v15, 7, v15
	v_cmp_eq_u16_e32 vcc, 0, v13
	v_cndmask_b32_e32 v12, v12, v15, vcc
	v_cndmask_b32_e32 v13, v13, v14, vcc
	v_lshlrev_b32_e32 v14, 24, v6
	v_mov_b32_e32 v15, 0x3b800000
	v_lshlrev_b32_e32 v12, 20, v12
	v_and_b32_e32 v14, 0x80000000, v14
	v_lshl_add_u32 v13, v13, 23, v15
	v_or3_b32 v12, v14, v13, v12
.LBB1_1796:
	s_or_b64 exec, exec, s[6:7]
	s_movk_i32 s4, 0x7f
	v_cmp_gt_i16_sdwa s[6:7], v2, s4 src0_sel:BYTE_0 src1_sel:DWORD
	s_mov_b64 s[4:5], 0
                                        ; implicit-def: $sgpr10
	s_and_saveexec_b64 s[8:9], s[6:7]
	s_xor_b64 s[6:7], exec, s[8:9]
	s_cbranch_execnz .LBB1_3845
; %bb.1797:
	s_or_saveexec_b64 s[6:7], s[6:7]
	v_mov_b32_e32 v13, s10
	s_xor_b64 exec, exec, s[6:7]
	s_cbranch_execnz .LBB1_3848
.LBB1_1798:
	s_or_b64 exec, exec, s[6:7]
	s_and_saveexec_b64 s[6:7], s[4:5]
	s_cbranch_execz .LBB1_1800
.LBB1_1799:
	v_and_b32_e32 v13, 7, v2
	v_ffbh_u32_e32 v15, v13
	v_min_u32_e32 v15, 32, v15
	v_lshrrev_b16_e32 v14, 3, v2
	v_subrev_u32_e32 v16, 28, v15
	v_and_b32_e32 v14, 15, v14
	v_lshlrev_b32_e32 v16, v16, v2
	v_sub_u32_e32 v15, 29, v15
	v_and_b32_e32 v16, 7, v16
	v_cmp_eq_u16_e32 vcc, 0, v14
	v_cndmask_b32_e32 v13, v13, v16, vcc
	v_cndmask_b32_e32 v14, v14, v15, vcc
	v_lshlrev_b32_e32 v15, 24, v2
	v_mov_b32_e32 v16, 0x3b800000
	v_lshlrev_b32_e32 v13, 20, v13
	v_and_b32_e32 v15, 0x80000000, v15
	v_lshl_add_u32 v14, v14, 23, v16
	v_or3_b32 v13, v15, v14, v13
.LBB1_1800:
	s_or_b64 exec, exec, s[6:7]
	flat_load_dwordx4 a[0:3], v[10:11] offset:224
	s_movk_i32 s4, 0x7f
                                        ; implicit-def: $sgpr10
	s_waitcnt vmcnt(0) lgkmcnt(0)
	v_mfma_f32_16x16x4f32 a[0:3], v12, v13, a[0:3]
	v_lshrrev_b32_e32 v13, 8, v6
	v_cmp_gt_i16_sdwa s[6:7], v13, s4 src0_sel:BYTE_0 src1_sel:DWORD
	s_mov_b64 s[4:5], 0
	s_and_saveexec_b64 s[8:9], s[6:7]
	s_xor_b64 s[6:7], exec, s[8:9]
	s_cbranch_execnz .LBB1_3849
; %bb.1801:
	s_or_saveexec_b64 s[6:7], s[6:7]
	v_mov_b32_e32 v12, s10
	s_xor_b64 exec, exec, s[6:7]
	s_cbranch_execnz .LBB1_3852
.LBB1_1802:
	s_or_b64 exec, exec, s[6:7]
	s_and_saveexec_b64 s[6:7], s[4:5]
	s_cbranch_execz .LBB1_1804
.LBB1_1803:
	v_bfe_u32 v12, v6, 8, 3
	v_ffbh_u32_e32 v15, v12
	v_min_u32_e32 v15, 32, v15
	v_lshrrev_b16_e32 v14, 3, v13
	v_subrev_u32_e32 v16, 28, v15
	v_and_b32_e32 v14, 15, v14
	v_lshlrev_b32_e32 v13, v16, v13
	v_sub_u32_e32 v15, 29, v15
	v_and_b32_e32 v13, 7, v13
	v_cmp_eq_u16_e32 vcc, 0, v14
	v_cndmask_b32_e32 v12, v12, v13, vcc
	v_cndmask_b32_e32 v13, v14, v15, vcc
	v_lshlrev_b32_e32 v14, 16, v6
	v_mov_b32_e32 v15, 0x3b800000
	v_lshlrev_b32_e32 v12, 20, v12
	v_and_b32_e32 v14, 0x80000000, v14
	v_lshl_add_u32 v13, v13, 23, v15
	v_or3_b32 v12, v14, v13, v12
.LBB1_1804:
	s_or_b64 exec, exec, s[6:7]
	v_lshrrev_b32_e32 v13, 8, v2
	s_movk_i32 s4, 0x7f
	v_cmp_gt_i16_sdwa s[6:7], v13, s4 src0_sel:BYTE_0 src1_sel:DWORD
	s_mov_b64 s[4:5], 0
                                        ; implicit-def: $sgpr10
	s_and_saveexec_b64 s[8:9], s[6:7]
	s_xor_b64 s[6:7], exec, s[8:9]
	s_cbranch_execnz .LBB1_3853
; %bb.1805:
	s_or_saveexec_b64 s[6:7], s[6:7]
	v_mov_b32_e32 v14, s10
	s_xor_b64 exec, exec, s[6:7]
	s_cbranch_execnz .LBB1_3856
.LBB1_1806:
	s_or_b64 exec, exec, s[6:7]
	s_and_saveexec_b64 s[6:7], s[4:5]
	s_cbranch_execz .LBB1_1808
.LBB1_1807:
	v_bfe_u32 v14, v2, 8, 3
	v_ffbh_u32_e32 v16, v14
	v_min_u32_e32 v16, 32, v16
	v_lshrrev_b16_e32 v15, 3, v13
	v_subrev_u32_e32 v17, 28, v16
	v_and_b32_e32 v15, 15, v15
	v_lshlrev_b32_e32 v13, v17, v13
	v_sub_u32_e32 v16, 29, v16
	v_and_b32_e32 v13, 7, v13
	v_cmp_eq_u16_e32 vcc, 0, v15
	v_cndmask_b32_e32 v13, v14, v13, vcc
	v_cndmask_b32_e32 v14, v15, v16, vcc
	v_lshlrev_b32_e32 v15, 16, v2
	v_mov_b32_e32 v16, 0x3b800000
	v_lshlrev_b32_e32 v13, 20, v13
	v_and_b32_e32 v15, 0x80000000, v15
	v_lshl_add_u32 v14, v14, 23, v16
	v_or3_b32 v14, v15, v14, v13
.LBB1_1808:
	s_or_b64 exec, exec, s[6:7]
	s_nop 0
	v_mfma_f32_16x16x4f32 a[0:3], v12, v14, a[0:3]
	s_movk_i32 s4, 0xff
	v_and_b32_sdwa v13, v6, s4 dst_sel:DWORD dst_unused:UNUSED_PAD src0_sel:WORD_1 src1_sel:DWORD
	s_movk_i32 s4, 0x7f
	v_cmp_lt_i16_e32 vcc, s4, v13
	s_mov_b64 s[4:5], 0
                                        ; implicit-def: $sgpr10
	s_and_saveexec_b64 s[6:7], vcc
	s_xor_b64 s[6:7], exec, s[6:7]
	s_cbranch_execnz .LBB1_3857
; %bb.1809:
	s_or_saveexec_b64 s[6:7], s[6:7]
	v_mov_b32_e32 v12, s10
	s_xor_b64 exec, exec, s[6:7]
	s_cbranch_execnz .LBB1_3860
.LBB1_1810:
	s_or_b64 exec, exec, s[6:7]
	s_and_saveexec_b64 s[6:7], s[4:5]
	s_cbranch_execz .LBB1_1812
.LBB1_1811:
	v_bfe_u32 v12, v6, 16, 3
	v_ffbh_u32_e32 v15, v12
	v_min_u32_e32 v15, 32, v15
	v_lshrrev_b32_e32 v13, 19, v6
	v_subrev_u32_e32 v16, 28, v15
	v_and_b32_e32 v13, 15, v13
	v_lshlrev_b32_sdwa v16, v16, v6 dst_sel:DWORD dst_unused:UNUSED_PAD src0_sel:DWORD src1_sel:WORD_1
	v_bfe_u32 v14, v6, 19, 4
	v_sub_u32_e32 v15, 29, v15
	v_and_b32_e32 v16, 7, v16
	v_cmp_eq_u16_e32 vcc, 0, v13
	v_cndmask_b32_e32 v12, v12, v16, vcc
	v_cndmask_b32_e32 v13, v14, v15, vcc
	v_lshlrev_b32_e32 v14, 8, v6
	v_mov_b32_e32 v15, 0x3b800000
	v_lshlrev_b32_e32 v12, 20, v12
	v_and_b32_e32 v14, 0x80000000, v14
	v_lshl_add_u32 v13, v13, 23, v15
	v_or3_b32 v12, v14, v13, v12
.LBB1_1812:
	s_or_b64 exec, exec, s[6:7]
	s_movk_i32 s4, 0xff
	v_and_b32_sdwa v13, v2, s4 dst_sel:DWORD dst_unused:UNUSED_PAD src0_sel:WORD_1 src1_sel:DWORD
	s_movk_i32 s4, 0x7f
	v_cmp_lt_i16_e32 vcc, s4, v13
	s_mov_b64 s[4:5], 0
                                        ; implicit-def: $sgpr10
	s_and_saveexec_b64 s[6:7], vcc
	s_xor_b64 s[6:7], exec, s[6:7]
	s_cbranch_execnz .LBB1_3861
; %bb.1813:
	s_or_saveexec_b64 s[6:7], s[6:7]
	v_mov_b32_e32 v14, s10
	s_xor_b64 exec, exec, s[6:7]
	s_cbranch_execnz .LBB1_3864
.LBB1_1814:
	s_or_b64 exec, exec, s[6:7]
	s_and_saveexec_b64 s[6:7], s[4:5]
	s_cbranch_execz .LBB1_1816
.LBB1_1815:
	v_bfe_u32 v13, v2, 16, 3
	v_ffbh_u32_e32 v16, v13
	v_min_u32_e32 v16, 32, v16
	v_lshrrev_b32_e32 v14, 19, v2
	v_subrev_u32_e32 v17, 28, v16
	v_and_b32_e32 v14, 15, v14
	v_lshlrev_b32_sdwa v17, v17, v2 dst_sel:DWORD dst_unused:UNUSED_PAD src0_sel:DWORD src1_sel:WORD_1
	v_bfe_u32 v15, v2, 19, 4
	v_sub_u32_e32 v16, 29, v16
	v_and_b32_e32 v17, 7, v17
	v_cmp_eq_u16_e32 vcc, 0, v14
	v_cndmask_b32_e32 v13, v13, v17, vcc
	v_cndmask_b32_e32 v14, v15, v16, vcc
	v_lshlrev_b32_e32 v15, 8, v2
	v_mov_b32_e32 v16, 0x3b800000
	v_lshlrev_b32_e32 v13, 20, v13
	v_and_b32_e32 v15, 0x80000000, v15
	v_lshl_add_u32 v14, v14, 23, v16
	v_or3_b32 v14, v15, v14, v13
.LBB1_1816:
	s_or_b64 exec, exec, s[6:7]
	s_nop 0
	v_mfma_f32_16x16x4f32 a[0:3], v12, v14, a[0:3]
	s_movk_i32 s4, 0x7f
	v_cmp_gt_i16_sdwa s[6:7], v6, s4 src0_sel:BYTE_3 src1_sel:DWORD
	s_mov_b64 s[4:5], 0
                                        ; implicit-def: $sgpr10
	s_and_saveexec_b64 s[8:9], s[6:7]
	s_xor_b64 s[6:7], exec, s[8:9]
	s_cbranch_execnz .LBB1_3865
; %bb.1817:
	s_or_saveexec_b64 s[6:7], s[6:7]
	v_mov_b32_e32 v12, s10
	s_xor_b64 exec, exec, s[6:7]
	s_cbranch_execnz .LBB1_3868
.LBB1_1818:
	s_or_b64 exec, exec, s[6:7]
	s_and_saveexec_b64 s[6:7], s[4:5]
	s_cbranch_execz .LBB1_1820
.LBB1_1819:
	v_bfe_u32 v12, v6, 24, 3
	v_ffbh_u32_e32 v16, v12
	v_min_u32_e32 v16, 32, v16
	v_lshrrev_b32_e32 v14, 27, v6
	v_subrev_u32_e32 v17, 28, v16
	v_and_b32_e32 v13, 0x80000000, v6
	v_and_b32_e32 v14, 15, v14
	v_bfe_u32 v15, v6, 27, 4
	v_lshlrev_b32_sdwa v6, v17, v6 dst_sel:DWORD dst_unused:UNUSED_PAD src0_sel:DWORD src1_sel:BYTE_3
	v_sub_u32_e32 v16, 29, v16
	v_and_b32_e32 v6, 7, v6
	v_cmp_eq_u16_e32 vcc, 0, v14
	v_cndmask_b32_e32 v6, v12, v6, vcc
	v_cndmask_b32_e32 v12, v15, v16, vcc
	v_mov_b32_e32 v14, 0x3b800000
	v_lshlrev_b32_e32 v6, 20, v6
	v_lshl_add_u32 v12, v12, 23, v14
	v_or3_b32 v12, v13, v12, v6
.LBB1_1820:
	s_or_b64 exec, exec, s[6:7]
	s_movk_i32 s4, 0x7f
	v_cmp_gt_i16_sdwa s[6:7], v2, s4 src0_sel:BYTE_3 src1_sel:DWORD
	s_mov_b64 s[4:5], 0
                                        ; implicit-def: $sgpr10
	s_and_saveexec_b64 s[8:9], s[6:7]
	s_xor_b64 s[6:7], exec, s[8:9]
	s_cbranch_execnz .LBB1_3869
; %bb.1821:
	s_or_saveexec_b64 s[6:7], s[6:7]
	v_mov_b32_e32 v6, s10
	s_xor_b64 exec, exec, s[6:7]
	s_cbranch_execnz .LBB1_3872
.LBB1_1822:
	s_or_b64 exec, exec, s[6:7]
	s_and_saveexec_b64 s[6:7], s[4:5]
	s_cbranch_execz .LBB1_1824
.LBB1_1823:
	v_bfe_u32 v6, v2, 24, 3
	v_ffbh_u32_e32 v16, v6
	v_min_u32_e32 v16, 32, v16
	v_lshrrev_b32_e32 v14, 27, v2
	v_subrev_u32_e32 v17, 28, v16
	v_and_b32_e32 v13, 0x80000000, v2
	v_and_b32_e32 v14, 15, v14
	v_bfe_u32 v15, v2, 27, 4
	v_lshlrev_b32_sdwa v2, v17, v2 dst_sel:DWORD dst_unused:UNUSED_PAD src0_sel:DWORD src1_sel:BYTE_3
	v_sub_u32_e32 v16, 29, v16
	v_and_b32_e32 v2, 7, v2
	v_cmp_eq_u16_e32 vcc, 0, v14
	v_cndmask_b32_e32 v2, v6, v2, vcc
	v_cndmask_b32_e32 v6, v15, v16, vcc
	v_mov_b32_e32 v14, 0x3b800000
	v_lshlrev_b32_e32 v2, 20, v2
	v_lshl_add_u32 v6, v6, 23, v14
	v_or3_b32 v6, v13, v6, v2
.LBB1_1824:
	s_or_b64 exec, exec, s[6:7]
	s_nop 0
	v_mfma_f32_16x16x4f32 a[0:3], v12, v6, a[0:3]
	s_movk_i32 s4, 0x7f
	v_cmp_gt_i16_sdwa s[6:7], v7, s4 src0_sel:BYTE_0 src1_sel:DWORD
	s_mov_b64 s[4:5], 0
                                        ; implicit-def: $sgpr10
	s_and_saveexec_b64 s[8:9], s[6:7]
	s_xor_b64 s[6:7], exec, s[8:9]
	s_cbranch_execnz .LBB1_3873
; %bb.1825:
	s_or_saveexec_b64 s[6:7], s[6:7]
	v_mov_b32_e32 v2, s10
	s_xor_b64 exec, exec, s[6:7]
	s_cbranch_execnz .LBB1_3876
.LBB1_1826:
	s_or_b64 exec, exec, s[6:7]
	s_and_saveexec_b64 s[6:7], s[4:5]
	s_cbranch_execz .LBB1_1828
.LBB1_1827:
	v_and_b32_e32 v2, 7, v7
	v_ffbh_u32_e32 v12, v2
	v_min_u32_e32 v12, 32, v12
	v_lshrrev_b16_e32 v6, 3, v7
	v_subrev_u32_e32 v13, 28, v12
	v_and_b32_e32 v6, 15, v6
	v_lshlrev_b32_e32 v13, v13, v7
	v_sub_u32_e32 v12, 29, v12
	v_and_b32_e32 v13, 7, v13
	v_cmp_eq_u16_e32 vcc, 0, v6
	v_cndmask_b32_e32 v2, v2, v13, vcc
	v_cndmask_b32_e32 v6, v6, v12, vcc
	v_lshlrev_b32_e32 v12, 24, v7
	v_mov_b32_e32 v13, 0x3b800000
	v_lshlrev_b32_e32 v2, 20, v2
	v_and_b32_e32 v12, 0x80000000, v12
	v_lshl_add_u32 v6, v6, 23, v13
	v_or3_b32 v2, v12, v6, v2
.LBB1_1828:
	s_or_b64 exec, exec, s[6:7]
	s_movk_i32 s4, 0x7f
	v_cmp_gt_i16_sdwa s[6:7], v3, s4 src0_sel:BYTE_0 src1_sel:DWORD
	s_mov_b64 s[4:5], 0
                                        ; implicit-def: $sgpr10
	s_and_saveexec_b64 s[8:9], s[6:7]
	s_xor_b64 s[6:7], exec, s[8:9]
	s_cbranch_execnz .LBB1_3877
; %bb.1829:
	s_or_saveexec_b64 s[6:7], s[6:7]
	v_mov_b32_e32 v6, s10
	s_xor_b64 exec, exec, s[6:7]
	s_cbranch_execnz .LBB1_3880
.LBB1_1830:
	s_or_b64 exec, exec, s[6:7]
	s_and_saveexec_b64 s[6:7], s[4:5]
	s_cbranch_execz .LBB1_1832
.LBB1_1831:
	v_and_b32_e32 v6, 7, v3
	v_ffbh_u32_e32 v13, v6
	v_min_u32_e32 v13, 32, v13
	v_lshrrev_b16_e32 v12, 3, v3
	v_subrev_u32_e32 v14, 28, v13
	v_and_b32_e32 v12, 15, v12
	v_lshlrev_b32_e32 v14, v14, v3
	v_sub_u32_e32 v13, 29, v13
	v_and_b32_e32 v14, 7, v14
	v_cmp_eq_u16_e32 vcc, 0, v12
	v_cndmask_b32_e32 v6, v6, v14, vcc
	v_cndmask_b32_e32 v12, v12, v13, vcc
	v_lshlrev_b32_e32 v13, 24, v3
	v_mov_b32_e32 v14, 0x3b800000
	v_lshlrev_b32_e32 v6, 20, v6
	v_and_b32_e32 v13, 0x80000000, v13
	v_lshl_add_u32 v12, v12, 23, v14
	v_or3_b32 v6, v13, v12, v6
.LBB1_1832:
	s_or_b64 exec, exec, s[6:7]
	s_nop 0
	v_mfma_f32_16x16x4f32 a[0:3], v2, v6, a[0:3]
	v_lshrrev_b32_e32 v6, 8, v7
	s_movk_i32 s4, 0x7f
	v_cmp_gt_i16_sdwa s[6:7], v6, s4 src0_sel:BYTE_0 src1_sel:DWORD
	s_mov_b64 s[4:5], 0
                                        ; implicit-def: $sgpr10
	s_and_saveexec_b64 s[8:9], s[6:7]
	s_xor_b64 s[6:7], exec, s[8:9]
	s_cbranch_execnz .LBB1_3881
; %bb.1833:
	s_or_saveexec_b64 s[6:7], s[6:7]
	v_mov_b32_e32 v2, s10
	s_xor_b64 exec, exec, s[6:7]
	s_cbranch_execnz .LBB1_3884
.LBB1_1834:
	s_or_b64 exec, exec, s[6:7]
	s_and_saveexec_b64 s[6:7], s[4:5]
	s_cbranch_execz .LBB1_1836
.LBB1_1835:
	v_bfe_u32 v2, v7, 8, 3
	v_ffbh_u32_e32 v13, v2
	v_min_u32_e32 v13, 32, v13
	v_lshrrev_b16_e32 v12, 3, v6
	v_subrev_u32_e32 v14, 28, v13
	v_and_b32_e32 v12, 15, v12
	v_lshlrev_b32_e32 v6, v14, v6
	v_sub_u32_e32 v13, 29, v13
	v_and_b32_e32 v6, 7, v6
	v_cmp_eq_u16_e32 vcc, 0, v12
	v_cndmask_b32_e32 v2, v2, v6, vcc
	v_cndmask_b32_e32 v6, v12, v13, vcc
	v_lshlrev_b32_e32 v12, 16, v7
	v_mov_b32_e32 v13, 0x3b800000
	v_lshlrev_b32_e32 v2, 20, v2
	v_and_b32_e32 v12, 0x80000000, v12
	v_lshl_add_u32 v6, v6, 23, v13
	v_or3_b32 v2, v12, v6, v2
.LBB1_1836:
	s_or_b64 exec, exec, s[6:7]
	v_lshrrev_b32_e32 v6, 8, v3
	s_movk_i32 s4, 0x7f
	v_cmp_gt_i16_sdwa s[6:7], v6, s4 src0_sel:BYTE_0 src1_sel:DWORD
	s_mov_b64 s[4:5], 0
                                        ; implicit-def: $sgpr10
	s_and_saveexec_b64 s[8:9], s[6:7]
	s_xor_b64 s[6:7], exec, s[8:9]
	s_cbranch_execnz .LBB1_3885
; %bb.1837:
	s_or_saveexec_b64 s[6:7], s[6:7]
	v_mov_b32_e32 v12, s10
	s_xor_b64 exec, exec, s[6:7]
	s_cbranch_execnz .LBB1_3888
.LBB1_1838:
	s_or_b64 exec, exec, s[6:7]
	s_and_saveexec_b64 s[6:7], s[4:5]
	s_cbranch_execz .LBB1_1840
.LBB1_1839:
	v_bfe_u32 v12, v3, 8, 3
	v_ffbh_u32_e32 v14, v12
	v_min_u32_e32 v14, 32, v14
	v_lshrrev_b16_e32 v13, 3, v6
	v_subrev_u32_e32 v15, 28, v14
	v_and_b32_e32 v13, 15, v13
	v_lshlrev_b32_e32 v6, v15, v6
	v_sub_u32_e32 v14, 29, v14
	v_and_b32_e32 v6, 7, v6
	v_cmp_eq_u16_e32 vcc, 0, v13
	v_cndmask_b32_e32 v6, v12, v6, vcc
	v_cndmask_b32_e32 v12, v13, v14, vcc
	v_lshlrev_b32_e32 v13, 16, v3
	v_mov_b32_e32 v14, 0x3b800000
	v_lshlrev_b32_e32 v6, 20, v6
	v_and_b32_e32 v13, 0x80000000, v13
	v_lshl_add_u32 v12, v12, 23, v14
	v_or3_b32 v12, v13, v12, v6
.LBB1_1840:
	s_or_b64 exec, exec, s[6:7]
	s_nop 0
	v_mfma_f32_16x16x4f32 a[0:3], v2, v12, a[0:3]
	s_movk_i32 s4, 0xff
	v_and_b32_sdwa v6, v7, s4 dst_sel:DWORD dst_unused:UNUSED_PAD src0_sel:WORD_1 src1_sel:DWORD
	s_movk_i32 s4, 0x7f
	v_cmp_lt_i16_e32 vcc, s4, v6
	s_mov_b64 s[4:5], 0
                                        ; implicit-def: $sgpr10
	s_and_saveexec_b64 s[6:7], vcc
	s_xor_b64 s[6:7], exec, s[6:7]
	s_cbranch_execnz .LBB1_3889
; %bb.1841:
	s_or_saveexec_b64 s[6:7], s[6:7]
	v_mov_b32_e32 v2, s10
	s_xor_b64 exec, exec, s[6:7]
	s_cbranch_execnz .LBB1_3892
.LBB1_1842:
	s_or_b64 exec, exec, s[6:7]
	s_and_saveexec_b64 s[6:7], s[4:5]
	s_cbranch_execz .LBB1_1844
.LBB1_1843:
	v_bfe_u32 v2, v7, 16, 3
	v_ffbh_u32_e32 v13, v2
	v_min_u32_e32 v13, 32, v13
	v_lshrrev_b32_e32 v6, 19, v7
	v_subrev_u32_e32 v14, 28, v13
	v_and_b32_e32 v6, 15, v6
	v_lshlrev_b32_sdwa v14, v14, v7 dst_sel:DWORD dst_unused:UNUSED_PAD src0_sel:DWORD src1_sel:WORD_1
	v_bfe_u32 v12, v7, 19, 4
	v_sub_u32_e32 v13, 29, v13
	v_and_b32_e32 v14, 7, v14
	v_cmp_eq_u16_e32 vcc, 0, v6
	v_cndmask_b32_e32 v2, v2, v14, vcc
	v_cndmask_b32_e32 v6, v12, v13, vcc
	v_lshlrev_b32_e32 v12, 8, v7
	v_mov_b32_e32 v13, 0x3b800000
	v_lshlrev_b32_e32 v2, 20, v2
	v_and_b32_e32 v12, 0x80000000, v12
	v_lshl_add_u32 v6, v6, 23, v13
	v_or3_b32 v2, v12, v6, v2
.LBB1_1844:
	s_or_b64 exec, exec, s[6:7]
	s_movk_i32 s4, 0xff
	v_and_b32_sdwa v6, v3, s4 dst_sel:DWORD dst_unused:UNUSED_PAD src0_sel:WORD_1 src1_sel:DWORD
	s_movk_i32 s4, 0x7f
	v_cmp_lt_i16_e32 vcc, s4, v6
	s_mov_b64 s[4:5], 0
                                        ; implicit-def: $sgpr10
	s_and_saveexec_b64 s[6:7], vcc
	s_xor_b64 s[6:7], exec, s[6:7]
	s_cbranch_execnz .LBB1_3893
; %bb.1845:
	s_or_saveexec_b64 s[6:7], s[6:7]
	v_mov_b32_e32 v12, s10
	s_xor_b64 exec, exec, s[6:7]
	s_cbranch_execnz .LBB1_3896
.LBB1_1846:
	s_or_b64 exec, exec, s[6:7]
	s_and_saveexec_b64 s[6:7], s[4:5]
	s_cbranch_execz .LBB1_1848
.LBB1_1847:
	v_bfe_u32 v6, v3, 16, 3
	v_ffbh_u32_e32 v14, v6
	v_min_u32_e32 v14, 32, v14
	v_lshrrev_b32_e32 v12, 19, v3
	v_subrev_u32_e32 v15, 28, v14
	v_and_b32_e32 v12, 15, v12
	v_lshlrev_b32_sdwa v15, v15, v3 dst_sel:DWORD dst_unused:UNUSED_PAD src0_sel:DWORD src1_sel:WORD_1
	v_bfe_u32 v13, v3, 19, 4
	v_sub_u32_e32 v14, 29, v14
	v_and_b32_e32 v15, 7, v15
	v_cmp_eq_u16_e32 vcc, 0, v12
	v_cndmask_b32_e32 v6, v6, v15, vcc
	v_cndmask_b32_e32 v12, v13, v14, vcc
	v_lshlrev_b32_e32 v13, 8, v3
	v_mov_b32_e32 v14, 0x3b800000
	v_lshlrev_b32_e32 v6, 20, v6
	v_and_b32_e32 v13, 0x80000000, v13
	v_lshl_add_u32 v12, v12, 23, v14
	v_or3_b32 v12, v13, v12, v6
.LBB1_1848:
	s_or_b64 exec, exec, s[6:7]
	s_nop 0
	v_mfma_f32_16x16x4f32 a[0:3], v2, v12, a[0:3]
	s_movk_i32 s4, 0x7f
	v_cmp_gt_i16_sdwa s[6:7], v7, s4 src0_sel:BYTE_3 src1_sel:DWORD
	s_mov_b64 s[4:5], 0
                                        ; implicit-def: $sgpr10
	s_and_saveexec_b64 s[8:9], s[6:7]
	s_xor_b64 s[6:7], exec, s[8:9]
	s_cbranch_execnz .LBB1_3897
; %bb.1849:
	s_or_saveexec_b64 s[6:7], s[6:7]
	v_mov_b32_e32 v2, s10
	s_xor_b64 exec, exec, s[6:7]
	s_cbranch_execnz .LBB1_3900
.LBB1_1850:
	s_or_b64 exec, exec, s[6:7]
	s_and_saveexec_b64 s[6:7], s[4:5]
	s_cbranch_execz .LBB1_1852
.LBB1_1851:
	v_bfe_u32 v2, v7, 24, 3
	v_ffbh_u32_e32 v14, v2
	v_min_u32_e32 v14, 32, v14
	v_lshrrev_b32_e32 v12, 27, v7
	v_subrev_u32_e32 v15, 28, v14
	v_and_b32_e32 v6, 0x80000000, v7
	v_and_b32_e32 v12, 15, v12
	v_bfe_u32 v13, v7, 27, 4
	v_lshlrev_b32_sdwa v7, v15, v7 dst_sel:DWORD dst_unused:UNUSED_PAD src0_sel:DWORD src1_sel:BYTE_3
	v_sub_u32_e32 v14, 29, v14
	v_and_b32_e32 v7, 7, v7
	v_cmp_eq_u16_e32 vcc, 0, v12
	v_cndmask_b32_e32 v2, v2, v7, vcc
	v_cndmask_b32_e32 v7, v13, v14, vcc
	v_mov_b32_e32 v12, 0x3b800000
	v_lshlrev_b32_e32 v2, 20, v2
	v_lshl_add_u32 v7, v7, 23, v12
	v_or3_b32 v2, v6, v7, v2
.LBB1_1852:
	s_or_b64 exec, exec, s[6:7]
	s_movk_i32 s4, 0x7f
	v_cmp_gt_i16_sdwa s[6:7], v3, s4 src0_sel:BYTE_3 src1_sel:DWORD
	s_mov_b64 s[4:5], 0
                                        ; implicit-def: $sgpr10
	s_and_saveexec_b64 s[8:9], s[6:7]
	s_xor_b64 s[6:7], exec, s[8:9]
	s_cbranch_execnz .LBB1_3901
; %bb.1853:
	s_or_saveexec_b64 s[6:7], s[6:7]
	v_mov_b32_e32 v6, s10
	s_xor_b64 exec, exec, s[6:7]
	s_cbranch_execnz .LBB1_3904
.LBB1_1854:
	s_or_b64 exec, exec, s[6:7]
	s_and_saveexec_b64 s[6:7], s[4:5]
	s_cbranch_execz .LBB1_1856
.LBB1_1855:
	v_bfe_u32 v6, v3, 24, 3
	v_ffbh_u32_e32 v14, v6
	v_min_u32_e32 v14, 32, v14
	v_lshrrev_b32_e32 v12, 27, v3
	v_subrev_u32_e32 v15, 28, v14
	v_and_b32_e32 v7, 0x80000000, v3
	v_and_b32_e32 v12, 15, v12
	v_bfe_u32 v13, v3, 27, 4
	v_lshlrev_b32_sdwa v3, v15, v3 dst_sel:DWORD dst_unused:UNUSED_PAD src0_sel:DWORD src1_sel:BYTE_3
	v_sub_u32_e32 v14, 29, v14
	v_and_b32_e32 v3, 7, v3
	v_cmp_eq_u16_e32 vcc, 0, v12
	v_cndmask_b32_e32 v3, v6, v3, vcc
	v_cndmask_b32_e32 v6, v13, v14, vcc
	v_mov_b32_e32 v12, 0x3b800000
	v_lshlrev_b32_e32 v3, 20, v3
	v_lshl_add_u32 v6, v6, 23, v12
	v_or3_b32 v6, v7, v6, v3
.LBB1_1856:
	s_or_b64 exec, exec, s[6:7]
	s_nop 0
	v_mfma_f32_16x16x4f32 a[0:3], v2, v6, a[0:3]
	s_movk_i32 s4, 0x7f
	v_cmp_gt_i16_sdwa s[6:7], v8, s4 src0_sel:BYTE_0 src1_sel:DWORD
	s_mov_b64 s[4:5], 0
                                        ; implicit-def: $sgpr10
	s_and_saveexec_b64 s[8:9], s[6:7]
	s_xor_b64 s[6:7], exec, s[8:9]
	s_cbranch_execnz .LBB1_3905
; %bb.1857:
	s_or_saveexec_b64 s[6:7], s[6:7]
	v_mov_b32_e32 v2, s10
	s_xor_b64 exec, exec, s[6:7]
	s_cbranch_execnz .LBB1_3908
.LBB1_1858:
	s_or_b64 exec, exec, s[6:7]
	s_and_saveexec_b64 s[6:7], s[4:5]
	s_cbranch_execz .LBB1_1860
.LBB1_1859:
	v_and_b32_e32 v2, 7, v8
	v_ffbh_u32_e32 v6, v2
	v_min_u32_e32 v6, 32, v6
	v_lshrrev_b16_e32 v3, 3, v8
	v_subrev_u32_e32 v7, 28, v6
	v_and_b32_e32 v3, 15, v3
	v_lshlrev_b32_e32 v7, v7, v8
	v_sub_u32_e32 v6, 29, v6
	v_and_b32_e32 v7, 7, v7
	v_cmp_eq_u16_e32 vcc, 0, v3
	v_cndmask_b32_e32 v2, v2, v7, vcc
	v_cndmask_b32_e32 v3, v3, v6, vcc
	v_lshlrev_b32_e32 v6, 24, v8
	v_mov_b32_e32 v7, 0x3b800000
	v_lshlrev_b32_e32 v2, 20, v2
	v_and_b32_e32 v6, 0x80000000, v6
	v_lshl_add_u32 v3, v3, 23, v7
	v_or3_b32 v2, v6, v3, v2
.LBB1_1860:
	s_or_b64 exec, exec, s[6:7]
	s_movk_i32 s4, 0x7f
	v_cmp_gt_i16_sdwa s[6:7], v4, s4 src0_sel:BYTE_0 src1_sel:DWORD
	s_mov_b64 s[4:5], 0
                                        ; implicit-def: $sgpr10
	s_and_saveexec_b64 s[8:9], s[6:7]
	s_xor_b64 s[6:7], exec, s[8:9]
	s_cbranch_execnz .LBB1_3909
; %bb.1861:
	s_or_saveexec_b64 s[6:7], s[6:7]
	v_mov_b32_e32 v3, s10
	s_xor_b64 exec, exec, s[6:7]
	s_cbranch_execnz .LBB1_3912
.LBB1_1862:
	s_or_b64 exec, exec, s[6:7]
	s_and_saveexec_b64 s[6:7], s[4:5]
	s_cbranch_execz .LBB1_1864
.LBB1_1863:
	v_and_b32_e32 v3, 7, v4
	v_ffbh_u32_e32 v7, v3
	v_min_u32_e32 v7, 32, v7
	v_lshrrev_b16_e32 v6, 3, v4
	v_subrev_u32_e32 v12, 28, v7
	v_and_b32_e32 v6, 15, v6
	v_lshlrev_b32_e32 v12, v12, v4
	v_sub_u32_e32 v7, 29, v7
	v_and_b32_e32 v12, 7, v12
	v_cmp_eq_u16_e32 vcc, 0, v6
	v_cndmask_b32_e32 v3, v3, v12, vcc
	v_cndmask_b32_e32 v6, v6, v7, vcc
	v_lshlrev_b32_e32 v7, 24, v4
	v_mov_b32_e32 v12, 0x3b800000
	v_lshlrev_b32_e32 v3, 20, v3
	v_and_b32_e32 v7, 0x80000000, v7
	v_lshl_add_u32 v6, v6, 23, v12
	v_or3_b32 v3, v7, v6, v3
.LBB1_1864:
	s_or_b64 exec, exec, s[6:7]
	s_nop 0
	v_mfma_f32_16x16x4f32 a[0:3], v2, v3, a[0:3]
	v_lshrrev_b32_e32 v3, 8, v8
	s_movk_i32 s4, 0x7f
	v_cmp_gt_i16_sdwa s[6:7], v3, s4 src0_sel:BYTE_0 src1_sel:DWORD
	s_mov_b64 s[4:5], 0
                                        ; implicit-def: $sgpr10
	s_and_saveexec_b64 s[8:9], s[6:7]
	s_xor_b64 s[6:7], exec, s[8:9]
	s_cbranch_execnz .LBB1_3913
; %bb.1865:
	s_or_saveexec_b64 s[6:7], s[6:7]
	v_mov_b32_e32 v2, s10
	s_xor_b64 exec, exec, s[6:7]
	s_cbranch_execnz .LBB1_3916
.LBB1_1866:
	s_or_b64 exec, exec, s[6:7]
	s_and_saveexec_b64 s[6:7], s[4:5]
	s_cbranch_execz .LBB1_1868
.LBB1_1867:
	v_bfe_u32 v2, v8, 8, 3
	v_ffbh_u32_e32 v7, v2
	v_min_u32_e32 v7, 32, v7
	v_lshrrev_b16_e32 v6, 3, v3
	v_subrev_u32_e32 v12, 28, v7
	v_and_b32_e32 v6, 15, v6
	v_lshlrev_b32_e32 v3, v12, v3
	v_sub_u32_e32 v7, 29, v7
	v_and_b32_e32 v3, 7, v3
	v_cmp_eq_u16_e32 vcc, 0, v6
	v_cndmask_b32_e32 v2, v2, v3, vcc
	v_cndmask_b32_e32 v3, v6, v7, vcc
	v_lshlrev_b32_e32 v6, 16, v8
	v_mov_b32_e32 v7, 0x3b800000
	v_lshlrev_b32_e32 v2, 20, v2
	v_and_b32_e32 v6, 0x80000000, v6
	v_lshl_add_u32 v3, v3, 23, v7
	v_or3_b32 v2, v6, v3, v2
.LBB1_1868:
	s_or_b64 exec, exec, s[6:7]
	v_lshrrev_b32_e32 v3, 8, v4
	s_movk_i32 s4, 0x7f
	v_cmp_gt_i16_sdwa s[6:7], v3, s4 src0_sel:BYTE_0 src1_sel:DWORD
	s_mov_b64 s[4:5], 0
                                        ; implicit-def: $sgpr10
	s_and_saveexec_b64 s[8:9], s[6:7]
	s_xor_b64 s[6:7], exec, s[8:9]
	s_cbranch_execnz .LBB1_3917
; %bb.1869:
	s_or_saveexec_b64 s[6:7], s[6:7]
	v_mov_b32_e32 v6, s10
	s_xor_b64 exec, exec, s[6:7]
	s_cbranch_execnz .LBB1_3920
.LBB1_1870:
	s_or_b64 exec, exec, s[6:7]
	s_and_saveexec_b64 s[6:7], s[4:5]
	s_cbranch_execz .LBB1_1872
.LBB1_1871:
	v_bfe_u32 v6, v4, 8, 3
	v_ffbh_u32_e32 v12, v6
	v_min_u32_e32 v12, 32, v12
	v_lshrrev_b16_e32 v7, 3, v3
	v_subrev_u32_e32 v13, 28, v12
	v_and_b32_e32 v7, 15, v7
	v_lshlrev_b32_e32 v3, v13, v3
	v_sub_u32_e32 v12, 29, v12
	v_and_b32_e32 v3, 7, v3
	v_cmp_eq_u16_e32 vcc, 0, v7
	v_cndmask_b32_e32 v3, v6, v3, vcc
	v_cndmask_b32_e32 v6, v7, v12, vcc
	v_lshlrev_b32_e32 v7, 16, v4
	v_mov_b32_e32 v12, 0x3b800000
	v_lshlrev_b32_e32 v3, 20, v3
	v_and_b32_e32 v7, 0x80000000, v7
	v_lshl_add_u32 v6, v6, 23, v12
	v_or3_b32 v6, v7, v6, v3
.LBB1_1872:
	s_or_b64 exec, exec, s[6:7]
	s_nop 0
	v_mfma_f32_16x16x4f32 a[0:3], v2, v6, a[0:3]
	s_movk_i32 s4, 0xff
	v_and_b32_sdwa v3, v8, s4 dst_sel:DWORD dst_unused:UNUSED_PAD src0_sel:WORD_1 src1_sel:DWORD
	s_movk_i32 s4, 0x7f
	v_cmp_lt_i16_e32 vcc, s4, v3
	s_mov_b64 s[4:5], 0
                                        ; implicit-def: $sgpr10
	s_and_saveexec_b64 s[6:7], vcc
	s_xor_b64 s[6:7], exec, s[6:7]
	s_cbranch_execnz .LBB1_3921
; %bb.1873:
	s_or_saveexec_b64 s[6:7], s[6:7]
	v_mov_b32_e32 v2, s10
	s_xor_b64 exec, exec, s[6:7]
	s_cbranch_execnz .LBB1_3924
.LBB1_1874:
	s_or_b64 exec, exec, s[6:7]
	s_and_saveexec_b64 s[6:7], s[4:5]
	s_cbranch_execz .LBB1_1876
.LBB1_1875:
	v_bfe_u32 v2, v8, 16, 3
	v_ffbh_u32_e32 v7, v2
	v_min_u32_e32 v7, 32, v7
	v_lshrrev_b32_e32 v3, 19, v8
	v_subrev_u32_e32 v12, 28, v7
	v_and_b32_e32 v3, 15, v3
	v_lshlrev_b32_sdwa v12, v12, v8 dst_sel:DWORD dst_unused:UNUSED_PAD src0_sel:DWORD src1_sel:WORD_1
	v_bfe_u32 v6, v8, 19, 4
	v_sub_u32_e32 v7, 29, v7
	v_and_b32_e32 v12, 7, v12
	v_cmp_eq_u16_e32 vcc, 0, v3
	v_cndmask_b32_e32 v2, v2, v12, vcc
	v_cndmask_b32_e32 v3, v6, v7, vcc
	v_lshlrev_b32_e32 v6, 8, v8
	v_mov_b32_e32 v7, 0x3b800000
	v_lshlrev_b32_e32 v2, 20, v2
	v_and_b32_e32 v6, 0x80000000, v6
	v_lshl_add_u32 v3, v3, 23, v7
	v_or3_b32 v2, v6, v3, v2
.LBB1_1876:
	s_or_b64 exec, exec, s[6:7]
	s_movk_i32 s4, 0xff
	v_and_b32_sdwa v3, v4, s4 dst_sel:DWORD dst_unused:UNUSED_PAD src0_sel:WORD_1 src1_sel:DWORD
	s_movk_i32 s4, 0x7f
	v_cmp_lt_i16_e32 vcc, s4, v3
	s_mov_b64 s[4:5], 0
                                        ; implicit-def: $sgpr10
	s_and_saveexec_b64 s[6:7], vcc
	s_xor_b64 s[6:7], exec, s[6:7]
	s_cbranch_execnz .LBB1_3925
; %bb.1877:
	s_or_saveexec_b64 s[6:7], s[6:7]
	v_mov_b32_e32 v6, s10
	s_xor_b64 exec, exec, s[6:7]
	s_cbranch_execnz .LBB1_3928
.LBB1_1878:
	s_or_b64 exec, exec, s[6:7]
	s_and_saveexec_b64 s[6:7], s[4:5]
	s_cbranch_execz .LBB1_1880
.LBB1_1879:
	v_bfe_u32 v3, v4, 16, 3
	v_ffbh_u32_e32 v12, v3
	v_min_u32_e32 v12, 32, v12
	v_lshrrev_b32_e32 v6, 19, v4
	v_subrev_u32_e32 v13, 28, v12
	v_and_b32_e32 v6, 15, v6
	v_lshlrev_b32_sdwa v13, v13, v4 dst_sel:DWORD dst_unused:UNUSED_PAD src0_sel:DWORD src1_sel:WORD_1
	v_bfe_u32 v7, v4, 19, 4
	v_sub_u32_e32 v12, 29, v12
	v_and_b32_e32 v13, 7, v13
	v_cmp_eq_u16_e32 vcc, 0, v6
	v_cndmask_b32_e32 v3, v3, v13, vcc
	v_cndmask_b32_e32 v6, v7, v12, vcc
	v_lshlrev_b32_e32 v7, 8, v4
	v_mov_b32_e32 v12, 0x3b800000
	v_lshlrev_b32_e32 v3, 20, v3
	v_and_b32_e32 v7, 0x80000000, v7
	v_lshl_add_u32 v6, v6, 23, v12
	v_or3_b32 v6, v7, v6, v3
.LBB1_1880:
	s_or_b64 exec, exec, s[6:7]
	s_nop 0
	v_mfma_f32_16x16x4f32 a[0:3], v2, v6, a[0:3]
	s_movk_i32 s4, 0x7f
	v_cmp_gt_i16_sdwa s[6:7], v8, s4 src0_sel:BYTE_3 src1_sel:DWORD
	s_mov_b64 s[4:5], 0
                                        ; implicit-def: $sgpr10
	s_and_saveexec_b64 s[8:9], s[6:7]
	s_xor_b64 s[6:7], exec, s[8:9]
	s_cbranch_execnz .LBB1_3929
; %bb.1881:
	s_or_saveexec_b64 s[6:7], s[6:7]
	v_mov_b32_e32 v2, s10
	s_xor_b64 exec, exec, s[6:7]
	s_cbranch_execnz .LBB1_3932
.LBB1_1882:
	s_or_b64 exec, exec, s[6:7]
	s_and_saveexec_b64 s[6:7], s[4:5]
	s_cbranch_execz .LBB1_1884
.LBB1_1883:
	v_bfe_u32 v2, v8, 24, 3
	v_ffbh_u32_e32 v12, v2
	v_min_u32_e32 v12, 32, v12
	v_lshrrev_b32_e32 v6, 27, v8
	v_subrev_u32_e32 v13, 28, v12
	v_and_b32_e32 v3, 0x80000000, v8
	v_and_b32_e32 v6, 15, v6
	v_bfe_u32 v7, v8, 27, 4
	v_lshlrev_b32_sdwa v8, v13, v8 dst_sel:DWORD dst_unused:UNUSED_PAD src0_sel:DWORD src1_sel:BYTE_3
	v_sub_u32_e32 v12, 29, v12
	v_and_b32_e32 v8, 7, v8
	v_cmp_eq_u16_e32 vcc, 0, v6
	v_cndmask_b32_e32 v2, v2, v8, vcc
	v_cndmask_b32_e32 v6, v7, v12, vcc
	v_mov_b32_e32 v7, 0x3b800000
	v_lshlrev_b32_e32 v2, 20, v2
	v_lshl_add_u32 v6, v6, 23, v7
	v_or3_b32 v2, v3, v6, v2
.LBB1_1884:
	s_or_b64 exec, exec, s[6:7]
	s_movk_i32 s4, 0x7f
	v_cmp_gt_i16_sdwa s[6:7], v4, s4 src0_sel:BYTE_3 src1_sel:DWORD
	s_mov_b64 s[4:5], 0
                                        ; implicit-def: $sgpr10
	s_and_saveexec_b64 s[8:9], s[6:7]
	s_xor_b64 s[6:7], exec, s[8:9]
	s_cbranch_execnz .LBB1_3933
; %bb.1885:
	s_or_saveexec_b64 s[6:7], s[6:7]
	v_mov_b32_e32 v3, s10
	s_xor_b64 exec, exec, s[6:7]
	s_cbranch_execnz .LBB1_3936
.LBB1_1886:
	s_or_b64 exec, exec, s[6:7]
	s_and_saveexec_b64 s[6:7], s[4:5]
	s_cbranch_execz .LBB1_1888
.LBB1_1887:
	v_bfe_u32 v3, v4, 24, 3
	v_ffbh_u32_e32 v12, v3
	v_min_u32_e32 v12, 32, v12
	v_lshrrev_b32_e32 v7, 27, v4
	v_subrev_u32_e32 v13, 28, v12
	v_and_b32_e32 v6, 0x80000000, v4
	v_and_b32_e32 v7, 15, v7
	v_bfe_u32 v8, v4, 27, 4
	v_lshlrev_b32_sdwa v4, v13, v4 dst_sel:DWORD dst_unused:UNUSED_PAD src0_sel:DWORD src1_sel:BYTE_3
	v_sub_u32_e32 v12, 29, v12
	v_and_b32_e32 v4, 7, v4
	v_cmp_eq_u16_e32 vcc, 0, v7
	v_cndmask_b32_e32 v3, v3, v4, vcc
	v_cndmask_b32_e32 v4, v8, v12, vcc
	v_mov_b32_e32 v7, 0x3b800000
	v_lshlrev_b32_e32 v3, 20, v3
	v_lshl_add_u32 v4, v4, 23, v7
	v_or3_b32 v3, v6, v4, v3
.LBB1_1888:
	s_or_b64 exec, exec, s[6:7]
	s_nop 0
	v_mfma_f32_16x16x4f32 a[0:3], v2, v3, a[0:3]
	s_movk_i32 s4, 0x7f
	v_cmp_gt_i16_sdwa s[6:7], v9, s4 src0_sel:BYTE_0 src1_sel:DWORD
	s_mov_b64 s[4:5], 0
                                        ; implicit-def: $sgpr10
	s_and_saveexec_b64 s[8:9], s[6:7]
	s_xor_b64 s[6:7], exec, s[8:9]
	s_cbranch_execnz .LBB1_3937
; %bb.1889:
	s_or_saveexec_b64 s[6:7], s[6:7]
	v_mov_b32_e32 v2, s10
	s_xor_b64 exec, exec, s[6:7]
	s_cbranch_execnz .LBB1_3940
.LBB1_1890:
	s_or_b64 exec, exec, s[6:7]
	s_and_saveexec_b64 s[6:7], s[4:5]
	s_cbranch_execz .LBB1_1892
.LBB1_1891:
	v_mov_b32_e32 v2, 8
	v_and_b32_e32 v3, 7, v9
	v_lshrrev_b32_sdwa v2, v2, v9 dst_sel:BYTE_1 dst_unused:UNUSED_PAD src0_sel:DWORD src1_sel:DWORD
	v_ffbh_u32_e32 v4, v3
	v_or_b32_sdwa v2, v9, v2 dst_sel:DWORD dst_unused:UNUSED_PAD src0_sel:BYTE_0 src1_sel:DWORD
	v_min_u32_e32 v4, 32, v4
	v_lshrrev_b16_e32 v2, 3, v2
	v_subrev_u32_e32 v6, 28, v4
	v_and_b32_e32 v2, 15, v2
	v_lshlrev_b32_e32 v6, v6, v9
	v_sub_u32_e32 v4, 29, v4
	v_and_b32_e32 v6, 7, v6
	v_cmp_eq_u16_e32 vcc, 0, v2
	v_cndmask_b32_e32 v3, v3, v6, vcc
	v_cndmask_b32_e32 v2, v2, v4, vcc
	v_lshlrev_b32_e32 v4, 24, v9
	v_mov_b32_e32 v6, 0x3b800000
	v_lshlrev_b32_e32 v3, 20, v3
	v_and_b32_e32 v4, 0x80000000, v4
	v_lshl_add_u32 v2, v2, 23, v6
	v_or3_b32 v2, v4, v2, v3
.LBB1_1892:
	s_or_b64 exec, exec, s[6:7]
	s_movk_i32 s4, 0x7f
	v_cmp_gt_i16_sdwa s[6:7], v5, s4 src0_sel:BYTE_0 src1_sel:DWORD
	s_mov_b64 s[4:5], 0
                                        ; implicit-def: $sgpr10
	s_and_saveexec_b64 s[8:9], s[6:7]
	s_xor_b64 s[6:7], exec, s[8:9]
	s_cbranch_execnz .LBB1_3941
; %bb.1893:
	s_or_saveexec_b64 s[6:7], s[6:7]
	v_mov_b32_e32 v3, s10
	s_xor_b64 exec, exec, s[6:7]
	s_cbranch_execnz .LBB1_3944
.LBB1_1894:
	s_or_b64 exec, exec, s[6:7]
	s_and_saveexec_b64 s[6:7], s[4:5]
	s_cbranch_execz .LBB1_1896
.LBB1_1895:
	v_mov_b32_e32 v3, 8
	v_and_b32_e32 v4, 7, v5
	v_lshrrev_b32_sdwa v3, v3, v5 dst_sel:BYTE_1 dst_unused:UNUSED_PAD src0_sel:DWORD src1_sel:DWORD
	v_ffbh_u32_e32 v6, v4
	v_or_b32_sdwa v3, v5, v3 dst_sel:DWORD dst_unused:UNUSED_PAD src0_sel:BYTE_0 src1_sel:DWORD
	v_min_u32_e32 v6, 32, v6
	v_lshrrev_b16_e32 v3, 3, v3
	v_subrev_u32_e32 v7, 28, v6
	v_and_b32_e32 v3, 15, v3
	v_lshlrev_b32_e32 v7, v7, v5
	v_sub_u32_e32 v6, 29, v6
	v_and_b32_e32 v7, 7, v7
	v_cmp_eq_u16_e32 vcc, 0, v3
	v_cndmask_b32_e32 v4, v4, v7, vcc
	v_cndmask_b32_e32 v3, v3, v6, vcc
	v_lshlrev_b32_e32 v6, 24, v5
	v_mov_b32_e32 v7, 0x3b800000
	v_lshlrev_b32_e32 v4, 20, v4
	v_and_b32_e32 v6, 0x80000000, v6
	v_lshl_add_u32 v3, v3, 23, v7
	v_or3_b32 v3, v6, v3, v4
.LBB1_1896:
	s_or_b64 exec, exec, s[6:7]
	s_nop 0
	v_mfma_f32_16x16x4f32 a[0:3], v2, v3, a[0:3]
	v_lshrrev_b32_e32 v3, 8, v9
	s_movk_i32 s4, 0x7f
	v_cmp_gt_i16_sdwa s[6:7], v3, s4 src0_sel:BYTE_0 src1_sel:DWORD
	s_mov_b64 s[4:5], 0
                                        ; implicit-def: $sgpr10
	s_and_saveexec_b64 s[8:9], s[6:7]
	s_xor_b64 s[6:7], exec, s[8:9]
	s_cbranch_execnz .LBB1_3945
; %bb.1897:
	s_or_saveexec_b64 s[6:7], s[6:7]
	v_mov_b32_e32 v2, s10
	s_xor_b64 exec, exec, s[6:7]
	s_cbranch_execnz .LBB1_3948
.LBB1_1898:
	s_or_b64 exec, exec, s[6:7]
	s_and_saveexec_b64 s[6:7], s[4:5]
	s_cbranch_execz .LBB1_1900
.LBB1_1899:
	v_bfe_u32 v2, v9, 8, 3
	v_ffbh_u32_e32 v6, v2
	v_min_u32_e32 v6, 32, v6
	v_lshrrev_b16_e32 v4, 3, v3
	v_subrev_u32_e32 v7, 28, v6
	v_and_b32_e32 v4, 15, v4
	v_lshlrev_b32_e32 v3, v7, v3
	v_sub_u32_e32 v6, 29, v6
	v_and_b32_e32 v3, 7, v3
	v_cmp_eq_u16_e32 vcc, 0, v4
	v_cndmask_b32_e32 v2, v2, v3, vcc
	v_cndmask_b32_e32 v3, v4, v6, vcc
	v_lshlrev_b32_e32 v4, 16, v9
	v_mov_b32_e32 v6, 0x3b800000
	v_lshlrev_b32_e32 v2, 20, v2
	v_and_b32_e32 v4, 0x80000000, v4
	v_lshl_add_u32 v3, v3, 23, v6
	v_or3_b32 v2, v4, v3, v2
.LBB1_1900:
	s_or_b64 exec, exec, s[6:7]
	v_lshrrev_b32_e32 v3, 8, v5
	s_movk_i32 s4, 0x7f
	v_cmp_gt_i16_sdwa s[6:7], v3, s4 src0_sel:BYTE_0 src1_sel:DWORD
	s_mov_b64 s[4:5], 0
                                        ; implicit-def: $sgpr10
	s_and_saveexec_b64 s[8:9], s[6:7]
	s_xor_b64 s[6:7], exec, s[8:9]
	s_cbranch_execnz .LBB1_3949
; %bb.1901:
	s_or_saveexec_b64 s[6:7], s[6:7]
	v_mov_b32_e32 v4, s10
	s_xor_b64 exec, exec, s[6:7]
	s_cbranch_execnz .LBB1_3952
.LBB1_1902:
	s_or_b64 exec, exec, s[6:7]
	s_and_saveexec_b64 s[6:7], s[4:5]
	s_cbranch_execz .LBB1_1904
.LBB1_1903:
	v_bfe_u32 v4, v5, 8, 3
	v_ffbh_u32_e32 v7, v4
	v_min_u32_e32 v7, 32, v7
	v_lshrrev_b16_e32 v6, 3, v3
	v_subrev_u32_e32 v8, 28, v7
	v_and_b32_e32 v6, 15, v6
	v_lshlrev_b32_e32 v3, v8, v3
	v_sub_u32_e32 v7, 29, v7
	v_and_b32_e32 v3, 7, v3
	v_cmp_eq_u16_e32 vcc, 0, v6
	v_cndmask_b32_e32 v3, v4, v3, vcc
	v_cndmask_b32_e32 v4, v6, v7, vcc
	v_lshlrev_b32_e32 v6, 16, v5
	v_mov_b32_e32 v7, 0x3b800000
	v_lshlrev_b32_e32 v3, 20, v3
	v_and_b32_e32 v6, 0x80000000, v6
	v_lshl_add_u32 v4, v4, 23, v7
	v_or3_b32 v4, v6, v4, v3
.LBB1_1904:
	s_or_b64 exec, exec, s[6:7]
	s_nop 0
	v_mfma_f32_16x16x4f32 a[0:3], v2, v4, a[0:3]
	s_movk_i32 s4, 0xff
	v_and_b32_sdwa v3, v9, s4 dst_sel:DWORD dst_unused:UNUSED_PAD src0_sel:WORD_1 src1_sel:DWORD
	s_movk_i32 s4, 0x7f
	v_cmp_lt_i16_e32 vcc, s4, v3
	s_mov_b64 s[4:5], 0
                                        ; implicit-def: $sgpr10
	s_and_saveexec_b64 s[6:7], vcc
	s_xor_b64 s[6:7], exec, s[6:7]
	s_cbranch_execnz .LBB1_3953
; %bb.1905:
	s_or_saveexec_b64 s[6:7], s[6:7]
	v_mov_b32_e32 v2, s10
	s_xor_b64 exec, exec, s[6:7]
	s_cbranch_execnz .LBB1_3956
.LBB1_1906:
	s_or_b64 exec, exec, s[6:7]
	s_and_saveexec_b64 s[6:7], s[4:5]
	s_cbranch_execz .LBB1_1908
.LBB1_1907:
	v_bfe_u32 v2, v9, 16, 3
	v_ffbh_u32_e32 v6, v2
	v_min_u32_e32 v6, 32, v6
	v_lshrrev_b32_e32 v3, 19, v9
	v_subrev_u32_e32 v7, 28, v6
	v_and_b32_e32 v3, 15, v3
	v_lshlrev_b32_sdwa v7, v7, v9 dst_sel:DWORD dst_unused:UNUSED_PAD src0_sel:DWORD src1_sel:WORD_1
	v_bfe_u32 v4, v9, 19, 4
	v_sub_u32_e32 v6, 29, v6
	v_and_b32_e32 v7, 7, v7
	v_cmp_eq_u16_e32 vcc, 0, v3
	v_cndmask_b32_e32 v2, v2, v7, vcc
	v_cndmask_b32_e32 v3, v4, v6, vcc
	v_lshlrev_b32_e32 v4, 8, v9
	v_mov_b32_e32 v6, 0x3b800000
	v_lshlrev_b32_e32 v2, 20, v2
	v_and_b32_e32 v4, 0x80000000, v4
	v_lshl_add_u32 v3, v3, 23, v6
	v_or3_b32 v2, v4, v3, v2
.LBB1_1908:
	s_or_b64 exec, exec, s[6:7]
	s_movk_i32 s4, 0xff
	v_and_b32_sdwa v3, v5, s4 dst_sel:DWORD dst_unused:UNUSED_PAD src0_sel:WORD_1 src1_sel:DWORD
	s_movk_i32 s4, 0x7f
	v_cmp_lt_i16_e32 vcc, s4, v3
	s_mov_b64 s[4:5], 0
                                        ; implicit-def: $sgpr10
	s_and_saveexec_b64 s[6:7], vcc
	s_xor_b64 s[6:7], exec, s[6:7]
	s_cbranch_execnz .LBB1_3957
; %bb.1909:
	s_or_saveexec_b64 s[6:7], s[6:7]
	v_mov_b32_e32 v4, s10
	s_xor_b64 exec, exec, s[6:7]
	s_cbranch_execnz .LBB1_3960
.LBB1_1910:
	s_or_b64 exec, exec, s[6:7]
	s_and_saveexec_b64 s[6:7], s[4:5]
	s_cbranch_execz .LBB1_1912
.LBB1_1911:
	v_bfe_u32 v3, v5, 16, 3
	v_ffbh_u32_e32 v7, v3
	v_min_u32_e32 v7, 32, v7
	v_lshrrev_b32_e32 v4, 19, v5
	v_subrev_u32_e32 v8, 28, v7
	v_and_b32_e32 v4, 15, v4
	v_lshlrev_b32_sdwa v8, v8, v5 dst_sel:DWORD dst_unused:UNUSED_PAD src0_sel:DWORD src1_sel:WORD_1
	v_bfe_u32 v6, v5, 19, 4
	v_sub_u32_e32 v7, 29, v7
	v_and_b32_e32 v8, 7, v8
	v_cmp_eq_u16_e32 vcc, 0, v4
	v_cndmask_b32_e32 v3, v3, v8, vcc
	v_cndmask_b32_e32 v4, v6, v7, vcc
	v_lshlrev_b32_e32 v6, 8, v5
	v_mov_b32_e32 v7, 0x3b800000
	v_lshlrev_b32_e32 v3, 20, v3
	v_and_b32_e32 v6, 0x80000000, v6
	v_lshl_add_u32 v4, v4, 23, v7
	v_or3_b32 v4, v6, v4, v3
.LBB1_1912:
	s_or_b64 exec, exec, s[6:7]
	s_nop 0
	v_mfma_f32_16x16x4f32 a[0:3], v2, v4, a[0:3]
	s_movk_i32 s4, 0x7f
	v_cmp_gt_i16_sdwa s[6:7], v9, s4 src0_sel:BYTE_3 src1_sel:DWORD
	s_mov_b64 s[4:5], 0
                                        ; implicit-def: $sgpr10
	s_and_saveexec_b64 s[8:9], s[6:7]
	s_xor_b64 s[6:7], exec, s[8:9]
	s_cbranch_execnz .LBB1_3961
; %bb.1913:
	s_or_saveexec_b64 s[6:7], s[6:7]
	v_mov_b32_e32 v2, s10
	s_xor_b64 exec, exec, s[6:7]
	s_cbranch_execnz .LBB1_3964
.LBB1_1914:
	s_or_b64 exec, exec, s[6:7]
	s_and_saveexec_b64 s[6:7], s[4:5]
	s_cbranch_execz .LBB1_1916
.LBB1_1915:
	v_bfe_u32 v2, v9, 24, 3
	v_ffbh_u32_e32 v7, v2
	v_min_u32_e32 v7, 32, v7
	v_lshrrev_b32_e32 v4, 27, v9
	v_subrev_u32_e32 v8, 28, v7
	v_and_b32_e32 v4, 15, v4
	v_lshlrev_b32_sdwa v8, v8, v9 dst_sel:DWORD dst_unused:UNUSED_PAD src0_sel:DWORD src1_sel:BYTE_3
	v_bfe_u32 v6, v9, 27, 4
	v_sub_u32_e32 v7, 29, v7
	v_and_b32_e32 v8, 7, v8
	v_cmp_eq_u16_e32 vcc, 0, v4
	v_cndmask_b32_e32 v2, v2, v8, vcc
	v_cndmask_b32_e32 v4, v6, v7, vcc
	v_mov_b32_e32 v6, 0x3b800000
	v_and_b32_e32 v3, 0x80000000, v9
	v_lshlrev_b32_e32 v2, 20, v2
	v_lshl_add_u32 v4, v4, 23, v6
	v_or3_b32 v2, v3, v4, v2
.LBB1_1916:
	s_or_b64 exec, exec, s[6:7]
	s_movk_i32 s4, 0x7f
	v_cmp_gt_i16_sdwa s[6:7], v5, s4 src0_sel:BYTE_3 src1_sel:DWORD
	s_mov_b64 s[4:5], 0
                                        ; implicit-def: $sgpr10
	s_and_saveexec_b64 s[8:9], s[6:7]
	s_xor_b64 s[6:7], exec, s[8:9]
	s_cbranch_execnz .LBB1_3965
; %bb.1917:
	s_or_saveexec_b64 s[6:7], s[6:7]
	v_mov_b32_e32 v3, s10
	s_xor_b64 exec, exec, s[6:7]
	s_cbranch_execnz .LBB1_3968
.LBB1_1918:
	s_or_b64 exec, exec, s[6:7]
	s_and_saveexec_b64 s[6:7], s[4:5]
	s_cbranch_execz .LBB1_1920
.LBB1_1919:
	v_bfe_u32 v3, v5, 24, 3
	v_ffbh_u32_e32 v8, v3
	v_min_u32_e32 v8, 32, v8
	v_lshrrev_b32_e32 v6, 27, v5
	v_subrev_u32_e32 v9, 28, v8
	v_and_b32_e32 v4, 0x80000000, v5
	v_and_b32_e32 v6, 15, v6
	v_bfe_u32 v7, v5, 27, 4
	v_lshlrev_b32_sdwa v5, v9, v5 dst_sel:DWORD dst_unused:UNUSED_PAD src0_sel:DWORD src1_sel:BYTE_3
	v_sub_u32_e32 v8, 29, v8
	v_and_b32_e32 v5, 7, v5
	v_cmp_eq_u16_e32 vcc, 0, v6
	v_cndmask_b32_e32 v3, v3, v5, vcc
	v_cndmask_b32_e32 v5, v7, v8, vcc
	v_mov_b32_e32 v6, 0x3b800000
	v_lshlrev_b32_e32 v3, 20, v3
	v_lshl_add_u32 v5, v5, 23, v6
	v_or3_b32 v3, v4, v5, v3
.LBB1_1920:
	s_or_b64 exec, exec, s[6:7]
	s_nop 0
	v_mfma_f32_16x16x4f32 a[0:3], v2, v3, a[0:3]
	s_movk_i32 s4, 0x7f
                                        ; implicit-def: $sgpr10
	s_nop 7
	s_nop 1
	flat_store_dwordx4 v[10:11], a[0:3] offset:224
	flat_load_dwordx4 v[10:13], v[0:1] offset:8
	s_nop 0
	flat_load_dwordx2 v[8:9], v[0:1] offset:32
	s_waitcnt vmcnt(0) lgkmcnt(0)
	flat_load_dwordx4 v[4:7], v[10:11] offset:96
	flat_load_dwordx4 v[0:3], v[12:13] offset:96
	s_waitcnt vmcnt(0) lgkmcnt(0)
	v_cmp_gt_i16_sdwa s[6:7], v4, s4 src0_sel:BYTE_0 src1_sel:DWORD
	s_mov_b64 s[4:5], 0
	s_and_saveexec_b64 s[8:9], s[6:7]
	s_xor_b64 s[6:7], exec, s[8:9]
	s_cbranch_execnz .LBB1_3969
; %bb.1921:
	s_or_saveexec_b64 s[6:7], s[6:7]
	v_mov_b32_e32 v10, s10
	s_xor_b64 exec, exec, s[6:7]
	s_cbranch_execnz .LBB1_3972
.LBB1_1922:
	s_or_b64 exec, exec, s[6:7]
	s_and_saveexec_b64 s[6:7], s[4:5]
	s_cbranch_execz .LBB1_1924
.LBB1_1923:
	v_and_b32_e32 v10, 7, v4
	v_ffbh_u32_e32 v12, v10
	v_min_u32_e32 v12, 32, v12
	v_lshrrev_b16_e32 v11, 3, v4
	v_subrev_u32_e32 v13, 28, v12
	v_and_b32_e32 v11, 15, v11
	v_lshlrev_b32_e32 v13, v13, v4
	v_sub_u32_e32 v12, 29, v12
	v_and_b32_e32 v13, 7, v13
	v_cmp_eq_u16_e32 vcc, 0, v11
	v_cndmask_b32_e32 v10, v10, v13, vcc
	v_cndmask_b32_e32 v11, v11, v12, vcc
	v_lshlrev_b32_e32 v12, 24, v4
	v_mov_b32_e32 v13, 0x3b800000
	v_lshlrev_b32_e32 v10, 20, v10
	v_and_b32_e32 v12, 0x80000000, v12
	v_lshl_add_u32 v11, v11, 23, v13
	v_or3_b32 v10, v12, v11, v10
.LBB1_1924:
	s_or_b64 exec, exec, s[6:7]
	s_movk_i32 s4, 0x7f
	v_cmp_gt_i16_sdwa s[6:7], v0, s4 src0_sel:BYTE_0 src1_sel:DWORD
	s_mov_b64 s[4:5], 0
                                        ; implicit-def: $sgpr10
	s_and_saveexec_b64 s[8:9], s[6:7]
	s_xor_b64 s[6:7], exec, s[8:9]
	s_cbranch_execnz .LBB1_3973
; %bb.1925:
	s_or_saveexec_b64 s[6:7], s[6:7]
	v_mov_b32_e32 v11, s10
	s_xor_b64 exec, exec, s[6:7]
	s_cbranch_execnz .LBB1_3976
.LBB1_1926:
	s_or_b64 exec, exec, s[6:7]
	s_and_saveexec_b64 s[6:7], s[4:5]
	s_cbranch_execz .LBB1_1928
.LBB1_1927:
	v_and_b32_e32 v11, 7, v0
	v_ffbh_u32_e32 v13, v11
	v_min_u32_e32 v13, 32, v13
	v_lshrrev_b16_e32 v12, 3, v0
	v_subrev_u32_e32 v14, 28, v13
	v_and_b32_e32 v12, 15, v12
	v_lshlrev_b32_e32 v14, v14, v0
	v_sub_u32_e32 v13, 29, v13
	v_and_b32_e32 v14, 7, v14
	v_cmp_eq_u16_e32 vcc, 0, v12
	v_cndmask_b32_e32 v11, v11, v14, vcc
	v_cndmask_b32_e32 v12, v12, v13, vcc
	v_lshlrev_b32_e32 v13, 24, v0
	v_mov_b32_e32 v14, 0x3b800000
	v_lshlrev_b32_e32 v11, 20, v11
	v_and_b32_e32 v13, 0x80000000, v13
	v_lshl_add_u32 v12, v12, 23, v14
	v_or3_b32 v11, v13, v12, v11
.LBB1_1928:
	s_or_b64 exec, exec, s[6:7]
	flat_load_dwordx4 a[0:3], v[8:9] offset:240
	s_movk_i32 s4, 0x7f
                                        ; implicit-def: $sgpr10
	s_waitcnt vmcnt(0) lgkmcnt(0)
	v_mfma_f32_16x16x4f32 a[0:3], v10, v11, a[0:3]
	v_lshrrev_b32_e32 v11, 8, v4
	v_cmp_gt_i16_sdwa s[6:7], v11, s4 src0_sel:BYTE_0 src1_sel:DWORD
	s_mov_b64 s[4:5], 0
	s_and_saveexec_b64 s[8:9], s[6:7]
	s_xor_b64 s[6:7], exec, s[8:9]
	s_cbranch_execnz .LBB1_3977
; %bb.1929:
	s_or_saveexec_b64 s[6:7], s[6:7]
	v_mov_b32_e32 v10, s10
	s_xor_b64 exec, exec, s[6:7]
	s_cbranch_execnz .LBB1_3980
.LBB1_1930:
	s_or_b64 exec, exec, s[6:7]
	s_and_saveexec_b64 s[6:7], s[4:5]
	s_cbranch_execz .LBB1_1932
.LBB1_1931:
	v_bfe_u32 v10, v4, 8, 3
	v_ffbh_u32_e32 v13, v10
	v_min_u32_e32 v13, 32, v13
	v_lshrrev_b16_e32 v12, 3, v11
	v_subrev_u32_e32 v14, 28, v13
	v_and_b32_e32 v12, 15, v12
	v_lshlrev_b32_e32 v11, v14, v11
	v_sub_u32_e32 v13, 29, v13
	v_and_b32_e32 v11, 7, v11
	v_cmp_eq_u16_e32 vcc, 0, v12
	v_cndmask_b32_e32 v10, v10, v11, vcc
	v_cndmask_b32_e32 v11, v12, v13, vcc
	v_lshlrev_b32_e32 v12, 16, v4
	v_mov_b32_e32 v13, 0x3b800000
	v_lshlrev_b32_e32 v10, 20, v10
	v_and_b32_e32 v12, 0x80000000, v12
	v_lshl_add_u32 v11, v11, 23, v13
	v_or3_b32 v10, v12, v11, v10
.LBB1_1932:
	s_or_b64 exec, exec, s[6:7]
	v_lshrrev_b32_e32 v11, 8, v0
	s_movk_i32 s4, 0x7f
	v_cmp_gt_i16_sdwa s[6:7], v11, s4 src0_sel:BYTE_0 src1_sel:DWORD
	s_mov_b64 s[4:5], 0
                                        ; implicit-def: $sgpr10
	s_and_saveexec_b64 s[8:9], s[6:7]
	s_xor_b64 s[6:7], exec, s[8:9]
	s_cbranch_execnz .LBB1_3981
; %bb.1933:
	s_or_saveexec_b64 s[6:7], s[6:7]
	v_mov_b32_e32 v12, s10
	s_xor_b64 exec, exec, s[6:7]
	s_cbranch_execnz .LBB1_3984
.LBB1_1934:
	s_or_b64 exec, exec, s[6:7]
	s_and_saveexec_b64 s[6:7], s[4:5]
	s_cbranch_execz .LBB1_1936
.LBB1_1935:
	v_bfe_u32 v12, v0, 8, 3
	v_ffbh_u32_e32 v14, v12
	v_min_u32_e32 v14, 32, v14
	v_lshrrev_b16_e32 v13, 3, v11
	v_subrev_u32_e32 v15, 28, v14
	v_and_b32_e32 v13, 15, v13
	v_lshlrev_b32_e32 v11, v15, v11
	v_sub_u32_e32 v14, 29, v14
	v_and_b32_e32 v11, 7, v11
	v_cmp_eq_u16_e32 vcc, 0, v13
	v_cndmask_b32_e32 v11, v12, v11, vcc
	v_cndmask_b32_e32 v12, v13, v14, vcc
	v_lshlrev_b32_e32 v13, 16, v0
	v_mov_b32_e32 v14, 0x3b800000
	v_lshlrev_b32_e32 v11, 20, v11
	v_and_b32_e32 v13, 0x80000000, v13
	v_lshl_add_u32 v12, v12, 23, v14
	v_or3_b32 v12, v13, v12, v11
.LBB1_1936:
	s_or_b64 exec, exec, s[6:7]
	s_nop 0
	v_mfma_f32_16x16x4f32 a[0:3], v10, v12, a[0:3]
	s_movk_i32 s4, 0xff
	v_and_b32_sdwa v11, v4, s4 dst_sel:DWORD dst_unused:UNUSED_PAD src0_sel:WORD_1 src1_sel:DWORD
	s_movk_i32 s4, 0x7f
	v_cmp_lt_i16_e32 vcc, s4, v11
	s_mov_b64 s[4:5], 0
                                        ; implicit-def: $sgpr10
	s_and_saveexec_b64 s[6:7], vcc
	s_xor_b64 s[6:7], exec, s[6:7]
	s_cbranch_execnz .LBB1_3985
; %bb.1937:
	s_or_saveexec_b64 s[6:7], s[6:7]
	v_mov_b32_e32 v10, s10
	s_xor_b64 exec, exec, s[6:7]
	s_cbranch_execnz .LBB1_3988
.LBB1_1938:
	s_or_b64 exec, exec, s[6:7]
	s_and_saveexec_b64 s[6:7], s[4:5]
	s_cbranch_execz .LBB1_1940
.LBB1_1939:
	v_bfe_u32 v10, v4, 16, 3
	v_ffbh_u32_e32 v13, v10
	v_min_u32_e32 v13, 32, v13
	v_lshrrev_b32_e32 v11, 19, v4
	v_subrev_u32_e32 v14, 28, v13
	v_and_b32_e32 v11, 15, v11
	v_lshlrev_b32_sdwa v14, v14, v4 dst_sel:DWORD dst_unused:UNUSED_PAD src0_sel:DWORD src1_sel:WORD_1
	v_bfe_u32 v12, v4, 19, 4
	v_sub_u32_e32 v13, 29, v13
	v_and_b32_e32 v14, 7, v14
	v_cmp_eq_u16_e32 vcc, 0, v11
	v_cndmask_b32_e32 v10, v10, v14, vcc
	v_cndmask_b32_e32 v11, v12, v13, vcc
	v_lshlrev_b32_e32 v12, 8, v4
	v_mov_b32_e32 v13, 0x3b800000
	v_lshlrev_b32_e32 v10, 20, v10
	v_and_b32_e32 v12, 0x80000000, v12
	v_lshl_add_u32 v11, v11, 23, v13
	v_or3_b32 v10, v12, v11, v10
.LBB1_1940:
	s_or_b64 exec, exec, s[6:7]
	s_movk_i32 s4, 0xff
	v_and_b32_sdwa v11, v0, s4 dst_sel:DWORD dst_unused:UNUSED_PAD src0_sel:WORD_1 src1_sel:DWORD
	s_movk_i32 s4, 0x7f
	v_cmp_lt_i16_e32 vcc, s4, v11
	s_mov_b64 s[4:5], 0
                                        ; implicit-def: $sgpr10
	s_and_saveexec_b64 s[6:7], vcc
	s_xor_b64 s[6:7], exec, s[6:7]
	s_cbranch_execnz .LBB1_3989
; %bb.1941:
	s_or_saveexec_b64 s[6:7], s[6:7]
	v_mov_b32_e32 v12, s10
	s_xor_b64 exec, exec, s[6:7]
	s_cbranch_execnz .LBB1_3992
.LBB1_1942:
	s_or_b64 exec, exec, s[6:7]
	s_and_saveexec_b64 s[6:7], s[4:5]
	s_cbranch_execz .LBB1_1944
.LBB1_1943:
	v_bfe_u32 v11, v0, 16, 3
	v_ffbh_u32_e32 v14, v11
	v_min_u32_e32 v14, 32, v14
	v_lshrrev_b32_e32 v12, 19, v0
	v_subrev_u32_e32 v15, 28, v14
	v_and_b32_e32 v12, 15, v12
	v_lshlrev_b32_sdwa v15, v15, v0 dst_sel:DWORD dst_unused:UNUSED_PAD src0_sel:DWORD src1_sel:WORD_1
	v_bfe_u32 v13, v0, 19, 4
	v_sub_u32_e32 v14, 29, v14
	v_and_b32_e32 v15, 7, v15
	v_cmp_eq_u16_e32 vcc, 0, v12
	v_cndmask_b32_e32 v11, v11, v15, vcc
	v_cndmask_b32_e32 v12, v13, v14, vcc
	v_lshlrev_b32_e32 v13, 8, v0
	v_mov_b32_e32 v14, 0x3b800000
	v_lshlrev_b32_e32 v11, 20, v11
	v_and_b32_e32 v13, 0x80000000, v13
	v_lshl_add_u32 v12, v12, 23, v14
	v_or3_b32 v12, v13, v12, v11
.LBB1_1944:
	s_or_b64 exec, exec, s[6:7]
	s_nop 0
	v_mfma_f32_16x16x4f32 a[0:3], v10, v12, a[0:3]
	s_movk_i32 s4, 0x7f
	v_cmp_gt_i16_sdwa s[6:7], v4, s4 src0_sel:BYTE_3 src1_sel:DWORD
	s_mov_b64 s[4:5], 0
                                        ; implicit-def: $sgpr10
	s_and_saveexec_b64 s[8:9], s[6:7]
	s_xor_b64 s[6:7], exec, s[8:9]
	s_cbranch_execnz .LBB1_3993
; %bb.1945:
	s_or_saveexec_b64 s[6:7], s[6:7]
	v_mov_b32_e32 v10, s10
	s_xor_b64 exec, exec, s[6:7]
	s_cbranch_execnz .LBB1_3996
.LBB1_1946:
	s_or_b64 exec, exec, s[6:7]
	s_and_saveexec_b64 s[6:7], s[4:5]
	s_cbranch_execz .LBB1_1948
.LBB1_1947:
	v_bfe_u32 v10, v4, 24, 3
	v_ffbh_u32_e32 v14, v10
	v_min_u32_e32 v14, 32, v14
	v_lshrrev_b32_e32 v12, 27, v4
	v_subrev_u32_e32 v15, 28, v14
	v_and_b32_e32 v11, 0x80000000, v4
	v_and_b32_e32 v12, 15, v12
	v_bfe_u32 v13, v4, 27, 4
	v_lshlrev_b32_sdwa v4, v15, v4 dst_sel:DWORD dst_unused:UNUSED_PAD src0_sel:DWORD src1_sel:BYTE_3
	v_sub_u32_e32 v14, 29, v14
	v_and_b32_e32 v4, 7, v4
	v_cmp_eq_u16_e32 vcc, 0, v12
	v_cndmask_b32_e32 v4, v10, v4, vcc
	v_cndmask_b32_e32 v10, v13, v14, vcc
	v_mov_b32_e32 v12, 0x3b800000
	v_lshlrev_b32_e32 v4, 20, v4
	v_lshl_add_u32 v10, v10, 23, v12
	v_or3_b32 v10, v11, v10, v4
.LBB1_1948:
	s_or_b64 exec, exec, s[6:7]
	s_movk_i32 s4, 0x7f
	v_cmp_gt_i16_sdwa s[6:7], v0, s4 src0_sel:BYTE_3 src1_sel:DWORD
	s_mov_b64 s[4:5], 0
                                        ; implicit-def: $sgpr10
	s_and_saveexec_b64 s[8:9], s[6:7]
	s_xor_b64 s[6:7], exec, s[8:9]
	s_cbranch_execnz .LBB1_3997
; %bb.1949:
	s_or_saveexec_b64 s[6:7], s[6:7]
	v_mov_b32_e32 v4, s10
	s_xor_b64 exec, exec, s[6:7]
	s_cbranch_execnz .LBB1_4000
.LBB1_1950:
	s_or_b64 exec, exec, s[6:7]
	s_and_saveexec_b64 s[6:7], s[4:5]
	s_cbranch_execz .LBB1_1952
.LBB1_1951:
	v_bfe_u32 v4, v0, 24, 3
	v_ffbh_u32_e32 v14, v4
	v_min_u32_e32 v14, 32, v14
	v_lshrrev_b32_e32 v12, 27, v0
	v_subrev_u32_e32 v15, 28, v14
	v_and_b32_e32 v11, 0x80000000, v0
	v_and_b32_e32 v12, 15, v12
	v_bfe_u32 v13, v0, 27, 4
	v_lshlrev_b32_sdwa v0, v15, v0 dst_sel:DWORD dst_unused:UNUSED_PAD src0_sel:DWORD src1_sel:BYTE_3
	v_sub_u32_e32 v14, 29, v14
	v_and_b32_e32 v0, 7, v0
	v_cmp_eq_u16_e32 vcc, 0, v12
	v_cndmask_b32_e32 v0, v4, v0, vcc
	v_cndmask_b32_e32 v4, v13, v14, vcc
	v_mov_b32_e32 v12, 0x3b800000
	v_lshlrev_b32_e32 v0, 20, v0
	v_lshl_add_u32 v4, v4, 23, v12
	v_or3_b32 v4, v11, v4, v0
.LBB1_1952:
	s_or_b64 exec, exec, s[6:7]
	s_nop 0
	v_mfma_f32_16x16x4f32 a[0:3], v10, v4, a[0:3]
	s_movk_i32 s4, 0x7f
	v_cmp_gt_i16_sdwa s[6:7], v5, s4 src0_sel:BYTE_0 src1_sel:DWORD
	s_mov_b64 s[4:5], 0
                                        ; implicit-def: $sgpr10
	s_and_saveexec_b64 s[8:9], s[6:7]
	s_xor_b64 s[6:7], exec, s[8:9]
	s_cbranch_execnz .LBB1_4001
; %bb.1953:
	s_or_saveexec_b64 s[6:7], s[6:7]
	v_mov_b32_e32 v0, s10
	s_xor_b64 exec, exec, s[6:7]
	s_cbranch_execnz .LBB1_4004
.LBB1_1954:
	s_or_b64 exec, exec, s[6:7]
	s_and_saveexec_b64 s[6:7], s[4:5]
	s_cbranch_execz .LBB1_1956
.LBB1_1955:
	v_and_b32_e32 v0, 7, v5
	v_ffbh_u32_e32 v10, v0
	v_min_u32_e32 v10, 32, v10
	v_lshrrev_b16_e32 v4, 3, v5
	v_subrev_u32_e32 v11, 28, v10
	v_and_b32_e32 v4, 15, v4
	v_lshlrev_b32_e32 v11, v11, v5
	v_sub_u32_e32 v10, 29, v10
	v_and_b32_e32 v11, 7, v11
	v_cmp_eq_u16_e32 vcc, 0, v4
	v_cndmask_b32_e32 v0, v0, v11, vcc
	v_cndmask_b32_e32 v4, v4, v10, vcc
	v_lshlrev_b32_e32 v10, 24, v5
	v_mov_b32_e32 v11, 0x3b800000
	v_lshlrev_b32_e32 v0, 20, v0
	v_and_b32_e32 v10, 0x80000000, v10
	v_lshl_add_u32 v4, v4, 23, v11
	v_or3_b32 v0, v10, v4, v0
.LBB1_1956:
	s_or_b64 exec, exec, s[6:7]
	s_movk_i32 s4, 0x7f
	v_cmp_gt_i16_sdwa s[6:7], v1, s4 src0_sel:BYTE_0 src1_sel:DWORD
	s_mov_b64 s[4:5], 0
                                        ; implicit-def: $sgpr10
	s_and_saveexec_b64 s[8:9], s[6:7]
	s_xor_b64 s[6:7], exec, s[8:9]
	s_cbranch_execnz .LBB1_4005
; %bb.1957:
	s_or_saveexec_b64 s[6:7], s[6:7]
	v_mov_b32_e32 v4, s10
	s_xor_b64 exec, exec, s[6:7]
	s_cbranch_execnz .LBB1_4008
.LBB1_1958:
	s_or_b64 exec, exec, s[6:7]
	s_and_saveexec_b64 s[6:7], s[4:5]
	s_cbranch_execz .LBB1_1960
.LBB1_1959:
	v_and_b32_e32 v4, 7, v1
	v_ffbh_u32_e32 v11, v4
	v_min_u32_e32 v11, 32, v11
	v_lshrrev_b16_e32 v10, 3, v1
	v_subrev_u32_e32 v12, 28, v11
	v_and_b32_e32 v10, 15, v10
	v_lshlrev_b32_e32 v12, v12, v1
	v_sub_u32_e32 v11, 29, v11
	v_and_b32_e32 v12, 7, v12
	v_cmp_eq_u16_e32 vcc, 0, v10
	v_cndmask_b32_e32 v4, v4, v12, vcc
	v_cndmask_b32_e32 v10, v10, v11, vcc
	v_lshlrev_b32_e32 v11, 24, v1
	v_mov_b32_e32 v12, 0x3b800000
	v_lshlrev_b32_e32 v4, 20, v4
	v_and_b32_e32 v11, 0x80000000, v11
	v_lshl_add_u32 v10, v10, 23, v12
	v_or3_b32 v4, v11, v10, v4
.LBB1_1960:
	s_or_b64 exec, exec, s[6:7]
	s_nop 0
	v_mfma_f32_16x16x4f32 a[0:3], v0, v4, a[0:3]
	v_lshrrev_b32_e32 v4, 8, v5
	s_movk_i32 s4, 0x7f
	v_cmp_gt_i16_sdwa s[6:7], v4, s4 src0_sel:BYTE_0 src1_sel:DWORD
	s_mov_b64 s[4:5], 0
                                        ; implicit-def: $sgpr10
	s_and_saveexec_b64 s[8:9], s[6:7]
	s_xor_b64 s[6:7], exec, s[8:9]
	s_cbranch_execnz .LBB1_4009
; %bb.1961:
	s_or_saveexec_b64 s[6:7], s[6:7]
	v_mov_b32_e32 v0, s10
	s_xor_b64 exec, exec, s[6:7]
	s_cbranch_execnz .LBB1_4012
.LBB1_1962:
	s_or_b64 exec, exec, s[6:7]
	s_and_saveexec_b64 s[6:7], s[4:5]
	s_cbranch_execz .LBB1_1964
.LBB1_1963:
	v_bfe_u32 v0, v5, 8, 3
	v_ffbh_u32_e32 v11, v0
	v_min_u32_e32 v11, 32, v11
	v_lshrrev_b16_e32 v10, 3, v4
	v_subrev_u32_e32 v12, 28, v11
	v_and_b32_e32 v10, 15, v10
	v_lshlrev_b32_e32 v4, v12, v4
	v_sub_u32_e32 v11, 29, v11
	v_and_b32_e32 v4, 7, v4
	v_cmp_eq_u16_e32 vcc, 0, v10
	v_cndmask_b32_e32 v0, v0, v4, vcc
	v_cndmask_b32_e32 v4, v10, v11, vcc
	v_lshlrev_b32_e32 v10, 16, v5
	v_mov_b32_e32 v11, 0x3b800000
	v_lshlrev_b32_e32 v0, 20, v0
	v_and_b32_e32 v10, 0x80000000, v10
	v_lshl_add_u32 v4, v4, 23, v11
	v_or3_b32 v0, v10, v4, v0
.LBB1_1964:
	s_or_b64 exec, exec, s[6:7]
	v_lshrrev_b32_e32 v4, 8, v1
	s_movk_i32 s4, 0x7f
	v_cmp_gt_i16_sdwa s[6:7], v4, s4 src0_sel:BYTE_0 src1_sel:DWORD
	s_mov_b64 s[4:5], 0
                                        ; implicit-def: $sgpr10
	s_and_saveexec_b64 s[8:9], s[6:7]
	s_xor_b64 s[6:7], exec, s[8:9]
	s_cbranch_execnz .LBB1_4013
; %bb.1965:
	s_or_saveexec_b64 s[6:7], s[6:7]
	v_mov_b32_e32 v10, s10
	s_xor_b64 exec, exec, s[6:7]
	s_cbranch_execnz .LBB1_4016
.LBB1_1966:
	s_or_b64 exec, exec, s[6:7]
	s_and_saveexec_b64 s[6:7], s[4:5]
	s_cbranch_execz .LBB1_1968
.LBB1_1967:
	v_bfe_u32 v10, v1, 8, 3
	v_ffbh_u32_e32 v12, v10
	v_min_u32_e32 v12, 32, v12
	v_lshrrev_b16_e32 v11, 3, v4
	v_subrev_u32_e32 v13, 28, v12
	v_and_b32_e32 v11, 15, v11
	v_lshlrev_b32_e32 v4, v13, v4
	v_sub_u32_e32 v12, 29, v12
	v_and_b32_e32 v4, 7, v4
	v_cmp_eq_u16_e32 vcc, 0, v11
	v_cndmask_b32_e32 v4, v10, v4, vcc
	v_cndmask_b32_e32 v10, v11, v12, vcc
	v_lshlrev_b32_e32 v11, 16, v1
	v_mov_b32_e32 v12, 0x3b800000
	v_lshlrev_b32_e32 v4, 20, v4
	v_and_b32_e32 v11, 0x80000000, v11
	v_lshl_add_u32 v10, v10, 23, v12
	v_or3_b32 v10, v11, v10, v4
.LBB1_1968:
	s_or_b64 exec, exec, s[6:7]
	s_nop 0
	v_mfma_f32_16x16x4f32 a[0:3], v0, v10, a[0:3]
	s_movk_i32 s4, 0xff
	v_and_b32_sdwa v4, v5, s4 dst_sel:DWORD dst_unused:UNUSED_PAD src0_sel:WORD_1 src1_sel:DWORD
	s_movk_i32 s4, 0x7f
	v_cmp_lt_i16_e32 vcc, s4, v4
	s_mov_b64 s[4:5], 0
                                        ; implicit-def: $sgpr10
	s_and_saveexec_b64 s[6:7], vcc
	s_xor_b64 s[6:7], exec, s[6:7]
	s_cbranch_execnz .LBB1_4017
; %bb.1969:
	s_or_saveexec_b64 s[6:7], s[6:7]
	v_mov_b32_e32 v0, s10
	s_xor_b64 exec, exec, s[6:7]
	s_cbranch_execnz .LBB1_4020
.LBB1_1970:
	s_or_b64 exec, exec, s[6:7]
	s_and_saveexec_b64 s[6:7], s[4:5]
	s_cbranch_execz .LBB1_1972
.LBB1_1971:
	v_bfe_u32 v0, v5, 16, 3
	v_ffbh_u32_e32 v11, v0
	v_min_u32_e32 v11, 32, v11
	v_lshrrev_b32_e32 v4, 19, v5
	v_subrev_u32_e32 v12, 28, v11
	v_and_b32_e32 v4, 15, v4
	v_lshlrev_b32_sdwa v12, v12, v5 dst_sel:DWORD dst_unused:UNUSED_PAD src0_sel:DWORD src1_sel:WORD_1
	v_bfe_u32 v10, v5, 19, 4
	v_sub_u32_e32 v11, 29, v11
	v_and_b32_e32 v12, 7, v12
	v_cmp_eq_u16_e32 vcc, 0, v4
	v_cndmask_b32_e32 v0, v0, v12, vcc
	v_cndmask_b32_e32 v4, v10, v11, vcc
	v_lshlrev_b32_e32 v10, 8, v5
	v_mov_b32_e32 v11, 0x3b800000
	v_lshlrev_b32_e32 v0, 20, v0
	v_and_b32_e32 v10, 0x80000000, v10
	v_lshl_add_u32 v4, v4, 23, v11
	v_or3_b32 v0, v10, v4, v0
.LBB1_1972:
	s_or_b64 exec, exec, s[6:7]
	s_movk_i32 s4, 0xff
	v_and_b32_sdwa v4, v1, s4 dst_sel:DWORD dst_unused:UNUSED_PAD src0_sel:WORD_1 src1_sel:DWORD
	s_movk_i32 s4, 0x7f
	v_cmp_lt_i16_e32 vcc, s4, v4
	s_mov_b64 s[4:5], 0
                                        ; implicit-def: $sgpr10
	s_and_saveexec_b64 s[6:7], vcc
	s_xor_b64 s[6:7], exec, s[6:7]
	s_cbranch_execnz .LBB1_4021
; %bb.1973:
	s_or_saveexec_b64 s[6:7], s[6:7]
	v_mov_b32_e32 v10, s10
	s_xor_b64 exec, exec, s[6:7]
	s_cbranch_execnz .LBB1_4024
.LBB1_1974:
	s_or_b64 exec, exec, s[6:7]
	s_and_saveexec_b64 s[6:7], s[4:5]
	s_cbranch_execz .LBB1_1976
.LBB1_1975:
	v_bfe_u32 v4, v1, 16, 3
	v_ffbh_u32_e32 v12, v4
	v_min_u32_e32 v12, 32, v12
	v_lshrrev_b32_e32 v10, 19, v1
	v_subrev_u32_e32 v13, 28, v12
	v_and_b32_e32 v10, 15, v10
	v_lshlrev_b32_sdwa v13, v13, v1 dst_sel:DWORD dst_unused:UNUSED_PAD src0_sel:DWORD src1_sel:WORD_1
	v_bfe_u32 v11, v1, 19, 4
	v_sub_u32_e32 v12, 29, v12
	v_and_b32_e32 v13, 7, v13
	v_cmp_eq_u16_e32 vcc, 0, v10
	v_cndmask_b32_e32 v4, v4, v13, vcc
	v_cndmask_b32_e32 v10, v11, v12, vcc
	v_lshlrev_b32_e32 v11, 8, v1
	v_mov_b32_e32 v12, 0x3b800000
	v_lshlrev_b32_e32 v4, 20, v4
	v_and_b32_e32 v11, 0x80000000, v11
	v_lshl_add_u32 v10, v10, 23, v12
	v_or3_b32 v10, v11, v10, v4
.LBB1_1976:
	s_or_b64 exec, exec, s[6:7]
	s_nop 0
	v_mfma_f32_16x16x4f32 a[0:3], v0, v10, a[0:3]
	s_movk_i32 s4, 0x7f
	v_cmp_gt_i16_sdwa s[6:7], v5, s4 src0_sel:BYTE_3 src1_sel:DWORD
	s_mov_b64 s[4:5], 0
                                        ; implicit-def: $sgpr10
	s_and_saveexec_b64 s[8:9], s[6:7]
	s_xor_b64 s[6:7], exec, s[8:9]
	s_cbranch_execnz .LBB1_4025
; %bb.1977:
	s_or_saveexec_b64 s[6:7], s[6:7]
	v_mov_b32_e32 v0, s10
	s_xor_b64 exec, exec, s[6:7]
	s_cbranch_execnz .LBB1_4028
.LBB1_1978:
	s_or_b64 exec, exec, s[6:7]
	s_and_saveexec_b64 s[6:7], s[4:5]
	s_cbranch_execz .LBB1_1980
.LBB1_1979:
	v_bfe_u32 v0, v5, 24, 3
	v_ffbh_u32_e32 v12, v0
	v_min_u32_e32 v12, 32, v12
	v_lshrrev_b32_e32 v10, 27, v5
	v_subrev_u32_e32 v13, 28, v12
	v_and_b32_e32 v4, 0x80000000, v5
	v_and_b32_e32 v10, 15, v10
	v_bfe_u32 v11, v5, 27, 4
	v_lshlrev_b32_sdwa v5, v13, v5 dst_sel:DWORD dst_unused:UNUSED_PAD src0_sel:DWORD src1_sel:BYTE_3
	v_sub_u32_e32 v12, 29, v12
	v_and_b32_e32 v5, 7, v5
	v_cmp_eq_u16_e32 vcc, 0, v10
	v_cndmask_b32_e32 v0, v0, v5, vcc
	v_cndmask_b32_e32 v5, v11, v12, vcc
	v_mov_b32_e32 v10, 0x3b800000
	v_lshlrev_b32_e32 v0, 20, v0
	v_lshl_add_u32 v5, v5, 23, v10
	v_or3_b32 v0, v4, v5, v0
.LBB1_1980:
	s_or_b64 exec, exec, s[6:7]
	s_movk_i32 s4, 0x7f
	v_cmp_gt_i16_sdwa s[6:7], v1, s4 src0_sel:BYTE_3 src1_sel:DWORD
	s_mov_b64 s[4:5], 0
                                        ; implicit-def: $sgpr10
	s_and_saveexec_b64 s[8:9], s[6:7]
	s_xor_b64 s[6:7], exec, s[8:9]
	s_cbranch_execnz .LBB1_4029
; %bb.1981:
	s_or_saveexec_b64 s[6:7], s[6:7]
	v_mov_b32_e32 v4, s10
	s_xor_b64 exec, exec, s[6:7]
	s_cbranch_execnz .LBB1_4032
.LBB1_1982:
	s_or_b64 exec, exec, s[6:7]
	s_and_saveexec_b64 s[6:7], s[4:5]
	s_cbranch_execz .LBB1_1984
.LBB1_1983:
	v_bfe_u32 v4, v1, 24, 3
	v_ffbh_u32_e32 v12, v4
	v_min_u32_e32 v12, 32, v12
	v_lshrrev_b32_e32 v10, 27, v1
	v_subrev_u32_e32 v13, 28, v12
	v_and_b32_e32 v5, 0x80000000, v1
	v_and_b32_e32 v10, 15, v10
	v_bfe_u32 v11, v1, 27, 4
	v_lshlrev_b32_sdwa v1, v13, v1 dst_sel:DWORD dst_unused:UNUSED_PAD src0_sel:DWORD src1_sel:BYTE_3
	v_sub_u32_e32 v12, 29, v12
	v_and_b32_e32 v1, 7, v1
	v_cmp_eq_u16_e32 vcc, 0, v10
	v_cndmask_b32_e32 v1, v4, v1, vcc
	v_cndmask_b32_e32 v4, v11, v12, vcc
	v_mov_b32_e32 v10, 0x3b800000
	v_lshlrev_b32_e32 v1, 20, v1
	v_lshl_add_u32 v4, v4, 23, v10
	v_or3_b32 v4, v5, v4, v1
.LBB1_1984:
	s_or_b64 exec, exec, s[6:7]
	s_nop 0
	v_mfma_f32_16x16x4f32 a[0:3], v0, v4, a[0:3]
	s_movk_i32 s4, 0x7f
	v_cmp_gt_i16_sdwa s[6:7], v6, s4 src0_sel:BYTE_0 src1_sel:DWORD
	s_mov_b64 s[4:5], 0
                                        ; implicit-def: $sgpr10
	s_and_saveexec_b64 s[8:9], s[6:7]
	s_xor_b64 s[6:7], exec, s[8:9]
	s_cbranch_execnz .LBB1_4033
; %bb.1985:
	s_or_saveexec_b64 s[6:7], s[6:7]
	v_mov_b32_e32 v0, s10
	s_xor_b64 exec, exec, s[6:7]
	s_cbranch_execnz .LBB1_4036
.LBB1_1986:
	s_or_b64 exec, exec, s[6:7]
	s_and_saveexec_b64 s[6:7], s[4:5]
	s_cbranch_execz .LBB1_1988
.LBB1_1987:
	v_and_b32_e32 v0, 7, v6
	v_ffbh_u32_e32 v4, v0
	v_min_u32_e32 v4, 32, v4
	v_lshrrev_b16_e32 v1, 3, v6
	v_subrev_u32_e32 v5, 28, v4
	v_and_b32_e32 v1, 15, v1
	v_lshlrev_b32_e32 v5, v5, v6
	v_sub_u32_e32 v4, 29, v4
	v_and_b32_e32 v5, 7, v5
	v_cmp_eq_u16_e32 vcc, 0, v1
	v_cndmask_b32_e32 v0, v0, v5, vcc
	v_cndmask_b32_e32 v1, v1, v4, vcc
	v_lshlrev_b32_e32 v4, 24, v6
	v_mov_b32_e32 v5, 0x3b800000
	v_lshlrev_b32_e32 v0, 20, v0
	v_and_b32_e32 v4, 0x80000000, v4
	v_lshl_add_u32 v1, v1, 23, v5
	v_or3_b32 v0, v4, v1, v0
.LBB1_1988:
	s_or_b64 exec, exec, s[6:7]
	s_movk_i32 s4, 0x7f
	v_cmp_gt_i16_sdwa s[6:7], v2, s4 src0_sel:BYTE_0 src1_sel:DWORD
	s_mov_b64 s[4:5], 0
                                        ; implicit-def: $sgpr10
	s_and_saveexec_b64 s[8:9], s[6:7]
	s_xor_b64 s[6:7], exec, s[8:9]
	s_cbranch_execnz .LBB1_4037
; %bb.1989:
	s_or_saveexec_b64 s[6:7], s[6:7]
	v_mov_b32_e32 v1, s10
	s_xor_b64 exec, exec, s[6:7]
	s_cbranch_execnz .LBB1_4040
.LBB1_1990:
	s_or_b64 exec, exec, s[6:7]
	s_and_saveexec_b64 s[6:7], s[4:5]
	s_cbranch_execz .LBB1_1992
.LBB1_1991:
	v_and_b32_e32 v1, 7, v2
	v_ffbh_u32_e32 v5, v1
	v_min_u32_e32 v5, 32, v5
	v_lshrrev_b16_e32 v4, 3, v2
	v_subrev_u32_e32 v10, 28, v5
	v_and_b32_e32 v4, 15, v4
	v_lshlrev_b32_e32 v10, v10, v2
	v_sub_u32_e32 v5, 29, v5
	v_and_b32_e32 v10, 7, v10
	v_cmp_eq_u16_e32 vcc, 0, v4
	v_cndmask_b32_e32 v1, v1, v10, vcc
	v_cndmask_b32_e32 v4, v4, v5, vcc
	v_lshlrev_b32_e32 v5, 24, v2
	v_mov_b32_e32 v10, 0x3b800000
	v_lshlrev_b32_e32 v1, 20, v1
	v_and_b32_e32 v5, 0x80000000, v5
	v_lshl_add_u32 v4, v4, 23, v10
	v_or3_b32 v1, v5, v4, v1
.LBB1_1992:
	s_or_b64 exec, exec, s[6:7]
	s_nop 0
	v_mfma_f32_16x16x4f32 a[0:3], v0, v1, a[0:3]
	v_lshrrev_b32_e32 v1, 8, v6
	s_movk_i32 s4, 0x7f
	v_cmp_gt_i16_sdwa s[6:7], v1, s4 src0_sel:BYTE_0 src1_sel:DWORD
	s_mov_b64 s[4:5], 0
                                        ; implicit-def: $sgpr10
	s_and_saveexec_b64 s[8:9], s[6:7]
	s_xor_b64 s[6:7], exec, s[8:9]
	s_cbranch_execnz .LBB1_4041
; %bb.1993:
	s_or_saveexec_b64 s[6:7], s[6:7]
	v_mov_b32_e32 v0, s10
	s_xor_b64 exec, exec, s[6:7]
	s_cbranch_execnz .LBB1_4044
.LBB1_1994:
	s_or_b64 exec, exec, s[6:7]
	s_and_saveexec_b64 s[6:7], s[4:5]
	s_cbranch_execz .LBB1_1996
.LBB1_1995:
	v_bfe_u32 v0, v6, 8, 3
	v_ffbh_u32_e32 v5, v0
	v_min_u32_e32 v5, 32, v5
	v_lshrrev_b16_e32 v4, 3, v1
	v_subrev_u32_e32 v10, 28, v5
	v_and_b32_e32 v4, 15, v4
	v_lshlrev_b32_e32 v1, v10, v1
	v_sub_u32_e32 v5, 29, v5
	v_and_b32_e32 v1, 7, v1
	v_cmp_eq_u16_e32 vcc, 0, v4
	v_cndmask_b32_e32 v0, v0, v1, vcc
	v_cndmask_b32_e32 v1, v4, v5, vcc
	v_lshlrev_b32_e32 v4, 16, v6
	v_mov_b32_e32 v5, 0x3b800000
	v_lshlrev_b32_e32 v0, 20, v0
	v_and_b32_e32 v4, 0x80000000, v4
	v_lshl_add_u32 v1, v1, 23, v5
	v_or3_b32 v0, v4, v1, v0
.LBB1_1996:
	s_or_b64 exec, exec, s[6:7]
	v_lshrrev_b32_e32 v1, 8, v2
	s_movk_i32 s4, 0x7f
	v_cmp_gt_i16_sdwa s[6:7], v1, s4 src0_sel:BYTE_0 src1_sel:DWORD
	s_mov_b64 s[4:5], 0
                                        ; implicit-def: $sgpr10
	s_and_saveexec_b64 s[8:9], s[6:7]
	s_xor_b64 s[6:7], exec, s[8:9]
	s_cbranch_execnz .LBB1_4045
; %bb.1997:
	s_or_saveexec_b64 s[6:7], s[6:7]
	v_mov_b32_e32 v4, s10
	s_xor_b64 exec, exec, s[6:7]
	s_cbranch_execnz .LBB1_4048
.LBB1_1998:
	s_or_b64 exec, exec, s[6:7]
	s_and_saveexec_b64 s[6:7], s[4:5]
	s_cbranch_execz .LBB1_2000
.LBB1_1999:
	v_bfe_u32 v4, v2, 8, 3
	v_ffbh_u32_e32 v10, v4
	v_min_u32_e32 v10, 32, v10
	v_lshrrev_b16_e32 v5, 3, v1
	v_subrev_u32_e32 v11, 28, v10
	v_and_b32_e32 v5, 15, v5
	v_lshlrev_b32_e32 v1, v11, v1
	v_sub_u32_e32 v10, 29, v10
	v_and_b32_e32 v1, 7, v1
	v_cmp_eq_u16_e32 vcc, 0, v5
	v_cndmask_b32_e32 v1, v4, v1, vcc
	v_cndmask_b32_e32 v4, v5, v10, vcc
	v_lshlrev_b32_e32 v5, 16, v2
	v_mov_b32_e32 v10, 0x3b800000
	v_lshlrev_b32_e32 v1, 20, v1
	v_and_b32_e32 v5, 0x80000000, v5
	v_lshl_add_u32 v4, v4, 23, v10
	v_or3_b32 v4, v5, v4, v1
.LBB1_2000:
	s_or_b64 exec, exec, s[6:7]
	s_nop 0
	v_mfma_f32_16x16x4f32 a[0:3], v0, v4, a[0:3]
	s_movk_i32 s4, 0xff
	v_and_b32_sdwa v1, v6, s4 dst_sel:DWORD dst_unused:UNUSED_PAD src0_sel:WORD_1 src1_sel:DWORD
	s_movk_i32 s4, 0x7f
	v_cmp_lt_i16_e32 vcc, s4, v1
	s_mov_b64 s[4:5], 0
                                        ; implicit-def: $sgpr10
	s_and_saveexec_b64 s[6:7], vcc
	s_xor_b64 s[6:7], exec, s[6:7]
	s_cbranch_execnz .LBB1_4049
; %bb.2001:
	s_or_saveexec_b64 s[6:7], s[6:7]
	v_mov_b32_e32 v0, s10
	s_xor_b64 exec, exec, s[6:7]
	s_cbranch_execnz .LBB1_4052
.LBB1_2002:
	s_or_b64 exec, exec, s[6:7]
	s_and_saveexec_b64 s[6:7], s[4:5]
	s_cbranch_execz .LBB1_2004
.LBB1_2003:
	v_bfe_u32 v0, v6, 16, 3
	v_ffbh_u32_e32 v5, v0
	v_min_u32_e32 v5, 32, v5
	v_lshrrev_b32_e32 v1, 19, v6
	v_subrev_u32_e32 v10, 28, v5
	v_and_b32_e32 v1, 15, v1
	v_lshlrev_b32_sdwa v10, v10, v6 dst_sel:DWORD dst_unused:UNUSED_PAD src0_sel:DWORD src1_sel:WORD_1
	v_bfe_u32 v4, v6, 19, 4
	v_sub_u32_e32 v5, 29, v5
	v_and_b32_e32 v10, 7, v10
	v_cmp_eq_u16_e32 vcc, 0, v1
	v_cndmask_b32_e32 v0, v0, v10, vcc
	v_cndmask_b32_e32 v1, v4, v5, vcc
	v_lshlrev_b32_e32 v4, 8, v6
	v_mov_b32_e32 v5, 0x3b800000
	v_lshlrev_b32_e32 v0, 20, v0
	v_and_b32_e32 v4, 0x80000000, v4
	v_lshl_add_u32 v1, v1, 23, v5
	v_or3_b32 v0, v4, v1, v0
.LBB1_2004:
	s_or_b64 exec, exec, s[6:7]
	s_movk_i32 s4, 0xff
	v_and_b32_sdwa v1, v2, s4 dst_sel:DWORD dst_unused:UNUSED_PAD src0_sel:WORD_1 src1_sel:DWORD
	s_movk_i32 s4, 0x7f
	v_cmp_lt_i16_e32 vcc, s4, v1
	s_mov_b64 s[4:5], 0
                                        ; implicit-def: $sgpr10
	s_and_saveexec_b64 s[6:7], vcc
	s_xor_b64 s[6:7], exec, s[6:7]
	s_cbranch_execnz .LBB1_4053
; %bb.2005:
	s_or_saveexec_b64 s[6:7], s[6:7]
	v_mov_b32_e32 v4, s10
	s_xor_b64 exec, exec, s[6:7]
	s_cbranch_execnz .LBB1_4056
.LBB1_2006:
	s_or_b64 exec, exec, s[6:7]
	s_and_saveexec_b64 s[6:7], s[4:5]
	s_cbranch_execz .LBB1_2008
.LBB1_2007:
	v_bfe_u32 v1, v2, 16, 3
	v_ffbh_u32_e32 v10, v1
	v_min_u32_e32 v10, 32, v10
	v_lshrrev_b32_e32 v4, 19, v2
	v_subrev_u32_e32 v11, 28, v10
	v_and_b32_e32 v4, 15, v4
	v_lshlrev_b32_sdwa v11, v11, v2 dst_sel:DWORD dst_unused:UNUSED_PAD src0_sel:DWORD src1_sel:WORD_1
	v_bfe_u32 v5, v2, 19, 4
	v_sub_u32_e32 v10, 29, v10
	v_and_b32_e32 v11, 7, v11
	v_cmp_eq_u16_e32 vcc, 0, v4
	v_cndmask_b32_e32 v1, v1, v11, vcc
	v_cndmask_b32_e32 v4, v5, v10, vcc
	v_lshlrev_b32_e32 v5, 8, v2
	v_mov_b32_e32 v10, 0x3b800000
	v_lshlrev_b32_e32 v1, 20, v1
	v_and_b32_e32 v5, 0x80000000, v5
	v_lshl_add_u32 v4, v4, 23, v10
	v_or3_b32 v4, v5, v4, v1
.LBB1_2008:
	s_or_b64 exec, exec, s[6:7]
	s_nop 0
	v_mfma_f32_16x16x4f32 a[0:3], v0, v4, a[0:3]
	s_movk_i32 s4, 0x7f
	v_cmp_gt_i16_sdwa s[6:7], v6, s4 src0_sel:BYTE_3 src1_sel:DWORD
	s_mov_b64 s[4:5], 0
                                        ; implicit-def: $sgpr10
	s_and_saveexec_b64 s[8:9], s[6:7]
	s_xor_b64 s[6:7], exec, s[8:9]
	s_cbranch_execnz .LBB1_4057
; %bb.2009:
	s_or_saveexec_b64 s[6:7], s[6:7]
	v_mov_b32_e32 v0, s10
	s_xor_b64 exec, exec, s[6:7]
	s_cbranch_execnz .LBB1_4060
.LBB1_2010:
	s_or_b64 exec, exec, s[6:7]
	s_and_saveexec_b64 s[6:7], s[4:5]
	s_cbranch_execz .LBB1_2012
.LBB1_2011:
	v_bfe_u32 v0, v6, 24, 3
	v_ffbh_u32_e32 v10, v0
	v_min_u32_e32 v10, 32, v10
	v_lshrrev_b32_e32 v4, 27, v6
	v_subrev_u32_e32 v11, 28, v10
	v_and_b32_e32 v1, 0x80000000, v6
	v_and_b32_e32 v4, 15, v4
	v_bfe_u32 v5, v6, 27, 4
	v_lshlrev_b32_sdwa v6, v11, v6 dst_sel:DWORD dst_unused:UNUSED_PAD src0_sel:DWORD src1_sel:BYTE_3
	v_sub_u32_e32 v10, 29, v10
	v_and_b32_e32 v6, 7, v6
	v_cmp_eq_u16_e32 vcc, 0, v4
	v_cndmask_b32_e32 v0, v0, v6, vcc
	v_cndmask_b32_e32 v4, v5, v10, vcc
	v_mov_b32_e32 v5, 0x3b800000
	v_lshlrev_b32_e32 v0, 20, v0
	v_lshl_add_u32 v4, v4, 23, v5
	v_or3_b32 v0, v1, v4, v0
.LBB1_2012:
	s_or_b64 exec, exec, s[6:7]
	s_movk_i32 s4, 0x7f
	v_cmp_gt_i16_sdwa s[6:7], v2, s4 src0_sel:BYTE_3 src1_sel:DWORD
	s_mov_b64 s[4:5], 0
                                        ; implicit-def: $sgpr10
	s_and_saveexec_b64 s[8:9], s[6:7]
	s_xor_b64 s[6:7], exec, s[8:9]
	s_cbranch_execnz .LBB1_4061
; %bb.2013:
	s_or_saveexec_b64 s[6:7], s[6:7]
	v_mov_b32_e32 v1, s10
	s_xor_b64 exec, exec, s[6:7]
	s_cbranch_execnz .LBB1_4064
.LBB1_2014:
	s_or_b64 exec, exec, s[6:7]
	s_and_saveexec_b64 s[6:7], s[4:5]
	s_cbranch_execz .LBB1_2016
.LBB1_2015:
	v_bfe_u32 v1, v2, 24, 3
	v_ffbh_u32_e32 v10, v1
	v_min_u32_e32 v10, 32, v10
	v_lshrrev_b32_e32 v5, 27, v2
	v_subrev_u32_e32 v11, 28, v10
	v_and_b32_e32 v4, 0x80000000, v2
	v_and_b32_e32 v5, 15, v5
	v_bfe_u32 v6, v2, 27, 4
	v_lshlrev_b32_sdwa v2, v11, v2 dst_sel:DWORD dst_unused:UNUSED_PAD src0_sel:DWORD src1_sel:BYTE_3
	v_sub_u32_e32 v10, 29, v10
	v_and_b32_e32 v2, 7, v2
	v_cmp_eq_u16_e32 vcc, 0, v5
	v_cndmask_b32_e32 v1, v1, v2, vcc
	v_cndmask_b32_e32 v2, v6, v10, vcc
	v_mov_b32_e32 v5, 0x3b800000
	v_lshlrev_b32_e32 v1, 20, v1
	v_lshl_add_u32 v2, v2, 23, v5
	v_or3_b32 v1, v4, v2, v1
.LBB1_2016:
	s_or_b64 exec, exec, s[6:7]
	s_nop 0
	v_mfma_f32_16x16x4f32 a[0:3], v0, v1, a[0:3]
	s_movk_i32 s4, 0x7f
	v_cmp_gt_i16_sdwa s[6:7], v7, s4 src0_sel:BYTE_0 src1_sel:DWORD
	s_mov_b64 s[4:5], 0
                                        ; implicit-def: $sgpr10
	s_and_saveexec_b64 s[8:9], s[6:7]
	s_xor_b64 s[6:7], exec, s[8:9]
	s_cbranch_execnz .LBB1_4065
; %bb.2017:
	s_or_saveexec_b64 s[6:7], s[6:7]
	v_mov_b32_e32 v0, s10
	s_xor_b64 exec, exec, s[6:7]
	s_cbranch_execnz .LBB1_4068
.LBB1_2018:
	s_or_b64 exec, exec, s[6:7]
	s_and_saveexec_b64 s[6:7], s[4:5]
	s_cbranch_execz .LBB1_2020
.LBB1_2019:
	v_mov_b32_e32 v0, 8
	v_and_b32_e32 v1, 7, v7
	v_lshrrev_b32_sdwa v0, v0, v7 dst_sel:BYTE_1 dst_unused:UNUSED_PAD src0_sel:DWORD src1_sel:DWORD
	v_ffbh_u32_e32 v2, v1
	v_or_b32_sdwa v0, v7, v0 dst_sel:DWORD dst_unused:UNUSED_PAD src0_sel:BYTE_0 src1_sel:DWORD
	v_min_u32_e32 v2, 32, v2
	v_lshrrev_b16_e32 v0, 3, v0
	v_subrev_u32_e32 v4, 28, v2
	v_and_b32_e32 v0, 15, v0
	v_lshlrev_b32_e32 v4, v4, v7
	v_sub_u32_e32 v2, 29, v2
	v_and_b32_e32 v4, 7, v4
	v_cmp_eq_u16_e32 vcc, 0, v0
	v_cndmask_b32_e32 v1, v1, v4, vcc
	v_cndmask_b32_e32 v0, v0, v2, vcc
	v_lshlrev_b32_e32 v2, 24, v7
	v_mov_b32_e32 v4, 0x3b800000
	v_lshlrev_b32_e32 v1, 20, v1
	v_and_b32_e32 v2, 0x80000000, v2
	v_lshl_add_u32 v0, v0, 23, v4
	v_or3_b32 v0, v2, v0, v1
.LBB1_2020:
	s_or_b64 exec, exec, s[6:7]
	s_movk_i32 s4, 0x7f
	v_cmp_gt_i16_sdwa s[6:7], v3, s4 src0_sel:BYTE_0 src1_sel:DWORD
	s_mov_b64 s[4:5], 0
                                        ; implicit-def: $sgpr10
	s_and_saveexec_b64 s[8:9], s[6:7]
	s_xor_b64 s[6:7], exec, s[8:9]
	s_cbranch_execnz .LBB1_4069
; %bb.2021:
	s_or_saveexec_b64 s[6:7], s[6:7]
	v_mov_b32_e32 v1, s10
	s_xor_b64 exec, exec, s[6:7]
	s_cbranch_execnz .LBB1_4072
.LBB1_2022:
	s_or_b64 exec, exec, s[6:7]
	s_and_saveexec_b64 s[6:7], s[4:5]
	s_cbranch_execz .LBB1_2024
.LBB1_2023:
	v_mov_b32_e32 v1, 8
	v_and_b32_e32 v2, 7, v3
	v_lshrrev_b32_sdwa v1, v1, v3 dst_sel:BYTE_1 dst_unused:UNUSED_PAD src0_sel:DWORD src1_sel:DWORD
	v_ffbh_u32_e32 v4, v2
	v_or_b32_sdwa v1, v3, v1 dst_sel:DWORD dst_unused:UNUSED_PAD src0_sel:BYTE_0 src1_sel:DWORD
	v_min_u32_e32 v4, 32, v4
	v_lshrrev_b16_e32 v1, 3, v1
	v_subrev_u32_e32 v5, 28, v4
	v_and_b32_e32 v1, 15, v1
	v_lshlrev_b32_e32 v5, v5, v3
	v_sub_u32_e32 v4, 29, v4
	v_and_b32_e32 v5, 7, v5
	v_cmp_eq_u16_e32 vcc, 0, v1
	v_cndmask_b32_e32 v2, v2, v5, vcc
	v_cndmask_b32_e32 v1, v1, v4, vcc
	v_lshlrev_b32_e32 v4, 24, v3
	v_mov_b32_e32 v5, 0x3b800000
	v_lshlrev_b32_e32 v2, 20, v2
	v_and_b32_e32 v4, 0x80000000, v4
	v_lshl_add_u32 v1, v1, 23, v5
	v_or3_b32 v1, v4, v1, v2
.LBB1_2024:
	s_or_b64 exec, exec, s[6:7]
	s_nop 0
	v_mfma_f32_16x16x4f32 a[0:3], v0, v1, a[0:3]
	v_lshrrev_b32_e32 v1, 8, v7
	s_movk_i32 s4, 0x7f
	v_cmp_gt_i16_sdwa s[6:7], v1, s4 src0_sel:BYTE_0 src1_sel:DWORD
	s_mov_b64 s[4:5], 0
                                        ; implicit-def: $sgpr10
	s_and_saveexec_b64 s[8:9], s[6:7]
	s_xor_b64 s[6:7], exec, s[8:9]
	s_cbranch_execnz .LBB1_4073
; %bb.2025:
	s_or_saveexec_b64 s[6:7], s[6:7]
	v_mov_b32_e32 v0, s10
	s_xor_b64 exec, exec, s[6:7]
	s_cbranch_execnz .LBB1_4076
.LBB1_2026:
	s_or_b64 exec, exec, s[6:7]
	s_and_saveexec_b64 s[6:7], s[4:5]
	s_cbranch_execz .LBB1_2028
.LBB1_2027:
	v_bfe_u32 v0, v7, 8, 3
	v_ffbh_u32_e32 v4, v0
	v_min_u32_e32 v4, 32, v4
	v_lshrrev_b16_e32 v2, 3, v1
	v_subrev_u32_e32 v5, 28, v4
	v_and_b32_e32 v2, 15, v2
	v_lshlrev_b32_e32 v1, v5, v1
	v_sub_u32_e32 v4, 29, v4
	v_and_b32_e32 v1, 7, v1
	v_cmp_eq_u16_e32 vcc, 0, v2
	v_cndmask_b32_e32 v0, v0, v1, vcc
	v_cndmask_b32_e32 v1, v2, v4, vcc
	v_lshlrev_b32_e32 v2, 16, v7
	v_mov_b32_e32 v4, 0x3b800000
	v_lshlrev_b32_e32 v0, 20, v0
	v_and_b32_e32 v2, 0x80000000, v2
	v_lshl_add_u32 v1, v1, 23, v4
	v_or3_b32 v0, v2, v1, v0
.LBB1_2028:
	s_or_b64 exec, exec, s[6:7]
	v_lshrrev_b32_e32 v1, 8, v3
	s_movk_i32 s4, 0x7f
	v_cmp_gt_i16_sdwa s[6:7], v1, s4 src0_sel:BYTE_0 src1_sel:DWORD
	s_mov_b64 s[4:5], 0
                                        ; implicit-def: $sgpr10
	s_and_saveexec_b64 s[8:9], s[6:7]
	s_xor_b64 s[6:7], exec, s[8:9]
	s_cbranch_execnz .LBB1_4077
; %bb.2029:
	s_or_saveexec_b64 s[6:7], s[6:7]
	v_mov_b32_e32 v2, s10
	s_xor_b64 exec, exec, s[6:7]
	s_cbranch_execnz .LBB1_4080
.LBB1_2030:
	s_or_b64 exec, exec, s[6:7]
	s_and_saveexec_b64 s[6:7], s[4:5]
	s_cbranch_execz .LBB1_2032
.LBB1_2031:
	v_bfe_u32 v2, v3, 8, 3
	v_ffbh_u32_e32 v5, v2
	v_min_u32_e32 v5, 32, v5
	v_lshrrev_b16_e32 v4, 3, v1
	v_subrev_u32_e32 v6, 28, v5
	v_and_b32_e32 v4, 15, v4
	v_lshlrev_b32_e32 v1, v6, v1
	v_sub_u32_e32 v5, 29, v5
	v_and_b32_e32 v1, 7, v1
	v_cmp_eq_u16_e32 vcc, 0, v4
	v_cndmask_b32_e32 v1, v2, v1, vcc
	v_cndmask_b32_e32 v2, v4, v5, vcc
	v_lshlrev_b32_e32 v4, 16, v3
	v_mov_b32_e32 v5, 0x3b800000
	v_lshlrev_b32_e32 v1, 20, v1
	v_and_b32_e32 v4, 0x80000000, v4
	v_lshl_add_u32 v2, v2, 23, v5
	v_or3_b32 v2, v4, v2, v1
.LBB1_2032:
	s_or_b64 exec, exec, s[6:7]
	s_nop 0
	v_mfma_f32_16x16x4f32 a[0:3], v0, v2, a[0:3]
	s_movk_i32 s4, 0xff
	v_and_b32_sdwa v1, v7, s4 dst_sel:DWORD dst_unused:UNUSED_PAD src0_sel:WORD_1 src1_sel:DWORD
	s_movk_i32 s4, 0x7f
	v_cmp_lt_i16_e32 vcc, s4, v1
	s_mov_b64 s[4:5], 0
                                        ; implicit-def: $sgpr10
	s_and_saveexec_b64 s[6:7], vcc
	s_xor_b64 s[6:7], exec, s[6:7]
	s_cbranch_execnz .LBB1_4081
; %bb.2033:
	s_or_saveexec_b64 s[6:7], s[6:7]
	v_mov_b32_e32 v0, s10
	s_xor_b64 exec, exec, s[6:7]
	s_cbranch_execnz .LBB1_4084
.LBB1_2034:
	s_or_b64 exec, exec, s[6:7]
	s_and_saveexec_b64 s[6:7], s[4:5]
	s_cbranch_execz .LBB1_2036
.LBB1_2035:
	v_bfe_u32 v0, v7, 16, 3
	v_ffbh_u32_e32 v4, v0
	v_min_u32_e32 v4, 32, v4
	v_lshrrev_b32_e32 v1, 19, v7
	v_subrev_u32_e32 v5, 28, v4
	v_and_b32_e32 v1, 15, v1
	v_lshlrev_b32_sdwa v5, v5, v7 dst_sel:DWORD dst_unused:UNUSED_PAD src0_sel:DWORD src1_sel:WORD_1
	v_bfe_u32 v2, v7, 19, 4
	v_sub_u32_e32 v4, 29, v4
	v_and_b32_e32 v5, 7, v5
	v_cmp_eq_u16_e32 vcc, 0, v1
	v_cndmask_b32_e32 v0, v0, v5, vcc
	v_cndmask_b32_e32 v1, v2, v4, vcc
	v_lshlrev_b32_e32 v2, 8, v7
	v_mov_b32_e32 v4, 0x3b800000
	v_lshlrev_b32_e32 v0, 20, v0
	v_and_b32_e32 v2, 0x80000000, v2
	v_lshl_add_u32 v1, v1, 23, v4
	v_or3_b32 v0, v2, v1, v0
.LBB1_2036:
	s_or_b64 exec, exec, s[6:7]
	s_movk_i32 s4, 0xff
	v_and_b32_sdwa v1, v3, s4 dst_sel:DWORD dst_unused:UNUSED_PAD src0_sel:WORD_1 src1_sel:DWORD
	s_movk_i32 s4, 0x7f
	v_cmp_lt_i16_e32 vcc, s4, v1
	s_mov_b64 s[4:5], 0
                                        ; implicit-def: $sgpr10
	s_and_saveexec_b64 s[6:7], vcc
	s_xor_b64 s[6:7], exec, s[6:7]
	s_cbranch_execnz .LBB1_4085
; %bb.2037:
	s_or_saveexec_b64 s[6:7], s[6:7]
	v_mov_b32_e32 v2, s10
	s_xor_b64 exec, exec, s[6:7]
	s_cbranch_execnz .LBB1_4088
.LBB1_2038:
	s_or_b64 exec, exec, s[6:7]
	s_and_saveexec_b64 s[6:7], s[4:5]
	s_cbranch_execz .LBB1_2040
.LBB1_2039:
	v_bfe_u32 v1, v3, 16, 3
	v_ffbh_u32_e32 v5, v1
	v_min_u32_e32 v5, 32, v5
	v_lshrrev_b32_e32 v2, 19, v3
	v_subrev_u32_e32 v6, 28, v5
	v_and_b32_e32 v2, 15, v2
	v_lshlrev_b32_sdwa v6, v6, v3 dst_sel:DWORD dst_unused:UNUSED_PAD src0_sel:DWORD src1_sel:WORD_1
	v_bfe_u32 v4, v3, 19, 4
	v_sub_u32_e32 v5, 29, v5
	v_and_b32_e32 v6, 7, v6
	v_cmp_eq_u16_e32 vcc, 0, v2
	v_cndmask_b32_e32 v1, v1, v6, vcc
	v_cndmask_b32_e32 v2, v4, v5, vcc
	v_lshlrev_b32_e32 v4, 8, v3
	v_mov_b32_e32 v5, 0x3b800000
	v_lshlrev_b32_e32 v1, 20, v1
	v_and_b32_e32 v4, 0x80000000, v4
	v_lshl_add_u32 v2, v2, 23, v5
	v_or3_b32 v2, v4, v2, v1
.LBB1_2040:
	s_or_b64 exec, exec, s[6:7]
	s_nop 0
	v_mfma_f32_16x16x4f32 a[0:3], v0, v2, a[0:3]
	s_movk_i32 s4, 0x7f
	v_cmp_gt_i16_sdwa s[6:7], v7, s4 src0_sel:BYTE_3 src1_sel:DWORD
	s_mov_b64 s[4:5], 0
                                        ; implicit-def: $sgpr10
	s_and_saveexec_b64 s[8:9], s[6:7]
	s_xor_b64 s[6:7], exec, s[8:9]
	s_cbranch_execnz .LBB1_4089
; %bb.2041:
	s_or_saveexec_b64 s[6:7], s[6:7]
	v_mov_b32_e32 v0, s10
	s_xor_b64 exec, exec, s[6:7]
	s_cbranch_execnz .LBB1_4092
.LBB1_2042:
	s_or_b64 exec, exec, s[6:7]
	s_and_saveexec_b64 s[6:7], s[4:5]
	s_cbranch_execz .LBB1_2044
.LBB1_2043:
	v_bfe_u32 v0, v7, 24, 3
	v_ffbh_u32_e32 v5, v0
	v_min_u32_e32 v5, 32, v5
	v_lshrrev_b32_e32 v2, 27, v7
	v_subrev_u32_e32 v6, 28, v5
	v_and_b32_e32 v2, 15, v2
	v_lshlrev_b32_sdwa v6, v6, v7 dst_sel:DWORD dst_unused:UNUSED_PAD src0_sel:DWORD src1_sel:BYTE_3
	v_bfe_u32 v4, v7, 27, 4
	v_sub_u32_e32 v5, 29, v5
	v_and_b32_e32 v6, 7, v6
	v_cmp_eq_u16_e32 vcc, 0, v2
	v_cndmask_b32_e32 v0, v0, v6, vcc
	v_cndmask_b32_e32 v2, v4, v5, vcc
	v_mov_b32_e32 v4, 0x3b800000
	v_and_b32_e32 v1, 0x80000000, v7
	v_lshlrev_b32_e32 v0, 20, v0
	v_lshl_add_u32 v2, v2, 23, v4
	v_or3_b32 v0, v1, v2, v0
.LBB1_2044:
	s_or_b64 exec, exec, s[6:7]
	s_movk_i32 s4, 0x7f
	v_cmp_gt_i16_sdwa s[6:7], v3, s4 src0_sel:BYTE_3 src1_sel:DWORD
	s_mov_b64 s[4:5], 0
                                        ; implicit-def: $sgpr10
	s_and_saveexec_b64 s[8:9], s[6:7]
	s_xor_b64 s[6:7], exec, s[8:9]
	s_cbranch_execnz .LBB1_4093
; %bb.2045:
	s_or_saveexec_b64 s[6:7], s[6:7]
	v_mov_b32_e32 v1, s10
	s_xor_b64 exec, exec, s[6:7]
	s_cbranch_execnz .LBB1_4096
.LBB1_2046:
	s_or_b64 exec, exec, s[6:7]
	s_and_saveexec_b64 s[6:7], s[4:5]
	s_cbranch_execz .LBB1_2048
.LBB1_2047:
	v_bfe_u32 v1, v3, 24, 3
	v_ffbh_u32_e32 v6, v1
	v_min_u32_e32 v6, 32, v6
	v_lshrrev_b32_e32 v4, 27, v3
	v_subrev_u32_e32 v7, 28, v6
	v_and_b32_e32 v2, 0x80000000, v3
	v_and_b32_e32 v4, 15, v4
	v_bfe_u32 v5, v3, 27, 4
	v_lshlrev_b32_sdwa v3, v7, v3 dst_sel:DWORD dst_unused:UNUSED_PAD src0_sel:DWORD src1_sel:BYTE_3
	v_sub_u32_e32 v6, 29, v6
	v_and_b32_e32 v3, 7, v3
	v_cmp_eq_u16_e32 vcc, 0, v4
	v_cndmask_b32_e32 v1, v1, v3, vcc
	v_cndmask_b32_e32 v3, v5, v6, vcc
	v_mov_b32_e32 v4, 0x3b800000
	v_lshlrev_b32_e32 v1, 20, v1
	v_lshl_add_u32 v3, v3, 23, v4
	v_or3_b32 v1, v2, v3, v1
.LBB1_2048:
	s_or_b64 exec, exec, s[6:7]
	s_nop 0
	v_mfma_f32_16x16x4f32 a[0:3], v0, v1, a[0:3]
	s_nop 7
	s_nop 2
	flat_store_dwordx4 v[8:9], a[0:3] offset:240
	s_waitcnt vmcnt(0) lgkmcnt(0)
	s_setpc_b64 s[30:31]
.LBB1_2049:
	s_movk_i32 s4, 0x80
	v_cmp_eq_u16_sdwa s[12:13], v6, s4 src0_sel:BYTE_0 src1_sel:DWORD
	s_mov_b64 s[4:5], -1
                                        ; implicit-def: $sgpr10
	s_and_saveexec_b64 s[8:9], s[12:13]
; %bb.2050:
	s_mov_b32 s10, 0x7f800001
	s_xor_b64 s[4:5], exec, -1
; %bb.2051:
	s_or_b64 exec, exec, s[8:9]
	s_and_b64 s[4:5], s[4:5], exec
	s_or_saveexec_b64 s[6:7], s[6:7]
	v_mov_b32_e32 v12, s10
	s_xor_b64 exec, exec, s[6:7]
	s_cbranch_execz .LBB1_2
.LBB1_2052:
	v_mov_b32_e32 v12, 0
	v_cmp_ne_u16_sdwa s[8:9], v6, v12 src0_sel:BYTE_0 src1_sel:DWORD
	s_andn2_b64 s[4:5], s[4:5], exec
	s_and_b64 s[8:9], s[8:9], exec
	s_or_b64 s[4:5], s[4:5], s[8:9]
	s_or_b64 exec, exec, s[6:7]
	s_and_saveexec_b64 s[6:7], s[4:5]
	s_cbranch_execnz .LBB1_3
	s_branch .LBB1_4
.LBB1_2053:
	s_movk_i32 s4, 0x80
	v_cmp_eq_u16_sdwa s[12:13], v2, s4 src0_sel:BYTE_0 src1_sel:DWORD
	s_mov_b64 s[4:5], -1
                                        ; implicit-def: $sgpr10
	s_and_saveexec_b64 s[8:9], s[12:13]
; %bb.2054:
	s_mov_b32 s10, 0x7f800001
	s_xor_b64 s[4:5], exec, -1
; %bb.2055:
	s_or_b64 exec, exec, s[8:9]
	s_and_b64 s[4:5], s[4:5], exec
	s_or_saveexec_b64 s[6:7], s[6:7]
	v_mov_b32_e32 v13, s10
	s_xor_b64 exec, exec, s[6:7]
	s_cbranch_execz .LBB1_6
.LBB1_2056:
	v_mov_b32_e32 v13, 0
	v_cmp_ne_u16_sdwa s[8:9], v2, v13 src0_sel:BYTE_0 src1_sel:DWORD
	s_andn2_b64 s[4:5], s[4:5], exec
	s_and_b64 s[8:9], s[8:9], exec
	s_or_b64 s[4:5], s[4:5], s[8:9]
	s_or_b64 exec, exec, s[6:7]
	s_and_saveexec_b64 s[6:7], s[4:5]
	s_cbranch_execnz .LBB1_7
	s_branch .LBB1_8
.LBB1_2057:
	s_movk_i32 s4, 0x80
	v_cmp_eq_u16_sdwa s[12:13], v13, s4 src0_sel:BYTE_0 src1_sel:DWORD
	s_mov_b64 s[4:5], -1
                                        ; implicit-def: $sgpr10
	s_and_saveexec_b64 s[8:9], s[12:13]
; %bb.2058:
	s_mov_b32 s10, 0x7f800001
	s_xor_b64 s[4:5], exec, -1
; %bb.2059:
	s_or_b64 exec, exec, s[8:9]
	s_and_b64 s[4:5], s[4:5], exec
	s_or_saveexec_b64 s[6:7], s[6:7]
	v_mov_b32_e32 v12, s10
	s_xor_b64 exec, exec, s[6:7]
	s_cbranch_execz .LBB1_10
.LBB1_2060:
	v_mov_b32_e32 v12, 0
	v_cmp_ne_u16_sdwa s[8:9], v13, v12 src0_sel:BYTE_0 src1_sel:DWORD
	s_andn2_b64 s[4:5], s[4:5], exec
	s_and_b64 s[8:9], s[8:9], exec
	s_or_b64 s[4:5], s[4:5], s[8:9]
	s_or_b64 exec, exec, s[6:7]
	s_and_saveexec_b64 s[6:7], s[4:5]
	s_cbranch_execnz .LBB1_11
	s_branch .LBB1_12
.LBB1_2061:
	s_movk_i32 s4, 0x80
	v_cmp_eq_u16_sdwa s[12:13], v13, s4 src0_sel:BYTE_0 src1_sel:DWORD
	s_mov_b64 s[4:5], -1
                                        ; implicit-def: $sgpr10
	s_and_saveexec_b64 s[8:9], s[12:13]
; %bb.2062:
	s_mov_b32 s10, 0x7f800001
	s_xor_b64 s[4:5], exec, -1
; %bb.2063:
	s_or_b64 exec, exec, s[8:9]
	s_and_b64 s[4:5], s[4:5], exec
	s_or_saveexec_b64 s[6:7], s[6:7]
	v_mov_b32_e32 v14, s10
	s_xor_b64 exec, exec, s[6:7]
	s_cbranch_execz .LBB1_14
.LBB1_2064:
	v_mov_b32_e32 v14, 0
	v_cmp_ne_u16_sdwa s[8:9], v13, v14 src0_sel:BYTE_0 src1_sel:DWORD
	s_andn2_b64 s[4:5], s[4:5], exec
	s_and_b64 s[8:9], s[8:9], exec
	s_or_b64 s[4:5], s[4:5], s[8:9]
	s_or_b64 exec, exec, s[6:7]
	s_and_saveexec_b64 s[6:7], s[4:5]
	s_cbranch_execnz .LBB1_15
	s_branch .LBB1_16
.LBB1_2065:
	s_movk_i32 s4, 0x80
	v_cmp_eq_u16_e32 vcc, s4, v13
	s_mov_b64 s[4:5], -1
                                        ; implicit-def: $sgpr10
	s_and_saveexec_b64 s[8:9], vcc
; %bb.2066:
	s_mov_b32 s10, 0x7f800001
	s_xor_b64 s[4:5], exec, -1
; %bb.2067:
	s_or_b64 exec, exec, s[8:9]
	s_and_b64 s[4:5], s[4:5], exec
                                        ; implicit-def: $vgpr13
	s_or_saveexec_b64 s[6:7], s[6:7]
	v_mov_b32_e32 v12, s10
	s_xor_b64 exec, exec, s[6:7]
	s_cbranch_execz .LBB1_18
.LBB1_2068:
	v_cmp_ne_u16_e32 vcc, 0, v13
	s_andn2_b64 s[4:5], s[4:5], exec
	s_and_b64 s[8:9], vcc, exec
	v_mov_b32_e32 v12, 0
	s_or_b64 s[4:5], s[4:5], s[8:9]
	s_or_b64 exec, exec, s[6:7]
	s_and_saveexec_b64 s[6:7], s[4:5]
	s_cbranch_execnz .LBB1_19
	s_branch .LBB1_20
.LBB1_2069:
	s_movk_i32 s4, 0x80
	v_cmp_eq_u16_e32 vcc, s4, v13
	s_mov_b64 s[4:5], -1
                                        ; implicit-def: $sgpr10
	s_and_saveexec_b64 s[8:9], vcc
; %bb.2070:
	s_mov_b32 s10, 0x7f800001
	s_xor_b64 s[4:5], exec, -1
; %bb.2071:
	s_or_b64 exec, exec, s[8:9]
	s_and_b64 s[4:5], s[4:5], exec
                                        ; implicit-def: $vgpr13
	s_or_saveexec_b64 s[6:7], s[6:7]
	v_mov_b32_e32 v14, s10
	s_xor_b64 exec, exec, s[6:7]
	s_cbranch_execz .LBB1_22
.LBB1_2072:
	v_cmp_ne_u16_e32 vcc, 0, v13
	s_andn2_b64 s[4:5], s[4:5], exec
	s_and_b64 s[8:9], vcc, exec
	v_mov_b32_e32 v14, 0
	s_or_b64 s[4:5], s[4:5], s[8:9]
	s_or_b64 exec, exec, s[6:7]
	s_and_saveexec_b64 s[6:7], s[4:5]
	s_cbranch_execnz .LBB1_23
	s_branch .LBB1_24
.LBB1_2073:
	s_movk_i32 s4, 0x80
	v_cmp_eq_u16_sdwa s[12:13], v6, s4 src0_sel:BYTE_3 src1_sel:DWORD
	s_mov_b64 s[4:5], -1
                                        ; implicit-def: $sgpr10
	s_and_saveexec_b64 s[8:9], s[12:13]
; %bb.2074:
	s_mov_b32 s10, 0x7f800001
	s_xor_b64 s[4:5], exec, -1
; %bb.2075:
	s_or_b64 exec, exec, s[8:9]
	s_and_b64 s[4:5], s[4:5], exec
	s_or_saveexec_b64 s[6:7], s[6:7]
	v_mov_b32_e32 v12, s10
	s_xor_b64 exec, exec, s[6:7]
	s_cbranch_execz .LBB1_26
.LBB1_2076:
	v_mov_b32_e32 v12, 0
	v_cmp_ne_u16_sdwa s[8:9], v6, v12 src0_sel:BYTE_3 src1_sel:DWORD
	s_andn2_b64 s[4:5], s[4:5], exec
	s_and_b64 s[8:9], s[8:9], exec
	s_or_b64 s[4:5], s[4:5], s[8:9]
	s_or_b64 exec, exec, s[6:7]
	s_and_saveexec_b64 s[6:7], s[4:5]
	s_cbranch_execnz .LBB1_27
	s_branch .LBB1_28
.LBB1_2077:
	s_movk_i32 s4, 0x80
	v_cmp_eq_u16_sdwa s[12:13], v2, s4 src0_sel:BYTE_3 src1_sel:DWORD
	s_mov_b64 s[4:5], -1
                                        ; implicit-def: $sgpr10
	s_and_saveexec_b64 s[8:9], s[12:13]
; %bb.2078:
	s_mov_b32 s10, 0x7f800001
	s_xor_b64 s[4:5], exec, -1
; %bb.2079:
	s_or_b64 exec, exec, s[8:9]
	s_and_b64 s[4:5], s[4:5], exec
	s_or_saveexec_b64 s[6:7], s[6:7]
	v_mov_b32_e32 v6, s10
	s_xor_b64 exec, exec, s[6:7]
	s_cbranch_execz .LBB1_30
.LBB1_2080:
	v_mov_b32_e32 v6, 0
	v_cmp_ne_u16_sdwa s[8:9], v2, v6 src0_sel:BYTE_3 src1_sel:DWORD
	s_andn2_b64 s[4:5], s[4:5], exec
	s_and_b64 s[8:9], s[8:9], exec
	s_or_b64 s[4:5], s[4:5], s[8:9]
	s_or_b64 exec, exec, s[6:7]
	s_and_saveexec_b64 s[6:7], s[4:5]
	s_cbranch_execnz .LBB1_31
	s_branch .LBB1_32
.LBB1_2081:
	s_movk_i32 s4, 0x80
	v_cmp_eq_u16_sdwa s[12:13], v7, s4 src0_sel:BYTE_0 src1_sel:DWORD
	s_mov_b64 s[4:5], -1
                                        ; implicit-def: $sgpr10
	s_and_saveexec_b64 s[8:9], s[12:13]
; %bb.2082:
	s_mov_b32 s10, 0x7f800001
	s_xor_b64 s[4:5], exec, -1
; %bb.2083:
	s_or_b64 exec, exec, s[8:9]
	s_and_b64 s[4:5], s[4:5], exec
	s_or_saveexec_b64 s[6:7], s[6:7]
	v_mov_b32_e32 v2, s10
	s_xor_b64 exec, exec, s[6:7]
	s_cbranch_execz .LBB1_34
.LBB1_2084:
	v_mov_b32_e32 v2, 0
	v_cmp_ne_u16_sdwa s[8:9], v7, v2 src0_sel:BYTE_0 src1_sel:DWORD
	s_andn2_b64 s[4:5], s[4:5], exec
	s_and_b64 s[8:9], s[8:9], exec
	s_or_b64 s[4:5], s[4:5], s[8:9]
	s_or_b64 exec, exec, s[6:7]
	s_and_saveexec_b64 s[6:7], s[4:5]
	s_cbranch_execnz .LBB1_35
	s_branch .LBB1_36
.LBB1_2085:
	s_movk_i32 s4, 0x80
	v_cmp_eq_u16_sdwa s[12:13], v3, s4 src0_sel:BYTE_0 src1_sel:DWORD
	s_mov_b64 s[4:5], -1
                                        ; implicit-def: $sgpr10
	s_and_saveexec_b64 s[8:9], s[12:13]
; %bb.2086:
	s_mov_b32 s10, 0x7f800001
	s_xor_b64 s[4:5], exec, -1
; %bb.2087:
	s_or_b64 exec, exec, s[8:9]
	s_and_b64 s[4:5], s[4:5], exec
	s_or_saveexec_b64 s[6:7], s[6:7]
	v_mov_b32_e32 v6, s10
	s_xor_b64 exec, exec, s[6:7]
	s_cbranch_execz .LBB1_38
.LBB1_2088:
	v_mov_b32_e32 v6, 0
	v_cmp_ne_u16_sdwa s[8:9], v3, v6 src0_sel:BYTE_0 src1_sel:DWORD
	s_andn2_b64 s[4:5], s[4:5], exec
	s_and_b64 s[8:9], s[8:9], exec
	s_or_b64 s[4:5], s[4:5], s[8:9]
	s_or_b64 exec, exec, s[6:7]
	s_and_saveexec_b64 s[6:7], s[4:5]
	s_cbranch_execnz .LBB1_39
	s_branch .LBB1_40
.LBB1_2089:
	s_movk_i32 s4, 0x80
	v_cmp_eq_u16_sdwa s[12:13], v6, s4 src0_sel:BYTE_0 src1_sel:DWORD
	s_mov_b64 s[4:5], -1
                                        ; implicit-def: $sgpr10
	s_and_saveexec_b64 s[8:9], s[12:13]
; %bb.2090:
	s_mov_b32 s10, 0x7f800001
	s_xor_b64 s[4:5], exec, -1
; %bb.2091:
	s_or_b64 exec, exec, s[8:9]
	s_and_b64 s[4:5], s[4:5], exec
	s_or_saveexec_b64 s[6:7], s[6:7]
	v_mov_b32_e32 v2, s10
	s_xor_b64 exec, exec, s[6:7]
	s_cbranch_execz .LBB1_42
.LBB1_2092:
	v_mov_b32_e32 v2, 0
	v_cmp_ne_u16_sdwa s[8:9], v6, v2 src0_sel:BYTE_0 src1_sel:DWORD
	s_andn2_b64 s[4:5], s[4:5], exec
	s_and_b64 s[8:9], s[8:9], exec
	s_or_b64 s[4:5], s[4:5], s[8:9]
	s_or_b64 exec, exec, s[6:7]
	s_and_saveexec_b64 s[6:7], s[4:5]
	s_cbranch_execnz .LBB1_43
	s_branch .LBB1_44
.LBB1_2093:
	s_movk_i32 s4, 0x80
	v_cmp_eq_u16_sdwa s[12:13], v6, s4 src0_sel:BYTE_0 src1_sel:DWORD
	s_mov_b64 s[4:5], -1
                                        ; implicit-def: $sgpr10
	s_and_saveexec_b64 s[8:9], s[12:13]
; %bb.2094:
	s_mov_b32 s10, 0x7f800001
	s_xor_b64 s[4:5], exec, -1
; %bb.2095:
	s_or_b64 exec, exec, s[8:9]
	s_and_b64 s[4:5], s[4:5], exec
	s_or_saveexec_b64 s[6:7], s[6:7]
	v_mov_b32_e32 v12, s10
	s_xor_b64 exec, exec, s[6:7]
	s_cbranch_execz .LBB1_46
.LBB1_2096:
	v_mov_b32_e32 v12, 0
	v_cmp_ne_u16_sdwa s[8:9], v6, v12 src0_sel:BYTE_0 src1_sel:DWORD
	s_andn2_b64 s[4:5], s[4:5], exec
	s_and_b64 s[8:9], s[8:9], exec
	s_or_b64 s[4:5], s[4:5], s[8:9]
	s_or_b64 exec, exec, s[6:7]
	s_and_saveexec_b64 s[6:7], s[4:5]
	s_cbranch_execnz .LBB1_47
	s_branch .LBB1_48
.LBB1_2097:
	s_movk_i32 s4, 0x80
	v_cmp_eq_u16_e32 vcc, s4, v6
	s_mov_b64 s[4:5], -1
                                        ; implicit-def: $sgpr10
	s_and_saveexec_b64 s[8:9], vcc
; %bb.2098:
	s_mov_b32 s10, 0x7f800001
	s_xor_b64 s[4:5], exec, -1
; %bb.2099:
	s_or_b64 exec, exec, s[8:9]
	s_and_b64 s[4:5], s[4:5], exec
                                        ; implicit-def: $vgpr6
	s_or_saveexec_b64 s[6:7], s[6:7]
	v_mov_b32_e32 v2, s10
	s_xor_b64 exec, exec, s[6:7]
	s_cbranch_execz .LBB1_50
.LBB1_2100:
	v_cmp_ne_u16_e32 vcc, 0, v6
	s_andn2_b64 s[4:5], s[4:5], exec
	s_and_b64 s[8:9], vcc, exec
	v_mov_b32_e32 v2, 0
	s_or_b64 s[4:5], s[4:5], s[8:9]
	s_or_b64 exec, exec, s[6:7]
	s_and_saveexec_b64 s[6:7], s[4:5]
	s_cbranch_execnz .LBB1_51
	s_branch .LBB1_52
.LBB1_2101:
	s_movk_i32 s4, 0x80
	v_cmp_eq_u16_e32 vcc, s4, v6
	s_mov_b64 s[4:5], -1
                                        ; implicit-def: $sgpr10
	s_and_saveexec_b64 s[8:9], vcc
; %bb.2102:
	s_mov_b32 s10, 0x7f800001
	s_xor_b64 s[4:5], exec, -1
; %bb.2103:
	s_or_b64 exec, exec, s[8:9]
	s_and_b64 s[4:5], s[4:5], exec
                                        ; implicit-def: $vgpr6
	s_or_saveexec_b64 s[6:7], s[6:7]
	v_mov_b32_e32 v12, s10
	s_xor_b64 exec, exec, s[6:7]
	s_cbranch_execz .LBB1_54
.LBB1_2104:
	v_cmp_ne_u16_e32 vcc, 0, v6
	s_andn2_b64 s[4:5], s[4:5], exec
	s_and_b64 s[8:9], vcc, exec
	v_mov_b32_e32 v12, 0
	s_or_b64 s[4:5], s[4:5], s[8:9]
	s_or_b64 exec, exec, s[6:7]
	s_and_saveexec_b64 s[6:7], s[4:5]
	s_cbranch_execnz .LBB1_55
	s_branch .LBB1_56
.LBB1_2105:
	s_movk_i32 s4, 0x80
	v_cmp_eq_u16_sdwa s[12:13], v7, s4 src0_sel:BYTE_3 src1_sel:DWORD
	s_mov_b64 s[4:5], -1
                                        ; implicit-def: $sgpr10
	s_and_saveexec_b64 s[8:9], s[12:13]
; %bb.2106:
	s_mov_b32 s10, 0x7f800001
	s_xor_b64 s[4:5], exec, -1
; %bb.2107:
	s_or_b64 exec, exec, s[8:9]
	s_and_b64 s[4:5], s[4:5], exec
	s_or_saveexec_b64 s[6:7], s[6:7]
	v_mov_b32_e32 v2, s10
	s_xor_b64 exec, exec, s[6:7]
	s_cbranch_execz .LBB1_58
.LBB1_2108:
	v_mov_b32_e32 v2, 0
	v_cmp_ne_u16_sdwa s[8:9], v7, v2 src0_sel:BYTE_3 src1_sel:DWORD
	s_andn2_b64 s[4:5], s[4:5], exec
	s_and_b64 s[8:9], s[8:9], exec
	s_or_b64 s[4:5], s[4:5], s[8:9]
	s_or_b64 exec, exec, s[6:7]
	s_and_saveexec_b64 s[6:7], s[4:5]
	s_cbranch_execnz .LBB1_59
	s_branch .LBB1_60
.LBB1_2109:
	s_movk_i32 s4, 0x80
	v_cmp_eq_u16_sdwa s[12:13], v3, s4 src0_sel:BYTE_3 src1_sel:DWORD
	s_mov_b64 s[4:5], -1
                                        ; implicit-def: $sgpr10
	s_and_saveexec_b64 s[8:9], s[12:13]
; %bb.2110:
	s_mov_b32 s10, 0x7f800001
	s_xor_b64 s[4:5], exec, -1
; %bb.2111:
	s_or_b64 exec, exec, s[8:9]
	s_and_b64 s[4:5], s[4:5], exec
	s_or_saveexec_b64 s[6:7], s[6:7]
	v_mov_b32_e32 v6, s10
	s_xor_b64 exec, exec, s[6:7]
	s_cbranch_execz .LBB1_62
.LBB1_2112:
	v_mov_b32_e32 v6, 0
	v_cmp_ne_u16_sdwa s[8:9], v3, v6 src0_sel:BYTE_3 src1_sel:DWORD
	s_andn2_b64 s[4:5], s[4:5], exec
	s_and_b64 s[8:9], s[8:9], exec
	s_or_b64 s[4:5], s[4:5], s[8:9]
	s_or_b64 exec, exec, s[6:7]
	s_and_saveexec_b64 s[6:7], s[4:5]
	s_cbranch_execnz .LBB1_63
	s_branch .LBB1_64
.LBB1_2113:
	s_movk_i32 s4, 0x80
	v_cmp_eq_u16_sdwa s[12:13], v8, s4 src0_sel:BYTE_0 src1_sel:DWORD
	s_mov_b64 s[4:5], -1
                                        ; implicit-def: $sgpr10
	s_and_saveexec_b64 s[8:9], s[12:13]
; %bb.2114:
	s_mov_b32 s10, 0x7f800001
	s_xor_b64 s[4:5], exec, -1
; %bb.2115:
	s_or_b64 exec, exec, s[8:9]
	s_and_b64 s[4:5], s[4:5], exec
	s_or_saveexec_b64 s[6:7], s[6:7]
	v_mov_b32_e32 v2, s10
	s_xor_b64 exec, exec, s[6:7]
	s_cbranch_execz .LBB1_66
.LBB1_2116:
	v_mov_b32_e32 v2, 0
	v_cmp_ne_u16_sdwa s[8:9], v8, v2 src0_sel:BYTE_0 src1_sel:DWORD
	s_andn2_b64 s[4:5], s[4:5], exec
	s_and_b64 s[8:9], s[8:9], exec
	s_or_b64 s[4:5], s[4:5], s[8:9]
	s_or_b64 exec, exec, s[6:7]
	s_and_saveexec_b64 s[6:7], s[4:5]
	s_cbranch_execnz .LBB1_67
	s_branch .LBB1_68
.LBB1_2117:
	s_movk_i32 s4, 0x80
	v_cmp_eq_u16_sdwa s[12:13], v4, s4 src0_sel:BYTE_0 src1_sel:DWORD
	s_mov_b64 s[4:5], -1
                                        ; implicit-def: $sgpr10
	s_and_saveexec_b64 s[8:9], s[12:13]
; %bb.2118:
	s_mov_b32 s10, 0x7f800001
	s_xor_b64 s[4:5], exec, -1
; %bb.2119:
	s_or_b64 exec, exec, s[8:9]
	s_and_b64 s[4:5], s[4:5], exec
	s_or_saveexec_b64 s[6:7], s[6:7]
	v_mov_b32_e32 v3, s10
	s_xor_b64 exec, exec, s[6:7]
	s_cbranch_execz .LBB1_70
.LBB1_2120:
	v_mov_b32_e32 v3, 0
	v_cmp_ne_u16_sdwa s[8:9], v4, v3 src0_sel:BYTE_0 src1_sel:DWORD
	s_andn2_b64 s[4:5], s[4:5], exec
	s_and_b64 s[8:9], s[8:9], exec
	s_or_b64 s[4:5], s[4:5], s[8:9]
	s_or_b64 exec, exec, s[6:7]
	s_and_saveexec_b64 s[6:7], s[4:5]
	s_cbranch_execnz .LBB1_71
	s_branch .LBB1_72
.LBB1_2121:
	s_movk_i32 s4, 0x80
	v_cmp_eq_u16_sdwa s[12:13], v3, s4 src0_sel:BYTE_0 src1_sel:DWORD
	s_mov_b64 s[4:5], -1
                                        ; implicit-def: $sgpr10
	s_and_saveexec_b64 s[8:9], s[12:13]
; %bb.2122:
	s_mov_b32 s10, 0x7f800001
	s_xor_b64 s[4:5], exec, -1
; %bb.2123:
	s_or_b64 exec, exec, s[8:9]
	s_and_b64 s[4:5], s[4:5], exec
	s_or_saveexec_b64 s[6:7], s[6:7]
	v_mov_b32_e32 v2, s10
	s_xor_b64 exec, exec, s[6:7]
	s_cbranch_execz .LBB1_74
.LBB1_2124:
	v_mov_b32_e32 v2, 0
	v_cmp_ne_u16_sdwa s[8:9], v3, v2 src0_sel:BYTE_0 src1_sel:DWORD
	s_andn2_b64 s[4:5], s[4:5], exec
	s_and_b64 s[8:9], s[8:9], exec
	s_or_b64 s[4:5], s[4:5], s[8:9]
	s_or_b64 exec, exec, s[6:7]
	s_and_saveexec_b64 s[6:7], s[4:5]
	s_cbranch_execnz .LBB1_75
	s_branch .LBB1_76
.LBB1_2125:
	s_movk_i32 s4, 0x80
	v_cmp_eq_u16_sdwa s[12:13], v3, s4 src0_sel:BYTE_0 src1_sel:DWORD
	s_mov_b64 s[4:5], -1
                                        ; implicit-def: $sgpr10
	s_and_saveexec_b64 s[8:9], s[12:13]
; %bb.2126:
	s_mov_b32 s10, 0x7f800001
	s_xor_b64 s[4:5], exec, -1
; %bb.2127:
	s_or_b64 exec, exec, s[8:9]
	s_and_b64 s[4:5], s[4:5], exec
	s_or_saveexec_b64 s[6:7], s[6:7]
	v_mov_b32_e32 v6, s10
	s_xor_b64 exec, exec, s[6:7]
	s_cbranch_execz .LBB1_78
.LBB1_2128:
	v_mov_b32_e32 v6, 0
	v_cmp_ne_u16_sdwa s[8:9], v3, v6 src0_sel:BYTE_0 src1_sel:DWORD
	s_andn2_b64 s[4:5], s[4:5], exec
	s_and_b64 s[8:9], s[8:9], exec
	s_or_b64 s[4:5], s[4:5], s[8:9]
	s_or_b64 exec, exec, s[6:7]
	s_and_saveexec_b64 s[6:7], s[4:5]
	s_cbranch_execnz .LBB1_79
	s_branch .LBB1_80
.LBB1_2129:
	s_movk_i32 s4, 0x80
	v_cmp_eq_u16_e32 vcc, s4, v3
	s_mov_b64 s[4:5], -1
                                        ; implicit-def: $sgpr10
	s_and_saveexec_b64 s[8:9], vcc
; %bb.2130:
	s_mov_b32 s10, 0x7f800001
	s_xor_b64 s[4:5], exec, -1
; %bb.2131:
	s_or_b64 exec, exec, s[8:9]
	s_and_b64 s[4:5], s[4:5], exec
                                        ; implicit-def: $vgpr3
	s_or_saveexec_b64 s[6:7], s[6:7]
	v_mov_b32_e32 v2, s10
	s_xor_b64 exec, exec, s[6:7]
	s_cbranch_execz .LBB1_82
.LBB1_2132:
	v_cmp_ne_u16_e32 vcc, 0, v3
	s_andn2_b64 s[4:5], s[4:5], exec
	s_and_b64 s[8:9], vcc, exec
	v_mov_b32_e32 v2, 0
	s_or_b64 s[4:5], s[4:5], s[8:9]
	s_or_b64 exec, exec, s[6:7]
	s_and_saveexec_b64 s[6:7], s[4:5]
	s_cbranch_execnz .LBB1_83
	s_branch .LBB1_84
.LBB1_2133:
	s_movk_i32 s4, 0x80
	v_cmp_eq_u16_e32 vcc, s4, v3
	s_mov_b64 s[4:5], -1
                                        ; implicit-def: $sgpr10
	s_and_saveexec_b64 s[8:9], vcc
; %bb.2134:
	s_mov_b32 s10, 0x7f800001
	s_xor_b64 s[4:5], exec, -1
; %bb.2135:
	s_or_b64 exec, exec, s[8:9]
	s_and_b64 s[4:5], s[4:5], exec
                                        ; implicit-def: $vgpr3
	s_or_saveexec_b64 s[6:7], s[6:7]
	v_mov_b32_e32 v6, s10
	s_xor_b64 exec, exec, s[6:7]
	s_cbranch_execz .LBB1_86
.LBB1_2136:
	v_cmp_ne_u16_e32 vcc, 0, v3
	s_andn2_b64 s[4:5], s[4:5], exec
	s_and_b64 s[8:9], vcc, exec
	v_mov_b32_e32 v6, 0
	s_or_b64 s[4:5], s[4:5], s[8:9]
	s_or_b64 exec, exec, s[6:7]
	s_and_saveexec_b64 s[6:7], s[4:5]
	s_cbranch_execnz .LBB1_87
	s_branch .LBB1_88
.LBB1_2137:
	s_movk_i32 s4, 0x80
	v_cmp_eq_u16_sdwa s[12:13], v8, s4 src0_sel:BYTE_3 src1_sel:DWORD
	s_mov_b64 s[4:5], -1
                                        ; implicit-def: $sgpr10
	s_and_saveexec_b64 s[8:9], s[12:13]
; %bb.2138:
	s_mov_b32 s10, 0x7f800001
	s_xor_b64 s[4:5], exec, -1
; %bb.2139:
	s_or_b64 exec, exec, s[8:9]
	s_and_b64 s[4:5], s[4:5], exec
	s_or_saveexec_b64 s[6:7], s[6:7]
	v_mov_b32_e32 v2, s10
	s_xor_b64 exec, exec, s[6:7]
	s_cbranch_execz .LBB1_90
.LBB1_2140:
	v_mov_b32_e32 v2, 0
	v_cmp_ne_u16_sdwa s[8:9], v8, v2 src0_sel:BYTE_3 src1_sel:DWORD
	s_andn2_b64 s[4:5], s[4:5], exec
	s_and_b64 s[8:9], s[8:9], exec
	s_or_b64 s[4:5], s[4:5], s[8:9]
	s_or_b64 exec, exec, s[6:7]
	s_and_saveexec_b64 s[6:7], s[4:5]
	s_cbranch_execnz .LBB1_91
	s_branch .LBB1_92
.LBB1_2141:
	s_movk_i32 s4, 0x80
	v_cmp_eq_u16_sdwa s[12:13], v4, s4 src0_sel:BYTE_3 src1_sel:DWORD
	s_mov_b64 s[4:5], -1
                                        ; implicit-def: $sgpr10
	s_and_saveexec_b64 s[8:9], s[12:13]
; %bb.2142:
	s_mov_b32 s10, 0x7f800001
	s_xor_b64 s[4:5], exec, -1
; %bb.2143:
	s_or_b64 exec, exec, s[8:9]
	s_and_b64 s[4:5], s[4:5], exec
	s_or_saveexec_b64 s[6:7], s[6:7]
	v_mov_b32_e32 v3, s10
	s_xor_b64 exec, exec, s[6:7]
	s_cbranch_execz .LBB1_94
.LBB1_2144:
	v_mov_b32_e32 v3, 0
	v_cmp_ne_u16_sdwa s[8:9], v4, v3 src0_sel:BYTE_3 src1_sel:DWORD
	s_andn2_b64 s[4:5], s[4:5], exec
	s_and_b64 s[8:9], s[8:9], exec
	s_or_b64 s[4:5], s[4:5], s[8:9]
	s_or_b64 exec, exec, s[6:7]
	s_and_saveexec_b64 s[6:7], s[4:5]
	s_cbranch_execnz .LBB1_95
	s_branch .LBB1_96
.LBB1_2145:
	s_movk_i32 s4, 0x80
	v_cmp_eq_u16_sdwa s[12:13], v9, s4 src0_sel:BYTE_0 src1_sel:DWORD
	s_mov_b64 s[4:5], -1
                                        ; implicit-def: $sgpr10
	s_and_saveexec_b64 s[8:9], s[12:13]
; %bb.2146:
	s_mov_b32 s10, 0x7f800001
	s_xor_b64 s[4:5], exec, -1
; %bb.2147:
	s_or_b64 exec, exec, s[8:9]
	s_and_b64 s[4:5], s[4:5], exec
	s_or_saveexec_b64 s[6:7], s[6:7]
	v_mov_b32_e32 v2, s10
	s_xor_b64 exec, exec, s[6:7]
	s_cbranch_execz .LBB1_98
.LBB1_2148:
	v_mov_b32_e32 v2, 0
	v_cmp_ne_u16_sdwa s[8:9], v9, v2 src0_sel:BYTE_0 src1_sel:DWORD
	s_andn2_b64 s[4:5], s[4:5], exec
	s_and_b64 s[8:9], s[8:9], exec
	s_or_b64 s[4:5], s[4:5], s[8:9]
	s_or_b64 exec, exec, s[6:7]
	s_and_saveexec_b64 s[6:7], s[4:5]
	s_cbranch_execnz .LBB1_99
	s_branch .LBB1_100
.LBB1_2149:
	s_movk_i32 s4, 0x80
	v_cmp_eq_u16_sdwa s[12:13], v5, s4 src0_sel:BYTE_0 src1_sel:DWORD
	s_mov_b64 s[4:5], -1
                                        ; implicit-def: $sgpr10
	s_and_saveexec_b64 s[8:9], s[12:13]
; %bb.2150:
	s_mov_b32 s10, 0x7f800001
	s_xor_b64 s[4:5], exec, -1
; %bb.2151:
	s_or_b64 exec, exec, s[8:9]
	s_and_b64 s[4:5], s[4:5], exec
	s_or_saveexec_b64 s[6:7], s[6:7]
	v_mov_b32_e32 v3, s10
	s_xor_b64 exec, exec, s[6:7]
	s_cbranch_execz .LBB1_102
.LBB1_2152:
	v_mov_b32_e32 v3, 0
	v_cmp_ne_u16_sdwa s[8:9], v5, v3 src0_sel:BYTE_0 src1_sel:DWORD
	s_andn2_b64 s[4:5], s[4:5], exec
	s_and_b64 s[8:9], s[8:9], exec
	s_or_b64 s[4:5], s[4:5], s[8:9]
	s_or_b64 exec, exec, s[6:7]
	s_and_saveexec_b64 s[6:7], s[4:5]
	s_cbranch_execnz .LBB1_103
	s_branch .LBB1_104
.LBB1_2153:
	s_movk_i32 s4, 0x80
	v_cmp_eq_u16_sdwa s[12:13], v3, s4 src0_sel:BYTE_0 src1_sel:DWORD
	s_mov_b64 s[4:5], -1
                                        ; implicit-def: $sgpr10
	s_and_saveexec_b64 s[8:9], s[12:13]
; %bb.2154:
	s_mov_b32 s10, 0x7f800001
	s_xor_b64 s[4:5], exec, -1
; %bb.2155:
	s_or_b64 exec, exec, s[8:9]
	s_and_b64 s[4:5], s[4:5], exec
	s_or_saveexec_b64 s[6:7], s[6:7]
	v_mov_b32_e32 v2, s10
	s_xor_b64 exec, exec, s[6:7]
	s_cbranch_execz .LBB1_106
.LBB1_2156:
	v_mov_b32_e32 v2, 0
	v_cmp_ne_u16_sdwa s[8:9], v3, v2 src0_sel:BYTE_0 src1_sel:DWORD
	s_andn2_b64 s[4:5], s[4:5], exec
	s_and_b64 s[8:9], s[8:9], exec
	s_or_b64 s[4:5], s[4:5], s[8:9]
	s_or_b64 exec, exec, s[6:7]
	s_and_saveexec_b64 s[6:7], s[4:5]
	s_cbranch_execnz .LBB1_107
	s_branch .LBB1_108
.LBB1_2157:
	s_movk_i32 s4, 0x80
	v_cmp_eq_u16_sdwa s[12:13], v3, s4 src0_sel:BYTE_0 src1_sel:DWORD
	s_mov_b64 s[4:5], -1
                                        ; implicit-def: $sgpr10
	s_and_saveexec_b64 s[8:9], s[12:13]
; %bb.2158:
	s_mov_b32 s10, 0x7f800001
	s_xor_b64 s[4:5], exec, -1
; %bb.2159:
	s_or_b64 exec, exec, s[8:9]
	s_and_b64 s[4:5], s[4:5], exec
	s_or_saveexec_b64 s[6:7], s[6:7]
	v_mov_b32_e32 v4, s10
	s_xor_b64 exec, exec, s[6:7]
	s_cbranch_execz .LBB1_110
.LBB1_2160:
	v_mov_b32_e32 v4, 0
	v_cmp_ne_u16_sdwa s[8:9], v3, v4 src0_sel:BYTE_0 src1_sel:DWORD
	s_andn2_b64 s[4:5], s[4:5], exec
	s_and_b64 s[8:9], s[8:9], exec
	s_or_b64 s[4:5], s[4:5], s[8:9]
	s_or_b64 exec, exec, s[6:7]
	s_and_saveexec_b64 s[6:7], s[4:5]
	s_cbranch_execnz .LBB1_111
	s_branch .LBB1_112
.LBB1_2161:
	s_movk_i32 s4, 0x80
	v_cmp_eq_u16_e32 vcc, s4, v3
	s_mov_b64 s[4:5], -1
                                        ; implicit-def: $sgpr10
	s_and_saveexec_b64 s[8:9], vcc
; %bb.2162:
	s_mov_b32 s10, 0x7f800001
	s_xor_b64 s[4:5], exec, -1
; %bb.2163:
	s_or_b64 exec, exec, s[8:9]
	s_and_b64 s[4:5], s[4:5], exec
                                        ; implicit-def: $vgpr3
	s_or_saveexec_b64 s[6:7], s[6:7]
	v_mov_b32_e32 v2, s10
	s_xor_b64 exec, exec, s[6:7]
	s_cbranch_execz .LBB1_114
.LBB1_2164:
	v_cmp_ne_u16_e32 vcc, 0, v3
	s_andn2_b64 s[4:5], s[4:5], exec
	s_and_b64 s[8:9], vcc, exec
	v_mov_b32_e32 v2, 0
	s_or_b64 s[4:5], s[4:5], s[8:9]
	s_or_b64 exec, exec, s[6:7]
	s_and_saveexec_b64 s[6:7], s[4:5]
	s_cbranch_execnz .LBB1_115
	s_branch .LBB1_116
.LBB1_2165:
	s_movk_i32 s4, 0x80
	v_cmp_eq_u16_e32 vcc, s4, v3
	s_mov_b64 s[4:5], -1
                                        ; implicit-def: $sgpr10
	s_and_saveexec_b64 s[8:9], vcc
; %bb.2166:
	s_mov_b32 s10, 0x7f800001
	s_xor_b64 s[4:5], exec, -1
; %bb.2167:
	s_or_b64 exec, exec, s[8:9]
	s_and_b64 s[4:5], s[4:5], exec
                                        ; implicit-def: $vgpr3
	s_or_saveexec_b64 s[6:7], s[6:7]
	v_mov_b32_e32 v4, s10
	s_xor_b64 exec, exec, s[6:7]
	s_cbranch_execz .LBB1_118
.LBB1_2168:
	v_cmp_ne_u16_e32 vcc, 0, v3
	s_andn2_b64 s[4:5], s[4:5], exec
	s_and_b64 s[8:9], vcc, exec
	v_mov_b32_e32 v4, 0
	s_or_b64 s[4:5], s[4:5], s[8:9]
	s_or_b64 exec, exec, s[6:7]
	s_and_saveexec_b64 s[6:7], s[4:5]
	s_cbranch_execnz .LBB1_119
	s_branch .LBB1_120
.LBB1_2169:
	s_movk_i32 s4, 0x80
	v_cmp_eq_u16_sdwa s[12:13], v9, s4 src0_sel:BYTE_3 src1_sel:DWORD
	s_mov_b64 s[4:5], -1
                                        ; implicit-def: $sgpr10
	s_and_saveexec_b64 s[8:9], s[12:13]
; %bb.2170:
	s_mov_b32 s10, 0x7f800001
	s_xor_b64 s[4:5], exec, -1
; %bb.2171:
	s_or_b64 exec, exec, s[8:9]
	s_and_b64 s[4:5], s[4:5], exec
	s_or_saveexec_b64 s[6:7], s[6:7]
	v_mov_b32_e32 v2, s10
	s_xor_b64 exec, exec, s[6:7]
	s_cbranch_execz .LBB1_122
.LBB1_2172:
	v_mov_b32_e32 v2, 0
	v_cmp_ne_u16_sdwa s[8:9], v9, v2 src0_sel:BYTE_3 src1_sel:DWORD
	s_andn2_b64 s[4:5], s[4:5], exec
	s_and_b64 s[8:9], s[8:9], exec
	s_or_b64 s[4:5], s[4:5], s[8:9]
	s_or_b64 exec, exec, s[6:7]
	s_and_saveexec_b64 s[6:7], s[4:5]
	s_cbranch_execnz .LBB1_123
	s_branch .LBB1_124
.LBB1_2173:
	s_movk_i32 s4, 0x80
	v_cmp_eq_u16_sdwa s[12:13], v5, s4 src0_sel:BYTE_3 src1_sel:DWORD
	s_mov_b64 s[4:5], -1
                                        ; implicit-def: $sgpr10
	s_and_saveexec_b64 s[8:9], s[12:13]
; %bb.2174:
	s_mov_b32 s10, 0x7f800001
	s_xor_b64 s[4:5], exec, -1
; %bb.2175:
	s_or_b64 exec, exec, s[8:9]
	s_and_b64 s[4:5], s[4:5], exec
	s_or_saveexec_b64 s[6:7], s[6:7]
	v_mov_b32_e32 v3, s10
	s_xor_b64 exec, exec, s[6:7]
	s_cbranch_execz .LBB1_126
.LBB1_2176:
	v_mov_b32_e32 v3, 0
	v_cmp_ne_u16_sdwa s[8:9], v5, v3 src0_sel:BYTE_3 src1_sel:DWORD
	s_andn2_b64 s[4:5], s[4:5], exec
	s_and_b64 s[8:9], s[8:9], exec
	s_or_b64 s[4:5], s[4:5], s[8:9]
	s_or_b64 exec, exec, s[6:7]
	s_and_saveexec_b64 s[6:7], s[4:5]
	s_cbranch_execnz .LBB1_127
	s_branch .LBB1_128
.LBB1_2177:
	s_movk_i32 s4, 0x80
	v_cmp_eq_u16_sdwa s[12:13], v6, s4 src0_sel:BYTE_0 src1_sel:DWORD
	s_mov_b64 s[4:5], -1
                                        ; implicit-def: $sgpr10
	s_and_saveexec_b64 s[8:9], s[12:13]
; %bb.2178:
	s_mov_b32 s10, 0x7f800001
	s_xor_b64 s[4:5], exec, -1
; %bb.2179:
	s_or_b64 exec, exec, s[8:9]
	s_and_b64 s[4:5], s[4:5], exec
	s_or_saveexec_b64 s[6:7], s[6:7]
	v_mov_b32_e32 v12, s10
	s_xor_b64 exec, exec, s[6:7]
	s_cbranch_execz .LBB1_130
.LBB1_2180:
	v_mov_b32_e32 v12, 0
	v_cmp_ne_u16_sdwa s[8:9], v6, v12 src0_sel:BYTE_0 src1_sel:DWORD
	s_andn2_b64 s[4:5], s[4:5], exec
	s_and_b64 s[8:9], s[8:9], exec
	s_or_b64 s[4:5], s[4:5], s[8:9]
	s_or_b64 exec, exec, s[6:7]
	s_and_saveexec_b64 s[6:7], s[4:5]
	s_cbranch_execnz .LBB1_131
	s_branch .LBB1_132
.LBB1_2181:
	s_movk_i32 s4, 0x80
	v_cmp_eq_u16_sdwa s[12:13], v2, s4 src0_sel:BYTE_0 src1_sel:DWORD
	s_mov_b64 s[4:5], -1
                                        ; implicit-def: $sgpr10
	s_and_saveexec_b64 s[8:9], s[12:13]
; %bb.2182:
	s_mov_b32 s10, 0x7f800001
	s_xor_b64 s[4:5], exec, -1
; %bb.2183:
	s_or_b64 exec, exec, s[8:9]
	s_and_b64 s[4:5], s[4:5], exec
	s_or_saveexec_b64 s[6:7], s[6:7]
	v_mov_b32_e32 v13, s10
	s_xor_b64 exec, exec, s[6:7]
	s_cbranch_execz .LBB1_134
.LBB1_2184:
	v_mov_b32_e32 v13, 0
	v_cmp_ne_u16_sdwa s[8:9], v2, v13 src0_sel:BYTE_0 src1_sel:DWORD
	s_andn2_b64 s[4:5], s[4:5], exec
	s_and_b64 s[8:9], s[8:9], exec
	s_or_b64 s[4:5], s[4:5], s[8:9]
	s_or_b64 exec, exec, s[6:7]
	s_and_saveexec_b64 s[6:7], s[4:5]
	s_cbranch_execnz .LBB1_135
	s_branch .LBB1_136
.LBB1_2185:
	s_movk_i32 s4, 0x80
	v_cmp_eq_u16_sdwa s[12:13], v13, s4 src0_sel:BYTE_0 src1_sel:DWORD
	s_mov_b64 s[4:5], -1
                                        ; implicit-def: $sgpr10
	s_and_saveexec_b64 s[8:9], s[12:13]
; %bb.2186:
	s_mov_b32 s10, 0x7f800001
	s_xor_b64 s[4:5], exec, -1
; %bb.2187:
	s_or_b64 exec, exec, s[8:9]
	s_and_b64 s[4:5], s[4:5], exec
	s_or_saveexec_b64 s[6:7], s[6:7]
	v_mov_b32_e32 v12, s10
	s_xor_b64 exec, exec, s[6:7]
	s_cbranch_execz .LBB1_138
.LBB1_2188:
	v_mov_b32_e32 v12, 0
	v_cmp_ne_u16_sdwa s[8:9], v13, v12 src0_sel:BYTE_0 src1_sel:DWORD
	s_andn2_b64 s[4:5], s[4:5], exec
	s_and_b64 s[8:9], s[8:9], exec
	s_or_b64 s[4:5], s[4:5], s[8:9]
	s_or_b64 exec, exec, s[6:7]
	s_and_saveexec_b64 s[6:7], s[4:5]
	s_cbranch_execnz .LBB1_139
	s_branch .LBB1_140
.LBB1_2189:
	s_movk_i32 s4, 0x80
	v_cmp_eq_u16_sdwa s[12:13], v13, s4 src0_sel:BYTE_0 src1_sel:DWORD
	s_mov_b64 s[4:5], -1
                                        ; implicit-def: $sgpr10
	s_and_saveexec_b64 s[8:9], s[12:13]
; %bb.2190:
	s_mov_b32 s10, 0x7f800001
	s_xor_b64 s[4:5], exec, -1
; %bb.2191:
	s_or_b64 exec, exec, s[8:9]
	s_and_b64 s[4:5], s[4:5], exec
	s_or_saveexec_b64 s[6:7], s[6:7]
	v_mov_b32_e32 v14, s10
	s_xor_b64 exec, exec, s[6:7]
	s_cbranch_execz .LBB1_142
.LBB1_2192:
	v_mov_b32_e32 v14, 0
	v_cmp_ne_u16_sdwa s[8:9], v13, v14 src0_sel:BYTE_0 src1_sel:DWORD
	s_andn2_b64 s[4:5], s[4:5], exec
	s_and_b64 s[8:9], s[8:9], exec
	s_or_b64 s[4:5], s[4:5], s[8:9]
	s_or_b64 exec, exec, s[6:7]
	s_and_saveexec_b64 s[6:7], s[4:5]
	s_cbranch_execnz .LBB1_143
	s_branch .LBB1_144
.LBB1_2193:
	s_movk_i32 s4, 0x80
	v_cmp_eq_u16_e32 vcc, s4, v13
	s_mov_b64 s[4:5], -1
                                        ; implicit-def: $sgpr10
	s_and_saveexec_b64 s[8:9], vcc
; %bb.2194:
	s_mov_b32 s10, 0x7f800001
	s_xor_b64 s[4:5], exec, -1
; %bb.2195:
	s_or_b64 exec, exec, s[8:9]
	s_and_b64 s[4:5], s[4:5], exec
                                        ; implicit-def: $vgpr13
	s_or_saveexec_b64 s[6:7], s[6:7]
	v_mov_b32_e32 v12, s10
	s_xor_b64 exec, exec, s[6:7]
	s_cbranch_execz .LBB1_146
.LBB1_2196:
	v_cmp_ne_u16_e32 vcc, 0, v13
	s_andn2_b64 s[4:5], s[4:5], exec
	s_and_b64 s[8:9], vcc, exec
	v_mov_b32_e32 v12, 0
	s_or_b64 s[4:5], s[4:5], s[8:9]
	s_or_b64 exec, exec, s[6:7]
	s_and_saveexec_b64 s[6:7], s[4:5]
	s_cbranch_execnz .LBB1_147
	s_branch .LBB1_148
.LBB1_2197:
	s_movk_i32 s4, 0x80
	v_cmp_eq_u16_e32 vcc, s4, v13
	s_mov_b64 s[4:5], -1
                                        ; implicit-def: $sgpr10
	s_and_saveexec_b64 s[8:9], vcc
; %bb.2198:
	s_mov_b32 s10, 0x7f800001
	s_xor_b64 s[4:5], exec, -1
; %bb.2199:
	s_or_b64 exec, exec, s[8:9]
	s_and_b64 s[4:5], s[4:5], exec
                                        ; implicit-def: $vgpr13
	s_or_saveexec_b64 s[6:7], s[6:7]
	v_mov_b32_e32 v14, s10
	s_xor_b64 exec, exec, s[6:7]
	s_cbranch_execz .LBB1_150
.LBB1_2200:
	v_cmp_ne_u16_e32 vcc, 0, v13
	s_andn2_b64 s[4:5], s[4:5], exec
	s_and_b64 s[8:9], vcc, exec
	v_mov_b32_e32 v14, 0
	s_or_b64 s[4:5], s[4:5], s[8:9]
	s_or_b64 exec, exec, s[6:7]
	s_and_saveexec_b64 s[6:7], s[4:5]
	s_cbranch_execnz .LBB1_151
	s_branch .LBB1_152
.LBB1_2201:
	s_movk_i32 s4, 0x80
	v_cmp_eq_u16_sdwa s[12:13], v6, s4 src0_sel:BYTE_3 src1_sel:DWORD
	s_mov_b64 s[4:5], -1
                                        ; implicit-def: $sgpr10
	s_and_saveexec_b64 s[8:9], s[12:13]
; %bb.2202:
	s_mov_b32 s10, 0x7f800001
	s_xor_b64 s[4:5], exec, -1
; %bb.2203:
	s_or_b64 exec, exec, s[8:9]
	s_and_b64 s[4:5], s[4:5], exec
	s_or_saveexec_b64 s[6:7], s[6:7]
	v_mov_b32_e32 v12, s10
	s_xor_b64 exec, exec, s[6:7]
	s_cbranch_execz .LBB1_154
.LBB1_2204:
	v_mov_b32_e32 v12, 0
	v_cmp_ne_u16_sdwa s[8:9], v6, v12 src0_sel:BYTE_3 src1_sel:DWORD
	s_andn2_b64 s[4:5], s[4:5], exec
	s_and_b64 s[8:9], s[8:9], exec
	s_or_b64 s[4:5], s[4:5], s[8:9]
	s_or_b64 exec, exec, s[6:7]
	s_and_saveexec_b64 s[6:7], s[4:5]
	s_cbranch_execnz .LBB1_155
	s_branch .LBB1_156
.LBB1_2205:
	s_movk_i32 s4, 0x80
	v_cmp_eq_u16_sdwa s[12:13], v2, s4 src0_sel:BYTE_3 src1_sel:DWORD
	s_mov_b64 s[4:5], -1
                                        ; implicit-def: $sgpr10
	s_and_saveexec_b64 s[8:9], s[12:13]
; %bb.2206:
	s_mov_b32 s10, 0x7f800001
	s_xor_b64 s[4:5], exec, -1
; %bb.2207:
	s_or_b64 exec, exec, s[8:9]
	s_and_b64 s[4:5], s[4:5], exec
	s_or_saveexec_b64 s[6:7], s[6:7]
	v_mov_b32_e32 v6, s10
	s_xor_b64 exec, exec, s[6:7]
	s_cbranch_execz .LBB1_158
.LBB1_2208:
	v_mov_b32_e32 v6, 0
	v_cmp_ne_u16_sdwa s[8:9], v2, v6 src0_sel:BYTE_3 src1_sel:DWORD
	s_andn2_b64 s[4:5], s[4:5], exec
	s_and_b64 s[8:9], s[8:9], exec
	s_or_b64 s[4:5], s[4:5], s[8:9]
	s_or_b64 exec, exec, s[6:7]
	s_and_saveexec_b64 s[6:7], s[4:5]
	s_cbranch_execnz .LBB1_159
	s_branch .LBB1_160
.LBB1_2209:
	s_movk_i32 s4, 0x80
	v_cmp_eq_u16_sdwa s[12:13], v7, s4 src0_sel:BYTE_0 src1_sel:DWORD
	s_mov_b64 s[4:5], -1
                                        ; implicit-def: $sgpr10
	s_and_saveexec_b64 s[8:9], s[12:13]
; %bb.2210:
	s_mov_b32 s10, 0x7f800001
	s_xor_b64 s[4:5], exec, -1
; %bb.2211:
	s_or_b64 exec, exec, s[8:9]
	s_and_b64 s[4:5], s[4:5], exec
	s_or_saveexec_b64 s[6:7], s[6:7]
	v_mov_b32_e32 v2, s10
	s_xor_b64 exec, exec, s[6:7]
	s_cbranch_execz .LBB1_162
.LBB1_2212:
	v_mov_b32_e32 v2, 0
	v_cmp_ne_u16_sdwa s[8:9], v7, v2 src0_sel:BYTE_0 src1_sel:DWORD
	s_andn2_b64 s[4:5], s[4:5], exec
	s_and_b64 s[8:9], s[8:9], exec
	s_or_b64 s[4:5], s[4:5], s[8:9]
	s_or_b64 exec, exec, s[6:7]
	s_and_saveexec_b64 s[6:7], s[4:5]
	s_cbranch_execnz .LBB1_163
	s_branch .LBB1_164
.LBB1_2213:
	s_movk_i32 s4, 0x80
	v_cmp_eq_u16_sdwa s[12:13], v3, s4 src0_sel:BYTE_0 src1_sel:DWORD
	s_mov_b64 s[4:5], -1
                                        ; implicit-def: $sgpr10
	s_and_saveexec_b64 s[8:9], s[12:13]
; %bb.2214:
	s_mov_b32 s10, 0x7f800001
	s_xor_b64 s[4:5], exec, -1
; %bb.2215:
	s_or_b64 exec, exec, s[8:9]
	s_and_b64 s[4:5], s[4:5], exec
	s_or_saveexec_b64 s[6:7], s[6:7]
	v_mov_b32_e32 v6, s10
	s_xor_b64 exec, exec, s[6:7]
	s_cbranch_execz .LBB1_166
.LBB1_2216:
	v_mov_b32_e32 v6, 0
	v_cmp_ne_u16_sdwa s[8:9], v3, v6 src0_sel:BYTE_0 src1_sel:DWORD
	s_andn2_b64 s[4:5], s[4:5], exec
	s_and_b64 s[8:9], s[8:9], exec
	s_or_b64 s[4:5], s[4:5], s[8:9]
	s_or_b64 exec, exec, s[6:7]
	s_and_saveexec_b64 s[6:7], s[4:5]
	s_cbranch_execnz .LBB1_167
	s_branch .LBB1_168
.LBB1_2217:
	s_movk_i32 s4, 0x80
	v_cmp_eq_u16_sdwa s[12:13], v6, s4 src0_sel:BYTE_0 src1_sel:DWORD
	s_mov_b64 s[4:5], -1
                                        ; implicit-def: $sgpr10
	s_and_saveexec_b64 s[8:9], s[12:13]
; %bb.2218:
	s_mov_b32 s10, 0x7f800001
	s_xor_b64 s[4:5], exec, -1
; %bb.2219:
	s_or_b64 exec, exec, s[8:9]
	s_and_b64 s[4:5], s[4:5], exec
	s_or_saveexec_b64 s[6:7], s[6:7]
	v_mov_b32_e32 v2, s10
	s_xor_b64 exec, exec, s[6:7]
	s_cbranch_execz .LBB1_170
.LBB1_2220:
	v_mov_b32_e32 v2, 0
	v_cmp_ne_u16_sdwa s[8:9], v6, v2 src0_sel:BYTE_0 src1_sel:DWORD
	s_andn2_b64 s[4:5], s[4:5], exec
	s_and_b64 s[8:9], s[8:9], exec
	s_or_b64 s[4:5], s[4:5], s[8:9]
	s_or_b64 exec, exec, s[6:7]
	s_and_saveexec_b64 s[6:7], s[4:5]
	s_cbranch_execnz .LBB1_171
	s_branch .LBB1_172
.LBB1_2221:
	s_movk_i32 s4, 0x80
	v_cmp_eq_u16_sdwa s[12:13], v6, s4 src0_sel:BYTE_0 src1_sel:DWORD
	s_mov_b64 s[4:5], -1
                                        ; implicit-def: $sgpr10
	s_and_saveexec_b64 s[8:9], s[12:13]
; %bb.2222:
	s_mov_b32 s10, 0x7f800001
	s_xor_b64 s[4:5], exec, -1
; %bb.2223:
	s_or_b64 exec, exec, s[8:9]
	s_and_b64 s[4:5], s[4:5], exec
	s_or_saveexec_b64 s[6:7], s[6:7]
	v_mov_b32_e32 v12, s10
	s_xor_b64 exec, exec, s[6:7]
	s_cbranch_execz .LBB1_174
.LBB1_2224:
	v_mov_b32_e32 v12, 0
	v_cmp_ne_u16_sdwa s[8:9], v6, v12 src0_sel:BYTE_0 src1_sel:DWORD
	s_andn2_b64 s[4:5], s[4:5], exec
	s_and_b64 s[8:9], s[8:9], exec
	s_or_b64 s[4:5], s[4:5], s[8:9]
	s_or_b64 exec, exec, s[6:7]
	s_and_saveexec_b64 s[6:7], s[4:5]
	s_cbranch_execnz .LBB1_175
	s_branch .LBB1_176
.LBB1_2225:
	s_movk_i32 s4, 0x80
	v_cmp_eq_u16_e32 vcc, s4, v6
	s_mov_b64 s[4:5], -1
                                        ; implicit-def: $sgpr10
	s_and_saveexec_b64 s[8:9], vcc
; %bb.2226:
	s_mov_b32 s10, 0x7f800001
	s_xor_b64 s[4:5], exec, -1
; %bb.2227:
	s_or_b64 exec, exec, s[8:9]
	s_and_b64 s[4:5], s[4:5], exec
                                        ; implicit-def: $vgpr6
	s_or_saveexec_b64 s[6:7], s[6:7]
	v_mov_b32_e32 v2, s10
	s_xor_b64 exec, exec, s[6:7]
	s_cbranch_execz .LBB1_178
.LBB1_2228:
	v_cmp_ne_u16_e32 vcc, 0, v6
	s_andn2_b64 s[4:5], s[4:5], exec
	s_and_b64 s[8:9], vcc, exec
	v_mov_b32_e32 v2, 0
	s_or_b64 s[4:5], s[4:5], s[8:9]
	s_or_b64 exec, exec, s[6:7]
	s_and_saveexec_b64 s[6:7], s[4:5]
	s_cbranch_execnz .LBB1_179
	s_branch .LBB1_180
.LBB1_2229:
	s_movk_i32 s4, 0x80
	v_cmp_eq_u16_e32 vcc, s4, v6
	s_mov_b64 s[4:5], -1
                                        ; implicit-def: $sgpr10
	s_and_saveexec_b64 s[8:9], vcc
; %bb.2230:
	s_mov_b32 s10, 0x7f800001
	s_xor_b64 s[4:5], exec, -1
; %bb.2231:
	s_or_b64 exec, exec, s[8:9]
	s_and_b64 s[4:5], s[4:5], exec
                                        ; implicit-def: $vgpr6
	s_or_saveexec_b64 s[6:7], s[6:7]
	v_mov_b32_e32 v12, s10
	s_xor_b64 exec, exec, s[6:7]
	s_cbranch_execz .LBB1_182
.LBB1_2232:
	v_cmp_ne_u16_e32 vcc, 0, v6
	s_andn2_b64 s[4:5], s[4:5], exec
	s_and_b64 s[8:9], vcc, exec
	v_mov_b32_e32 v12, 0
	s_or_b64 s[4:5], s[4:5], s[8:9]
	s_or_b64 exec, exec, s[6:7]
	s_and_saveexec_b64 s[6:7], s[4:5]
	s_cbranch_execnz .LBB1_183
	s_branch .LBB1_184
.LBB1_2233:
	s_movk_i32 s4, 0x80
	v_cmp_eq_u16_sdwa s[12:13], v7, s4 src0_sel:BYTE_3 src1_sel:DWORD
	s_mov_b64 s[4:5], -1
                                        ; implicit-def: $sgpr10
	s_and_saveexec_b64 s[8:9], s[12:13]
; %bb.2234:
	s_mov_b32 s10, 0x7f800001
	s_xor_b64 s[4:5], exec, -1
; %bb.2235:
	s_or_b64 exec, exec, s[8:9]
	s_and_b64 s[4:5], s[4:5], exec
	s_or_saveexec_b64 s[6:7], s[6:7]
	v_mov_b32_e32 v2, s10
	s_xor_b64 exec, exec, s[6:7]
	s_cbranch_execz .LBB1_186
.LBB1_2236:
	v_mov_b32_e32 v2, 0
	v_cmp_ne_u16_sdwa s[8:9], v7, v2 src0_sel:BYTE_3 src1_sel:DWORD
	s_andn2_b64 s[4:5], s[4:5], exec
	s_and_b64 s[8:9], s[8:9], exec
	s_or_b64 s[4:5], s[4:5], s[8:9]
	s_or_b64 exec, exec, s[6:7]
	s_and_saveexec_b64 s[6:7], s[4:5]
	s_cbranch_execnz .LBB1_187
	s_branch .LBB1_188
.LBB1_2237:
	s_movk_i32 s4, 0x80
	v_cmp_eq_u16_sdwa s[12:13], v3, s4 src0_sel:BYTE_3 src1_sel:DWORD
	s_mov_b64 s[4:5], -1
                                        ; implicit-def: $sgpr10
	s_and_saveexec_b64 s[8:9], s[12:13]
; %bb.2238:
	s_mov_b32 s10, 0x7f800001
	s_xor_b64 s[4:5], exec, -1
; %bb.2239:
	s_or_b64 exec, exec, s[8:9]
	s_and_b64 s[4:5], s[4:5], exec
	s_or_saveexec_b64 s[6:7], s[6:7]
	v_mov_b32_e32 v6, s10
	s_xor_b64 exec, exec, s[6:7]
	s_cbranch_execz .LBB1_190
.LBB1_2240:
	v_mov_b32_e32 v6, 0
	v_cmp_ne_u16_sdwa s[8:9], v3, v6 src0_sel:BYTE_3 src1_sel:DWORD
	s_andn2_b64 s[4:5], s[4:5], exec
	s_and_b64 s[8:9], s[8:9], exec
	s_or_b64 s[4:5], s[4:5], s[8:9]
	s_or_b64 exec, exec, s[6:7]
	s_and_saveexec_b64 s[6:7], s[4:5]
	s_cbranch_execnz .LBB1_191
	s_branch .LBB1_192
.LBB1_2241:
	s_movk_i32 s4, 0x80
	v_cmp_eq_u16_sdwa s[12:13], v8, s4 src0_sel:BYTE_0 src1_sel:DWORD
	s_mov_b64 s[4:5], -1
                                        ; implicit-def: $sgpr10
	s_and_saveexec_b64 s[8:9], s[12:13]
; %bb.2242:
	s_mov_b32 s10, 0x7f800001
	s_xor_b64 s[4:5], exec, -1
; %bb.2243:
	s_or_b64 exec, exec, s[8:9]
	s_and_b64 s[4:5], s[4:5], exec
	s_or_saveexec_b64 s[6:7], s[6:7]
	v_mov_b32_e32 v2, s10
	s_xor_b64 exec, exec, s[6:7]
	s_cbranch_execz .LBB1_194
.LBB1_2244:
	v_mov_b32_e32 v2, 0
	v_cmp_ne_u16_sdwa s[8:9], v8, v2 src0_sel:BYTE_0 src1_sel:DWORD
	s_andn2_b64 s[4:5], s[4:5], exec
	s_and_b64 s[8:9], s[8:9], exec
	s_or_b64 s[4:5], s[4:5], s[8:9]
	s_or_b64 exec, exec, s[6:7]
	s_and_saveexec_b64 s[6:7], s[4:5]
	s_cbranch_execnz .LBB1_195
	s_branch .LBB1_196
.LBB1_2245:
	s_movk_i32 s4, 0x80
	v_cmp_eq_u16_sdwa s[12:13], v4, s4 src0_sel:BYTE_0 src1_sel:DWORD
	s_mov_b64 s[4:5], -1
                                        ; implicit-def: $sgpr10
	s_and_saveexec_b64 s[8:9], s[12:13]
; %bb.2246:
	s_mov_b32 s10, 0x7f800001
	s_xor_b64 s[4:5], exec, -1
; %bb.2247:
	s_or_b64 exec, exec, s[8:9]
	s_and_b64 s[4:5], s[4:5], exec
	s_or_saveexec_b64 s[6:7], s[6:7]
	v_mov_b32_e32 v3, s10
	s_xor_b64 exec, exec, s[6:7]
	s_cbranch_execz .LBB1_198
.LBB1_2248:
	v_mov_b32_e32 v3, 0
	v_cmp_ne_u16_sdwa s[8:9], v4, v3 src0_sel:BYTE_0 src1_sel:DWORD
	s_andn2_b64 s[4:5], s[4:5], exec
	s_and_b64 s[8:9], s[8:9], exec
	s_or_b64 s[4:5], s[4:5], s[8:9]
	s_or_b64 exec, exec, s[6:7]
	s_and_saveexec_b64 s[6:7], s[4:5]
	s_cbranch_execnz .LBB1_199
	s_branch .LBB1_200
.LBB1_2249:
	s_movk_i32 s4, 0x80
	v_cmp_eq_u16_sdwa s[12:13], v3, s4 src0_sel:BYTE_0 src1_sel:DWORD
	s_mov_b64 s[4:5], -1
                                        ; implicit-def: $sgpr10
	s_and_saveexec_b64 s[8:9], s[12:13]
; %bb.2250:
	s_mov_b32 s10, 0x7f800001
	s_xor_b64 s[4:5], exec, -1
; %bb.2251:
	s_or_b64 exec, exec, s[8:9]
	s_and_b64 s[4:5], s[4:5], exec
	s_or_saveexec_b64 s[6:7], s[6:7]
	v_mov_b32_e32 v2, s10
	s_xor_b64 exec, exec, s[6:7]
	s_cbranch_execz .LBB1_202
.LBB1_2252:
	v_mov_b32_e32 v2, 0
	v_cmp_ne_u16_sdwa s[8:9], v3, v2 src0_sel:BYTE_0 src1_sel:DWORD
	s_andn2_b64 s[4:5], s[4:5], exec
	s_and_b64 s[8:9], s[8:9], exec
	s_or_b64 s[4:5], s[4:5], s[8:9]
	s_or_b64 exec, exec, s[6:7]
	s_and_saveexec_b64 s[6:7], s[4:5]
	s_cbranch_execnz .LBB1_203
	s_branch .LBB1_204
.LBB1_2253:
	s_movk_i32 s4, 0x80
	v_cmp_eq_u16_sdwa s[12:13], v3, s4 src0_sel:BYTE_0 src1_sel:DWORD
	s_mov_b64 s[4:5], -1
                                        ; implicit-def: $sgpr10
	s_and_saveexec_b64 s[8:9], s[12:13]
; %bb.2254:
	s_mov_b32 s10, 0x7f800001
	s_xor_b64 s[4:5], exec, -1
; %bb.2255:
	s_or_b64 exec, exec, s[8:9]
	s_and_b64 s[4:5], s[4:5], exec
	s_or_saveexec_b64 s[6:7], s[6:7]
	v_mov_b32_e32 v6, s10
	s_xor_b64 exec, exec, s[6:7]
	s_cbranch_execz .LBB1_206
.LBB1_2256:
	v_mov_b32_e32 v6, 0
	v_cmp_ne_u16_sdwa s[8:9], v3, v6 src0_sel:BYTE_0 src1_sel:DWORD
	s_andn2_b64 s[4:5], s[4:5], exec
	s_and_b64 s[8:9], s[8:9], exec
	s_or_b64 s[4:5], s[4:5], s[8:9]
	s_or_b64 exec, exec, s[6:7]
	s_and_saveexec_b64 s[6:7], s[4:5]
	s_cbranch_execnz .LBB1_207
	s_branch .LBB1_208
.LBB1_2257:
	s_movk_i32 s4, 0x80
	v_cmp_eq_u16_e32 vcc, s4, v3
	s_mov_b64 s[4:5], -1
                                        ; implicit-def: $sgpr10
	s_and_saveexec_b64 s[8:9], vcc
; %bb.2258:
	s_mov_b32 s10, 0x7f800001
	s_xor_b64 s[4:5], exec, -1
; %bb.2259:
	s_or_b64 exec, exec, s[8:9]
	s_and_b64 s[4:5], s[4:5], exec
                                        ; implicit-def: $vgpr3
	s_or_saveexec_b64 s[6:7], s[6:7]
	v_mov_b32_e32 v2, s10
	s_xor_b64 exec, exec, s[6:7]
	s_cbranch_execz .LBB1_210
.LBB1_2260:
	v_cmp_ne_u16_e32 vcc, 0, v3
	s_andn2_b64 s[4:5], s[4:5], exec
	s_and_b64 s[8:9], vcc, exec
	v_mov_b32_e32 v2, 0
	s_or_b64 s[4:5], s[4:5], s[8:9]
	s_or_b64 exec, exec, s[6:7]
	s_and_saveexec_b64 s[6:7], s[4:5]
	s_cbranch_execnz .LBB1_211
	s_branch .LBB1_212
.LBB1_2261:
	s_movk_i32 s4, 0x80
	v_cmp_eq_u16_e32 vcc, s4, v3
	s_mov_b64 s[4:5], -1
                                        ; implicit-def: $sgpr10
	s_and_saveexec_b64 s[8:9], vcc
; %bb.2262:
	s_mov_b32 s10, 0x7f800001
	s_xor_b64 s[4:5], exec, -1
; %bb.2263:
	s_or_b64 exec, exec, s[8:9]
	s_and_b64 s[4:5], s[4:5], exec
                                        ; implicit-def: $vgpr3
	s_or_saveexec_b64 s[6:7], s[6:7]
	v_mov_b32_e32 v6, s10
	s_xor_b64 exec, exec, s[6:7]
	s_cbranch_execz .LBB1_214
.LBB1_2264:
	v_cmp_ne_u16_e32 vcc, 0, v3
	s_andn2_b64 s[4:5], s[4:5], exec
	s_and_b64 s[8:9], vcc, exec
	v_mov_b32_e32 v6, 0
	s_or_b64 s[4:5], s[4:5], s[8:9]
	s_or_b64 exec, exec, s[6:7]
	s_and_saveexec_b64 s[6:7], s[4:5]
	s_cbranch_execnz .LBB1_215
	s_branch .LBB1_216
.LBB1_2265:
	s_movk_i32 s4, 0x80
	v_cmp_eq_u16_sdwa s[12:13], v8, s4 src0_sel:BYTE_3 src1_sel:DWORD
	s_mov_b64 s[4:5], -1
                                        ; implicit-def: $sgpr10
	s_and_saveexec_b64 s[8:9], s[12:13]
; %bb.2266:
	s_mov_b32 s10, 0x7f800001
	s_xor_b64 s[4:5], exec, -1
; %bb.2267:
	s_or_b64 exec, exec, s[8:9]
	s_and_b64 s[4:5], s[4:5], exec
	s_or_saveexec_b64 s[6:7], s[6:7]
	v_mov_b32_e32 v2, s10
	s_xor_b64 exec, exec, s[6:7]
	s_cbranch_execz .LBB1_218
.LBB1_2268:
	v_mov_b32_e32 v2, 0
	v_cmp_ne_u16_sdwa s[8:9], v8, v2 src0_sel:BYTE_3 src1_sel:DWORD
	s_andn2_b64 s[4:5], s[4:5], exec
	s_and_b64 s[8:9], s[8:9], exec
	s_or_b64 s[4:5], s[4:5], s[8:9]
	s_or_b64 exec, exec, s[6:7]
	s_and_saveexec_b64 s[6:7], s[4:5]
	s_cbranch_execnz .LBB1_219
	s_branch .LBB1_220
.LBB1_2269:
	s_movk_i32 s4, 0x80
	v_cmp_eq_u16_sdwa s[12:13], v4, s4 src0_sel:BYTE_3 src1_sel:DWORD
	s_mov_b64 s[4:5], -1
                                        ; implicit-def: $sgpr10
	s_and_saveexec_b64 s[8:9], s[12:13]
; %bb.2270:
	s_mov_b32 s10, 0x7f800001
	s_xor_b64 s[4:5], exec, -1
; %bb.2271:
	s_or_b64 exec, exec, s[8:9]
	s_and_b64 s[4:5], s[4:5], exec
	s_or_saveexec_b64 s[6:7], s[6:7]
	v_mov_b32_e32 v3, s10
	s_xor_b64 exec, exec, s[6:7]
	s_cbranch_execz .LBB1_222
.LBB1_2272:
	v_mov_b32_e32 v3, 0
	v_cmp_ne_u16_sdwa s[8:9], v4, v3 src0_sel:BYTE_3 src1_sel:DWORD
	s_andn2_b64 s[4:5], s[4:5], exec
	s_and_b64 s[8:9], s[8:9], exec
	s_or_b64 s[4:5], s[4:5], s[8:9]
	s_or_b64 exec, exec, s[6:7]
	s_and_saveexec_b64 s[6:7], s[4:5]
	s_cbranch_execnz .LBB1_223
	s_branch .LBB1_224
.LBB1_2273:
	s_movk_i32 s4, 0x80
	v_cmp_eq_u16_sdwa s[12:13], v9, s4 src0_sel:BYTE_0 src1_sel:DWORD
	s_mov_b64 s[4:5], -1
                                        ; implicit-def: $sgpr10
	s_and_saveexec_b64 s[8:9], s[12:13]
; %bb.2274:
	s_mov_b32 s10, 0x7f800001
	s_xor_b64 s[4:5], exec, -1
; %bb.2275:
	s_or_b64 exec, exec, s[8:9]
	s_and_b64 s[4:5], s[4:5], exec
	s_or_saveexec_b64 s[6:7], s[6:7]
	v_mov_b32_e32 v2, s10
	s_xor_b64 exec, exec, s[6:7]
	s_cbranch_execz .LBB1_226
.LBB1_2276:
	v_mov_b32_e32 v2, 0
	v_cmp_ne_u16_sdwa s[8:9], v9, v2 src0_sel:BYTE_0 src1_sel:DWORD
	s_andn2_b64 s[4:5], s[4:5], exec
	s_and_b64 s[8:9], s[8:9], exec
	s_or_b64 s[4:5], s[4:5], s[8:9]
	s_or_b64 exec, exec, s[6:7]
	s_and_saveexec_b64 s[6:7], s[4:5]
	s_cbranch_execnz .LBB1_227
	s_branch .LBB1_228
.LBB1_2277:
	s_movk_i32 s4, 0x80
	v_cmp_eq_u16_sdwa s[12:13], v5, s4 src0_sel:BYTE_0 src1_sel:DWORD
	s_mov_b64 s[4:5], -1
                                        ; implicit-def: $sgpr10
	s_and_saveexec_b64 s[8:9], s[12:13]
; %bb.2278:
	s_mov_b32 s10, 0x7f800001
	s_xor_b64 s[4:5], exec, -1
; %bb.2279:
	s_or_b64 exec, exec, s[8:9]
	s_and_b64 s[4:5], s[4:5], exec
	s_or_saveexec_b64 s[6:7], s[6:7]
	v_mov_b32_e32 v3, s10
	s_xor_b64 exec, exec, s[6:7]
	s_cbranch_execz .LBB1_230
.LBB1_2280:
	v_mov_b32_e32 v3, 0
	v_cmp_ne_u16_sdwa s[8:9], v5, v3 src0_sel:BYTE_0 src1_sel:DWORD
	s_andn2_b64 s[4:5], s[4:5], exec
	s_and_b64 s[8:9], s[8:9], exec
	s_or_b64 s[4:5], s[4:5], s[8:9]
	s_or_b64 exec, exec, s[6:7]
	s_and_saveexec_b64 s[6:7], s[4:5]
	s_cbranch_execnz .LBB1_231
	s_branch .LBB1_232
.LBB1_2281:
	s_movk_i32 s4, 0x80
	v_cmp_eq_u16_sdwa s[12:13], v3, s4 src0_sel:BYTE_0 src1_sel:DWORD
	s_mov_b64 s[4:5], -1
                                        ; implicit-def: $sgpr10
	s_and_saveexec_b64 s[8:9], s[12:13]
; %bb.2282:
	s_mov_b32 s10, 0x7f800001
	s_xor_b64 s[4:5], exec, -1
; %bb.2283:
	s_or_b64 exec, exec, s[8:9]
	s_and_b64 s[4:5], s[4:5], exec
	s_or_saveexec_b64 s[6:7], s[6:7]
	v_mov_b32_e32 v2, s10
	s_xor_b64 exec, exec, s[6:7]
	s_cbranch_execz .LBB1_234
.LBB1_2284:
	v_mov_b32_e32 v2, 0
	v_cmp_ne_u16_sdwa s[8:9], v3, v2 src0_sel:BYTE_0 src1_sel:DWORD
	s_andn2_b64 s[4:5], s[4:5], exec
	s_and_b64 s[8:9], s[8:9], exec
	s_or_b64 s[4:5], s[4:5], s[8:9]
	s_or_b64 exec, exec, s[6:7]
	s_and_saveexec_b64 s[6:7], s[4:5]
	s_cbranch_execnz .LBB1_235
	s_branch .LBB1_236
.LBB1_2285:
	s_movk_i32 s4, 0x80
	v_cmp_eq_u16_sdwa s[12:13], v3, s4 src0_sel:BYTE_0 src1_sel:DWORD
	s_mov_b64 s[4:5], -1
                                        ; implicit-def: $sgpr10
	s_and_saveexec_b64 s[8:9], s[12:13]
; %bb.2286:
	s_mov_b32 s10, 0x7f800001
	s_xor_b64 s[4:5], exec, -1
; %bb.2287:
	s_or_b64 exec, exec, s[8:9]
	s_and_b64 s[4:5], s[4:5], exec
	s_or_saveexec_b64 s[6:7], s[6:7]
	v_mov_b32_e32 v4, s10
	s_xor_b64 exec, exec, s[6:7]
	s_cbranch_execz .LBB1_238
.LBB1_2288:
	v_mov_b32_e32 v4, 0
	v_cmp_ne_u16_sdwa s[8:9], v3, v4 src0_sel:BYTE_0 src1_sel:DWORD
	s_andn2_b64 s[4:5], s[4:5], exec
	s_and_b64 s[8:9], s[8:9], exec
	s_or_b64 s[4:5], s[4:5], s[8:9]
	s_or_b64 exec, exec, s[6:7]
	s_and_saveexec_b64 s[6:7], s[4:5]
	s_cbranch_execnz .LBB1_239
	s_branch .LBB1_240
.LBB1_2289:
	s_movk_i32 s4, 0x80
	v_cmp_eq_u16_e32 vcc, s4, v3
	s_mov_b64 s[4:5], -1
                                        ; implicit-def: $sgpr10
	s_and_saveexec_b64 s[8:9], vcc
; %bb.2290:
	s_mov_b32 s10, 0x7f800001
	s_xor_b64 s[4:5], exec, -1
; %bb.2291:
	s_or_b64 exec, exec, s[8:9]
	s_and_b64 s[4:5], s[4:5], exec
                                        ; implicit-def: $vgpr3
	s_or_saveexec_b64 s[6:7], s[6:7]
	v_mov_b32_e32 v2, s10
	s_xor_b64 exec, exec, s[6:7]
	s_cbranch_execz .LBB1_242
.LBB1_2292:
	v_cmp_ne_u16_e32 vcc, 0, v3
	s_andn2_b64 s[4:5], s[4:5], exec
	s_and_b64 s[8:9], vcc, exec
	v_mov_b32_e32 v2, 0
	s_or_b64 s[4:5], s[4:5], s[8:9]
	s_or_b64 exec, exec, s[6:7]
	s_and_saveexec_b64 s[6:7], s[4:5]
	s_cbranch_execnz .LBB1_243
	s_branch .LBB1_244
.LBB1_2293:
	s_movk_i32 s4, 0x80
	v_cmp_eq_u16_e32 vcc, s4, v3
	s_mov_b64 s[4:5], -1
                                        ; implicit-def: $sgpr10
	s_and_saveexec_b64 s[8:9], vcc
; %bb.2294:
	s_mov_b32 s10, 0x7f800001
	s_xor_b64 s[4:5], exec, -1
; %bb.2295:
	s_or_b64 exec, exec, s[8:9]
	s_and_b64 s[4:5], s[4:5], exec
                                        ; implicit-def: $vgpr3
	s_or_saveexec_b64 s[6:7], s[6:7]
	v_mov_b32_e32 v4, s10
	s_xor_b64 exec, exec, s[6:7]
	s_cbranch_execz .LBB1_246
.LBB1_2296:
	v_cmp_ne_u16_e32 vcc, 0, v3
	s_andn2_b64 s[4:5], s[4:5], exec
	s_and_b64 s[8:9], vcc, exec
	v_mov_b32_e32 v4, 0
	s_or_b64 s[4:5], s[4:5], s[8:9]
	s_or_b64 exec, exec, s[6:7]
	s_and_saveexec_b64 s[6:7], s[4:5]
	s_cbranch_execnz .LBB1_247
	s_branch .LBB1_248
.LBB1_2297:
	s_movk_i32 s4, 0x80
	v_cmp_eq_u16_sdwa s[12:13], v9, s4 src0_sel:BYTE_3 src1_sel:DWORD
	s_mov_b64 s[4:5], -1
                                        ; implicit-def: $sgpr10
	s_and_saveexec_b64 s[8:9], s[12:13]
; %bb.2298:
	s_mov_b32 s10, 0x7f800001
	s_xor_b64 s[4:5], exec, -1
; %bb.2299:
	s_or_b64 exec, exec, s[8:9]
	s_and_b64 s[4:5], s[4:5], exec
	s_or_saveexec_b64 s[6:7], s[6:7]
	v_mov_b32_e32 v2, s10
	s_xor_b64 exec, exec, s[6:7]
	s_cbranch_execz .LBB1_250
.LBB1_2300:
	v_mov_b32_e32 v2, 0
	v_cmp_ne_u16_sdwa s[8:9], v9, v2 src0_sel:BYTE_3 src1_sel:DWORD
	s_andn2_b64 s[4:5], s[4:5], exec
	s_and_b64 s[8:9], s[8:9], exec
	s_or_b64 s[4:5], s[4:5], s[8:9]
	s_or_b64 exec, exec, s[6:7]
	s_and_saveexec_b64 s[6:7], s[4:5]
	s_cbranch_execnz .LBB1_251
	s_branch .LBB1_252
.LBB1_2301:
	s_movk_i32 s4, 0x80
	v_cmp_eq_u16_sdwa s[12:13], v5, s4 src0_sel:BYTE_3 src1_sel:DWORD
	s_mov_b64 s[4:5], -1
                                        ; implicit-def: $sgpr10
	s_and_saveexec_b64 s[8:9], s[12:13]
; %bb.2302:
	s_mov_b32 s10, 0x7f800001
	s_xor_b64 s[4:5], exec, -1
; %bb.2303:
	s_or_b64 exec, exec, s[8:9]
	s_and_b64 s[4:5], s[4:5], exec
	s_or_saveexec_b64 s[6:7], s[6:7]
	v_mov_b32_e32 v3, s10
	s_xor_b64 exec, exec, s[6:7]
	s_cbranch_execz .LBB1_254
.LBB1_2304:
	v_mov_b32_e32 v3, 0
	v_cmp_ne_u16_sdwa s[8:9], v5, v3 src0_sel:BYTE_3 src1_sel:DWORD
	s_andn2_b64 s[4:5], s[4:5], exec
	s_and_b64 s[8:9], s[8:9], exec
	s_or_b64 s[4:5], s[4:5], s[8:9]
	s_or_b64 exec, exec, s[6:7]
	s_and_saveexec_b64 s[6:7], s[4:5]
	s_cbranch_execnz .LBB1_255
	s_branch .LBB1_256
.LBB1_2305:
	s_movk_i32 s4, 0x80
	v_cmp_eq_u16_sdwa s[12:13], v6, s4 src0_sel:BYTE_0 src1_sel:DWORD
	s_mov_b64 s[4:5], -1
                                        ; implicit-def: $sgpr10
	s_and_saveexec_b64 s[8:9], s[12:13]
; %bb.2306:
	s_mov_b32 s10, 0x7f800001
	s_xor_b64 s[4:5], exec, -1
; %bb.2307:
	s_or_b64 exec, exec, s[8:9]
	s_and_b64 s[4:5], s[4:5], exec
	s_or_saveexec_b64 s[6:7], s[6:7]
	v_mov_b32_e32 v12, s10
	s_xor_b64 exec, exec, s[6:7]
	s_cbranch_execz .LBB1_258
.LBB1_2308:
	v_mov_b32_e32 v12, 0
	v_cmp_ne_u16_sdwa s[8:9], v6, v12 src0_sel:BYTE_0 src1_sel:DWORD
	s_andn2_b64 s[4:5], s[4:5], exec
	s_and_b64 s[8:9], s[8:9], exec
	s_or_b64 s[4:5], s[4:5], s[8:9]
	s_or_b64 exec, exec, s[6:7]
	s_and_saveexec_b64 s[6:7], s[4:5]
	s_cbranch_execnz .LBB1_259
	s_branch .LBB1_260
.LBB1_2309:
	s_movk_i32 s4, 0x80
	v_cmp_eq_u16_sdwa s[12:13], v2, s4 src0_sel:BYTE_0 src1_sel:DWORD
	s_mov_b64 s[4:5], -1
                                        ; implicit-def: $sgpr10
	s_and_saveexec_b64 s[8:9], s[12:13]
; %bb.2310:
	s_mov_b32 s10, 0x7f800001
	s_xor_b64 s[4:5], exec, -1
; %bb.2311:
	s_or_b64 exec, exec, s[8:9]
	s_and_b64 s[4:5], s[4:5], exec
	s_or_saveexec_b64 s[6:7], s[6:7]
	v_mov_b32_e32 v13, s10
	s_xor_b64 exec, exec, s[6:7]
	s_cbranch_execz .LBB1_262
.LBB1_2312:
	v_mov_b32_e32 v13, 0
	v_cmp_ne_u16_sdwa s[8:9], v2, v13 src0_sel:BYTE_0 src1_sel:DWORD
	s_andn2_b64 s[4:5], s[4:5], exec
	s_and_b64 s[8:9], s[8:9], exec
	s_or_b64 s[4:5], s[4:5], s[8:9]
	s_or_b64 exec, exec, s[6:7]
	s_and_saveexec_b64 s[6:7], s[4:5]
	s_cbranch_execnz .LBB1_263
	s_branch .LBB1_264
.LBB1_2313:
	s_movk_i32 s4, 0x80
	v_cmp_eq_u16_sdwa s[12:13], v13, s4 src0_sel:BYTE_0 src1_sel:DWORD
	s_mov_b64 s[4:5], -1
                                        ; implicit-def: $sgpr10
	s_and_saveexec_b64 s[8:9], s[12:13]
; %bb.2314:
	s_mov_b32 s10, 0x7f800001
	s_xor_b64 s[4:5], exec, -1
; %bb.2315:
	s_or_b64 exec, exec, s[8:9]
	s_and_b64 s[4:5], s[4:5], exec
	s_or_saveexec_b64 s[6:7], s[6:7]
	v_mov_b32_e32 v12, s10
	s_xor_b64 exec, exec, s[6:7]
	s_cbranch_execz .LBB1_266
.LBB1_2316:
	v_mov_b32_e32 v12, 0
	v_cmp_ne_u16_sdwa s[8:9], v13, v12 src0_sel:BYTE_0 src1_sel:DWORD
	s_andn2_b64 s[4:5], s[4:5], exec
	s_and_b64 s[8:9], s[8:9], exec
	s_or_b64 s[4:5], s[4:5], s[8:9]
	s_or_b64 exec, exec, s[6:7]
	s_and_saveexec_b64 s[6:7], s[4:5]
	s_cbranch_execnz .LBB1_267
	s_branch .LBB1_268
.LBB1_2317:
	s_movk_i32 s4, 0x80
	v_cmp_eq_u16_sdwa s[12:13], v13, s4 src0_sel:BYTE_0 src1_sel:DWORD
	s_mov_b64 s[4:5], -1
                                        ; implicit-def: $sgpr10
	s_and_saveexec_b64 s[8:9], s[12:13]
; %bb.2318:
	s_mov_b32 s10, 0x7f800001
	s_xor_b64 s[4:5], exec, -1
; %bb.2319:
	s_or_b64 exec, exec, s[8:9]
	s_and_b64 s[4:5], s[4:5], exec
	s_or_saveexec_b64 s[6:7], s[6:7]
	v_mov_b32_e32 v14, s10
	s_xor_b64 exec, exec, s[6:7]
	s_cbranch_execz .LBB1_270
.LBB1_2320:
	v_mov_b32_e32 v14, 0
	v_cmp_ne_u16_sdwa s[8:9], v13, v14 src0_sel:BYTE_0 src1_sel:DWORD
	s_andn2_b64 s[4:5], s[4:5], exec
	s_and_b64 s[8:9], s[8:9], exec
	s_or_b64 s[4:5], s[4:5], s[8:9]
	s_or_b64 exec, exec, s[6:7]
	s_and_saveexec_b64 s[6:7], s[4:5]
	s_cbranch_execnz .LBB1_271
	s_branch .LBB1_272
.LBB1_2321:
	s_movk_i32 s4, 0x80
	v_cmp_eq_u16_e32 vcc, s4, v13
	s_mov_b64 s[4:5], -1
                                        ; implicit-def: $sgpr10
	s_and_saveexec_b64 s[8:9], vcc
; %bb.2322:
	s_mov_b32 s10, 0x7f800001
	s_xor_b64 s[4:5], exec, -1
; %bb.2323:
	s_or_b64 exec, exec, s[8:9]
	s_and_b64 s[4:5], s[4:5], exec
                                        ; implicit-def: $vgpr13
	s_or_saveexec_b64 s[6:7], s[6:7]
	v_mov_b32_e32 v12, s10
	s_xor_b64 exec, exec, s[6:7]
	s_cbranch_execz .LBB1_274
.LBB1_2324:
	v_cmp_ne_u16_e32 vcc, 0, v13
	s_andn2_b64 s[4:5], s[4:5], exec
	s_and_b64 s[8:9], vcc, exec
	v_mov_b32_e32 v12, 0
	s_or_b64 s[4:5], s[4:5], s[8:9]
	s_or_b64 exec, exec, s[6:7]
	s_and_saveexec_b64 s[6:7], s[4:5]
	s_cbranch_execnz .LBB1_275
	s_branch .LBB1_276
.LBB1_2325:
	s_movk_i32 s4, 0x80
	v_cmp_eq_u16_e32 vcc, s4, v13
	s_mov_b64 s[4:5], -1
                                        ; implicit-def: $sgpr10
	s_and_saveexec_b64 s[8:9], vcc
; %bb.2326:
	s_mov_b32 s10, 0x7f800001
	s_xor_b64 s[4:5], exec, -1
; %bb.2327:
	s_or_b64 exec, exec, s[8:9]
	s_and_b64 s[4:5], s[4:5], exec
                                        ; implicit-def: $vgpr13
	s_or_saveexec_b64 s[6:7], s[6:7]
	v_mov_b32_e32 v14, s10
	s_xor_b64 exec, exec, s[6:7]
	s_cbranch_execz .LBB1_278
.LBB1_2328:
	v_cmp_ne_u16_e32 vcc, 0, v13
	s_andn2_b64 s[4:5], s[4:5], exec
	s_and_b64 s[8:9], vcc, exec
	v_mov_b32_e32 v14, 0
	s_or_b64 s[4:5], s[4:5], s[8:9]
	s_or_b64 exec, exec, s[6:7]
	s_and_saveexec_b64 s[6:7], s[4:5]
	s_cbranch_execnz .LBB1_279
	s_branch .LBB1_280
.LBB1_2329:
	s_movk_i32 s4, 0x80
	v_cmp_eq_u16_sdwa s[12:13], v6, s4 src0_sel:BYTE_3 src1_sel:DWORD
	s_mov_b64 s[4:5], -1
                                        ; implicit-def: $sgpr10
	s_and_saveexec_b64 s[8:9], s[12:13]
; %bb.2330:
	s_mov_b32 s10, 0x7f800001
	s_xor_b64 s[4:5], exec, -1
; %bb.2331:
	s_or_b64 exec, exec, s[8:9]
	s_and_b64 s[4:5], s[4:5], exec
	s_or_saveexec_b64 s[6:7], s[6:7]
	v_mov_b32_e32 v12, s10
	s_xor_b64 exec, exec, s[6:7]
	s_cbranch_execz .LBB1_282
.LBB1_2332:
	v_mov_b32_e32 v12, 0
	v_cmp_ne_u16_sdwa s[8:9], v6, v12 src0_sel:BYTE_3 src1_sel:DWORD
	s_andn2_b64 s[4:5], s[4:5], exec
	s_and_b64 s[8:9], s[8:9], exec
	s_or_b64 s[4:5], s[4:5], s[8:9]
	s_or_b64 exec, exec, s[6:7]
	s_and_saveexec_b64 s[6:7], s[4:5]
	s_cbranch_execnz .LBB1_283
	s_branch .LBB1_284
.LBB1_2333:
	s_movk_i32 s4, 0x80
	v_cmp_eq_u16_sdwa s[12:13], v2, s4 src0_sel:BYTE_3 src1_sel:DWORD
	s_mov_b64 s[4:5], -1
                                        ; implicit-def: $sgpr10
	s_and_saveexec_b64 s[8:9], s[12:13]
; %bb.2334:
	s_mov_b32 s10, 0x7f800001
	s_xor_b64 s[4:5], exec, -1
; %bb.2335:
	s_or_b64 exec, exec, s[8:9]
	s_and_b64 s[4:5], s[4:5], exec
	s_or_saveexec_b64 s[6:7], s[6:7]
	v_mov_b32_e32 v6, s10
	s_xor_b64 exec, exec, s[6:7]
	s_cbranch_execz .LBB1_286
.LBB1_2336:
	v_mov_b32_e32 v6, 0
	v_cmp_ne_u16_sdwa s[8:9], v2, v6 src0_sel:BYTE_3 src1_sel:DWORD
	s_andn2_b64 s[4:5], s[4:5], exec
	s_and_b64 s[8:9], s[8:9], exec
	s_or_b64 s[4:5], s[4:5], s[8:9]
	s_or_b64 exec, exec, s[6:7]
	s_and_saveexec_b64 s[6:7], s[4:5]
	s_cbranch_execnz .LBB1_287
	s_branch .LBB1_288
.LBB1_2337:
	s_movk_i32 s4, 0x80
	v_cmp_eq_u16_sdwa s[12:13], v7, s4 src0_sel:BYTE_0 src1_sel:DWORD
	s_mov_b64 s[4:5], -1
                                        ; implicit-def: $sgpr10
	s_and_saveexec_b64 s[8:9], s[12:13]
; %bb.2338:
	s_mov_b32 s10, 0x7f800001
	s_xor_b64 s[4:5], exec, -1
; %bb.2339:
	s_or_b64 exec, exec, s[8:9]
	s_and_b64 s[4:5], s[4:5], exec
	s_or_saveexec_b64 s[6:7], s[6:7]
	v_mov_b32_e32 v2, s10
	s_xor_b64 exec, exec, s[6:7]
	s_cbranch_execz .LBB1_290
.LBB1_2340:
	v_mov_b32_e32 v2, 0
	v_cmp_ne_u16_sdwa s[8:9], v7, v2 src0_sel:BYTE_0 src1_sel:DWORD
	s_andn2_b64 s[4:5], s[4:5], exec
	s_and_b64 s[8:9], s[8:9], exec
	s_or_b64 s[4:5], s[4:5], s[8:9]
	s_or_b64 exec, exec, s[6:7]
	s_and_saveexec_b64 s[6:7], s[4:5]
	s_cbranch_execnz .LBB1_291
	s_branch .LBB1_292
.LBB1_2341:
	s_movk_i32 s4, 0x80
	v_cmp_eq_u16_sdwa s[12:13], v3, s4 src0_sel:BYTE_0 src1_sel:DWORD
	s_mov_b64 s[4:5], -1
                                        ; implicit-def: $sgpr10
	s_and_saveexec_b64 s[8:9], s[12:13]
; %bb.2342:
	s_mov_b32 s10, 0x7f800001
	s_xor_b64 s[4:5], exec, -1
; %bb.2343:
	s_or_b64 exec, exec, s[8:9]
	s_and_b64 s[4:5], s[4:5], exec
	s_or_saveexec_b64 s[6:7], s[6:7]
	v_mov_b32_e32 v6, s10
	s_xor_b64 exec, exec, s[6:7]
	s_cbranch_execz .LBB1_294
.LBB1_2344:
	v_mov_b32_e32 v6, 0
	v_cmp_ne_u16_sdwa s[8:9], v3, v6 src0_sel:BYTE_0 src1_sel:DWORD
	s_andn2_b64 s[4:5], s[4:5], exec
	s_and_b64 s[8:9], s[8:9], exec
	s_or_b64 s[4:5], s[4:5], s[8:9]
	s_or_b64 exec, exec, s[6:7]
	s_and_saveexec_b64 s[6:7], s[4:5]
	s_cbranch_execnz .LBB1_295
	s_branch .LBB1_296
.LBB1_2345:
	s_movk_i32 s4, 0x80
	v_cmp_eq_u16_sdwa s[12:13], v6, s4 src0_sel:BYTE_0 src1_sel:DWORD
	s_mov_b64 s[4:5], -1
                                        ; implicit-def: $sgpr10
	s_and_saveexec_b64 s[8:9], s[12:13]
; %bb.2346:
	s_mov_b32 s10, 0x7f800001
	s_xor_b64 s[4:5], exec, -1
; %bb.2347:
	s_or_b64 exec, exec, s[8:9]
	s_and_b64 s[4:5], s[4:5], exec
	s_or_saveexec_b64 s[6:7], s[6:7]
	v_mov_b32_e32 v2, s10
	s_xor_b64 exec, exec, s[6:7]
	s_cbranch_execz .LBB1_298
.LBB1_2348:
	v_mov_b32_e32 v2, 0
	v_cmp_ne_u16_sdwa s[8:9], v6, v2 src0_sel:BYTE_0 src1_sel:DWORD
	s_andn2_b64 s[4:5], s[4:5], exec
	s_and_b64 s[8:9], s[8:9], exec
	s_or_b64 s[4:5], s[4:5], s[8:9]
	s_or_b64 exec, exec, s[6:7]
	s_and_saveexec_b64 s[6:7], s[4:5]
	s_cbranch_execnz .LBB1_299
	s_branch .LBB1_300
.LBB1_2349:
	s_movk_i32 s4, 0x80
	v_cmp_eq_u16_sdwa s[12:13], v6, s4 src0_sel:BYTE_0 src1_sel:DWORD
	s_mov_b64 s[4:5], -1
                                        ; implicit-def: $sgpr10
	s_and_saveexec_b64 s[8:9], s[12:13]
; %bb.2350:
	s_mov_b32 s10, 0x7f800001
	s_xor_b64 s[4:5], exec, -1
; %bb.2351:
	s_or_b64 exec, exec, s[8:9]
	s_and_b64 s[4:5], s[4:5], exec
	s_or_saveexec_b64 s[6:7], s[6:7]
	v_mov_b32_e32 v12, s10
	s_xor_b64 exec, exec, s[6:7]
	s_cbranch_execz .LBB1_302
.LBB1_2352:
	v_mov_b32_e32 v12, 0
	v_cmp_ne_u16_sdwa s[8:9], v6, v12 src0_sel:BYTE_0 src1_sel:DWORD
	s_andn2_b64 s[4:5], s[4:5], exec
	s_and_b64 s[8:9], s[8:9], exec
	s_or_b64 s[4:5], s[4:5], s[8:9]
	s_or_b64 exec, exec, s[6:7]
	s_and_saveexec_b64 s[6:7], s[4:5]
	s_cbranch_execnz .LBB1_303
	s_branch .LBB1_304
.LBB1_2353:
	s_movk_i32 s4, 0x80
	v_cmp_eq_u16_e32 vcc, s4, v6
	s_mov_b64 s[4:5], -1
                                        ; implicit-def: $sgpr10
	s_and_saveexec_b64 s[8:9], vcc
; %bb.2354:
	s_mov_b32 s10, 0x7f800001
	s_xor_b64 s[4:5], exec, -1
; %bb.2355:
	s_or_b64 exec, exec, s[8:9]
	s_and_b64 s[4:5], s[4:5], exec
                                        ; implicit-def: $vgpr6
	s_or_saveexec_b64 s[6:7], s[6:7]
	v_mov_b32_e32 v2, s10
	s_xor_b64 exec, exec, s[6:7]
	s_cbranch_execz .LBB1_306
.LBB1_2356:
	v_cmp_ne_u16_e32 vcc, 0, v6
	s_andn2_b64 s[4:5], s[4:5], exec
	s_and_b64 s[8:9], vcc, exec
	v_mov_b32_e32 v2, 0
	s_or_b64 s[4:5], s[4:5], s[8:9]
	s_or_b64 exec, exec, s[6:7]
	s_and_saveexec_b64 s[6:7], s[4:5]
	s_cbranch_execnz .LBB1_307
	s_branch .LBB1_308
.LBB1_2357:
	s_movk_i32 s4, 0x80
	v_cmp_eq_u16_e32 vcc, s4, v6
	s_mov_b64 s[4:5], -1
                                        ; implicit-def: $sgpr10
	s_and_saveexec_b64 s[8:9], vcc
; %bb.2358:
	s_mov_b32 s10, 0x7f800001
	s_xor_b64 s[4:5], exec, -1
; %bb.2359:
	s_or_b64 exec, exec, s[8:9]
	s_and_b64 s[4:5], s[4:5], exec
                                        ; implicit-def: $vgpr6
	s_or_saveexec_b64 s[6:7], s[6:7]
	v_mov_b32_e32 v12, s10
	s_xor_b64 exec, exec, s[6:7]
	s_cbranch_execz .LBB1_310
.LBB1_2360:
	v_cmp_ne_u16_e32 vcc, 0, v6
	s_andn2_b64 s[4:5], s[4:5], exec
	s_and_b64 s[8:9], vcc, exec
	v_mov_b32_e32 v12, 0
	s_or_b64 s[4:5], s[4:5], s[8:9]
	s_or_b64 exec, exec, s[6:7]
	s_and_saveexec_b64 s[6:7], s[4:5]
	s_cbranch_execnz .LBB1_311
	s_branch .LBB1_312
.LBB1_2361:
	s_movk_i32 s4, 0x80
	v_cmp_eq_u16_sdwa s[12:13], v7, s4 src0_sel:BYTE_3 src1_sel:DWORD
	s_mov_b64 s[4:5], -1
                                        ; implicit-def: $sgpr10
	s_and_saveexec_b64 s[8:9], s[12:13]
; %bb.2362:
	s_mov_b32 s10, 0x7f800001
	s_xor_b64 s[4:5], exec, -1
; %bb.2363:
	s_or_b64 exec, exec, s[8:9]
	s_and_b64 s[4:5], s[4:5], exec
	s_or_saveexec_b64 s[6:7], s[6:7]
	v_mov_b32_e32 v2, s10
	s_xor_b64 exec, exec, s[6:7]
	s_cbranch_execz .LBB1_314
.LBB1_2364:
	v_mov_b32_e32 v2, 0
	v_cmp_ne_u16_sdwa s[8:9], v7, v2 src0_sel:BYTE_3 src1_sel:DWORD
	s_andn2_b64 s[4:5], s[4:5], exec
	s_and_b64 s[8:9], s[8:9], exec
	s_or_b64 s[4:5], s[4:5], s[8:9]
	s_or_b64 exec, exec, s[6:7]
	s_and_saveexec_b64 s[6:7], s[4:5]
	s_cbranch_execnz .LBB1_315
	s_branch .LBB1_316
.LBB1_2365:
	s_movk_i32 s4, 0x80
	v_cmp_eq_u16_sdwa s[12:13], v3, s4 src0_sel:BYTE_3 src1_sel:DWORD
	s_mov_b64 s[4:5], -1
                                        ; implicit-def: $sgpr10
	s_and_saveexec_b64 s[8:9], s[12:13]
; %bb.2366:
	s_mov_b32 s10, 0x7f800001
	s_xor_b64 s[4:5], exec, -1
; %bb.2367:
	s_or_b64 exec, exec, s[8:9]
	s_and_b64 s[4:5], s[4:5], exec
	s_or_saveexec_b64 s[6:7], s[6:7]
	v_mov_b32_e32 v6, s10
	s_xor_b64 exec, exec, s[6:7]
	s_cbranch_execz .LBB1_318
.LBB1_2368:
	v_mov_b32_e32 v6, 0
	v_cmp_ne_u16_sdwa s[8:9], v3, v6 src0_sel:BYTE_3 src1_sel:DWORD
	s_andn2_b64 s[4:5], s[4:5], exec
	s_and_b64 s[8:9], s[8:9], exec
	s_or_b64 s[4:5], s[4:5], s[8:9]
	s_or_b64 exec, exec, s[6:7]
	s_and_saveexec_b64 s[6:7], s[4:5]
	s_cbranch_execnz .LBB1_319
	s_branch .LBB1_320
.LBB1_2369:
	s_movk_i32 s4, 0x80
	v_cmp_eq_u16_sdwa s[12:13], v8, s4 src0_sel:BYTE_0 src1_sel:DWORD
	s_mov_b64 s[4:5], -1
                                        ; implicit-def: $sgpr10
	s_and_saveexec_b64 s[8:9], s[12:13]
; %bb.2370:
	s_mov_b32 s10, 0x7f800001
	s_xor_b64 s[4:5], exec, -1
; %bb.2371:
	s_or_b64 exec, exec, s[8:9]
	s_and_b64 s[4:5], s[4:5], exec
	s_or_saveexec_b64 s[6:7], s[6:7]
	v_mov_b32_e32 v2, s10
	s_xor_b64 exec, exec, s[6:7]
	s_cbranch_execz .LBB1_322
.LBB1_2372:
	v_mov_b32_e32 v2, 0
	v_cmp_ne_u16_sdwa s[8:9], v8, v2 src0_sel:BYTE_0 src1_sel:DWORD
	s_andn2_b64 s[4:5], s[4:5], exec
	s_and_b64 s[8:9], s[8:9], exec
	s_or_b64 s[4:5], s[4:5], s[8:9]
	s_or_b64 exec, exec, s[6:7]
	s_and_saveexec_b64 s[6:7], s[4:5]
	s_cbranch_execnz .LBB1_323
	s_branch .LBB1_324
.LBB1_2373:
	s_movk_i32 s4, 0x80
	v_cmp_eq_u16_sdwa s[12:13], v4, s4 src0_sel:BYTE_0 src1_sel:DWORD
	s_mov_b64 s[4:5], -1
                                        ; implicit-def: $sgpr10
	s_and_saveexec_b64 s[8:9], s[12:13]
; %bb.2374:
	s_mov_b32 s10, 0x7f800001
	s_xor_b64 s[4:5], exec, -1
; %bb.2375:
	s_or_b64 exec, exec, s[8:9]
	s_and_b64 s[4:5], s[4:5], exec
	s_or_saveexec_b64 s[6:7], s[6:7]
	v_mov_b32_e32 v3, s10
	s_xor_b64 exec, exec, s[6:7]
	s_cbranch_execz .LBB1_326
.LBB1_2376:
	v_mov_b32_e32 v3, 0
	v_cmp_ne_u16_sdwa s[8:9], v4, v3 src0_sel:BYTE_0 src1_sel:DWORD
	s_andn2_b64 s[4:5], s[4:5], exec
	s_and_b64 s[8:9], s[8:9], exec
	s_or_b64 s[4:5], s[4:5], s[8:9]
	s_or_b64 exec, exec, s[6:7]
	s_and_saveexec_b64 s[6:7], s[4:5]
	s_cbranch_execnz .LBB1_327
	s_branch .LBB1_328
.LBB1_2377:
	s_movk_i32 s4, 0x80
	v_cmp_eq_u16_sdwa s[12:13], v3, s4 src0_sel:BYTE_0 src1_sel:DWORD
	s_mov_b64 s[4:5], -1
                                        ; implicit-def: $sgpr10
	s_and_saveexec_b64 s[8:9], s[12:13]
; %bb.2378:
	s_mov_b32 s10, 0x7f800001
	s_xor_b64 s[4:5], exec, -1
; %bb.2379:
	s_or_b64 exec, exec, s[8:9]
	s_and_b64 s[4:5], s[4:5], exec
	s_or_saveexec_b64 s[6:7], s[6:7]
	v_mov_b32_e32 v2, s10
	s_xor_b64 exec, exec, s[6:7]
	s_cbranch_execz .LBB1_330
.LBB1_2380:
	v_mov_b32_e32 v2, 0
	v_cmp_ne_u16_sdwa s[8:9], v3, v2 src0_sel:BYTE_0 src1_sel:DWORD
	s_andn2_b64 s[4:5], s[4:5], exec
	s_and_b64 s[8:9], s[8:9], exec
	s_or_b64 s[4:5], s[4:5], s[8:9]
	s_or_b64 exec, exec, s[6:7]
	s_and_saveexec_b64 s[6:7], s[4:5]
	s_cbranch_execnz .LBB1_331
	s_branch .LBB1_332
.LBB1_2381:
	s_movk_i32 s4, 0x80
	v_cmp_eq_u16_sdwa s[12:13], v3, s4 src0_sel:BYTE_0 src1_sel:DWORD
	s_mov_b64 s[4:5], -1
                                        ; implicit-def: $sgpr10
	s_and_saveexec_b64 s[8:9], s[12:13]
; %bb.2382:
	s_mov_b32 s10, 0x7f800001
	s_xor_b64 s[4:5], exec, -1
; %bb.2383:
	s_or_b64 exec, exec, s[8:9]
	s_and_b64 s[4:5], s[4:5], exec
	s_or_saveexec_b64 s[6:7], s[6:7]
	v_mov_b32_e32 v6, s10
	s_xor_b64 exec, exec, s[6:7]
	s_cbranch_execz .LBB1_334
.LBB1_2384:
	v_mov_b32_e32 v6, 0
	v_cmp_ne_u16_sdwa s[8:9], v3, v6 src0_sel:BYTE_0 src1_sel:DWORD
	s_andn2_b64 s[4:5], s[4:5], exec
	s_and_b64 s[8:9], s[8:9], exec
	s_or_b64 s[4:5], s[4:5], s[8:9]
	s_or_b64 exec, exec, s[6:7]
	s_and_saveexec_b64 s[6:7], s[4:5]
	s_cbranch_execnz .LBB1_335
	s_branch .LBB1_336
.LBB1_2385:
	s_movk_i32 s4, 0x80
	v_cmp_eq_u16_e32 vcc, s4, v3
	s_mov_b64 s[4:5], -1
                                        ; implicit-def: $sgpr10
	s_and_saveexec_b64 s[8:9], vcc
; %bb.2386:
	s_mov_b32 s10, 0x7f800001
	s_xor_b64 s[4:5], exec, -1
; %bb.2387:
	s_or_b64 exec, exec, s[8:9]
	s_and_b64 s[4:5], s[4:5], exec
                                        ; implicit-def: $vgpr3
	s_or_saveexec_b64 s[6:7], s[6:7]
	v_mov_b32_e32 v2, s10
	s_xor_b64 exec, exec, s[6:7]
	s_cbranch_execz .LBB1_338
.LBB1_2388:
	v_cmp_ne_u16_e32 vcc, 0, v3
	s_andn2_b64 s[4:5], s[4:5], exec
	s_and_b64 s[8:9], vcc, exec
	v_mov_b32_e32 v2, 0
	s_or_b64 s[4:5], s[4:5], s[8:9]
	s_or_b64 exec, exec, s[6:7]
	s_and_saveexec_b64 s[6:7], s[4:5]
	s_cbranch_execnz .LBB1_339
	s_branch .LBB1_340
.LBB1_2389:
	s_movk_i32 s4, 0x80
	v_cmp_eq_u16_e32 vcc, s4, v3
	s_mov_b64 s[4:5], -1
                                        ; implicit-def: $sgpr10
	s_and_saveexec_b64 s[8:9], vcc
; %bb.2390:
	s_mov_b32 s10, 0x7f800001
	s_xor_b64 s[4:5], exec, -1
; %bb.2391:
	s_or_b64 exec, exec, s[8:9]
	s_and_b64 s[4:5], s[4:5], exec
                                        ; implicit-def: $vgpr3
	s_or_saveexec_b64 s[6:7], s[6:7]
	v_mov_b32_e32 v6, s10
	s_xor_b64 exec, exec, s[6:7]
	s_cbranch_execz .LBB1_342
.LBB1_2392:
	v_cmp_ne_u16_e32 vcc, 0, v3
	s_andn2_b64 s[4:5], s[4:5], exec
	s_and_b64 s[8:9], vcc, exec
	v_mov_b32_e32 v6, 0
	s_or_b64 s[4:5], s[4:5], s[8:9]
	s_or_b64 exec, exec, s[6:7]
	s_and_saveexec_b64 s[6:7], s[4:5]
	s_cbranch_execnz .LBB1_343
	s_branch .LBB1_344
.LBB1_2393:
	s_movk_i32 s4, 0x80
	v_cmp_eq_u16_sdwa s[12:13], v8, s4 src0_sel:BYTE_3 src1_sel:DWORD
	s_mov_b64 s[4:5], -1
                                        ; implicit-def: $sgpr10
	s_and_saveexec_b64 s[8:9], s[12:13]
; %bb.2394:
	s_mov_b32 s10, 0x7f800001
	s_xor_b64 s[4:5], exec, -1
; %bb.2395:
	s_or_b64 exec, exec, s[8:9]
	s_and_b64 s[4:5], s[4:5], exec
	s_or_saveexec_b64 s[6:7], s[6:7]
	v_mov_b32_e32 v2, s10
	s_xor_b64 exec, exec, s[6:7]
	s_cbranch_execz .LBB1_346
.LBB1_2396:
	v_mov_b32_e32 v2, 0
	v_cmp_ne_u16_sdwa s[8:9], v8, v2 src0_sel:BYTE_3 src1_sel:DWORD
	s_andn2_b64 s[4:5], s[4:5], exec
	s_and_b64 s[8:9], s[8:9], exec
	s_or_b64 s[4:5], s[4:5], s[8:9]
	s_or_b64 exec, exec, s[6:7]
	s_and_saveexec_b64 s[6:7], s[4:5]
	s_cbranch_execnz .LBB1_347
	s_branch .LBB1_348
.LBB1_2397:
	s_movk_i32 s4, 0x80
	v_cmp_eq_u16_sdwa s[12:13], v4, s4 src0_sel:BYTE_3 src1_sel:DWORD
	s_mov_b64 s[4:5], -1
                                        ; implicit-def: $sgpr10
	s_and_saveexec_b64 s[8:9], s[12:13]
; %bb.2398:
	s_mov_b32 s10, 0x7f800001
	s_xor_b64 s[4:5], exec, -1
; %bb.2399:
	s_or_b64 exec, exec, s[8:9]
	s_and_b64 s[4:5], s[4:5], exec
	s_or_saveexec_b64 s[6:7], s[6:7]
	v_mov_b32_e32 v3, s10
	s_xor_b64 exec, exec, s[6:7]
	s_cbranch_execz .LBB1_350
.LBB1_2400:
	v_mov_b32_e32 v3, 0
	v_cmp_ne_u16_sdwa s[8:9], v4, v3 src0_sel:BYTE_3 src1_sel:DWORD
	s_andn2_b64 s[4:5], s[4:5], exec
	s_and_b64 s[8:9], s[8:9], exec
	s_or_b64 s[4:5], s[4:5], s[8:9]
	s_or_b64 exec, exec, s[6:7]
	s_and_saveexec_b64 s[6:7], s[4:5]
	s_cbranch_execnz .LBB1_351
	s_branch .LBB1_352
.LBB1_2401:
	s_movk_i32 s4, 0x80
	v_cmp_eq_u16_sdwa s[12:13], v9, s4 src0_sel:BYTE_0 src1_sel:DWORD
	s_mov_b64 s[4:5], -1
                                        ; implicit-def: $sgpr10
	s_and_saveexec_b64 s[8:9], s[12:13]
; %bb.2402:
	s_mov_b32 s10, 0x7f800001
	s_xor_b64 s[4:5], exec, -1
; %bb.2403:
	s_or_b64 exec, exec, s[8:9]
	s_and_b64 s[4:5], s[4:5], exec
	s_or_saveexec_b64 s[6:7], s[6:7]
	v_mov_b32_e32 v2, s10
	s_xor_b64 exec, exec, s[6:7]
	s_cbranch_execz .LBB1_354
.LBB1_2404:
	v_mov_b32_e32 v2, 0
	v_cmp_ne_u16_sdwa s[8:9], v9, v2 src0_sel:BYTE_0 src1_sel:DWORD
	s_andn2_b64 s[4:5], s[4:5], exec
	s_and_b64 s[8:9], s[8:9], exec
	s_or_b64 s[4:5], s[4:5], s[8:9]
	s_or_b64 exec, exec, s[6:7]
	s_and_saveexec_b64 s[6:7], s[4:5]
	s_cbranch_execnz .LBB1_355
	s_branch .LBB1_356
.LBB1_2405:
	s_movk_i32 s4, 0x80
	v_cmp_eq_u16_sdwa s[12:13], v5, s4 src0_sel:BYTE_0 src1_sel:DWORD
	s_mov_b64 s[4:5], -1
                                        ; implicit-def: $sgpr10
	s_and_saveexec_b64 s[8:9], s[12:13]
; %bb.2406:
	s_mov_b32 s10, 0x7f800001
	s_xor_b64 s[4:5], exec, -1
; %bb.2407:
	s_or_b64 exec, exec, s[8:9]
	s_and_b64 s[4:5], s[4:5], exec
	s_or_saveexec_b64 s[6:7], s[6:7]
	v_mov_b32_e32 v3, s10
	s_xor_b64 exec, exec, s[6:7]
	s_cbranch_execz .LBB1_358
.LBB1_2408:
	v_mov_b32_e32 v3, 0
	v_cmp_ne_u16_sdwa s[8:9], v5, v3 src0_sel:BYTE_0 src1_sel:DWORD
	s_andn2_b64 s[4:5], s[4:5], exec
	s_and_b64 s[8:9], s[8:9], exec
	s_or_b64 s[4:5], s[4:5], s[8:9]
	s_or_b64 exec, exec, s[6:7]
	s_and_saveexec_b64 s[6:7], s[4:5]
	s_cbranch_execnz .LBB1_359
	s_branch .LBB1_360
.LBB1_2409:
	s_movk_i32 s4, 0x80
	v_cmp_eq_u16_sdwa s[12:13], v3, s4 src0_sel:BYTE_0 src1_sel:DWORD
	s_mov_b64 s[4:5], -1
                                        ; implicit-def: $sgpr10
	s_and_saveexec_b64 s[8:9], s[12:13]
; %bb.2410:
	s_mov_b32 s10, 0x7f800001
	s_xor_b64 s[4:5], exec, -1
; %bb.2411:
	s_or_b64 exec, exec, s[8:9]
	s_and_b64 s[4:5], s[4:5], exec
	s_or_saveexec_b64 s[6:7], s[6:7]
	v_mov_b32_e32 v2, s10
	s_xor_b64 exec, exec, s[6:7]
	s_cbranch_execz .LBB1_362
.LBB1_2412:
	v_mov_b32_e32 v2, 0
	v_cmp_ne_u16_sdwa s[8:9], v3, v2 src0_sel:BYTE_0 src1_sel:DWORD
	s_andn2_b64 s[4:5], s[4:5], exec
	s_and_b64 s[8:9], s[8:9], exec
	s_or_b64 s[4:5], s[4:5], s[8:9]
	s_or_b64 exec, exec, s[6:7]
	s_and_saveexec_b64 s[6:7], s[4:5]
	s_cbranch_execnz .LBB1_363
	s_branch .LBB1_364
.LBB1_2413:
	s_movk_i32 s4, 0x80
	v_cmp_eq_u16_sdwa s[12:13], v3, s4 src0_sel:BYTE_0 src1_sel:DWORD
	s_mov_b64 s[4:5], -1
                                        ; implicit-def: $sgpr10
	s_and_saveexec_b64 s[8:9], s[12:13]
; %bb.2414:
	s_mov_b32 s10, 0x7f800001
	s_xor_b64 s[4:5], exec, -1
; %bb.2415:
	s_or_b64 exec, exec, s[8:9]
	s_and_b64 s[4:5], s[4:5], exec
	s_or_saveexec_b64 s[6:7], s[6:7]
	v_mov_b32_e32 v4, s10
	s_xor_b64 exec, exec, s[6:7]
	s_cbranch_execz .LBB1_366
.LBB1_2416:
	v_mov_b32_e32 v4, 0
	v_cmp_ne_u16_sdwa s[8:9], v3, v4 src0_sel:BYTE_0 src1_sel:DWORD
	s_andn2_b64 s[4:5], s[4:5], exec
	s_and_b64 s[8:9], s[8:9], exec
	s_or_b64 s[4:5], s[4:5], s[8:9]
	s_or_b64 exec, exec, s[6:7]
	s_and_saveexec_b64 s[6:7], s[4:5]
	s_cbranch_execnz .LBB1_367
	s_branch .LBB1_368
.LBB1_2417:
	s_movk_i32 s4, 0x80
	v_cmp_eq_u16_e32 vcc, s4, v3
	s_mov_b64 s[4:5], -1
                                        ; implicit-def: $sgpr10
	s_and_saveexec_b64 s[8:9], vcc
; %bb.2418:
	s_mov_b32 s10, 0x7f800001
	s_xor_b64 s[4:5], exec, -1
; %bb.2419:
	s_or_b64 exec, exec, s[8:9]
	s_and_b64 s[4:5], s[4:5], exec
                                        ; implicit-def: $vgpr3
	s_or_saveexec_b64 s[6:7], s[6:7]
	v_mov_b32_e32 v2, s10
	s_xor_b64 exec, exec, s[6:7]
	s_cbranch_execz .LBB1_370
.LBB1_2420:
	v_cmp_ne_u16_e32 vcc, 0, v3
	s_andn2_b64 s[4:5], s[4:5], exec
	s_and_b64 s[8:9], vcc, exec
	v_mov_b32_e32 v2, 0
	s_or_b64 s[4:5], s[4:5], s[8:9]
	s_or_b64 exec, exec, s[6:7]
	s_and_saveexec_b64 s[6:7], s[4:5]
	s_cbranch_execnz .LBB1_371
	s_branch .LBB1_372
.LBB1_2421:
	s_movk_i32 s4, 0x80
	v_cmp_eq_u16_e32 vcc, s4, v3
	s_mov_b64 s[4:5], -1
                                        ; implicit-def: $sgpr10
	s_and_saveexec_b64 s[8:9], vcc
; %bb.2422:
	s_mov_b32 s10, 0x7f800001
	s_xor_b64 s[4:5], exec, -1
; %bb.2423:
	s_or_b64 exec, exec, s[8:9]
	s_and_b64 s[4:5], s[4:5], exec
                                        ; implicit-def: $vgpr3
	s_or_saveexec_b64 s[6:7], s[6:7]
	v_mov_b32_e32 v4, s10
	s_xor_b64 exec, exec, s[6:7]
	s_cbranch_execz .LBB1_374
.LBB1_2424:
	v_cmp_ne_u16_e32 vcc, 0, v3
	s_andn2_b64 s[4:5], s[4:5], exec
	s_and_b64 s[8:9], vcc, exec
	v_mov_b32_e32 v4, 0
	s_or_b64 s[4:5], s[4:5], s[8:9]
	s_or_b64 exec, exec, s[6:7]
	s_and_saveexec_b64 s[6:7], s[4:5]
	s_cbranch_execnz .LBB1_375
	s_branch .LBB1_376
.LBB1_2425:
	s_movk_i32 s4, 0x80
	v_cmp_eq_u16_sdwa s[12:13], v9, s4 src0_sel:BYTE_3 src1_sel:DWORD
	s_mov_b64 s[4:5], -1
                                        ; implicit-def: $sgpr10
	s_and_saveexec_b64 s[8:9], s[12:13]
; %bb.2426:
	s_mov_b32 s10, 0x7f800001
	s_xor_b64 s[4:5], exec, -1
; %bb.2427:
	s_or_b64 exec, exec, s[8:9]
	s_and_b64 s[4:5], s[4:5], exec
	s_or_saveexec_b64 s[6:7], s[6:7]
	v_mov_b32_e32 v2, s10
	s_xor_b64 exec, exec, s[6:7]
	s_cbranch_execz .LBB1_378
.LBB1_2428:
	v_mov_b32_e32 v2, 0
	v_cmp_ne_u16_sdwa s[8:9], v9, v2 src0_sel:BYTE_3 src1_sel:DWORD
	s_andn2_b64 s[4:5], s[4:5], exec
	s_and_b64 s[8:9], s[8:9], exec
	s_or_b64 s[4:5], s[4:5], s[8:9]
	s_or_b64 exec, exec, s[6:7]
	s_and_saveexec_b64 s[6:7], s[4:5]
	s_cbranch_execnz .LBB1_379
	s_branch .LBB1_380
.LBB1_2429:
	s_movk_i32 s4, 0x80
	v_cmp_eq_u16_sdwa s[12:13], v5, s4 src0_sel:BYTE_3 src1_sel:DWORD
	s_mov_b64 s[4:5], -1
                                        ; implicit-def: $sgpr10
	s_and_saveexec_b64 s[8:9], s[12:13]
; %bb.2430:
	s_mov_b32 s10, 0x7f800001
	s_xor_b64 s[4:5], exec, -1
; %bb.2431:
	s_or_b64 exec, exec, s[8:9]
	s_and_b64 s[4:5], s[4:5], exec
	s_or_saveexec_b64 s[6:7], s[6:7]
	v_mov_b32_e32 v3, s10
	s_xor_b64 exec, exec, s[6:7]
	s_cbranch_execz .LBB1_382
.LBB1_2432:
	v_mov_b32_e32 v3, 0
	v_cmp_ne_u16_sdwa s[8:9], v5, v3 src0_sel:BYTE_3 src1_sel:DWORD
	s_andn2_b64 s[4:5], s[4:5], exec
	s_and_b64 s[8:9], s[8:9], exec
	s_or_b64 s[4:5], s[4:5], s[8:9]
	s_or_b64 exec, exec, s[6:7]
	s_and_saveexec_b64 s[6:7], s[4:5]
	s_cbranch_execnz .LBB1_383
	s_branch .LBB1_384
.LBB1_2433:
	s_movk_i32 s4, 0x80
	v_cmp_eq_u16_sdwa s[12:13], v6, s4 src0_sel:BYTE_0 src1_sel:DWORD
	s_mov_b64 s[4:5], -1
                                        ; implicit-def: $sgpr10
	s_and_saveexec_b64 s[8:9], s[12:13]
; %bb.2434:
	s_mov_b32 s10, 0x7f800001
	s_xor_b64 s[4:5], exec, -1
; %bb.2435:
	s_or_b64 exec, exec, s[8:9]
	s_and_b64 s[4:5], s[4:5], exec
	s_or_saveexec_b64 s[6:7], s[6:7]
	v_mov_b32_e32 v12, s10
	s_xor_b64 exec, exec, s[6:7]
	s_cbranch_execz .LBB1_386
.LBB1_2436:
	v_mov_b32_e32 v12, 0
	v_cmp_ne_u16_sdwa s[8:9], v6, v12 src0_sel:BYTE_0 src1_sel:DWORD
	s_andn2_b64 s[4:5], s[4:5], exec
	s_and_b64 s[8:9], s[8:9], exec
	s_or_b64 s[4:5], s[4:5], s[8:9]
	s_or_b64 exec, exec, s[6:7]
	s_and_saveexec_b64 s[6:7], s[4:5]
	s_cbranch_execnz .LBB1_387
	s_branch .LBB1_388
.LBB1_2437:
	s_movk_i32 s4, 0x80
	v_cmp_eq_u16_sdwa s[12:13], v2, s4 src0_sel:BYTE_0 src1_sel:DWORD
	s_mov_b64 s[4:5], -1
                                        ; implicit-def: $sgpr10
	s_and_saveexec_b64 s[8:9], s[12:13]
; %bb.2438:
	s_mov_b32 s10, 0x7f800001
	s_xor_b64 s[4:5], exec, -1
; %bb.2439:
	s_or_b64 exec, exec, s[8:9]
	s_and_b64 s[4:5], s[4:5], exec
	s_or_saveexec_b64 s[6:7], s[6:7]
	v_mov_b32_e32 v13, s10
	s_xor_b64 exec, exec, s[6:7]
	s_cbranch_execz .LBB1_390
.LBB1_2440:
	v_mov_b32_e32 v13, 0
	v_cmp_ne_u16_sdwa s[8:9], v2, v13 src0_sel:BYTE_0 src1_sel:DWORD
	s_andn2_b64 s[4:5], s[4:5], exec
	s_and_b64 s[8:9], s[8:9], exec
	s_or_b64 s[4:5], s[4:5], s[8:9]
	s_or_b64 exec, exec, s[6:7]
	s_and_saveexec_b64 s[6:7], s[4:5]
	s_cbranch_execnz .LBB1_391
	s_branch .LBB1_392
.LBB1_2441:
	s_movk_i32 s4, 0x80
	v_cmp_eq_u16_sdwa s[12:13], v13, s4 src0_sel:BYTE_0 src1_sel:DWORD
	s_mov_b64 s[4:5], -1
                                        ; implicit-def: $sgpr10
	s_and_saveexec_b64 s[8:9], s[12:13]
; %bb.2442:
	s_mov_b32 s10, 0x7f800001
	s_xor_b64 s[4:5], exec, -1
; %bb.2443:
	s_or_b64 exec, exec, s[8:9]
	s_and_b64 s[4:5], s[4:5], exec
	s_or_saveexec_b64 s[6:7], s[6:7]
	v_mov_b32_e32 v12, s10
	s_xor_b64 exec, exec, s[6:7]
	s_cbranch_execz .LBB1_394
.LBB1_2444:
	v_mov_b32_e32 v12, 0
	v_cmp_ne_u16_sdwa s[8:9], v13, v12 src0_sel:BYTE_0 src1_sel:DWORD
	s_andn2_b64 s[4:5], s[4:5], exec
	s_and_b64 s[8:9], s[8:9], exec
	s_or_b64 s[4:5], s[4:5], s[8:9]
	s_or_b64 exec, exec, s[6:7]
	s_and_saveexec_b64 s[6:7], s[4:5]
	s_cbranch_execnz .LBB1_395
	s_branch .LBB1_396
.LBB1_2445:
	s_movk_i32 s4, 0x80
	v_cmp_eq_u16_sdwa s[12:13], v13, s4 src0_sel:BYTE_0 src1_sel:DWORD
	s_mov_b64 s[4:5], -1
                                        ; implicit-def: $sgpr10
	s_and_saveexec_b64 s[8:9], s[12:13]
; %bb.2446:
	s_mov_b32 s10, 0x7f800001
	s_xor_b64 s[4:5], exec, -1
; %bb.2447:
	s_or_b64 exec, exec, s[8:9]
	s_and_b64 s[4:5], s[4:5], exec
	s_or_saveexec_b64 s[6:7], s[6:7]
	v_mov_b32_e32 v14, s10
	s_xor_b64 exec, exec, s[6:7]
	s_cbranch_execz .LBB1_398
.LBB1_2448:
	v_mov_b32_e32 v14, 0
	v_cmp_ne_u16_sdwa s[8:9], v13, v14 src0_sel:BYTE_0 src1_sel:DWORD
	s_andn2_b64 s[4:5], s[4:5], exec
	s_and_b64 s[8:9], s[8:9], exec
	s_or_b64 s[4:5], s[4:5], s[8:9]
	s_or_b64 exec, exec, s[6:7]
	s_and_saveexec_b64 s[6:7], s[4:5]
	s_cbranch_execnz .LBB1_399
	s_branch .LBB1_400
.LBB1_2449:
	s_movk_i32 s4, 0x80
	v_cmp_eq_u16_e32 vcc, s4, v13
	s_mov_b64 s[4:5], -1
                                        ; implicit-def: $sgpr10
	s_and_saveexec_b64 s[8:9], vcc
; %bb.2450:
	s_mov_b32 s10, 0x7f800001
	s_xor_b64 s[4:5], exec, -1
; %bb.2451:
	s_or_b64 exec, exec, s[8:9]
	s_and_b64 s[4:5], s[4:5], exec
                                        ; implicit-def: $vgpr13
	s_or_saveexec_b64 s[6:7], s[6:7]
	v_mov_b32_e32 v12, s10
	s_xor_b64 exec, exec, s[6:7]
	s_cbranch_execz .LBB1_402
.LBB1_2452:
	v_cmp_ne_u16_e32 vcc, 0, v13
	s_andn2_b64 s[4:5], s[4:5], exec
	s_and_b64 s[8:9], vcc, exec
	v_mov_b32_e32 v12, 0
	s_or_b64 s[4:5], s[4:5], s[8:9]
	s_or_b64 exec, exec, s[6:7]
	s_and_saveexec_b64 s[6:7], s[4:5]
	s_cbranch_execnz .LBB1_403
	s_branch .LBB1_404
.LBB1_2453:
	s_movk_i32 s4, 0x80
	v_cmp_eq_u16_e32 vcc, s4, v13
	s_mov_b64 s[4:5], -1
                                        ; implicit-def: $sgpr10
	s_and_saveexec_b64 s[8:9], vcc
; %bb.2454:
	s_mov_b32 s10, 0x7f800001
	s_xor_b64 s[4:5], exec, -1
; %bb.2455:
	s_or_b64 exec, exec, s[8:9]
	s_and_b64 s[4:5], s[4:5], exec
                                        ; implicit-def: $vgpr13
	s_or_saveexec_b64 s[6:7], s[6:7]
	v_mov_b32_e32 v14, s10
	s_xor_b64 exec, exec, s[6:7]
	s_cbranch_execz .LBB1_406
.LBB1_2456:
	v_cmp_ne_u16_e32 vcc, 0, v13
	s_andn2_b64 s[4:5], s[4:5], exec
	s_and_b64 s[8:9], vcc, exec
	v_mov_b32_e32 v14, 0
	s_or_b64 s[4:5], s[4:5], s[8:9]
	s_or_b64 exec, exec, s[6:7]
	s_and_saveexec_b64 s[6:7], s[4:5]
	s_cbranch_execnz .LBB1_407
	s_branch .LBB1_408
.LBB1_2457:
	s_movk_i32 s4, 0x80
	v_cmp_eq_u16_sdwa s[12:13], v6, s4 src0_sel:BYTE_3 src1_sel:DWORD
	s_mov_b64 s[4:5], -1
                                        ; implicit-def: $sgpr10
	s_and_saveexec_b64 s[8:9], s[12:13]
; %bb.2458:
	s_mov_b32 s10, 0x7f800001
	s_xor_b64 s[4:5], exec, -1
; %bb.2459:
	s_or_b64 exec, exec, s[8:9]
	s_and_b64 s[4:5], s[4:5], exec
	s_or_saveexec_b64 s[6:7], s[6:7]
	v_mov_b32_e32 v12, s10
	s_xor_b64 exec, exec, s[6:7]
	s_cbranch_execz .LBB1_410
.LBB1_2460:
	v_mov_b32_e32 v12, 0
	v_cmp_ne_u16_sdwa s[8:9], v6, v12 src0_sel:BYTE_3 src1_sel:DWORD
	s_andn2_b64 s[4:5], s[4:5], exec
	s_and_b64 s[8:9], s[8:9], exec
	s_or_b64 s[4:5], s[4:5], s[8:9]
	s_or_b64 exec, exec, s[6:7]
	s_and_saveexec_b64 s[6:7], s[4:5]
	s_cbranch_execnz .LBB1_411
	s_branch .LBB1_412
.LBB1_2461:
	s_movk_i32 s4, 0x80
	v_cmp_eq_u16_sdwa s[12:13], v2, s4 src0_sel:BYTE_3 src1_sel:DWORD
	s_mov_b64 s[4:5], -1
                                        ; implicit-def: $sgpr10
	s_and_saveexec_b64 s[8:9], s[12:13]
; %bb.2462:
	s_mov_b32 s10, 0x7f800001
	s_xor_b64 s[4:5], exec, -1
; %bb.2463:
	s_or_b64 exec, exec, s[8:9]
	s_and_b64 s[4:5], s[4:5], exec
	s_or_saveexec_b64 s[6:7], s[6:7]
	v_mov_b32_e32 v6, s10
	s_xor_b64 exec, exec, s[6:7]
	s_cbranch_execz .LBB1_414
.LBB1_2464:
	v_mov_b32_e32 v6, 0
	v_cmp_ne_u16_sdwa s[8:9], v2, v6 src0_sel:BYTE_3 src1_sel:DWORD
	s_andn2_b64 s[4:5], s[4:5], exec
	s_and_b64 s[8:9], s[8:9], exec
	s_or_b64 s[4:5], s[4:5], s[8:9]
	s_or_b64 exec, exec, s[6:7]
	s_and_saveexec_b64 s[6:7], s[4:5]
	s_cbranch_execnz .LBB1_415
	s_branch .LBB1_416
.LBB1_2465:
	s_movk_i32 s4, 0x80
	v_cmp_eq_u16_sdwa s[12:13], v7, s4 src0_sel:BYTE_0 src1_sel:DWORD
	s_mov_b64 s[4:5], -1
                                        ; implicit-def: $sgpr10
	s_and_saveexec_b64 s[8:9], s[12:13]
; %bb.2466:
	s_mov_b32 s10, 0x7f800001
	s_xor_b64 s[4:5], exec, -1
; %bb.2467:
	s_or_b64 exec, exec, s[8:9]
	s_and_b64 s[4:5], s[4:5], exec
	s_or_saveexec_b64 s[6:7], s[6:7]
	v_mov_b32_e32 v2, s10
	s_xor_b64 exec, exec, s[6:7]
	s_cbranch_execz .LBB1_418
.LBB1_2468:
	v_mov_b32_e32 v2, 0
	v_cmp_ne_u16_sdwa s[8:9], v7, v2 src0_sel:BYTE_0 src1_sel:DWORD
	s_andn2_b64 s[4:5], s[4:5], exec
	s_and_b64 s[8:9], s[8:9], exec
	s_or_b64 s[4:5], s[4:5], s[8:9]
	s_or_b64 exec, exec, s[6:7]
	s_and_saveexec_b64 s[6:7], s[4:5]
	s_cbranch_execnz .LBB1_419
	s_branch .LBB1_420
.LBB1_2469:
	s_movk_i32 s4, 0x80
	v_cmp_eq_u16_sdwa s[12:13], v3, s4 src0_sel:BYTE_0 src1_sel:DWORD
	s_mov_b64 s[4:5], -1
                                        ; implicit-def: $sgpr10
	s_and_saveexec_b64 s[8:9], s[12:13]
; %bb.2470:
	s_mov_b32 s10, 0x7f800001
	s_xor_b64 s[4:5], exec, -1
; %bb.2471:
	s_or_b64 exec, exec, s[8:9]
	s_and_b64 s[4:5], s[4:5], exec
	s_or_saveexec_b64 s[6:7], s[6:7]
	v_mov_b32_e32 v6, s10
	s_xor_b64 exec, exec, s[6:7]
	s_cbranch_execz .LBB1_422
.LBB1_2472:
	v_mov_b32_e32 v6, 0
	v_cmp_ne_u16_sdwa s[8:9], v3, v6 src0_sel:BYTE_0 src1_sel:DWORD
	s_andn2_b64 s[4:5], s[4:5], exec
	s_and_b64 s[8:9], s[8:9], exec
	s_or_b64 s[4:5], s[4:5], s[8:9]
	s_or_b64 exec, exec, s[6:7]
	s_and_saveexec_b64 s[6:7], s[4:5]
	s_cbranch_execnz .LBB1_423
	s_branch .LBB1_424
.LBB1_2473:
	s_movk_i32 s4, 0x80
	v_cmp_eq_u16_sdwa s[12:13], v6, s4 src0_sel:BYTE_0 src1_sel:DWORD
	s_mov_b64 s[4:5], -1
                                        ; implicit-def: $sgpr10
	s_and_saveexec_b64 s[8:9], s[12:13]
; %bb.2474:
	s_mov_b32 s10, 0x7f800001
	s_xor_b64 s[4:5], exec, -1
; %bb.2475:
	s_or_b64 exec, exec, s[8:9]
	s_and_b64 s[4:5], s[4:5], exec
	s_or_saveexec_b64 s[6:7], s[6:7]
	v_mov_b32_e32 v2, s10
	s_xor_b64 exec, exec, s[6:7]
	s_cbranch_execz .LBB1_426
.LBB1_2476:
	v_mov_b32_e32 v2, 0
	v_cmp_ne_u16_sdwa s[8:9], v6, v2 src0_sel:BYTE_0 src1_sel:DWORD
	s_andn2_b64 s[4:5], s[4:5], exec
	s_and_b64 s[8:9], s[8:9], exec
	s_or_b64 s[4:5], s[4:5], s[8:9]
	s_or_b64 exec, exec, s[6:7]
	s_and_saveexec_b64 s[6:7], s[4:5]
	s_cbranch_execnz .LBB1_427
	s_branch .LBB1_428
.LBB1_2477:
	s_movk_i32 s4, 0x80
	v_cmp_eq_u16_sdwa s[12:13], v6, s4 src0_sel:BYTE_0 src1_sel:DWORD
	s_mov_b64 s[4:5], -1
                                        ; implicit-def: $sgpr10
	s_and_saveexec_b64 s[8:9], s[12:13]
; %bb.2478:
	s_mov_b32 s10, 0x7f800001
	s_xor_b64 s[4:5], exec, -1
; %bb.2479:
	s_or_b64 exec, exec, s[8:9]
	s_and_b64 s[4:5], s[4:5], exec
	s_or_saveexec_b64 s[6:7], s[6:7]
	v_mov_b32_e32 v12, s10
	s_xor_b64 exec, exec, s[6:7]
	s_cbranch_execz .LBB1_430
.LBB1_2480:
	v_mov_b32_e32 v12, 0
	v_cmp_ne_u16_sdwa s[8:9], v6, v12 src0_sel:BYTE_0 src1_sel:DWORD
	s_andn2_b64 s[4:5], s[4:5], exec
	s_and_b64 s[8:9], s[8:9], exec
	s_or_b64 s[4:5], s[4:5], s[8:9]
	s_or_b64 exec, exec, s[6:7]
	s_and_saveexec_b64 s[6:7], s[4:5]
	s_cbranch_execnz .LBB1_431
	s_branch .LBB1_432
.LBB1_2481:
	s_movk_i32 s4, 0x80
	v_cmp_eq_u16_e32 vcc, s4, v6
	s_mov_b64 s[4:5], -1
                                        ; implicit-def: $sgpr10
	s_and_saveexec_b64 s[8:9], vcc
; %bb.2482:
	s_mov_b32 s10, 0x7f800001
	s_xor_b64 s[4:5], exec, -1
; %bb.2483:
	s_or_b64 exec, exec, s[8:9]
	s_and_b64 s[4:5], s[4:5], exec
                                        ; implicit-def: $vgpr6
	s_or_saveexec_b64 s[6:7], s[6:7]
	v_mov_b32_e32 v2, s10
	s_xor_b64 exec, exec, s[6:7]
	s_cbranch_execz .LBB1_434
.LBB1_2484:
	v_cmp_ne_u16_e32 vcc, 0, v6
	s_andn2_b64 s[4:5], s[4:5], exec
	s_and_b64 s[8:9], vcc, exec
	v_mov_b32_e32 v2, 0
	s_or_b64 s[4:5], s[4:5], s[8:9]
	s_or_b64 exec, exec, s[6:7]
	s_and_saveexec_b64 s[6:7], s[4:5]
	s_cbranch_execnz .LBB1_435
	s_branch .LBB1_436
.LBB1_2485:
	s_movk_i32 s4, 0x80
	v_cmp_eq_u16_e32 vcc, s4, v6
	s_mov_b64 s[4:5], -1
                                        ; implicit-def: $sgpr10
	s_and_saveexec_b64 s[8:9], vcc
; %bb.2486:
	s_mov_b32 s10, 0x7f800001
	s_xor_b64 s[4:5], exec, -1
; %bb.2487:
	s_or_b64 exec, exec, s[8:9]
	s_and_b64 s[4:5], s[4:5], exec
                                        ; implicit-def: $vgpr6
	s_or_saveexec_b64 s[6:7], s[6:7]
	v_mov_b32_e32 v12, s10
	s_xor_b64 exec, exec, s[6:7]
	s_cbranch_execz .LBB1_438
.LBB1_2488:
	v_cmp_ne_u16_e32 vcc, 0, v6
	s_andn2_b64 s[4:5], s[4:5], exec
	s_and_b64 s[8:9], vcc, exec
	v_mov_b32_e32 v12, 0
	s_or_b64 s[4:5], s[4:5], s[8:9]
	s_or_b64 exec, exec, s[6:7]
	s_and_saveexec_b64 s[6:7], s[4:5]
	s_cbranch_execnz .LBB1_439
	s_branch .LBB1_440
.LBB1_2489:
	s_movk_i32 s4, 0x80
	v_cmp_eq_u16_sdwa s[12:13], v7, s4 src0_sel:BYTE_3 src1_sel:DWORD
	s_mov_b64 s[4:5], -1
                                        ; implicit-def: $sgpr10
	s_and_saveexec_b64 s[8:9], s[12:13]
; %bb.2490:
	s_mov_b32 s10, 0x7f800001
	s_xor_b64 s[4:5], exec, -1
; %bb.2491:
	s_or_b64 exec, exec, s[8:9]
	s_and_b64 s[4:5], s[4:5], exec
	s_or_saveexec_b64 s[6:7], s[6:7]
	v_mov_b32_e32 v2, s10
	s_xor_b64 exec, exec, s[6:7]
	s_cbranch_execz .LBB1_442
.LBB1_2492:
	v_mov_b32_e32 v2, 0
	v_cmp_ne_u16_sdwa s[8:9], v7, v2 src0_sel:BYTE_3 src1_sel:DWORD
	s_andn2_b64 s[4:5], s[4:5], exec
	s_and_b64 s[8:9], s[8:9], exec
	s_or_b64 s[4:5], s[4:5], s[8:9]
	s_or_b64 exec, exec, s[6:7]
	s_and_saveexec_b64 s[6:7], s[4:5]
	s_cbranch_execnz .LBB1_443
	s_branch .LBB1_444
.LBB1_2493:
	s_movk_i32 s4, 0x80
	v_cmp_eq_u16_sdwa s[12:13], v3, s4 src0_sel:BYTE_3 src1_sel:DWORD
	s_mov_b64 s[4:5], -1
                                        ; implicit-def: $sgpr10
	s_and_saveexec_b64 s[8:9], s[12:13]
; %bb.2494:
	s_mov_b32 s10, 0x7f800001
	s_xor_b64 s[4:5], exec, -1
; %bb.2495:
	s_or_b64 exec, exec, s[8:9]
	s_and_b64 s[4:5], s[4:5], exec
	s_or_saveexec_b64 s[6:7], s[6:7]
	v_mov_b32_e32 v6, s10
	s_xor_b64 exec, exec, s[6:7]
	s_cbranch_execz .LBB1_446
.LBB1_2496:
	v_mov_b32_e32 v6, 0
	v_cmp_ne_u16_sdwa s[8:9], v3, v6 src0_sel:BYTE_3 src1_sel:DWORD
	s_andn2_b64 s[4:5], s[4:5], exec
	s_and_b64 s[8:9], s[8:9], exec
	s_or_b64 s[4:5], s[4:5], s[8:9]
	s_or_b64 exec, exec, s[6:7]
	s_and_saveexec_b64 s[6:7], s[4:5]
	s_cbranch_execnz .LBB1_447
	s_branch .LBB1_448
.LBB1_2497:
	s_movk_i32 s4, 0x80
	v_cmp_eq_u16_sdwa s[12:13], v8, s4 src0_sel:BYTE_0 src1_sel:DWORD
	s_mov_b64 s[4:5], -1
                                        ; implicit-def: $sgpr10
	s_and_saveexec_b64 s[8:9], s[12:13]
; %bb.2498:
	s_mov_b32 s10, 0x7f800001
	s_xor_b64 s[4:5], exec, -1
; %bb.2499:
	s_or_b64 exec, exec, s[8:9]
	s_and_b64 s[4:5], s[4:5], exec
	s_or_saveexec_b64 s[6:7], s[6:7]
	v_mov_b32_e32 v2, s10
	s_xor_b64 exec, exec, s[6:7]
	s_cbranch_execz .LBB1_450
.LBB1_2500:
	v_mov_b32_e32 v2, 0
	v_cmp_ne_u16_sdwa s[8:9], v8, v2 src0_sel:BYTE_0 src1_sel:DWORD
	s_andn2_b64 s[4:5], s[4:5], exec
	s_and_b64 s[8:9], s[8:9], exec
	s_or_b64 s[4:5], s[4:5], s[8:9]
	s_or_b64 exec, exec, s[6:7]
	s_and_saveexec_b64 s[6:7], s[4:5]
	s_cbranch_execnz .LBB1_451
	s_branch .LBB1_452
.LBB1_2501:
	s_movk_i32 s4, 0x80
	v_cmp_eq_u16_sdwa s[12:13], v4, s4 src0_sel:BYTE_0 src1_sel:DWORD
	s_mov_b64 s[4:5], -1
                                        ; implicit-def: $sgpr10
	s_and_saveexec_b64 s[8:9], s[12:13]
; %bb.2502:
	s_mov_b32 s10, 0x7f800001
	s_xor_b64 s[4:5], exec, -1
; %bb.2503:
	s_or_b64 exec, exec, s[8:9]
	s_and_b64 s[4:5], s[4:5], exec
	s_or_saveexec_b64 s[6:7], s[6:7]
	v_mov_b32_e32 v3, s10
	s_xor_b64 exec, exec, s[6:7]
	s_cbranch_execz .LBB1_454
.LBB1_2504:
	v_mov_b32_e32 v3, 0
	v_cmp_ne_u16_sdwa s[8:9], v4, v3 src0_sel:BYTE_0 src1_sel:DWORD
	s_andn2_b64 s[4:5], s[4:5], exec
	s_and_b64 s[8:9], s[8:9], exec
	s_or_b64 s[4:5], s[4:5], s[8:9]
	s_or_b64 exec, exec, s[6:7]
	s_and_saveexec_b64 s[6:7], s[4:5]
	s_cbranch_execnz .LBB1_455
	s_branch .LBB1_456
.LBB1_2505:
	s_movk_i32 s4, 0x80
	v_cmp_eq_u16_sdwa s[12:13], v3, s4 src0_sel:BYTE_0 src1_sel:DWORD
	s_mov_b64 s[4:5], -1
                                        ; implicit-def: $sgpr10
	s_and_saveexec_b64 s[8:9], s[12:13]
; %bb.2506:
	s_mov_b32 s10, 0x7f800001
	s_xor_b64 s[4:5], exec, -1
; %bb.2507:
	s_or_b64 exec, exec, s[8:9]
	s_and_b64 s[4:5], s[4:5], exec
	s_or_saveexec_b64 s[6:7], s[6:7]
	v_mov_b32_e32 v2, s10
	s_xor_b64 exec, exec, s[6:7]
	s_cbranch_execz .LBB1_458
.LBB1_2508:
	v_mov_b32_e32 v2, 0
	v_cmp_ne_u16_sdwa s[8:9], v3, v2 src0_sel:BYTE_0 src1_sel:DWORD
	s_andn2_b64 s[4:5], s[4:5], exec
	s_and_b64 s[8:9], s[8:9], exec
	s_or_b64 s[4:5], s[4:5], s[8:9]
	s_or_b64 exec, exec, s[6:7]
	s_and_saveexec_b64 s[6:7], s[4:5]
	s_cbranch_execnz .LBB1_459
	s_branch .LBB1_460
.LBB1_2509:
	s_movk_i32 s4, 0x80
	v_cmp_eq_u16_sdwa s[12:13], v3, s4 src0_sel:BYTE_0 src1_sel:DWORD
	s_mov_b64 s[4:5], -1
                                        ; implicit-def: $sgpr10
	s_and_saveexec_b64 s[8:9], s[12:13]
; %bb.2510:
	s_mov_b32 s10, 0x7f800001
	s_xor_b64 s[4:5], exec, -1
; %bb.2511:
	s_or_b64 exec, exec, s[8:9]
	s_and_b64 s[4:5], s[4:5], exec
	s_or_saveexec_b64 s[6:7], s[6:7]
	v_mov_b32_e32 v6, s10
	s_xor_b64 exec, exec, s[6:7]
	s_cbranch_execz .LBB1_462
.LBB1_2512:
	v_mov_b32_e32 v6, 0
	v_cmp_ne_u16_sdwa s[8:9], v3, v6 src0_sel:BYTE_0 src1_sel:DWORD
	s_andn2_b64 s[4:5], s[4:5], exec
	s_and_b64 s[8:9], s[8:9], exec
	s_or_b64 s[4:5], s[4:5], s[8:9]
	s_or_b64 exec, exec, s[6:7]
	s_and_saveexec_b64 s[6:7], s[4:5]
	s_cbranch_execnz .LBB1_463
	s_branch .LBB1_464
.LBB1_2513:
	s_movk_i32 s4, 0x80
	v_cmp_eq_u16_e32 vcc, s4, v3
	s_mov_b64 s[4:5], -1
                                        ; implicit-def: $sgpr10
	s_and_saveexec_b64 s[8:9], vcc
; %bb.2514:
	s_mov_b32 s10, 0x7f800001
	s_xor_b64 s[4:5], exec, -1
; %bb.2515:
	s_or_b64 exec, exec, s[8:9]
	s_and_b64 s[4:5], s[4:5], exec
                                        ; implicit-def: $vgpr3
	s_or_saveexec_b64 s[6:7], s[6:7]
	v_mov_b32_e32 v2, s10
	s_xor_b64 exec, exec, s[6:7]
	s_cbranch_execz .LBB1_466
.LBB1_2516:
	v_cmp_ne_u16_e32 vcc, 0, v3
	s_andn2_b64 s[4:5], s[4:5], exec
	s_and_b64 s[8:9], vcc, exec
	v_mov_b32_e32 v2, 0
	s_or_b64 s[4:5], s[4:5], s[8:9]
	s_or_b64 exec, exec, s[6:7]
	s_and_saveexec_b64 s[6:7], s[4:5]
	s_cbranch_execnz .LBB1_467
	s_branch .LBB1_468
.LBB1_2517:
	s_movk_i32 s4, 0x80
	v_cmp_eq_u16_e32 vcc, s4, v3
	s_mov_b64 s[4:5], -1
                                        ; implicit-def: $sgpr10
	s_and_saveexec_b64 s[8:9], vcc
; %bb.2518:
	s_mov_b32 s10, 0x7f800001
	s_xor_b64 s[4:5], exec, -1
; %bb.2519:
	s_or_b64 exec, exec, s[8:9]
	s_and_b64 s[4:5], s[4:5], exec
                                        ; implicit-def: $vgpr3
	s_or_saveexec_b64 s[6:7], s[6:7]
	v_mov_b32_e32 v6, s10
	s_xor_b64 exec, exec, s[6:7]
	s_cbranch_execz .LBB1_470
.LBB1_2520:
	v_cmp_ne_u16_e32 vcc, 0, v3
	s_andn2_b64 s[4:5], s[4:5], exec
	s_and_b64 s[8:9], vcc, exec
	v_mov_b32_e32 v6, 0
	s_or_b64 s[4:5], s[4:5], s[8:9]
	s_or_b64 exec, exec, s[6:7]
	s_and_saveexec_b64 s[6:7], s[4:5]
	s_cbranch_execnz .LBB1_471
	s_branch .LBB1_472
.LBB1_2521:
	s_movk_i32 s4, 0x80
	v_cmp_eq_u16_sdwa s[12:13], v8, s4 src0_sel:BYTE_3 src1_sel:DWORD
	s_mov_b64 s[4:5], -1
                                        ; implicit-def: $sgpr10
	s_and_saveexec_b64 s[8:9], s[12:13]
; %bb.2522:
	s_mov_b32 s10, 0x7f800001
	s_xor_b64 s[4:5], exec, -1
; %bb.2523:
	s_or_b64 exec, exec, s[8:9]
	s_and_b64 s[4:5], s[4:5], exec
	s_or_saveexec_b64 s[6:7], s[6:7]
	v_mov_b32_e32 v2, s10
	s_xor_b64 exec, exec, s[6:7]
	s_cbranch_execz .LBB1_474
.LBB1_2524:
	v_mov_b32_e32 v2, 0
	v_cmp_ne_u16_sdwa s[8:9], v8, v2 src0_sel:BYTE_3 src1_sel:DWORD
	s_andn2_b64 s[4:5], s[4:5], exec
	s_and_b64 s[8:9], s[8:9], exec
	s_or_b64 s[4:5], s[4:5], s[8:9]
	s_or_b64 exec, exec, s[6:7]
	s_and_saveexec_b64 s[6:7], s[4:5]
	s_cbranch_execnz .LBB1_475
	s_branch .LBB1_476
.LBB1_2525:
	s_movk_i32 s4, 0x80
	v_cmp_eq_u16_sdwa s[12:13], v4, s4 src0_sel:BYTE_3 src1_sel:DWORD
	s_mov_b64 s[4:5], -1
                                        ; implicit-def: $sgpr10
	s_and_saveexec_b64 s[8:9], s[12:13]
; %bb.2526:
	s_mov_b32 s10, 0x7f800001
	s_xor_b64 s[4:5], exec, -1
; %bb.2527:
	s_or_b64 exec, exec, s[8:9]
	s_and_b64 s[4:5], s[4:5], exec
	s_or_saveexec_b64 s[6:7], s[6:7]
	v_mov_b32_e32 v3, s10
	s_xor_b64 exec, exec, s[6:7]
	s_cbranch_execz .LBB1_478
.LBB1_2528:
	v_mov_b32_e32 v3, 0
	v_cmp_ne_u16_sdwa s[8:9], v4, v3 src0_sel:BYTE_3 src1_sel:DWORD
	s_andn2_b64 s[4:5], s[4:5], exec
	s_and_b64 s[8:9], s[8:9], exec
	s_or_b64 s[4:5], s[4:5], s[8:9]
	s_or_b64 exec, exec, s[6:7]
	s_and_saveexec_b64 s[6:7], s[4:5]
	s_cbranch_execnz .LBB1_479
	s_branch .LBB1_480
.LBB1_2529:
	s_movk_i32 s4, 0x80
	v_cmp_eq_u16_sdwa s[12:13], v9, s4 src0_sel:BYTE_0 src1_sel:DWORD
	s_mov_b64 s[4:5], -1
                                        ; implicit-def: $sgpr10
	s_and_saveexec_b64 s[8:9], s[12:13]
; %bb.2530:
	s_mov_b32 s10, 0x7f800001
	s_xor_b64 s[4:5], exec, -1
; %bb.2531:
	s_or_b64 exec, exec, s[8:9]
	s_and_b64 s[4:5], s[4:5], exec
	s_or_saveexec_b64 s[6:7], s[6:7]
	v_mov_b32_e32 v2, s10
	s_xor_b64 exec, exec, s[6:7]
	s_cbranch_execz .LBB1_482
.LBB1_2532:
	v_mov_b32_e32 v2, 0
	v_cmp_ne_u16_sdwa s[8:9], v9, v2 src0_sel:BYTE_0 src1_sel:DWORD
	s_andn2_b64 s[4:5], s[4:5], exec
	s_and_b64 s[8:9], s[8:9], exec
	s_or_b64 s[4:5], s[4:5], s[8:9]
	s_or_b64 exec, exec, s[6:7]
	s_and_saveexec_b64 s[6:7], s[4:5]
	s_cbranch_execnz .LBB1_483
	s_branch .LBB1_484
.LBB1_2533:
	s_movk_i32 s4, 0x80
	v_cmp_eq_u16_sdwa s[12:13], v5, s4 src0_sel:BYTE_0 src1_sel:DWORD
	s_mov_b64 s[4:5], -1
                                        ; implicit-def: $sgpr10
	s_and_saveexec_b64 s[8:9], s[12:13]
; %bb.2534:
	s_mov_b32 s10, 0x7f800001
	s_xor_b64 s[4:5], exec, -1
; %bb.2535:
	s_or_b64 exec, exec, s[8:9]
	s_and_b64 s[4:5], s[4:5], exec
	s_or_saveexec_b64 s[6:7], s[6:7]
	v_mov_b32_e32 v3, s10
	s_xor_b64 exec, exec, s[6:7]
	s_cbranch_execz .LBB1_486
.LBB1_2536:
	v_mov_b32_e32 v3, 0
	v_cmp_ne_u16_sdwa s[8:9], v5, v3 src0_sel:BYTE_0 src1_sel:DWORD
	s_andn2_b64 s[4:5], s[4:5], exec
	s_and_b64 s[8:9], s[8:9], exec
	s_or_b64 s[4:5], s[4:5], s[8:9]
	s_or_b64 exec, exec, s[6:7]
	s_and_saveexec_b64 s[6:7], s[4:5]
	s_cbranch_execnz .LBB1_487
	s_branch .LBB1_488
.LBB1_2537:
	s_movk_i32 s4, 0x80
	v_cmp_eq_u16_sdwa s[12:13], v3, s4 src0_sel:BYTE_0 src1_sel:DWORD
	s_mov_b64 s[4:5], -1
                                        ; implicit-def: $sgpr10
	s_and_saveexec_b64 s[8:9], s[12:13]
; %bb.2538:
	s_mov_b32 s10, 0x7f800001
	s_xor_b64 s[4:5], exec, -1
; %bb.2539:
	s_or_b64 exec, exec, s[8:9]
	s_and_b64 s[4:5], s[4:5], exec
	s_or_saveexec_b64 s[6:7], s[6:7]
	v_mov_b32_e32 v2, s10
	s_xor_b64 exec, exec, s[6:7]
	s_cbranch_execz .LBB1_490
.LBB1_2540:
	v_mov_b32_e32 v2, 0
	v_cmp_ne_u16_sdwa s[8:9], v3, v2 src0_sel:BYTE_0 src1_sel:DWORD
	s_andn2_b64 s[4:5], s[4:5], exec
	s_and_b64 s[8:9], s[8:9], exec
	s_or_b64 s[4:5], s[4:5], s[8:9]
	s_or_b64 exec, exec, s[6:7]
	s_and_saveexec_b64 s[6:7], s[4:5]
	s_cbranch_execnz .LBB1_491
	s_branch .LBB1_492
.LBB1_2541:
	s_movk_i32 s4, 0x80
	v_cmp_eq_u16_sdwa s[12:13], v3, s4 src0_sel:BYTE_0 src1_sel:DWORD
	s_mov_b64 s[4:5], -1
                                        ; implicit-def: $sgpr10
	s_and_saveexec_b64 s[8:9], s[12:13]
; %bb.2542:
	s_mov_b32 s10, 0x7f800001
	s_xor_b64 s[4:5], exec, -1
; %bb.2543:
	s_or_b64 exec, exec, s[8:9]
	s_and_b64 s[4:5], s[4:5], exec
	s_or_saveexec_b64 s[6:7], s[6:7]
	v_mov_b32_e32 v4, s10
	s_xor_b64 exec, exec, s[6:7]
	s_cbranch_execz .LBB1_494
.LBB1_2544:
	v_mov_b32_e32 v4, 0
	v_cmp_ne_u16_sdwa s[8:9], v3, v4 src0_sel:BYTE_0 src1_sel:DWORD
	s_andn2_b64 s[4:5], s[4:5], exec
	s_and_b64 s[8:9], s[8:9], exec
	s_or_b64 s[4:5], s[4:5], s[8:9]
	s_or_b64 exec, exec, s[6:7]
	s_and_saveexec_b64 s[6:7], s[4:5]
	s_cbranch_execnz .LBB1_495
	s_branch .LBB1_496
.LBB1_2545:
	s_movk_i32 s4, 0x80
	v_cmp_eq_u16_e32 vcc, s4, v3
	s_mov_b64 s[4:5], -1
                                        ; implicit-def: $sgpr10
	s_and_saveexec_b64 s[8:9], vcc
; %bb.2546:
	s_mov_b32 s10, 0x7f800001
	s_xor_b64 s[4:5], exec, -1
; %bb.2547:
	s_or_b64 exec, exec, s[8:9]
	s_and_b64 s[4:5], s[4:5], exec
                                        ; implicit-def: $vgpr3
	s_or_saveexec_b64 s[6:7], s[6:7]
	v_mov_b32_e32 v2, s10
	s_xor_b64 exec, exec, s[6:7]
	s_cbranch_execz .LBB1_498
.LBB1_2548:
	v_cmp_ne_u16_e32 vcc, 0, v3
	s_andn2_b64 s[4:5], s[4:5], exec
	s_and_b64 s[8:9], vcc, exec
	v_mov_b32_e32 v2, 0
	s_or_b64 s[4:5], s[4:5], s[8:9]
	s_or_b64 exec, exec, s[6:7]
	s_and_saveexec_b64 s[6:7], s[4:5]
	s_cbranch_execnz .LBB1_499
	s_branch .LBB1_500
.LBB1_2549:
	s_movk_i32 s4, 0x80
	v_cmp_eq_u16_e32 vcc, s4, v3
	s_mov_b64 s[4:5], -1
                                        ; implicit-def: $sgpr10
	s_and_saveexec_b64 s[8:9], vcc
; %bb.2550:
	s_mov_b32 s10, 0x7f800001
	s_xor_b64 s[4:5], exec, -1
; %bb.2551:
	s_or_b64 exec, exec, s[8:9]
	s_and_b64 s[4:5], s[4:5], exec
                                        ; implicit-def: $vgpr3
	s_or_saveexec_b64 s[6:7], s[6:7]
	v_mov_b32_e32 v4, s10
	s_xor_b64 exec, exec, s[6:7]
	s_cbranch_execz .LBB1_502
.LBB1_2552:
	v_cmp_ne_u16_e32 vcc, 0, v3
	s_andn2_b64 s[4:5], s[4:5], exec
	s_and_b64 s[8:9], vcc, exec
	v_mov_b32_e32 v4, 0
	s_or_b64 s[4:5], s[4:5], s[8:9]
	s_or_b64 exec, exec, s[6:7]
	s_and_saveexec_b64 s[6:7], s[4:5]
	s_cbranch_execnz .LBB1_503
	s_branch .LBB1_504
.LBB1_2553:
	s_movk_i32 s4, 0x80
	v_cmp_eq_u16_sdwa s[12:13], v9, s4 src0_sel:BYTE_3 src1_sel:DWORD
	s_mov_b64 s[4:5], -1
                                        ; implicit-def: $sgpr10
	s_and_saveexec_b64 s[8:9], s[12:13]
; %bb.2554:
	s_mov_b32 s10, 0x7f800001
	s_xor_b64 s[4:5], exec, -1
; %bb.2555:
	s_or_b64 exec, exec, s[8:9]
	s_and_b64 s[4:5], s[4:5], exec
	s_or_saveexec_b64 s[6:7], s[6:7]
	v_mov_b32_e32 v2, s10
	s_xor_b64 exec, exec, s[6:7]
	s_cbranch_execz .LBB1_506
.LBB1_2556:
	v_mov_b32_e32 v2, 0
	v_cmp_ne_u16_sdwa s[8:9], v9, v2 src0_sel:BYTE_3 src1_sel:DWORD
	s_andn2_b64 s[4:5], s[4:5], exec
	s_and_b64 s[8:9], s[8:9], exec
	s_or_b64 s[4:5], s[4:5], s[8:9]
	s_or_b64 exec, exec, s[6:7]
	s_and_saveexec_b64 s[6:7], s[4:5]
	s_cbranch_execnz .LBB1_507
	s_branch .LBB1_508
.LBB1_2557:
	s_movk_i32 s4, 0x80
	v_cmp_eq_u16_sdwa s[12:13], v5, s4 src0_sel:BYTE_3 src1_sel:DWORD
	s_mov_b64 s[4:5], -1
                                        ; implicit-def: $sgpr10
	s_and_saveexec_b64 s[8:9], s[12:13]
; %bb.2558:
	s_mov_b32 s10, 0x7f800001
	s_xor_b64 s[4:5], exec, -1
; %bb.2559:
	s_or_b64 exec, exec, s[8:9]
	s_and_b64 s[4:5], s[4:5], exec
	s_or_saveexec_b64 s[6:7], s[6:7]
	v_mov_b32_e32 v3, s10
	s_xor_b64 exec, exec, s[6:7]
	s_cbranch_execz .LBB1_510
.LBB1_2560:
	v_mov_b32_e32 v3, 0
	v_cmp_ne_u16_sdwa s[8:9], v5, v3 src0_sel:BYTE_3 src1_sel:DWORD
	s_andn2_b64 s[4:5], s[4:5], exec
	s_and_b64 s[8:9], s[8:9], exec
	s_or_b64 s[4:5], s[4:5], s[8:9]
	s_or_b64 exec, exec, s[6:7]
	s_and_saveexec_b64 s[6:7], s[4:5]
	s_cbranch_execnz .LBB1_511
	s_branch .LBB1_512
.LBB1_2561:
	s_movk_i32 s4, 0x80
	v_cmp_eq_u16_sdwa s[12:13], v6, s4 src0_sel:BYTE_0 src1_sel:DWORD
	s_mov_b64 s[4:5], -1
                                        ; implicit-def: $sgpr10
	s_and_saveexec_b64 s[8:9], s[12:13]
; %bb.2562:
	s_mov_b32 s10, 0x7f800001
	s_xor_b64 s[4:5], exec, -1
; %bb.2563:
	s_or_b64 exec, exec, s[8:9]
	s_and_b64 s[4:5], s[4:5], exec
	s_or_saveexec_b64 s[6:7], s[6:7]
	v_mov_b32_e32 v12, s10
	s_xor_b64 exec, exec, s[6:7]
	s_cbranch_execz .LBB1_514
.LBB1_2564:
	v_mov_b32_e32 v12, 0
	v_cmp_ne_u16_sdwa s[8:9], v6, v12 src0_sel:BYTE_0 src1_sel:DWORD
	s_andn2_b64 s[4:5], s[4:5], exec
	s_and_b64 s[8:9], s[8:9], exec
	s_or_b64 s[4:5], s[4:5], s[8:9]
	s_or_b64 exec, exec, s[6:7]
	s_and_saveexec_b64 s[6:7], s[4:5]
	s_cbranch_execnz .LBB1_515
	s_branch .LBB1_516
.LBB1_2565:
	s_movk_i32 s4, 0x80
	v_cmp_eq_u16_sdwa s[12:13], v2, s4 src0_sel:BYTE_0 src1_sel:DWORD
	s_mov_b64 s[4:5], -1
                                        ; implicit-def: $sgpr10
	s_and_saveexec_b64 s[8:9], s[12:13]
; %bb.2566:
	s_mov_b32 s10, 0x7f800001
	s_xor_b64 s[4:5], exec, -1
; %bb.2567:
	s_or_b64 exec, exec, s[8:9]
	s_and_b64 s[4:5], s[4:5], exec
	s_or_saveexec_b64 s[6:7], s[6:7]
	v_mov_b32_e32 v13, s10
	s_xor_b64 exec, exec, s[6:7]
	s_cbranch_execz .LBB1_518
.LBB1_2568:
	v_mov_b32_e32 v13, 0
	v_cmp_ne_u16_sdwa s[8:9], v2, v13 src0_sel:BYTE_0 src1_sel:DWORD
	s_andn2_b64 s[4:5], s[4:5], exec
	s_and_b64 s[8:9], s[8:9], exec
	s_or_b64 s[4:5], s[4:5], s[8:9]
	s_or_b64 exec, exec, s[6:7]
	s_and_saveexec_b64 s[6:7], s[4:5]
	s_cbranch_execnz .LBB1_519
	s_branch .LBB1_520
.LBB1_2569:
	s_movk_i32 s4, 0x80
	v_cmp_eq_u16_sdwa s[12:13], v13, s4 src0_sel:BYTE_0 src1_sel:DWORD
	s_mov_b64 s[4:5], -1
                                        ; implicit-def: $sgpr10
	s_and_saveexec_b64 s[8:9], s[12:13]
; %bb.2570:
	s_mov_b32 s10, 0x7f800001
	s_xor_b64 s[4:5], exec, -1
; %bb.2571:
	s_or_b64 exec, exec, s[8:9]
	s_and_b64 s[4:5], s[4:5], exec
	s_or_saveexec_b64 s[6:7], s[6:7]
	v_mov_b32_e32 v12, s10
	s_xor_b64 exec, exec, s[6:7]
	s_cbranch_execz .LBB1_522
.LBB1_2572:
	v_mov_b32_e32 v12, 0
	v_cmp_ne_u16_sdwa s[8:9], v13, v12 src0_sel:BYTE_0 src1_sel:DWORD
	s_andn2_b64 s[4:5], s[4:5], exec
	s_and_b64 s[8:9], s[8:9], exec
	s_or_b64 s[4:5], s[4:5], s[8:9]
	s_or_b64 exec, exec, s[6:7]
	s_and_saveexec_b64 s[6:7], s[4:5]
	s_cbranch_execnz .LBB1_523
	s_branch .LBB1_524
.LBB1_2573:
	s_movk_i32 s4, 0x80
	v_cmp_eq_u16_sdwa s[12:13], v13, s4 src0_sel:BYTE_0 src1_sel:DWORD
	s_mov_b64 s[4:5], -1
                                        ; implicit-def: $sgpr10
	s_and_saveexec_b64 s[8:9], s[12:13]
; %bb.2574:
	s_mov_b32 s10, 0x7f800001
	s_xor_b64 s[4:5], exec, -1
; %bb.2575:
	s_or_b64 exec, exec, s[8:9]
	s_and_b64 s[4:5], s[4:5], exec
	s_or_saveexec_b64 s[6:7], s[6:7]
	v_mov_b32_e32 v14, s10
	s_xor_b64 exec, exec, s[6:7]
	s_cbranch_execz .LBB1_526
.LBB1_2576:
	v_mov_b32_e32 v14, 0
	v_cmp_ne_u16_sdwa s[8:9], v13, v14 src0_sel:BYTE_0 src1_sel:DWORD
	s_andn2_b64 s[4:5], s[4:5], exec
	s_and_b64 s[8:9], s[8:9], exec
	s_or_b64 s[4:5], s[4:5], s[8:9]
	s_or_b64 exec, exec, s[6:7]
	s_and_saveexec_b64 s[6:7], s[4:5]
	s_cbranch_execnz .LBB1_527
	s_branch .LBB1_528
.LBB1_2577:
	s_movk_i32 s4, 0x80
	v_cmp_eq_u16_e32 vcc, s4, v13
	s_mov_b64 s[4:5], -1
                                        ; implicit-def: $sgpr10
	s_and_saveexec_b64 s[8:9], vcc
; %bb.2578:
	s_mov_b32 s10, 0x7f800001
	s_xor_b64 s[4:5], exec, -1
; %bb.2579:
	s_or_b64 exec, exec, s[8:9]
	s_and_b64 s[4:5], s[4:5], exec
                                        ; implicit-def: $vgpr13
	s_or_saveexec_b64 s[6:7], s[6:7]
	v_mov_b32_e32 v12, s10
	s_xor_b64 exec, exec, s[6:7]
	s_cbranch_execz .LBB1_530
.LBB1_2580:
	v_cmp_ne_u16_e32 vcc, 0, v13
	s_andn2_b64 s[4:5], s[4:5], exec
	s_and_b64 s[8:9], vcc, exec
	v_mov_b32_e32 v12, 0
	s_or_b64 s[4:5], s[4:5], s[8:9]
	s_or_b64 exec, exec, s[6:7]
	s_and_saveexec_b64 s[6:7], s[4:5]
	s_cbranch_execnz .LBB1_531
	s_branch .LBB1_532
.LBB1_2581:
	s_movk_i32 s4, 0x80
	v_cmp_eq_u16_e32 vcc, s4, v13
	s_mov_b64 s[4:5], -1
                                        ; implicit-def: $sgpr10
	s_and_saveexec_b64 s[8:9], vcc
; %bb.2582:
	s_mov_b32 s10, 0x7f800001
	s_xor_b64 s[4:5], exec, -1
; %bb.2583:
	s_or_b64 exec, exec, s[8:9]
	s_and_b64 s[4:5], s[4:5], exec
                                        ; implicit-def: $vgpr13
	s_or_saveexec_b64 s[6:7], s[6:7]
	v_mov_b32_e32 v14, s10
	s_xor_b64 exec, exec, s[6:7]
	s_cbranch_execz .LBB1_534
.LBB1_2584:
	v_cmp_ne_u16_e32 vcc, 0, v13
	s_andn2_b64 s[4:5], s[4:5], exec
	s_and_b64 s[8:9], vcc, exec
	v_mov_b32_e32 v14, 0
	s_or_b64 s[4:5], s[4:5], s[8:9]
	s_or_b64 exec, exec, s[6:7]
	s_and_saveexec_b64 s[6:7], s[4:5]
	s_cbranch_execnz .LBB1_535
	s_branch .LBB1_536
.LBB1_2585:
	s_movk_i32 s4, 0x80
	v_cmp_eq_u16_sdwa s[12:13], v6, s4 src0_sel:BYTE_3 src1_sel:DWORD
	s_mov_b64 s[4:5], -1
                                        ; implicit-def: $sgpr10
	s_and_saveexec_b64 s[8:9], s[12:13]
; %bb.2586:
	s_mov_b32 s10, 0x7f800001
	s_xor_b64 s[4:5], exec, -1
; %bb.2587:
	s_or_b64 exec, exec, s[8:9]
	s_and_b64 s[4:5], s[4:5], exec
	s_or_saveexec_b64 s[6:7], s[6:7]
	v_mov_b32_e32 v12, s10
	s_xor_b64 exec, exec, s[6:7]
	s_cbranch_execz .LBB1_538
.LBB1_2588:
	v_mov_b32_e32 v12, 0
	v_cmp_ne_u16_sdwa s[8:9], v6, v12 src0_sel:BYTE_3 src1_sel:DWORD
	s_andn2_b64 s[4:5], s[4:5], exec
	s_and_b64 s[8:9], s[8:9], exec
	s_or_b64 s[4:5], s[4:5], s[8:9]
	s_or_b64 exec, exec, s[6:7]
	s_and_saveexec_b64 s[6:7], s[4:5]
	s_cbranch_execnz .LBB1_539
	s_branch .LBB1_540
.LBB1_2589:
	s_movk_i32 s4, 0x80
	v_cmp_eq_u16_sdwa s[12:13], v2, s4 src0_sel:BYTE_3 src1_sel:DWORD
	s_mov_b64 s[4:5], -1
                                        ; implicit-def: $sgpr10
	s_and_saveexec_b64 s[8:9], s[12:13]
; %bb.2590:
	s_mov_b32 s10, 0x7f800001
	s_xor_b64 s[4:5], exec, -1
; %bb.2591:
	s_or_b64 exec, exec, s[8:9]
	s_and_b64 s[4:5], s[4:5], exec
	s_or_saveexec_b64 s[6:7], s[6:7]
	v_mov_b32_e32 v6, s10
	s_xor_b64 exec, exec, s[6:7]
	s_cbranch_execz .LBB1_542
.LBB1_2592:
	v_mov_b32_e32 v6, 0
	v_cmp_ne_u16_sdwa s[8:9], v2, v6 src0_sel:BYTE_3 src1_sel:DWORD
	s_andn2_b64 s[4:5], s[4:5], exec
	s_and_b64 s[8:9], s[8:9], exec
	s_or_b64 s[4:5], s[4:5], s[8:9]
	s_or_b64 exec, exec, s[6:7]
	s_and_saveexec_b64 s[6:7], s[4:5]
	s_cbranch_execnz .LBB1_543
	s_branch .LBB1_544
.LBB1_2593:
	s_movk_i32 s4, 0x80
	v_cmp_eq_u16_sdwa s[12:13], v7, s4 src0_sel:BYTE_0 src1_sel:DWORD
	s_mov_b64 s[4:5], -1
                                        ; implicit-def: $sgpr10
	s_and_saveexec_b64 s[8:9], s[12:13]
; %bb.2594:
	s_mov_b32 s10, 0x7f800001
	s_xor_b64 s[4:5], exec, -1
; %bb.2595:
	s_or_b64 exec, exec, s[8:9]
	s_and_b64 s[4:5], s[4:5], exec
	s_or_saveexec_b64 s[6:7], s[6:7]
	v_mov_b32_e32 v2, s10
	s_xor_b64 exec, exec, s[6:7]
	s_cbranch_execz .LBB1_546
.LBB1_2596:
	v_mov_b32_e32 v2, 0
	v_cmp_ne_u16_sdwa s[8:9], v7, v2 src0_sel:BYTE_0 src1_sel:DWORD
	s_andn2_b64 s[4:5], s[4:5], exec
	s_and_b64 s[8:9], s[8:9], exec
	s_or_b64 s[4:5], s[4:5], s[8:9]
	s_or_b64 exec, exec, s[6:7]
	s_and_saveexec_b64 s[6:7], s[4:5]
	s_cbranch_execnz .LBB1_547
	s_branch .LBB1_548
.LBB1_2597:
	s_movk_i32 s4, 0x80
	v_cmp_eq_u16_sdwa s[12:13], v3, s4 src0_sel:BYTE_0 src1_sel:DWORD
	s_mov_b64 s[4:5], -1
                                        ; implicit-def: $sgpr10
	s_and_saveexec_b64 s[8:9], s[12:13]
; %bb.2598:
	s_mov_b32 s10, 0x7f800001
	s_xor_b64 s[4:5], exec, -1
; %bb.2599:
	s_or_b64 exec, exec, s[8:9]
	s_and_b64 s[4:5], s[4:5], exec
	s_or_saveexec_b64 s[6:7], s[6:7]
	v_mov_b32_e32 v6, s10
	s_xor_b64 exec, exec, s[6:7]
	s_cbranch_execz .LBB1_550
.LBB1_2600:
	v_mov_b32_e32 v6, 0
	v_cmp_ne_u16_sdwa s[8:9], v3, v6 src0_sel:BYTE_0 src1_sel:DWORD
	s_andn2_b64 s[4:5], s[4:5], exec
	s_and_b64 s[8:9], s[8:9], exec
	s_or_b64 s[4:5], s[4:5], s[8:9]
	s_or_b64 exec, exec, s[6:7]
	s_and_saveexec_b64 s[6:7], s[4:5]
	s_cbranch_execnz .LBB1_551
	s_branch .LBB1_552
.LBB1_2601:
	s_movk_i32 s4, 0x80
	v_cmp_eq_u16_sdwa s[12:13], v6, s4 src0_sel:BYTE_0 src1_sel:DWORD
	s_mov_b64 s[4:5], -1
                                        ; implicit-def: $sgpr10
	s_and_saveexec_b64 s[8:9], s[12:13]
; %bb.2602:
	s_mov_b32 s10, 0x7f800001
	s_xor_b64 s[4:5], exec, -1
; %bb.2603:
	s_or_b64 exec, exec, s[8:9]
	s_and_b64 s[4:5], s[4:5], exec
	s_or_saveexec_b64 s[6:7], s[6:7]
	v_mov_b32_e32 v2, s10
	s_xor_b64 exec, exec, s[6:7]
	s_cbranch_execz .LBB1_554
.LBB1_2604:
	v_mov_b32_e32 v2, 0
	v_cmp_ne_u16_sdwa s[8:9], v6, v2 src0_sel:BYTE_0 src1_sel:DWORD
	s_andn2_b64 s[4:5], s[4:5], exec
	s_and_b64 s[8:9], s[8:9], exec
	s_or_b64 s[4:5], s[4:5], s[8:9]
	s_or_b64 exec, exec, s[6:7]
	s_and_saveexec_b64 s[6:7], s[4:5]
	s_cbranch_execnz .LBB1_555
	s_branch .LBB1_556
.LBB1_2605:
	s_movk_i32 s4, 0x80
	v_cmp_eq_u16_sdwa s[12:13], v6, s4 src0_sel:BYTE_0 src1_sel:DWORD
	s_mov_b64 s[4:5], -1
                                        ; implicit-def: $sgpr10
	s_and_saveexec_b64 s[8:9], s[12:13]
; %bb.2606:
	s_mov_b32 s10, 0x7f800001
	s_xor_b64 s[4:5], exec, -1
; %bb.2607:
	s_or_b64 exec, exec, s[8:9]
	s_and_b64 s[4:5], s[4:5], exec
	s_or_saveexec_b64 s[6:7], s[6:7]
	v_mov_b32_e32 v12, s10
	s_xor_b64 exec, exec, s[6:7]
	s_cbranch_execz .LBB1_558
.LBB1_2608:
	v_mov_b32_e32 v12, 0
	v_cmp_ne_u16_sdwa s[8:9], v6, v12 src0_sel:BYTE_0 src1_sel:DWORD
	s_andn2_b64 s[4:5], s[4:5], exec
	s_and_b64 s[8:9], s[8:9], exec
	s_or_b64 s[4:5], s[4:5], s[8:9]
	s_or_b64 exec, exec, s[6:7]
	s_and_saveexec_b64 s[6:7], s[4:5]
	s_cbranch_execnz .LBB1_559
	s_branch .LBB1_560
.LBB1_2609:
	s_movk_i32 s4, 0x80
	v_cmp_eq_u16_e32 vcc, s4, v6
	s_mov_b64 s[4:5], -1
                                        ; implicit-def: $sgpr10
	s_and_saveexec_b64 s[8:9], vcc
; %bb.2610:
	s_mov_b32 s10, 0x7f800001
	s_xor_b64 s[4:5], exec, -1
; %bb.2611:
	s_or_b64 exec, exec, s[8:9]
	s_and_b64 s[4:5], s[4:5], exec
                                        ; implicit-def: $vgpr6
	s_or_saveexec_b64 s[6:7], s[6:7]
	v_mov_b32_e32 v2, s10
	s_xor_b64 exec, exec, s[6:7]
	s_cbranch_execz .LBB1_562
.LBB1_2612:
	v_cmp_ne_u16_e32 vcc, 0, v6
	s_andn2_b64 s[4:5], s[4:5], exec
	s_and_b64 s[8:9], vcc, exec
	v_mov_b32_e32 v2, 0
	s_or_b64 s[4:5], s[4:5], s[8:9]
	s_or_b64 exec, exec, s[6:7]
	s_and_saveexec_b64 s[6:7], s[4:5]
	s_cbranch_execnz .LBB1_563
	s_branch .LBB1_564
.LBB1_2613:
	s_movk_i32 s4, 0x80
	v_cmp_eq_u16_e32 vcc, s4, v6
	s_mov_b64 s[4:5], -1
                                        ; implicit-def: $sgpr10
	s_and_saveexec_b64 s[8:9], vcc
; %bb.2614:
	s_mov_b32 s10, 0x7f800001
	s_xor_b64 s[4:5], exec, -1
; %bb.2615:
	s_or_b64 exec, exec, s[8:9]
	s_and_b64 s[4:5], s[4:5], exec
                                        ; implicit-def: $vgpr6
	s_or_saveexec_b64 s[6:7], s[6:7]
	v_mov_b32_e32 v12, s10
	s_xor_b64 exec, exec, s[6:7]
	s_cbranch_execz .LBB1_566
.LBB1_2616:
	v_cmp_ne_u16_e32 vcc, 0, v6
	s_andn2_b64 s[4:5], s[4:5], exec
	s_and_b64 s[8:9], vcc, exec
	v_mov_b32_e32 v12, 0
	s_or_b64 s[4:5], s[4:5], s[8:9]
	s_or_b64 exec, exec, s[6:7]
	s_and_saveexec_b64 s[6:7], s[4:5]
	s_cbranch_execnz .LBB1_567
	s_branch .LBB1_568
.LBB1_2617:
	s_movk_i32 s4, 0x80
	v_cmp_eq_u16_sdwa s[12:13], v7, s4 src0_sel:BYTE_3 src1_sel:DWORD
	s_mov_b64 s[4:5], -1
                                        ; implicit-def: $sgpr10
	s_and_saveexec_b64 s[8:9], s[12:13]
; %bb.2618:
	s_mov_b32 s10, 0x7f800001
	s_xor_b64 s[4:5], exec, -1
; %bb.2619:
	s_or_b64 exec, exec, s[8:9]
	s_and_b64 s[4:5], s[4:5], exec
	s_or_saveexec_b64 s[6:7], s[6:7]
	v_mov_b32_e32 v2, s10
	s_xor_b64 exec, exec, s[6:7]
	s_cbranch_execz .LBB1_570
.LBB1_2620:
	v_mov_b32_e32 v2, 0
	v_cmp_ne_u16_sdwa s[8:9], v7, v2 src0_sel:BYTE_3 src1_sel:DWORD
	s_andn2_b64 s[4:5], s[4:5], exec
	s_and_b64 s[8:9], s[8:9], exec
	s_or_b64 s[4:5], s[4:5], s[8:9]
	s_or_b64 exec, exec, s[6:7]
	s_and_saveexec_b64 s[6:7], s[4:5]
	s_cbranch_execnz .LBB1_571
	s_branch .LBB1_572
.LBB1_2621:
	s_movk_i32 s4, 0x80
	v_cmp_eq_u16_sdwa s[12:13], v3, s4 src0_sel:BYTE_3 src1_sel:DWORD
	s_mov_b64 s[4:5], -1
                                        ; implicit-def: $sgpr10
	s_and_saveexec_b64 s[8:9], s[12:13]
; %bb.2622:
	s_mov_b32 s10, 0x7f800001
	s_xor_b64 s[4:5], exec, -1
; %bb.2623:
	s_or_b64 exec, exec, s[8:9]
	s_and_b64 s[4:5], s[4:5], exec
	s_or_saveexec_b64 s[6:7], s[6:7]
	v_mov_b32_e32 v6, s10
	s_xor_b64 exec, exec, s[6:7]
	s_cbranch_execz .LBB1_574
.LBB1_2624:
	v_mov_b32_e32 v6, 0
	v_cmp_ne_u16_sdwa s[8:9], v3, v6 src0_sel:BYTE_3 src1_sel:DWORD
	s_andn2_b64 s[4:5], s[4:5], exec
	s_and_b64 s[8:9], s[8:9], exec
	s_or_b64 s[4:5], s[4:5], s[8:9]
	s_or_b64 exec, exec, s[6:7]
	s_and_saveexec_b64 s[6:7], s[4:5]
	s_cbranch_execnz .LBB1_575
	s_branch .LBB1_576
.LBB1_2625:
	s_movk_i32 s4, 0x80
	v_cmp_eq_u16_sdwa s[12:13], v8, s4 src0_sel:BYTE_0 src1_sel:DWORD
	s_mov_b64 s[4:5], -1
                                        ; implicit-def: $sgpr10
	s_and_saveexec_b64 s[8:9], s[12:13]
; %bb.2626:
	s_mov_b32 s10, 0x7f800001
	s_xor_b64 s[4:5], exec, -1
; %bb.2627:
	s_or_b64 exec, exec, s[8:9]
	s_and_b64 s[4:5], s[4:5], exec
	s_or_saveexec_b64 s[6:7], s[6:7]
	v_mov_b32_e32 v2, s10
	s_xor_b64 exec, exec, s[6:7]
	s_cbranch_execz .LBB1_578
.LBB1_2628:
	v_mov_b32_e32 v2, 0
	v_cmp_ne_u16_sdwa s[8:9], v8, v2 src0_sel:BYTE_0 src1_sel:DWORD
	s_andn2_b64 s[4:5], s[4:5], exec
	s_and_b64 s[8:9], s[8:9], exec
	s_or_b64 s[4:5], s[4:5], s[8:9]
	s_or_b64 exec, exec, s[6:7]
	s_and_saveexec_b64 s[6:7], s[4:5]
	s_cbranch_execnz .LBB1_579
	s_branch .LBB1_580
.LBB1_2629:
	s_movk_i32 s4, 0x80
	v_cmp_eq_u16_sdwa s[12:13], v4, s4 src0_sel:BYTE_0 src1_sel:DWORD
	s_mov_b64 s[4:5], -1
                                        ; implicit-def: $sgpr10
	s_and_saveexec_b64 s[8:9], s[12:13]
; %bb.2630:
	s_mov_b32 s10, 0x7f800001
	s_xor_b64 s[4:5], exec, -1
; %bb.2631:
	s_or_b64 exec, exec, s[8:9]
	s_and_b64 s[4:5], s[4:5], exec
	s_or_saveexec_b64 s[6:7], s[6:7]
	v_mov_b32_e32 v3, s10
	s_xor_b64 exec, exec, s[6:7]
	s_cbranch_execz .LBB1_582
.LBB1_2632:
	v_mov_b32_e32 v3, 0
	v_cmp_ne_u16_sdwa s[8:9], v4, v3 src0_sel:BYTE_0 src1_sel:DWORD
	s_andn2_b64 s[4:5], s[4:5], exec
	s_and_b64 s[8:9], s[8:9], exec
	s_or_b64 s[4:5], s[4:5], s[8:9]
	s_or_b64 exec, exec, s[6:7]
	s_and_saveexec_b64 s[6:7], s[4:5]
	s_cbranch_execnz .LBB1_583
	s_branch .LBB1_584
.LBB1_2633:
	s_movk_i32 s4, 0x80
	v_cmp_eq_u16_sdwa s[12:13], v3, s4 src0_sel:BYTE_0 src1_sel:DWORD
	s_mov_b64 s[4:5], -1
                                        ; implicit-def: $sgpr10
	s_and_saveexec_b64 s[8:9], s[12:13]
; %bb.2634:
	s_mov_b32 s10, 0x7f800001
	s_xor_b64 s[4:5], exec, -1
; %bb.2635:
	s_or_b64 exec, exec, s[8:9]
	s_and_b64 s[4:5], s[4:5], exec
	s_or_saveexec_b64 s[6:7], s[6:7]
	v_mov_b32_e32 v2, s10
	s_xor_b64 exec, exec, s[6:7]
	s_cbranch_execz .LBB1_586
.LBB1_2636:
	v_mov_b32_e32 v2, 0
	v_cmp_ne_u16_sdwa s[8:9], v3, v2 src0_sel:BYTE_0 src1_sel:DWORD
	s_andn2_b64 s[4:5], s[4:5], exec
	s_and_b64 s[8:9], s[8:9], exec
	s_or_b64 s[4:5], s[4:5], s[8:9]
	s_or_b64 exec, exec, s[6:7]
	s_and_saveexec_b64 s[6:7], s[4:5]
	s_cbranch_execnz .LBB1_587
	s_branch .LBB1_588
.LBB1_2637:
	s_movk_i32 s4, 0x80
	v_cmp_eq_u16_sdwa s[12:13], v3, s4 src0_sel:BYTE_0 src1_sel:DWORD
	s_mov_b64 s[4:5], -1
                                        ; implicit-def: $sgpr10
	s_and_saveexec_b64 s[8:9], s[12:13]
; %bb.2638:
	s_mov_b32 s10, 0x7f800001
	s_xor_b64 s[4:5], exec, -1
; %bb.2639:
	s_or_b64 exec, exec, s[8:9]
	s_and_b64 s[4:5], s[4:5], exec
	s_or_saveexec_b64 s[6:7], s[6:7]
	v_mov_b32_e32 v6, s10
	s_xor_b64 exec, exec, s[6:7]
	s_cbranch_execz .LBB1_590
.LBB1_2640:
	v_mov_b32_e32 v6, 0
	v_cmp_ne_u16_sdwa s[8:9], v3, v6 src0_sel:BYTE_0 src1_sel:DWORD
	s_andn2_b64 s[4:5], s[4:5], exec
	s_and_b64 s[8:9], s[8:9], exec
	s_or_b64 s[4:5], s[4:5], s[8:9]
	s_or_b64 exec, exec, s[6:7]
	s_and_saveexec_b64 s[6:7], s[4:5]
	s_cbranch_execnz .LBB1_591
	s_branch .LBB1_592
.LBB1_2641:
	s_movk_i32 s4, 0x80
	v_cmp_eq_u16_e32 vcc, s4, v3
	s_mov_b64 s[4:5], -1
                                        ; implicit-def: $sgpr10
	s_and_saveexec_b64 s[8:9], vcc
; %bb.2642:
	s_mov_b32 s10, 0x7f800001
	s_xor_b64 s[4:5], exec, -1
; %bb.2643:
	s_or_b64 exec, exec, s[8:9]
	s_and_b64 s[4:5], s[4:5], exec
                                        ; implicit-def: $vgpr3
	s_or_saveexec_b64 s[6:7], s[6:7]
	v_mov_b32_e32 v2, s10
	s_xor_b64 exec, exec, s[6:7]
	s_cbranch_execz .LBB1_594
.LBB1_2644:
	v_cmp_ne_u16_e32 vcc, 0, v3
	s_andn2_b64 s[4:5], s[4:5], exec
	s_and_b64 s[8:9], vcc, exec
	v_mov_b32_e32 v2, 0
	s_or_b64 s[4:5], s[4:5], s[8:9]
	s_or_b64 exec, exec, s[6:7]
	s_and_saveexec_b64 s[6:7], s[4:5]
	s_cbranch_execnz .LBB1_595
	s_branch .LBB1_596
.LBB1_2645:
	s_movk_i32 s4, 0x80
	v_cmp_eq_u16_e32 vcc, s4, v3
	s_mov_b64 s[4:5], -1
                                        ; implicit-def: $sgpr10
	s_and_saveexec_b64 s[8:9], vcc
; %bb.2646:
	s_mov_b32 s10, 0x7f800001
	s_xor_b64 s[4:5], exec, -1
; %bb.2647:
	s_or_b64 exec, exec, s[8:9]
	s_and_b64 s[4:5], s[4:5], exec
                                        ; implicit-def: $vgpr3
	s_or_saveexec_b64 s[6:7], s[6:7]
	v_mov_b32_e32 v6, s10
	s_xor_b64 exec, exec, s[6:7]
	s_cbranch_execz .LBB1_598
.LBB1_2648:
	v_cmp_ne_u16_e32 vcc, 0, v3
	s_andn2_b64 s[4:5], s[4:5], exec
	s_and_b64 s[8:9], vcc, exec
	v_mov_b32_e32 v6, 0
	s_or_b64 s[4:5], s[4:5], s[8:9]
	s_or_b64 exec, exec, s[6:7]
	s_and_saveexec_b64 s[6:7], s[4:5]
	s_cbranch_execnz .LBB1_599
	s_branch .LBB1_600
.LBB1_2649:
	s_movk_i32 s4, 0x80
	v_cmp_eq_u16_sdwa s[12:13], v8, s4 src0_sel:BYTE_3 src1_sel:DWORD
	s_mov_b64 s[4:5], -1
                                        ; implicit-def: $sgpr10
	s_and_saveexec_b64 s[8:9], s[12:13]
; %bb.2650:
	s_mov_b32 s10, 0x7f800001
	s_xor_b64 s[4:5], exec, -1
; %bb.2651:
	s_or_b64 exec, exec, s[8:9]
	s_and_b64 s[4:5], s[4:5], exec
	s_or_saveexec_b64 s[6:7], s[6:7]
	v_mov_b32_e32 v2, s10
	s_xor_b64 exec, exec, s[6:7]
	s_cbranch_execz .LBB1_602
.LBB1_2652:
	v_mov_b32_e32 v2, 0
	v_cmp_ne_u16_sdwa s[8:9], v8, v2 src0_sel:BYTE_3 src1_sel:DWORD
	s_andn2_b64 s[4:5], s[4:5], exec
	s_and_b64 s[8:9], s[8:9], exec
	s_or_b64 s[4:5], s[4:5], s[8:9]
	s_or_b64 exec, exec, s[6:7]
	s_and_saveexec_b64 s[6:7], s[4:5]
	s_cbranch_execnz .LBB1_603
	s_branch .LBB1_604
.LBB1_2653:
	s_movk_i32 s4, 0x80
	v_cmp_eq_u16_sdwa s[12:13], v4, s4 src0_sel:BYTE_3 src1_sel:DWORD
	s_mov_b64 s[4:5], -1
                                        ; implicit-def: $sgpr10
	s_and_saveexec_b64 s[8:9], s[12:13]
; %bb.2654:
	s_mov_b32 s10, 0x7f800001
	s_xor_b64 s[4:5], exec, -1
; %bb.2655:
	s_or_b64 exec, exec, s[8:9]
	s_and_b64 s[4:5], s[4:5], exec
	s_or_saveexec_b64 s[6:7], s[6:7]
	v_mov_b32_e32 v3, s10
	s_xor_b64 exec, exec, s[6:7]
	s_cbranch_execz .LBB1_606
.LBB1_2656:
	v_mov_b32_e32 v3, 0
	v_cmp_ne_u16_sdwa s[8:9], v4, v3 src0_sel:BYTE_3 src1_sel:DWORD
	s_andn2_b64 s[4:5], s[4:5], exec
	s_and_b64 s[8:9], s[8:9], exec
	s_or_b64 s[4:5], s[4:5], s[8:9]
	s_or_b64 exec, exec, s[6:7]
	s_and_saveexec_b64 s[6:7], s[4:5]
	s_cbranch_execnz .LBB1_607
	s_branch .LBB1_608
.LBB1_2657:
	s_movk_i32 s4, 0x80
	v_cmp_eq_u16_sdwa s[12:13], v9, s4 src0_sel:BYTE_0 src1_sel:DWORD
	s_mov_b64 s[4:5], -1
                                        ; implicit-def: $sgpr10
	s_and_saveexec_b64 s[8:9], s[12:13]
; %bb.2658:
	s_mov_b32 s10, 0x7f800001
	s_xor_b64 s[4:5], exec, -1
; %bb.2659:
	s_or_b64 exec, exec, s[8:9]
	s_and_b64 s[4:5], s[4:5], exec
	s_or_saveexec_b64 s[6:7], s[6:7]
	v_mov_b32_e32 v2, s10
	s_xor_b64 exec, exec, s[6:7]
	s_cbranch_execz .LBB1_610
.LBB1_2660:
	v_mov_b32_e32 v2, 0
	v_cmp_ne_u16_sdwa s[8:9], v9, v2 src0_sel:BYTE_0 src1_sel:DWORD
	s_andn2_b64 s[4:5], s[4:5], exec
	s_and_b64 s[8:9], s[8:9], exec
	s_or_b64 s[4:5], s[4:5], s[8:9]
	s_or_b64 exec, exec, s[6:7]
	s_and_saveexec_b64 s[6:7], s[4:5]
	s_cbranch_execnz .LBB1_611
	s_branch .LBB1_612
.LBB1_2661:
	s_movk_i32 s4, 0x80
	v_cmp_eq_u16_sdwa s[12:13], v5, s4 src0_sel:BYTE_0 src1_sel:DWORD
	s_mov_b64 s[4:5], -1
                                        ; implicit-def: $sgpr10
	s_and_saveexec_b64 s[8:9], s[12:13]
; %bb.2662:
	s_mov_b32 s10, 0x7f800001
	s_xor_b64 s[4:5], exec, -1
; %bb.2663:
	s_or_b64 exec, exec, s[8:9]
	s_and_b64 s[4:5], s[4:5], exec
	s_or_saveexec_b64 s[6:7], s[6:7]
	v_mov_b32_e32 v3, s10
	s_xor_b64 exec, exec, s[6:7]
	s_cbranch_execz .LBB1_614
.LBB1_2664:
	v_mov_b32_e32 v3, 0
	v_cmp_ne_u16_sdwa s[8:9], v5, v3 src0_sel:BYTE_0 src1_sel:DWORD
	s_andn2_b64 s[4:5], s[4:5], exec
	s_and_b64 s[8:9], s[8:9], exec
	s_or_b64 s[4:5], s[4:5], s[8:9]
	s_or_b64 exec, exec, s[6:7]
	s_and_saveexec_b64 s[6:7], s[4:5]
	s_cbranch_execnz .LBB1_615
	s_branch .LBB1_616
.LBB1_2665:
	s_movk_i32 s4, 0x80
	v_cmp_eq_u16_sdwa s[12:13], v3, s4 src0_sel:BYTE_0 src1_sel:DWORD
	s_mov_b64 s[4:5], -1
                                        ; implicit-def: $sgpr10
	s_and_saveexec_b64 s[8:9], s[12:13]
; %bb.2666:
	s_mov_b32 s10, 0x7f800001
	s_xor_b64 s[4:5], exec, -1
; %bb.2667:
	s_or_b64 exec, exec, s[8:9]
	s_and_b64 s[4:5], s[4:5], exec
	s_or_saveexec_b64 s[6:7], s[6:7]
	v_mov_b32_e32 v2, s10
	s_xor_b64 exec, exec, s[6:7]
	s_cbranch_execz .LBB1_618
.LBB1_2668:
	v_mov_b32_e32 v2, 0
	v_cmp_ne_u16_sdwa s[8:9], v3, v2 src0_sel:BYTE_0 src1_sel:DWORD
	s_andn2_b64 s[4:5], s[4:5], exec
	s_and_b64 s[8:9], s[8:9], exec
	s_or_b64 s[4:5], s[4:5], s[8:9]
	s_or_b64 exec, exec, s[6:7]
	s_and_saveexec_b64 s[6:7], s[4:5]
	s_cbranch_execnz .LBB1_619
	s_branch .LBB1_620
.LBB1_2669:
	s_movk_i32 s4, 0x80
	v_cmp_eq_u16_sdwa s[12:13], v3, s4 src0_sel:BYTE_0 src1_sel:DWORD
	s_mov_b64 s[4:5], -1
                                        ; implicit-def: $sgpr10
	s_and_saveexec_b64 s[8:9], s[12:13]
; %bb.2670:
	s_mov_b32 s10, 0x7f800001
	s_xor_b64 s[4:5], exec, -1
; %bb.2671:
	s_or_b64 exec, exec, s[8:9]
	s_and_b64 s[4:5], s[4:5], exec
	s_or_saveexec_b64 s[6:7], s[6:7]
	v_mov_b32_e32 v4, s10
	s_xor_b64 exec, exec, s[6:7]
	s_cbranch_execz .LBB1_622
.LBB1_2672:
	v_mov_b32_e32 v4, 0
	v_cmp_ne_u16_sdwa s[8:9], v3, v4 src0_sel:BYTE_0 src1_sel:DWORD
	s_andn2_b64 s[4:5], s[4:5], exec
	s_and_b64 s[8:9], s[8:9], exec
	s_or_b64 s[4:5], s[4:5], s[8:9]
	s_or_b64 exec, exec, s[6:7]
	s_and_saveexec_b64 s[6:7], s[4:5]
	s_cbranch_execnz .LBB1_623
	s_branch .LBB1_624
.LBB1_2673:
	s_movk_i32 s4, 0x80
	v_cmp_eq_u16_e32 vcc, s4, v3
	s_mov_b64 s[4:5], -1
                                        ; implicit-def: $sgpr10
	s_and_saveexec_b64 s[8:9], vcc
; %bb.2674:
	s_mov_b32 s10, 0x7f800001
	s_xor_b64 s[4:5], exec, -1
; %bb.2675:
	s_or_b64 exec, exec, s[8:9]
	s_and_b64 s[4:5], s[4:5], exec
                                        ; implicit-def: $vgpr3
	s_or_saveexec_b64 s[6:7], s[6:7]
	v_mov_b32_e32 v2, s10
	s_xor_b64 exec, exec, s[6:7]
	s_cbranch_execz .LBB1_626
.LBB1_2676:
	v_cmp_ne_u16_e32 vcc, 0, v3
	s_andn2_b64 s[4:5], s[4:5], exec
	s_and_b64 s[8:9], vcc, exec
	v_mov_b32_e32 v2, 0
	s_or_b64 s[4:5], s[4:5], s[8:9]
	s_or_b64 exec, exec, s[6:7]
	s_and_saveexec_b64 s[6:7], s[4:5]
	s_cbranch_execnz .LBB1_627
	s_branch .LBB1_628
.LBB1_2677:
	s_movk_i32 s4, 0x80
	v_cmp_eq_u16_e32 vcc, s4, v3
	s_mov_b64 s[4:5], -1
                                        ; implicit-def: $sgpr10
	s_and_saveexec_b64 s[8:9], vcc
; %bb.2678:
	s_mov_b32 s10, 0x7f800001
	s_xor_b64 s[4:5], exec, -1
; %bb.2679:
	s_or_b64 exec, exec, s[8:9]
	s_and_b64 s[4:5], s[4:5], exec
                                        ; implicit-def: $vgpr3
	s_or_saveexec_b64 s[6:7], s[6:7]
	v_mov_b32_e32 v4, s10
	s_xor_b64 exec, exec, s[6:7]
	s_cbranch_execz .LBB1_630
.LBB1_2680:
	v_cmp_ne_u16_e32 vcc, 0, v3
	s_andn2_b64 s[4:5], s[4:5], exec
	s_and_b64 s[8:9], vcc, exec
	v_mov_b32_e32 v4, 0
	s_or_b64 s[4:5], s[4:5], s[8:9]
	s_or_b64 exec, exec, s[6:7]
	s_and_saveexec_b64 s[6:7], s[4:5]
	s_cbranch_execnz .LBB1_631
	s_branch .LBB1_632
.LBB1_2681:
	s_movk_i32 s4, 0x80
	v_cmp_eq_u16_sdwa s[12:13], v9, s4 src0_sel:BYTE_3 src1_sel:DWORD
	s_mov_b64 s[4:5], -1
                                        ; implicit-def: $sgpr10
	s_and_saveexec_b64 s[8:9], s[12:13]
; %bb.2682:
	s_mov_b32 s10, 0x7f800001
	s_xor_b64 s[4:5], exec, -1
; %bb.2683:
	s_or_b64 exec, exec, s[8:9]
	s_and_b64 s[4:5], s[4:5], exec
	s_or_saveexec_b64 s[6:7], s[6:7]
	v_mov_b32_e32 v2, s10
	s_xor_b64 exec, exec, s[6:7]
	s_cbranch_execz .LBB1_634
.LBB1_2684:
	v_mov_b32_e32 v2, 0
	v_cmp_ne_u16_sdwa s[8:9], v9, v2 src0_sel:BYTE_3 src1_sel:DWORD
	s_andn2_b64 s[4:5], s[4:5], exec
	s_and_b64 s[8:9], s[8:9], exec
	s_or_b64 s[4:5], s[4:5], s[8:9]
	s_or_b64 exec, exec, s[6:7]
	s_and_saveexec_b64 s[6:7], s[4:5]
	s_cbranch_execnz .LBB1_635
	s_branch .LBB1_636
.LBB1_2685:
	s_movk_i32 s4, 0x80
	v_cmp_eq_u16_sdwa s[12:13], v5, s4 src0_sel:BYTE_3 src1_sel:DWORD
	s_mov_b64 s[4:5], -1
                                        ; implicit-def: $sgpr10
	s_and_saveexec_b64 s[8:9], s[12:13]
; %bb.2686:
	s_mov_b32 s10, 0x7f800001
	s_xor_b64 s[4:5], exec, -1
; %bb.2687:
	s_or_b64 exec, exec, s[8:9]
	s_and_b64 s[4:5], s[4:5], exec
	s_or_saveexec_b64 s[6:7], s[6:7]
	v_mov_b32_e32 v3, s10
	s_xor_b64 exec, exec, s[6:7]
	s_cbranch_execz .LBB1_638
.LBB1_2688:
	v_mov_b32_e32 v3, 0
	v_cmp_ne_u16_sdwa s[8:9], v5, v3 src0_sel:BYTE_3 src1_sel:DWORD
	s_andn2_b64 s[4:5], s[4:5], exec
	s_and_b64 s[8:9], s[8:9], exec
	s_or_b64 s[4:5], s[4:5], s[8:9]
	s_or_b64 exec, exec, s[6:7]
	s_and_saveexec_b64 s[6:7], s[4:5]
	s_cbranch_execnz .LBB1_639
	s_branch .LBB1_640
.LBB1_2689:
	s_movk_i32 s4, 0x80
	v_cmp_eq_u16_sdwa s[12:13], v6, s4 src0_sel:BYTE_0 src1_sel:DWORD
	s_mov_b64 s[4:5], -1
                                        ; implicit-def: $sgpr10
	s_and_saveexec_b64 s[8:9], s[12:13]
; %bb.2690:
	s_mov_b32 s10, 0x7f800001
	s_xor_b64 s[4:5], exec, -1
; %bb.2691:
	s_or_b64 exec, exec, s[8:9]
	s_and_b64 s[4:5], s[4:5], exec
	s_or_saveexec_b64 s[6:7], s[6:7]
	v_mov_b32_e32 v12, s10
	s_xor_b64 exec, exec, s[6:7]
	s_cbranch_execz .LBB1_642
.LBB1_2692:
	v_mov_b32_e32 v12, 0
	v_cmp_ne_u16_sdwa s[8:9], v6, v12 src0_sel:BYTE_0 src1_sel:DWORD
	s_andn2_b64 s[4:5], s[4:5], exec
	s_and_b64 s[8:9], s[8:9], exec
	s_or_b64 s[4:5], s[4:5], s[8:9]
	s_or_b64 exec, exec, s[6:7]
	s_and_saveexec_b64 s[6:7], s[4:5]
	s_cbranch_execnz .LBB1_643
	s_branch .LBB1_644
.LBB1_2693:
	s_movk_i32 s4, 0x80
	v_cmp_eq_u16_sdwa s[12:13], v2, s4 src0_sel:BYTE_0 src1_sel:DWORD
	s_mov_b64 s[4:5], -1
                                        ; implicit-def: $sgpr10
	s_and_saveexec_b64 s[8:9], s[12:13]
; %bb.2694:
	s_mov_b32 s10, 0x7f800001
	s_xor_b64 s[4:5], exec, -1
; %bb.2695:
	s_or_b64 exec, exec, s[8:9]
	s_and_b64 s[4:5], s[4:5], exec
	s_or_saveexec_b64 s[6:7], s[6:7]
	v_mov_b32_e32 v13, s10
	s_xor_b64 exec, exec, s[6:7]
	s_cbranch_execz .LBB1_646
.LBB1_2696:
	v_mov_b32_e32 v13, 0
	v_cmp_ne_u16_sdwa s[8:9], v2, v13 src0_sel:BYTE_0 src1_sel:DWORD
	s_andn2_b64 s[4:5], s[4:5], exec
	s_and_b64 s[8:9], s[8:9], exec
	s_or_b64 s[4:5], s[4:5], s[8:9]
	s_or_b64 exec, exec, s[6:7]
	s_and_saveexec_b64 s[6:7], s[4:5]
	s_cbranch_execnz .LBB1_647
	s_branch .LBB1_648
.LBB1_2697:
	s_movk_i32 s4, 0x80
	v_cmp_eq_u16_sdwa s[12:13], v13, s4 src0_sel:BYTE_0 src1_sel:DWORD
	s_mov_b64 s[4:5], -1
                                        ; implicit-def: $sgpr10
	s_and_saveexec_b64 s[8:9], s[12:13]
; %bb.2698:
	s_mov_b32 s10, 0x7f800001
	s_xor_b64 s[4:5], exec, -1
; %bb.2699:
	s_or_b64 exec, exec, s[8:9]
	s_and_b64 s[4:5], s[4:5], exec
	s_or_saveexec_b64 s[6:7], s[6:7]
	v_mov_b32_e32 v12, s10
	s_xor_b64 exec, exec, s[6:7]
	s_cbranch_execz .LBB1_650
.LBB1_2700:
	v_mov_b32_e32 v12, 0
	v_cmp_ne_u16_sdwa s[8:9], v13, v12 src0_sel:BYTE_0 src1_sel:DWORD
	s_andn2_b64 s[4:5], s[4:5], exec
	s_and_b64 s[8:9], s[8:9], exec
	s_or_b64 s[4:5], s[4:5], s[8:9]
	s_or_b64 exec, exec, s[6:7]
	s_and_saveexec_b64 s[6:7], s[4:5]
	s_cbranch_execnz .LBB1_651
	s_branch .LBB1_652
.LBB1_2701:
	s_movk_i32 s4, 0x80
	v_cmp_eq_u16_sdwa s[12:13], v13, s4 src0_sel:BYTE_0 src1_sel:DWORD
	s_mov_b64 s[4:5], -1
                                        ; implicit-def: $sgpr10
	s_and_saveexec_b64 s[8:9], s[12:13]
; %bb.2702:
	s_mov_b32 s10, 0x7f800001
	s_xor_b64 s[4:5], exec, -1
; %bb.2703:
	s_or_b64 exec, exec, s[8:9]
	s_and_b64 s[4:5], s[4:5], exec
	s_or_saveexec_b64 s[6:7], s[6:7]
	v_mov_b32_e32 v14, s10
	s_xor_b64 exec, exec, s[6:7]
	s_cbranch_execz .LBB1_654
.LBB1_2704:
	v_mov_b32_e32 v14, 0
	v_cmp_ne_u16_sdwa s[8:9], v13, v14 src0_sel:BYTE_0 src1_sel:DWORD
	s_andn2_b64 s[4:5], s[4:5], exec
	s_and_b64 s[8:9], s[8:9], exec
	s_or_b64 s[4:5], s[4:5], s[8:9]
	s_or_b64 exec, exec, s[6:7]
	s_and_saveexec_b64 s[6:7], s[4:5]
	s_cbranch_execnz .LBB1_655
	s_branch .LBB1_656
.LBB1_2705:
	s_movk_i32 s4, 0x80
	v_cmp_eq_u16_e32 vcc, s4, v13
	s_mov_b64 s[4:5], -1
                                        ; implicit-def: $sgpr10
	s_and_saveexec_b64 s[8:9], vcc
; %bb.2706:
	s_mov_b32 s10, 0x7f800001
	s_xor_b64 s[4:5], exec, -1
; %bb.2707:
	s_or_b64 exec, exec, s[8:9]
	s_and_b64 s[4:5], s[4:5], exec
                                        ; implicit-def: $vgpr13
	s_or_saveexec_b64 s[6:7], s[6:7]
	v_mov_b32_e32 v12, s10
	s_xor_b64 exec, exec, s[6:7]
	s_cbranch_execz .LBB1_658
.LBB1_2708:
	v_cmp_ne_u16_e32 vcc, 0, v13
	s_andn2_b64 s[4:5], s[4:5], exec
	s_and_b64 s[8:9], vcc, exec
	v_mov_b32_e32 v12, 0
	s_or_b64 s[4:5], s[4:5], s[8:9]
	s_or_b64 exec, exec, s[6:7]
	s_and_saveexec_b64 s[6:7], s[4:5]
	s_cbranch_execnz .LBB1_659
	s_branch .LBB1_660
.LBB1_2709:
	s_movk_i32 s4, 0x80
	v_cmp_eq_u16_e32 vcc, s4, v13
	s_mov_b64 s[4:5], -1
                                        ; implicit-def: $sgpr10
	s_and_saveexec_b64 s[8:9], vcc
; %bb.2710:
	s_mov_b32 s10, 0x7f800001
	s_xor_b64 s[4:5], exec, -1
; %bb.2711:
	s_or_b64 exec, exec, s[8:9]
	s_and_b64 s[4:5], s[4:5], exec
                                        ; implicit-def: $vgpr13
	s_or_saveexec_b64 s[6:7], s[6:7]
	v_mov_b32_e32 v14, s10
	s_xor_b64 exec, exec, s[6:7]
	s_cbranch_execz .LBB1_662
.LBB1_2712:
	v_cmp_ne_u16_e32 vcc, 0, v13
	s_andn2_b64 s[4:5], s[4:5], exec
	s_and_b64 s[8:9], vcc, exec
	v_mov_b32_e32 v14, 0
	s_or_b64 s[4:5], s[4:5], s[8:9]
	s_or_b64 exec, exec, s[6:7]
	s_and_saveexec_b64 s[6:7], s[4:5]
	s_cbranch_execnz .LBB1_663
	s_branch .LBB1_664
.LBB1_2713:
	s_movk_i32 s4, 0x80
	v_cmp_eq_u16_sdwa s[12:13], v6, s4 src0_sel:BYTE_3 src1_sel:DWORD
	s_mov_b64 s[4:5], -1
                                        ; implicit-def: $sgpr10
	s_and_saveexec_b64 s[8:9], s[12:13]
; %bb.2714:
	s_mov_b32 s10, 0x7f800001
	s_xor_b64 s[4:5], exec, -1
; %bb.2715:
	s_or_b64 exec, exec, s[8:9]
	s_and_b64 s[4:5], s[4:5], exec
	s_or_saveexec_b64 s[6:7], s[6:7]
	v_mov_b32_e32 v12, s10
	s_xor_b64 exec, exec, s[6:7]
	s_cbranch_execz .LBB1_666
.LBB1_2716:
	v_mov_b32_e32 v12, 0
	v_cmp_ne_u16_sdwa s[8:9], v6, v12 src0_sel:BYTE_3 src1_sel:DWORD
	s_andn2_b64 s[4:5], s[4:5], exec
	s_and_b64 s[8:9], s[8:9], exec
	s_or_b64 s[4:5], s[4:5], s[8:9]
	s_or_b64 exec, exec, s[6:7]
	s_and_saveexec_b64 s[6:7], s[4:5]
	s_cbranch_execnz .LBB1_667
	s_branch .LBB1_668
.LBB1_2717:
	s_movk_i32 s4, 0x80
	v_cmp_eq_u16_sdwa s[12:13], v2, s4 src0_sel:BYTE_3 src1_sel:DWORD
	s_mov_b64 s[4:5], -1
                                        ; implicit-def: $sgpr10
	s_and_saveexec_b64 s[8:9], s[12:13]
; %bb.2718:
	s_mov_b32 s10, 0x7f800001
	s_xor_b64 s[4:5], exec, -1
; %bb.2719:
	s_or_b64 exec, exec, s[8:9]
	s_and_b64 s[4:5], s[4:5], exec
	s_or_saveexec_b64 s[6:7], s[6:7]
	v_mov_b32_e32 v6, s10
	s_xor_b64 exec, exec, s[6:7]
	s_cbranch_execz .LBB1_670
.LBB1_2720:
	v_mov_b32_e32 v6, 0
	v_cmp_ne_u16_sdwa s[8:9], v2, v6 src0_sel:BYTE_3 src1_sel:DWORD
	s_andn2_b64 s[4:5], s[4:5], exec
	s_and_b64 s[8:9], s[8:9], exec
	s_or_b64 s[4:5], s[4:5], s[8:9]
	s_or_b64 exec, exec, s[6:7]
	s_and_saveexec_b64 s[6:7], s[4:5]
	s_cbranch_execnz .LBB1_671
	s_branch .LBB1_672
.LBB1_2721:
	s_movk_i32 s4, 0x80
	v_cmp_eq_u16_sdwa s[12:13], v7, s4 src0_sel:BYTE_0 src1_sel:DWORD
	s_mov_b64 s[4:5], -1
                                        ; implicit-def: $sgpr10
	s_and_saveexec_b64 s[8:9], s[12:13]
; %bb.2722:
	s_mov_b32 s10, 0x7f800001
	s_xor_b64 s[4:5], exec, -1
; %bb.2723:
	s_or_b64 exec, exec, s[8:9]
	s_and_b64 s[4:5], s[4:5], exec
	s_or_saveexec_b64 s[6:7], s[6:7]
	v_mov_b32_e32 v2, s10
	s_xor_b64 exec, exec, s[6:7]
	s_cbranch_execz .LBB1_674
.LBB1_2724:
	v_mov_b32_e32 v2, 0
	v_cmp_ne_u16_sdwa s[8:9], v7, v2 src0_sel:BYTE_0 src1_sel:DWORD
	s_andn2_b64 s[4:5], s[4:5], exec
	s_and_b64 s[8:9], s[8:9], exec
	s_or_b64 s[4:5], s[4:5], s[8:9]
	s_or_b64 exec, exec, s[6:7]
	s_and_saveexec_b64 s[6:7], s[4:5]
	s_cbranch_execnz .LBB1_675
	s_branch .LBB1_676
.LBB1_2725:
	s_movk_i32 s4, 0x80
	v_cmp_eq_u16_sdwa s[12:13], v3, s4 src0_sel:BYTE_0 src1_sel:DWORD
	s_mov_b64 s[4:5], -1
                                        ; implicit-def: $sgpr10
	s_and_saveexec_b64 s[8:9], s[12:13]
; %bb.2726:
	s_mov_b32 s10, 0x7f800001
	s_xor_b64 s[4:5], exec, -1
; %bb.2727:
	s_or_b64 exec, exec, s[8:9]
	s_and_b64 s[4:5], s[4:5], exec
	s_or_saveexec_b64 s[6:7], s[6:7]
	v_mov_b32_e32 v6, s10
	s_xor_b64 exec, exec, s[6:7]
	s_cbranch_execz .LBB1_678
.LBB1_2728:
	v_mov_b32_e32 v6, 0
	v_cmp_ne_u16_sdwa s[8:9], v3, v6 src0_sel:BYTE_0 src1_sel:DWORD
	s_andn2_b64 s[4:5], s[4:5], exec
	s_and_b64 s[8:9], s[8:9], exec
	s_or_b64 s[4:5], s[4:5], s[8:9]
	s_or_b64 exec, exec, s[6:7]
	s_and_saveexec_b64 s[6:7], s[4:5]
	s_cbranch_execnz .LBB1_679
	s_branch .LBB1_680
.LBB1_2729:
	s_movk_i32 s4, 0x80
	v_cmp_eq_u16_sdwa s[12:13], v6, s4 src0_sel:BYTE_0 src1_sel:DWORD
	s_mov_b64 s[4:5], -1
                                        ; implicit-def: $sgpr10
	s_and_saveexec_b64 s[8:9], s[12:13]
; %bb.2730:
	s_mov_b32 s10, 0x7f800001
	s_xor_b64 s[4:5], exec, -1
; %bb.2731:
	s_or_b64 exec, exec, s[8:9]
	s_and_b64 s[4:5], s[4:5], exec
	s_or_saveexec_b64 s[6:7], s[6:7]
	v_mov_b32_e32 v2, s10
	s_xor_b64 exec, exec, s[6:7]
	s_cbranch_execz .LBB1_682
.LBB1_2732:
	v_mov_b32_e32 v2, 0
	v_cmp_ne_u16_sdwa s[8:9], v6, v2 src0_sel:BYTE_0 src1_sel:DWORD
	s_andn2_b64 s[4:5], s[4:5], exec
	s_and_b64 s[8:9], s[8:9], exec
	s_or_b64 s[4:5], s[4:5], s[8:9]
	s_or_b64 exec, exec, s[6:7]
	s_and_saveexec_b64 s[6:7], s[4:5]
	s_cbranch_execnz .LBB1_683
	s_branch .LBB1_684
.LBB1_2733:
	s_movk_i32 s4, 0x80
	v_cmp_eq_u16_sdwa s[12:13], v6, s4 src0_sel:BYTE_0 src1_sel:DWORD
	s_mov_b64 s[4:5], -1
                                        ; implicit-def: $sgpr10
	s_and_saveexec_b64 s[8:9], s[12:13]
; %bb.2734:
	s_mov_b32 s10, 0x7f800001
	s_xor_b64 s[4:5], exec, -1
; %bb.2735:
	s_or_b64 exec, exec, s[8:9]
	s_and_b64 s[4:5], s[4:5], exec
	s_or_saveexec_b64 s[6:7], s[6:7]
	v_mov_b32_e32 v12, s10
	s_xor_b64 exec, exec, s[6:7]
	s_cbranch_execz .LBB1_686
.LBB1_2736:
	v_mov_b32_e32 v12, 0
	v_cmp_ne_u16_sdwa s[8:9], v6, v12 src0_sel:BYTE_0 src1_sel:DWORD
	s_andn2_b64 s[4:5], s[4:5], exec
	s_and_b64 s[8:9], s[8:9], exec
	s_or_b64 s[4:5], s[4:5], s[8:9]
	s_or_b64 exec, exec, s[6:7]
	s_and_saveexec_b64 s[6:7], s[4:5]
	s_cbranch_execnz .LBB1_687
	s_branch .LBB1_688
.LBB1_2737:
	s_movk_i32 s4, 0x80
	v_cmp_eq_u16_e32 vcc, s4, v6
	s_mov_b64 s[4:5], -1
                                        ; implicit-def: $sgpr10
	s_and_saveexec_b64 s[8:9], vcc
; %bb.2738:
	s_mov_b32 s10, 0x7f800001
	s_xor_b64 s[4:5], exec, -1
; %bb.2739:
	s_or_b64 exec, exec, s[8:9]
	s_and_b64 s[4:5], s[4:5], exec
                                        ; implicit-def: $vgpr6
	s_or_saveexec_b64 s[6:7], s[6:7]
	v_mov_b32_e32 v2, s10
	s_xor_b64 exec, exec, s[6:7]
	s_cbranch_execz .LBB1_690
.LBB1_2740:
	v_cmp_ne_u16_e32 vcc, 0, v6
	s_andn2_b64 s[4:5], s[4:5], exec
	s_and_b64 s[8:9], vcc, exec
	v_mov_b32_e32 v2, 0
	s_or_b64 s[4:5], s[4:5], s[8:9]
	s_or_b64 exec, exec, s[6:7]
	s_and_saveexec_b64 s[6:7], s[4:5]
	s_cbranch_execnz .LBB1_691
	s_branch .LBB1_692
.LBB1_2741:
	s_movk_i32 s4, 0x80
	v_cmp_eq_u16_e32 vcc, s4, v6
	s_mov_b64 s[4:5], -1
                                        ; implicit-def: $sgpr10
	s_and_saveexec_b64 s[8:9], vcc
; %bb.2742:
	s_mov_b32 s10, 0x7f800001
	s_xor_b64 s[4:5], exec, -1
; %bb.2743:
	s_or_b64 exec, exec, s[8:9]
	s_and_b64 s[4:5], s[4:5], exec
                                        ; implicit-def: $vgpr6
	s_or_saveexec_b64 s[6:7], s[6:7]
	v_mov_b32_e32 v12, s10
	s_xor_b64 exec, exec, s[6:7]
	s_cbranch_execz .LBB1_694
.LBB1_2744:
	v_cmp_ne_u16_e32 vcc, 0, v6
	s_andn2_b64 s[4:5], s[4:5], exec
	s_and_b64 s[8:9], vcc, exec
	v_mov_b32_e32 v12, 0
	s_or_b64 s[4:5], s[4:5], s[8:9]
	s_or_b64 exec, exec, s[6:7]
	s_and_saveexec_b64 s[6:7], s[4:5]
	s_cbranch_execnz .LBB1_695
	s_branch .LBB1_696
.LBB1_2745:
	s_movk_i32 s4, 0x80
	v_cmp_eq_u16_sdwa s[12:13], v7, s4 src0_sel:BYTE_3 src1_sel:DWORD
	s_mov_b64 s[4:5], -1
                                        ; implicit-def: $sgpr10
	s_and_saveexec_b64 s[8:9], s[12:13]
; %bb.2746:
	s_mov_b32 s10, 0x7f800001
	s_xor_b64 s[4:5], exec, -1
; %bb.2747:
	s_or_b64 exec, exec, s[8:9]
	s_and_b64 s[4:5], s[4:5], exec
	s_or_saveexec_b64 s[6:7], s[6:7]
	v_mov_b32_e32 v2, s10
	s_xor_b64 exec, exec, s[6:7]
	s_cbranch_execz .LBB1_698
.LBB1_2748:
	v_mov_b32_e32 v2, 0
	v_cmp_ne_u16_sdwa s[8:9], v7, v2 src0_sel:BYTE_3 src1_sel:DWORD
	s_andn2_b64 s[4:5], s[4:5], exec
	s_and_b64 s[8:9], s[8:9], exec
	s_or_b64 s[4:5], s[4:5], s[8:9]
	s_or_b64 exec, exec, s[6:7]
	s_and_saveexec_b64 s[6:7], s[4:5]
	s_cbranch_execnz .LBB1_699
	s_branch .LBB1_700
.LBB1_2749:
	s_movk_i32 s4, 0x80
	v_cmp_eq_u16_sdwa s[12:13], v3, s4 src0_sel:BYTE_3 src1_sel:DWORD
	s_mov_b64 s[4:5], -1
                                        ; implicit-def: $sgpr10
	s_and_saveexec_b64 s[8:9], s[12:13]
; %bb.2750:
	s_mov_b32 s10, 0x7f800001
	s_xor_b64 s[4:5], exec, -1
; %bb.2751:
	s_or_b64 exec, exec, s[8:9]
	s_and_b64 s[4:5], s[4:5], exec
	s_or_saveexec_b64 s[6:7], s[6:7]
	v_mov_b32_e32 v6, s10
	s_xor_b64 exec, exec, s[6:7]
	s_cbranch_execz .LBB1_702
.LBB1_2752:
	v_mov_b32_e32 v6, 0
	v_cmp_ne_u16_sdwa s[8:9], v3, v6 src0_sel:BYTE_3 src1_sel:DWORD
	s_andn2_b64 s[4:5], s[4:5], exec
	s_and_b64 s[8:9], s[8:9], exec
	s_or_b64 s[4:5], s[4:5], s[8:9]
	s_or_b64 exec, exec, s[6:7]
	s_and_saveexec_b64 s[6:7], s[4:5]
	s_cbranch_execnz .LBB1_703
	s_branch .LBB1_704
.LBB1_2753:
	s_movk_i32 s4, 0x80
	v_cmp_eq_u16_sdwa s[12:13], v8, s4 src0_sel:BYTE_0 src1_sel:DWORD
	s_mov_b64 s[4:5], -1
                                        ; implicit-def: $sgpr10
	s_and_saveexec_b64 s[8:9], s[12:13]
; %bb.2754:
	s_mov_b32 s10, 0x7f800001
	s_xor_b64 s[4:5], exec, -1
; %bb.2755:
	s_or_b64 exec, exec, s[8:9]
	s_and_b64 s[4:5], s[4:5], exec
	s_or_saveexec_b64 s[6:7], s[6:7]
	v_mov_b32_e32 v2, s10
	s_xor_b64 exec, exec, s[6:7]
	s_cbranch_execz .LBB1_706
.LBB1_2756:
	v_mov_b32_e32 v2, 0
	v_cmp_ne_u16_sdwa s[8:9], v8, v2 src0_sel:BYTE_0 src1_sel:DWORD
	s_andn2_b64 s[4:5], s[4:5], exec
	s_and_b64 s[8:9], s[8:9], exec
	s_or_b64 s[4:5], s[4:5], s[8:9]
	s_or_b64 exec, exec, s[6:7]
	s_and_saveexec_b64 s[6:7], s[4:5]
	s_cbranch_execnz .LBB1_707
	s_branch .LBB1_708
.LBB1_2757:
	s_movk_i32 s4, 0x80
	v_cmp_eq_u16_sdwa s[12:13], v4, s4 src0_sel:BYTE_0 src1_sel:DWORD
	s_mov_b64 s[4:5], -1
                                        ; implicit-def: $sgpr10
	s_and_saveexec_b64 s[8:9], s[12:13]
; %bb.2758:
	s_mov_b32 s10, 0x7f800001
	s_xor_b64 s[4:5], exec, -1
; %bb.2759:
	s_or_b64 exec, exec, s[8:9]
	s_and_b64 s[4:5], s[4:5], exec
	s_or_saveexec_b64 s[6:7], s[6:7]
	v_mov_b32_e32 v3, s10
	s_xor_b64 exec, exec, s[6:7]
	s_cbranch_execz .LBB1_710
.LBB1_2760:
	v_mov_b32_e32 v3, 0
	v_cmp_ne_u16_sdwa s[8:9], v4, v3 src0_sel:BYTE_0 src1_sel:DWORD
	s_andn2_b64 s[4:5], s[4:5], exec
	s_and_b64 s[8:9], s[8:9], exec
	s_or_b64 s[4:5], s[4:5], s[8:9]
	s_or_b64 exec, exec, s[6:7]
	s_and_saveexec_b64 s[6:7], s[4:5]
	s_cbranch_execnz .LBB1_711
	s_branch .LBB1_712
.LBB1_2761:
	s_movk_i32 s4, 0x80
	v_cmp_eq_u16_sdwa s[12:13], v3, s4 src0_sel:BYTE_0 src1_sel:DWORD
	s_mov_b64 s[4:5], -1
                                        ; implicit-def: $sgpr10
	s_and_saveexec_b64 s[8:9], s[12:13]
; %bb.2762:
	s_mov_b32 s10, 0x7f800001
	s_xor_b64 s[4:5], exec, -1
; %bb.2763:
	s_or_b64 exec, exec, s[8:9]
	s_and_b64 s[4:5], s[4:5], exec
	s_or_saveexec_b64 s[6:7], s[6:7]
	v_mov_b32_e32 v2, s10
	s_xor_b64 exec, exec, s[6:7]
	s_cbranch_execz .LBB1_714
.LBB1_2764:
	v_mov_b32_e32 v2, 0
	v_cmp_ne_u16_sdwa s[8:9], v3, v2 src0_sel:BYTE_0 src1_sel:DWORD
	s_andn2_b64 s[4:5], s[4:5], exec
	s_and_b64 s[8:9], s[8:9], exec
	s_or_b64 s[4:5], s[4:5], s[8:9]
	s_or_b64 exec, exec, s[6:7]
	s_and_saveexec_b64 s[6:7], s[4:5]
	s_cbranch_execnz .LBB1_715
	s_branch .LBB1_716
.LBB1_2765:
	s_movk_i32 s4, 0x80
	v_cmp_eq_u16_sdwa s[12:13], v3, s4 src0_sel:BYTE_0 src1_sel:DWORD
	s_mov_b64 s[4:5], -1
                                        ; implicit-def: $sgpr10
	s_and_saveexec_b64 s[8:9], s[12:13]
; %bb.2766:
	s_mov_b32 s10, 0x7f800001
	s_xor_b64 s[4:5], exec, -1
; %bb.2767:
	s_or_b64 exec, exec, s[8:9]
	s_and_b64 s[4:5], s[4:5], exec
	s_or_saveexec_b64 s[6:7], s[6:7]
	v_mov_b32_e32 v6, s10
	s_xor_b64 exec, exec, s[6:7]
	s_cbranch_execz .LBB1_718
.LBB1_2768:
	v_mov_b32_e32 v6, 0
	v_cmp_ne_u16_sdwa s[8:9], v3, v6 src0_sel:BYTE_0 src1_sel:DWORD
	s_andn2_b64 s[4:5], s[4:5], exec
	s_and_b64 s[8:9], s[8:9], exec
	s_or_b64 s[4:5], s[4:5], s[8:9]
	s_or_b64 exec, exec, s[6:7]
	s_and_saveexec_b64 s[6:7], s[4:5]
	s_cbranch_execnz .LBB1_719
	s_branch .LBB1_720
.LBB1_2769:
	s_movk_i32 s4, 0x80
	v_cmp_eq_u16_e32 vcc, s4, v3
	s_mov_b64 s[4:5], -1
                                        ; implicit-def: $sgpr10
	s_and_saveexec_b64 s[8:9], vcc
; %bb.2770:
	s_mov_b32 s10, 0x7f800001
	s_xor_b64 s[4:5], exec, -1
; %bb.2771:
	s_or_b64 exec, exec, s[8:9]
	s_and_b64 s[4:5], s[4:5], exec
                                        ; implicit-def: $vgpr3
	s_or_saveexec_b64 s[6:7], s[6:7]
	v_mov_b32_e32 v2, s10
	s_xor_b64 exec, exec, s[6:7]
	s_cbranch_execz .LBB1_722
.LBB1_2772:
	v_cmp_ne_u16_e32 vcc, 0, v3
	s_andn2_b64 s[4:5], s[4:5], exec
	s_and_b64 s[8:9], vcc, exec
	v_mov_b32_e32 v2, 0
	s_or_b64 s[4:5], s[4:5], s[8:9]
	s_or_b64 exec, exec, s[6:7]
	s_and_saveexec_b64 s[6:7], s[4:5]
	s_cbranch_execnz .LBB1_723
	s_branch .LBB1_724
.LBB1_2773:
	s_movk_i32 s4, 0x80
	v_cmp_eq_u16_e32 vcc, s4, v3
	s_mov_b64 s[4:5], -1
                                        ; implicit-def: $sgpr10
	s_and_saveexec_b64 s[8:9], vcc
; %bb.2774:
	s_mov_b32 s10, 0x7f800001
	s_xor_b64 s[4:5], exec, -1
; %bb.2775:
	s_or_b64 exec, exec, s[8:9]
	s_and_b64 s[4:5], s[4:5], exec
                                        ; implicit-def: $vgpr3
	s_or_saveexec_b64 s[6:7], s[6:7]
	v_mov_b32_e32 v6, s10
	s_xor_b64 exec, exec, s[6:7]
	s_cbranch_execz .LBB1_726
.LBB1_2776:
	v_cmp_ne_u16_e32 vcc, 0, v3
	s_andn2_b64 s[4:5], s[4:5], exec
	s_and_b64 s[8:9], vcc, exec
	v_mov_b32_e32 v6, 0
	s_or_b64 s[4:5], s[4:5], s[8:9]
	s_or_b64 exec, exec, s[6:7]
	s_and_saveexec_b64 s[6:7], s[4:5]
	s_cbranch_execnz .LBB1_727
	s_branch .LBB1_728
.LBB1_2777:
	s_movk_i32 s4, 0x80
	v_cmp_eq_u16_sdwa s[12:13], v8, s4 src0_sel:BYTE_3 src1_sel:DWORD
	s_mov_b64 s[4:5], -1
                                        ; implicit-def: $sgpr10
	s_and_saveexec_b64 s[8:9], s[12:13]
; %bb.2778:
	s_mov_b32 s10, 0x7f800001
	s_xor_b64 s[4:5], exec, -1
; %bb.2779:
	s_or_b64 exec, exec, s[8:9]
	s_and_b64 s[4:5], s[4:5], exec
	s_or_saveexec_b64 s[6:7], s[6:7]
	v_mov_b32_e32 v2, s10
	s_xor_b64 exec, exec, s[6:7]
	s_cbranch_execz .LBB1_730
.LBB1_2780:
	v_mov_b32_e32 v2, 0
	v_cmp_ne_u16_sdwa s[8:9], v8, v2 src0_sel:BYTE_3 src1_sel:DWORD
	s_andn2_b64 s[4:5], s[4:5], exec
	s_and_b64 s[8:9], s[8:9], exec
	s_or_b64 s[4:5], s[4:5], s[8:9]
	s_or_b64 exec, exec, s[6:7]
	s_and_saveexec_b64 s[6:7], s[4:5]
	s_cbranch_execnz .LBB1_731
	s_branch .LBB1_732
.LBB1_2781:
	s_movk_i32 s4, 0x80
	v_cmp_eq_u16_sdwa s[12:13], v4, s4 src0_sel:BYTE_3 src1_sel:DWORD
	s_mov_b64 s[4:5], -1
                                        ; implicit-def: $sgpr10
	s_and_saveexec_b64 s[8:9], s[12:13]
; %bb.2782:
	s_mov_b32 s10, 0x7f800001
	s_xor_b64 s[4:5], exec, -1
; %bb.2783:
	s_or_b64 exec, exec, s[8:9]
	s_and_b64 s[4:5], s[4:5], exec
	s_or_saveexec_b64 s[6:7], s[6:7]
	v_mov_b32_e32 v3, s10
	s_xor_b64 exec, exec, s[6:7]
	s_cbranch_execz .LBB1_734
.LBB1_2784:
	v_mov_b32_e32 v3, 0
	v_cmp_ne_u16_sdwa s[8:9], v4, v3 src0_sel:BYTE_3 src1_sel:DWORD
	s_andn2_b64 s[4:5], s[4:5], exec
	s_and_b64 s[8:9], s[8:9], exec
	s_or_b64 s[4:5], s[4:5], s[8:9]
	s_or_b64 exec, exec, s[6:7]
	s_and_saveexec_b64 s[6:7], s[4:5]
	s_cbranch_execnz .LBB1_735
	s_branch .LBB1_736
.LBB1_2785:
	s_movk_i32 s4, 0x80
	v_cmp_eq_u16_sdwa s[12:13], v9, s4 src0_sel:BYTE_0 src1_sel:DWORD
	s_mov_b64 s[4:5], -1
                                        ; implicit-def: $sgpr10
	s_and_saveexec_b64 s[8:9], s[12:13]
; %bb.2786:
	s_mov_b32 s10, 0x7f800001
	s_xor_b64 s[4:5], exec, -1
; %bb.2787:
	s_or_b64 exec, exec, s[8:9]
	s_and_b64 s[4:5], s[4:5], exec
	s_or_saveexec_b64 s[6:7], s[6:7]
	v_mov_b32_e32 v2, s10
	s_xor_b64 exec, exec, s[6:7]
	s_cbranch_execz .LBB1_738
.LBB1_2788:
	v_mov_b32_e32 v2, 0
	v_cmp_ne_u16_sdwa s[8:9], v9, v2 src0_sel:BYTE_0 src1_sel:DWORD
	s_andn2_b64 s[4:5], s[4:5], exec
	s_and_b64 s[8:9], s[8:9], exec
	s_or_b64 s[4:5], s[4:5], s[8:9]
	s_or_b64 exec, exec, s[6:7]
	s_and_saveexec_b64 s[6:7], s[4:5]
	s_cbranch_execnz .LBB1_739
	s_branch .LBB1_740
.LBB1_2789:
	s_movk_i32 s4, 0x80
	v_cmp_eq_u16_sdwa s[12:13], v5, s4 src0_sel:BYTE_0 src1_sel:DWORD
	s_mov_b64 s[4:5], -1
                                        ; implicit-def: $sgpr10
	s_and_saveexec_b64 s[8:9], s[12:13]
; %bb.2790:
	s_mov_b32 s10, 0x7f800001
	s_xor_b64 s[4:5], exec, -1
; %bb.2791:
	s_or_b64 exec, exec, s[8:9]
	s_and_b64 s[4:5], s[4:5], exec
	s_or_saveexec_b64 s[6:7], s[6:7]
	v_mov_b32_e32 v3, s10
	s_xor_b64 exec, exec, s[6:7]
	s_cbranch_execz .LBB1_742
.LBB1_2792:
	v_mov_b32_e32 v3, 0
	v_cmp_ne_u16_sdwa s[8:9], v5, v3 src0_sel:BYTE_0 src1_sel:DWORD
	s_andn2_b64 s[4:5], s[4:5], exec
	s_and_b64 s[8:9], s[8:9], exec
	s_or_b64 s[4:5], s[4:5], s[8:9]
	s_or_b64 exec, exec, s[6:7]
	s_and_saveexec_b64 s[6:7], s[4:5]
	s_cbranch_execnz .LBB1_743
	s_branch .LBB1_744
.LBB1_2793:
	s_movk_i32 s4, 0x80
	v_cmp_eq_u16_sdwa s[12:13], v3, s4 src0_sel:BYTE_0 src1_sel:DWORD
	s_mov_b64 s[4:5], -1
                                        ; implicit-def: $sgpr10
	s_and_saveexec_b64 s[8:9], s[12:13]
; %bb.2794:
	s_mov_b32 s10, 0x7f800001
	s_xor_b64 s[4:5], exec, -1
; %bb.2795:
	s_or_b64 exec, exec, s[8:9]
	s_and_b64 s[4:5], s[4:5], exec
	s_or_saveexec_b64 s[6:7], s[6:7]
	v_mov_b32_e32 v2, s10
	s_xor_b64 exec, exec, s[6:7]
	s_cbranch_execz .LBB1_746
.LBB1_2796:
	v_mov_b32_e32 v2, 0
	v_cmp_ne_u16_sdwa s[8:9], v3, v2 src0_sel:BYTE_0 src1_sel:DWORD
	s_andn2_b64 s[4:5], s[4:5], exec
	s_and_b64 s[8:9], s[8:9], exec
	s_or_b64 s[4:5], s[4:5], s[8:9]
	s_or_b64 exec, exec, s[6:7]
	s_and_saveexec_b64 s[6:7], s[4:5]
	s_cbranch_execnz .LBB1_747
	s_branch .LBB1_748
.LBB1_2797:
	s_movk_i32 s4, 0x80
	v_cmp_eq_u16_sdwa s[12:13], v3, s4 src0_sel:BYTE_0 src1_sel:DWORD
	s_mov_b64 s[4:5], -1
                                        ; implicit-def: $sgpr10
	s_and_saveexec_b64 s[8:9], s[12:13]
; %bb.2798:
	s_mov_b32 s10, 0x7f800001
	s_xor_b64 s[4:5], exec, -1
; %bb.2799:
	s_or_b64 exec, exec, s[8:9]
	s_and_b64 s[4:5], s[4:5], exec
	s_or_saveexec_b64 s[6:7], s[6:7]
	v_mov_b32_e32 v4, s10
	s_xor_b64 exec, exec, s[6:7]
	s_cbranch_execz .LBB1_750
.LBB1_2800:
	v_mov_b32_e32 v4, 0
	v_cmp_ne_u16_sdwa s[8:9], v3, v4 src0_sel:BYTE_0 src1_sel:DWORD
	s_andn2_b64 s[4:5], s[4:5], exec
	s_and_b64 s[8:9], s[8:9], exec
	s_or_b64 s[4:5], s[4:5], s[8:9]
	s_or_b64 exec, exec, s[6:7]
	s_and_saveexec_b64 s[6:7], s[4:5]
	s_cbranch_execnz .LBB1_751
	s_branch .LBB1_752
.LBB1_2801:
	s_movk_i32 s4, 0x80
	v_cmp_eq_u16_e32 vcc, s4, v3
	s_mov_b64 s[4:5], -1
                                        ; implicit-def: $sgpr10
	s_and_saveexec_b64 s[8:9], vcc
; %bb.2802:
	s_mov_b32 s10, 0x7f800001
	s_xor_b64 s[4:5], exec, -1
; %bb.2803:
	s_or_b64 exec, exec, s[8:9]
	s_and_b64 s[4:5], s[4:5], exec
                                        ; implicit-def: $vgpr3
	s_or_saveexec_b64 s[6:7], s[6:7]
	v_mov_b32_e32 v2, s10
	s_xor_b64 exec, exec, s[6:7]
	s_cbranch_execz .LBB1_754
.LBB1_2804:
	v_cmp_ne_u16_e32 vcc, 0, v3
	s_andn2_b64 s[4:5], s[4:5], exec
	s_and_b64 s[8:9], vcc, exec
	v_mov_b32_e32 v2, 0
	s_or_b64 s[4:5], s[4:5], s[8:9]
	s_or_b64 exec, exec, s[6:7]
	s_and_saveexec_b64 s[6:7], s[4:5]
	s_cbranch_execnz .LBB1_755
	s_branch .LBB1_756
.LBB1_2805:
	s_movk_i32 s4, 0x80
	v_cmp_eq_u16_e32 vcc, s4, v3
	s_mov_b64 s[4:5], -1
                                        ; implicit-def: $sgpr10
	s_and_saveexec_b64 s[8:9], vcc
; %bb.2806:
	s_mov_b32 s10, 0x7f800001
	s_xor_b64 s[4:5], exec, -1
; %bb.2807:
	s_or_b64 exec, exec, s[8:9]
	s_and_b64 s[4:5], s[4:5], exec
                                        ; implicit-def: $vgpr3
	s_or_saveexec_b64 s[6:7], s[6:7]
	v_mov_b32_e32 v4, s10
	s_xor_b64 exec, exec, s[6:7]
	s_cbranch_execz .LBB1_758
.LBB1_2808:
	v_cmp_ne_u16_e32 vcc, 0, v3
	s_andn2_b64 s[4:5], s[4:5], exec
	s_and_b64 s[8:9], vcc, exec
	v_mov_b32_e32 v4, 0
	s_or_b64 s[4:5], s[4:5], s[8:9]
	s_or_b64 exec, exec, s[6:7]
	s_and_saveexec_b64 s[6:7], s[4:5]
	s_cbranch_execnz .LBB1_759
	s_branch .LBB1_760
.LBB1_2809:
	s_movk_i32 s4, 0x80
	v_cmp_eq_u16_sdwa s[12:13], v9, s4 src0_sel:BYTE_3 src1_sel:DWORD
	s_mov_b64 s[4:5], -1
                                        ; implicit-def: $sgpr10
	s_and_saveexec_b64 s[8:9], s[12:13]
; %bb.2810:
	s_mov_b32 s10, 0x7f800001
	s_xor_b64 s[4:5], exec, -1
; %bb.2811:
	s_or_b64 exec, exec, s[8:9]
	s_and_b64 s[4:5], s[4:5], exec
	s_or_saveexec_b64 s[6:7], s[6:7]
	v_mov_b32_e32 v2, s10
	s_xor_b64 exec, exec, s[6:7]
	s_cbranch_execz .LBB1_762
.LBB1_2812:
	v_mov_b32_e32 v2, 0
	v_cmp_ne_u16_sdwa s[8:9], v9, v2 src0_sel:BYTE_3 src1_sel:DWORD
	s_andn2_b64 s[4:5], s[4:5], exec
	s_and_b64 s[8:9], s[8:9], exec
	s_or_b64 s[4:5], s[4:5], s[8:9]
	s_or_b64 exec, exec, s[6:7]
	s_and_saveexec_b64 s[6:7], s[4:5]
	s_cbranch_execnz .LBB1_763
	s_branch .LBB1_764
.LBB1_2813:
	s_movk_i32 s4, 0x80
	v_cmp_eq_u16_sdwa s[12:13], v5, s4 src0_sel:BYTE_3 src1_sel:DWORD
	s_mov_b64 s[4:5], -1
                                        ; implicit-def: $sgpr10
	s_and_saveexec_b64 s[8:9], s[12:13]
; %bb.2814:
	s_mov_b32 s10, 0x7f800001
	s_xor_b64 s[4:5], exec, -1
; %bb.2815:
	s_or_b64 exec, exec, s[8:9]
	s_and_b64 s[4:5], s[4:5], exec
	s_or_saveexec_b64 s[6:7], s[6:7]
	v_mov_b32_e32 v3, s10
	s_xor_b64 exec, exec, s[6:7]
	s_cbranch_execz .LBB1_766
.LBB1_2816:
	v_mov_b32_e32 v3, 0
	v_cmp_ne_u16_sdwa s[8:9], v5, v3 src0_sel:BYTE_3 src1_sel:DWORD
	s_andn2_b64 s[4:5], s[4:5], exec
	s_and_b64 s[8:9], s[8:9], exec
	s_or_b64 s[4:5], s[4:5], s[8:9]
	s_or_b64 exec, exec, s[6:7]
	s_and_saveexec_b64 s[6:7], s[4:5]
	s_cbranch_execnz .LBB1_767
	s_branch .LBB1_768
.LBB1_2817:
	s_movk_i32 s4, 0x80
	v_cmp_eq_u16_sdwa s[12:13], v6, s4 src0_sel:BYTE_0 src1_sel:DWORD
	s_mov_b64 s[4:5], -1
                                        ; implicit-def: $sgpr10
	s_and_saveexec_b64 s[8:9], s[12:13]
; %bb.2818:
	s_mov_b32 s10, 0x7f800001
	s_xor_b64 s[4:5], exec, -1
; %bb.2819:
	s_or_b64 exec, exec, s[8:9]
	s_and_b64 s[4:5], s[4:5], exec
	s_or_saveexec_b64 s[6:7], s[6:7]
	v_mov_b32_e32 v12, s10
	s_xor_b64 exec, exec, s[6:7]
	s_cbranch_execz .LBB1_770
.LBB1_2820:
	v_mov_b32_e32 v12, 0
	v_cmp_ne_u16_sdwa s[8:9], v6, v12 src0_sel:BYTE_0 src1_sel:DWORD
	s_andn2_b64 s[4:5], s[4:5], exec
	s_and_b64 s[8:9], s[8:9], exec
	s_or_b64 s[4:5], s[4:5], s[8:9]
	s_or_b64 exec, exec, s[6:7]
	s_and_saveexec_b64 s[6:7], s[4:5]
	s_cbranch_execnz .LBB1_771
	s_branch .LBB1_772
.LBB1_2821:
	s_movk_i32 s4, 0x80
	v_cmp_eq_u16_sdwa s[12:13], v2, s4 src0_sel:BYTE_0 src1_sel:DWORD
	s_mov_b64 s[4:5], -1
                                        ; implicit-def: $sgpr10
	s_and_saveexec_b64 s[8:9], s[12:13]
; %bb.2822:
	s_mov_b32 s10, 0x7f800001
	s_xor_b64 s[4:5], exec, -1
; %bb.2823:
	s_or_b64 exec, exec, s[8:9]
	s_and_b64 s[4:5], s[4:5], exec
	s_or_saveexec_b64 s[6:7], s[6:7]
	v_mov_b32_e32 v13, s10
	s_xor_b64 exec, exec, s[6:7]
	s_cbranch_execz .LBB1_774
.LBB1_2824:
	v_mov_b32_e32 v13, 0
	v_cmp_ne_u16_sdwa s[8:9], v2, v13 src0_sel:BYTE_0 src1_sel:DWORD
	s_andn2_b64 s[4:5], s[4:5], exec
	s_and_b64 s[8:9], s[8:9], exec
	s_or_b64 s[4:5], s[4:5], s[8:9]
	s_or_b64 exec, exec, s[6:7]
	s_and_saveexec_b64 s[6:7], s[4:5]
	s_cbranch_execnz .LBB1_775
	s_branch .LBB1_776
.LBB1_2825:
	s_movk_i32 s4, 0x80
	v_cmp_eq_u16_sdwa s[12:13], v13, s4 src0_sel:BYTE_0 src1_sel:DWORD
	s_mov_b64 s[4:5], -1
                                        ; implicit-def: $sgpr10
	s_and_saveexec_b64 s[8:9], s[12:13]
; %bb.2826:
	s_mov_b32 s10, 0x7f800001
	s_xor_b64 s[4:5], exec, -1
; %bb.2827:
	s_or_b64 exec, exec, s[8:9]
	s_and_b64 s[4:5], s[4:5], exec
	s_or_saveexec_b64 s[6:7], s[6:7]
	v_mov_b32_e32 v12, s10
	s_xor_b64 exec, exec, s[6:7]
	s_cbranch_execz .LBB1_778
.LBB1_2828:
	v_mov_b32_e32 v12, 0
	v_cmp_ne_u16_sdwa s[8:9], v13, v12 src0_sel:BYTE_0 src1_sel:DWORD
	s_andn2_b64 s[4:5], s[4:5], exec
	s_and_b64 s[8:9], s[8:9], exec
	s_or_b64 s[4:5], s[4:5], s[8:9]
	s_or_b64 exec, exec, s[6:7]
	s_and_saveexec_b64 s[6:7], s[4:5]
	s_cbranch_execnz .LBB1_779
	s_branch .LBB1_780
.LBB1_2829:
	s_movk_i32 s4, 0x80
	v_cmp_eq_u16_sdwa s[12:13], v13, s4 src0_sel:BYTE_0 src1_sel:DWORD
	s_mov_b64 s[4:5], -1
                                        ; implicit-def: $sgpr10
	s_and_saveexec_b64 s[8:9], s[12:13]
; %bb.2830:
	s_mov_b32 s10, 0x7f800001
	s_xor_b64 s[4:5], exec, -1
; %bb.2831:
	s_or_b64 exec, exec, s[8:9]
	s_and_b64 s[4:5], s[4:5], exec
	s_or_saveexec_b64 s[6:7], s[6:7]
	v_mov_b32_e32 v14, s10
	s_xor_b64 exec, exec, s[6:7]
	s_cbranch_execz .LBB1_782
.LBB1_2832:
	v_mov_b32_e32 v14, 0
	v_cmp_ne_u16_sdwa s[8:9], v13, v14 src0_sel:BYTE_0 src1_sel:DWORD
	s_andn2_b64 s[4:5], s[4:5], exec
	s_and_b64 s[8:9], s[8:9], exec
	s_or_b64 s[4:5], s[4:5], s[8:9]
	s_or_b64 exec, exec, s[6:7]
	s_and_saveexec_b64 s[6:7], s[4:5]
	s_cbranch_execnz .LBB1_783
	s_branch .LBB1_784
.LBB1_2833:
	s_movk_i32 s4, 0x80
	v_cmp_eq_u16_e32 vcc, s4, v13
	s_mov_b64 s[4:5], -1
                                        ; implicit-def: $sgpr10
	s_and_saveexec_b64 s[8:9], vcc
; %bb.2834:
	s_mov_b32 s10, 0x7f800001
	s_xor_b64 s[4:5], exec, -1
; %bb.2835:
	s_or_b64 exec, exec, s[8:9]
	s_and_b64 s[4:5], s[4:5], exec
                                        ; implicit-def: $vgpr13
	s_or_saveexec_b64 s[6:7], s[6:7]
	v_mov_b32_e32 v12, s10
	s_xor_b64 exec, exec, s[6:7]
	s_cbranch_execz .LBB1_786
.LBB1_2836:
	v_cmp_ne_u16_e32 vcc, 0, v13
	s_andn2_b64 s[4:5], s[4:5], exec
	s_and_b64 s[8:9], vcc, exec
	v_mov_b32_e32 v12, 0
	s_or_b64 s[4:5], s[4:5], s[8:9]
	s_or_b64 exec, exec, s[6:7]
	s_and_saveexec_b64 s[6:7], s[4:5]
	s_cbranch_execnz .LBB1_787
	s_branch .LBB1_788
.LBB1_2837:
	s_movk_i32 s4, 0x80
	v_cmp_eq_u16_e32 vcc, s4, v13
	s_mov_b64 s[4:5], -1
                                        ; implicit-def: $sgpr10
	s_and_saveexec_b64 s[8:9], vcc
; %bb.2838:
	s_mov_b32 s10, 0x7f800001
	s_xor_b64 s[4:5], exec, -1
; %bb.2839:
	s_or_b64 exec, exec, s[8:9]
	s_and_b64 s[4:5], s[4:5], exec
                                        ; implicit-def: $vgpr13
	s_or_saveexec_b64 s[6:7], s[6:7]
	v_mov_b32_e32 v14, s10
	s_xor_b64 exec, exec, s[6:7]
	s_cbranch_execz .LBB1_790
.LBB1_2840:
	v_cmp_ne_u16_e32 vcc, 0, v13
	s_andn2_b64 s[4:5], s[4:5], exec
	s_and_b64 s[8:9], vcc, exec
	v_mov_b32_e32 v14, 0
	s_or_b64 s[4:5], s[4:5], s[8:9]
	s_or_b64 exec, exec, s[6:7]
	s_and_saveexec_b64 s[6:7], s[4:5]
	s_cbranch_execnz .LBB1_791
	s_branch .LBB1_792
.LBB1_2841:
	s_movk_i32 s4, 0x80
	v_cmp_eq_u16_sdwa s[12:13], v6, s4 src0_sel:BYTE_3 src1_sel:DWORD
	s_mov_b64 s[4:5], -1
                                        ; implicit-def: $sgpr10
	s_and_saveexec_b64 s[8:9], s[12:13]
; %bb.2842:
	s_mov_b32 s10, 0x7f800001
	s_xor_b64 s[4:5], exec, -1
; %bb.2843:
	s_or_b64 exec, exec, s[8:9]
	s_and_b64 s[4:5], s[4:5], exec
	s_or_saveexec_b64 s[6:7], s[6:7]
	v_mov_b32_e32 v12, s10
	s_xor_b64 exec, exec, s[6:7]
	s_cbranch_execz .LBB1_794
.LBB1_2844:
	v_mov_b32_e32 v12, 0
	v_cmp_ne_u16_sdwa s[8:9], v6, v12 src0_sel:BYTE_3 src1_sel:DWORD
	s_andn2_b64 s[4:5], s[4:5], exec
	s_and_b64 s[8:9], s[8:9], exec
	s_or_b64 s[4:5], s[4:5], s[8:9]
	s_or_b64 exec, exec, s[6:7]
	s_and_saveexec_b64 s[6:7], s[4:5]
	s_cbranch_execnz .LBB1_795
	s_branch .LBB1_796
.LBB1_2845:
	s_movk_i32 s4, 0x80
	v_cmp_eq_u16_sdwa s[12:13], v2, s4 src0_sel:BYTE_3 src1_sel:DWORD
	s_mov_b64 s[4:5], -1
                                        ; implicit-def: $sgpr10
	s_and_saveexec_b64 s[8:9], s[12:13]
; %bb.2846:
	s_mov_b32 s10, 0x7f800001
	s_xor_b64 s[4:5], exec, -1
; %bb.2847:
	s_or_b64 exec, exec, s[8:9]
	s_and_b64 s[4:5], s[4:5], exec
	s_or_saveexec_b64 s[6:7], s[6:7]
	v_mov_b32_e32 v6, s10
	s_xor_b64 exec, exec, s[6:7]
	s_cbranch_execz .LBB1_798
.LBB1_2848:
	v_mov_b32_e32 v6, 0
	v_cmp_ne_u16_sdwa s[8:9], v2, v6 src0_sel:BYTE_3 src1_sel:DWORD
	s_andn2_b64 s[4:5], s[4:5], exec
	s_and_b64 s[8:9], s[8:9], exec
	s_or_b64 s[4:5], s[4:5], s[8:9]
	s_or_b64 exec, exec, s[6:7]
	s_and_saveexec_b64 s[6:7], s[4:5]
	s_cbranch_execnz .LBB1_799
	s_branch .LBB1_800
.LBB1_2849:
	s_movk_i32 s4, 0x80
	v_cmp_eq_u16_sdwa s[12:13], v7, s4 src0_sel:BYTE_0 src1_sel:DWORD
	s_mov_b64 s[4:5], -1
                                        ; implicit-def: $sgpr10
	s_and_saveexec_b64 s[8:9], s[12:13]
; %bb.2850:
	s_mov_b32 s10, 0x7f800001
	s_xor_b64 s[4:5], exec, -1
; %bb.2851:
	s_or_b64 exec, exec, s[8:9]
	s_and_b64 s[4:5], s[4:5], exec
	s_or_saveexec_b64 s[6:7], s[6:7]
	v_mov_b32_e32 v2, s10
	s_xor_b64 exec, exec, s[6:7]
	s_cbranch_execz .LBB1_802
.LBB1_2852:
	v_mov_b32_e32 v2, 0
	v_cmp_ne_u16_sdwa s[8:9], v7, v2 src0_sel:BYTE_0 src1_sel:DWORD
	s_andn2_b64 s[4:5], s[4:5], exec
	s_and_b64 s[8:9], s[8:9], exec
	s_or_b64 s[4:5], s[4:5], s[8:9]
	s_or_b64 exec, exec, s[6:7]
	s_and_saveexec_b64 s[6:7], s[4:5]
	s_cbranch_execnz .LBB1_803
	s_branch .LBB1_804
.LBB1_2853:
	s_movk_i32 s4, 0x80
	v_cmp_eq_u16_sdwa s[12:13], v3, s4 src0_sel:BYTE_0 src1_sel:DWORD
	s_mov_b64 s[4:5], -1
                                        ; implicit-def: $sgpr10
	s_and_saveexec_b64 s[8:9], s[12:13]
; %bb.2854:
	s_mov_b32 s10, 0x7f800001
	s_xor_b64 s[4:5], exec, -1
; %bb.2855:
	s_or_b64 exec, exec, s[8:9]
	s_and_b64 s[4:5], s[4:5], exec
	s_or_saveexec_b64 s[6:7], s[6:7]
	v_mov_b32_e32 v6, s10
	s_xor_b64 exec, exec, s[6:7]
	s_cbranch_execz .LBB1_806
.LBB1_2856:
	v_mov_b32_e32 v6, 0
	v_cmp_ne_u16_sdwa s[8:9], v3, v6 src0_sel:BYTE_0 src1_sel:DWORD
	s_andn2_b64 s[4:5], s[4:5], exec
	s_and_b64 s[8:9], s[8:9], exec
	s_or_b64 s[4:5], s[4:5], s[8:9]
	s_or_b64 exec, exec, s[6:7]
	s_and_saveexec_b64 s[6:7], s[4:5]
	s_cbranch_execnz .LBB1_807
	s_branch .LBB1_808
.LBB1_2857:
	s_movk_i32 s4, 0x80
	v_cmp_eq_u16_sdwa s[12:13], v6, s4 src0_sel:BYTE_0 src1_sel:DWORD
	s_mov_b64 s[4:5], -1
                                        ; implicit-def: $sgpr10
	s_and_saveexec_b64 s[8:9], s[12:13]
; %bb.2858:
	s_mov_b32 s10, 0x7f800001
	s_xor_b64 s[4:5], exec, -1
; %bb.2859:
	s_or_b64 exec, exec, s[8:9]
	s_and_b64 s[4:5], s[4:5], exec
	s_or_saveexec_b64 s[6:7], s[6:7]
	v_mov_b32_e32 v2, s10
	s_xor_b64 exec, exec, s[6:7]
	s_cbranch_execz .LBB1_810
.LBB1_2860:
	v_mov_b32_e32 v2, 0
	v_cmp_ne_u16_sdwa s[8:9], v6, v2 src0_sel:BYTE_0 src1_sel:DWORD
	s_andn2_b64 s[4:5], s[4:5], exec
	s_and_b64 s[8:9], s[8:9], exec
	s_or_b64 s[4:5], s[4:5], s[8:9]
	s_or_b64 exec, exec, s[6:7]
	s_and_saveexec_b64 s[6:7], s[4:5]
	s_cbranch_execnz .LBB1_811
	s_branch .LBB1_812
.LBB1_2861:
	s_movk_i32 s4, 0x80
	v_cmp_eq_u16_sdwa s[12:13], v6, s4 src0_sel:BYTE_0 src1_sel:DWORD
	s_mov_b64 s[4:5], -1
                                        ; implicit-def: $sgpr10
	s_and_saveexec_b64 s[8:9], s[12:13]
; %bb.2862:
	s_mov_b32 s10, 0x7f800001
	s_xor_b64 s[4:5], exec, -1
; %bb.2863:
	s_or_b64 exec, exec, s[8:9]
	s_and_b64 s[4:5], s[4:5], exec
	s_or_saveexec_b64 s[6:7], s[6:7]
	v_mov_b32_e32 v12, s10
	s_xor_b64 exec, exec, s[6:7]
	s_cbranch_execz .LBB1_814
.LBB1_2864:
	v_mov_b32_e32 v12, 0
	v_cmp_ne_u16_sdwa s[8:9], v6, v12 src0_sel:BYTE_0 src1_sel:DWORD
	s_andn2_b64 s[4:5], s[4:5], exec
	s_and_b64 s[8:9], s[8:9], exec
	s_or_b64 s[4:5], s[4:5], s[8:9]
	s_or_b64 exec, exec, s[6:7]
	s_and_saveexec_b64 s[6:7], s[4:5]
	s_cbranch_execnz .LBB1_815
	s_branch .LBB1_816
.LBB1_2865:
	s_movk_i32 s4, 0x80
	v_cmp_eq_u16_e32 vcc, s4, v6
	s_mov_b64 s[4:5], -1
                                        ; implicit-def: $sgpr10
	s_and_saveexec_b64 s[8:9], vcc
; %bb.2866:
	s_mov_b32 s10, 0x7f800001
	s_xor_b64 s[4:5], exec, -1
; %bb.2867:
	s_or_b64 exec, exec, s[8:9]
	s_and_b64 s[4:5], s[4:5], exec
                                        ; implicit-def: $vgpr6
	s_or_saveexec_b64 s[6:7], s[6:7]
	v_mov_b32_e32 v2, s10
	s_xor_b64 exec, exec, s[6:7]
	s_cbranch_execz .LBB1_818
.LBB1_2868:
	v_cmp_ne_u16_e32 vcc, 0, v6
	s_andn2_b64 s[4:5], s[4:5], exec
	s_and_b64 s[8:9], vcc, exec
	v_mov_b32_e32 v2, 0
	s_or_b64 s[4:5], s[4:5], s[8:9]
	s_or_b64 exec, exec, s[6:7]
	s_and_saveexec_b64 s[6:7], s[4:5]
	s_cbranch_execnz .LBB1_819
	s_branch .LBB1_820
.LBB1_2869:
	s_movk_i32 s4, 0x80
	v_cmp_eq_u16_e32 vcc, s4, v6
	s_mov_b64 s[4:5], -1
                                        ; implicit-def: $sgpr10
	s_and_saveexec_b64 s[8:9], vcc
; %bb.2870:
	s_mov_b32 s10, 0x7f800001
	s_xor_b64 s[4:5], exec, -1
; %bb.2871:
	s_or_b64 exec, exec, s[8:9]
	s_and_b64 s[4:5], s[4:5], exec
                                        ; implicit-def: $vgpr6
	s_or_saveexec_b64 s[6:7], s[6:7]
	v_mov_b32_e32 v12, s10
	s_xor_b64 exec, exec, s[6:7]
	s_cbranch_execz .LBB1_822
.LBB1_2872:
	v_cmp_ne_u16_e32 vcc, 0, v6
	s_andn2_b64 s[4:5], s[4:5], exec
	s_and_b64 s[8:9], vcc, exec
	v_mov_b32_e32 v12, 0
	s_or_b64 s[4:5], s[4:5], s[8:9]
	s_or_b64 exec, exec, s[6:7]
	s_and_saveexec_b64 s[6:7], s[4:5]
	s_cbranch_execnz .LBB1_823
	s_branch .LBB1_824
.LBB1_2873:
	s_movk_i32 s4, 0x80
	v_cmp_eq_u16_sdwa s[12:13], v7, s4 src0_sel:BYTE_3 src1_sel:DWORD
	s_mov_b64 s[4:5], -1
                                        ; implicit-def: $sgpr10
	s_and_saveexec_b64 s[8:9], s[12:13]
; %bb.2874:
	s_mov_b32 s10, 0x7f800001
	s_xor_b64 s[4:5], exec, -1
; %bb.2875:
	s_or_b64 exec, exec, s[8:9]
	s_and_b64 s[4:5], s[4:5], exec
	s_or_saveexec_b64 s[6:7], s[6:7]
	v_mov_b32_e32 v2, s10
	s_xor_b64 exec, exec, s[6:7]
	s_cbranch_execz .LBB1_826
.LBB1_2876:
	v_mov_b32_e32 v2, 0
	v_cmp_ne_u16_sdwa s[8:9], v7, v2 src0_sel:BYTE_3 src1_sel:DWORD
	s_andn2_b64 s[4:5], s[4:5], exec
	s_and_b64 s[8:9], s[8:9], exec
	s_or_b64 s[4:5], s[4:5], s[8:9]
	s_or_b64 exec, exec, s[6:7]
	s_and_saveexec_b64 s[6:7], s[4:5]
	s_cbranch_execnz .LBB1_827
	s_branch .LBB1_828
.LBB1_2877:
	s_movk_i32 s4, 0x80
	v_cmp_eq_u16_sdwa s[12:13], v3, s4 src0_sel:BYTE_3 src1_sel:DWORD
	s_mov_b64 s[4:5], -1
                                        ; implicit-def: $sgpr10
	s_and_saveexec_b64 s[8:9], s[12:13]
; %bb.2878:
	s_mov_b32 s10, 0x7f800001
	s_xor_b64 s[4:5], exec, -1
; %bb.2879:
	s_or_b64 exec, exec, s[8:9]
	s_and_b64 s[4:5], s[4:5], exec
	s_or_saveexec_b64 s[6:7], s[6:7]
	v_mov_b32_e32 v6, s10
	s_xor_b64 exec, exec, s[6:7]
	s_cbranch_execz .LBB1_830
.LBB1_2880:
	v_mov_b32_e32 v6, 0
	v_cmp_ne_u16_sdwa s[8:9], v3, v6 src0_sel:BYTE_3 src1_sel:DWORD
	s_andn2_b64 s[4:5], s[4:5], exec
	s_and_b64 s[8:9], s[8:9], exec
	s_or_b64 s[4:5], s[4:5], s[8:9]
	s_or_b64 exec, exec, s[6:7]
	s_and_saveexec_b64 s[6:7], s[4:5]
	s_cbranch_execnz .LBB1_831
	s_branch .LBB1_832
.LBB1_2881:
	s_movk_i32 s4, 0x80
	v_cmp_eq_u16_sdwa s[12:13], v8, s4 src0_sel:BYTE_0 src1_sel:DWORD
	s_mov_b64 s[4:5], -1
                                        ; implicit-def: $sgpr10
	s_and_saveexec_b64 s[8:9], s[12:13]
; %bb.2882:
	s_mov_b32 s10, 0x7f800001
	s_xor_b64 s[4:5], exec, -1
; %bb.2883:
	s_or_b64 exec, exec, s[8:9]
	s_and_b64 s[4:5], s[4:5], exec
	s_or_saveexec_b64 s[6:7], s[6:7]
	v_mov_b32_e32 v2, s10
	s_xor_b64 exec, exec, s[6:7]
	s_cbranch_execz .LBB1_834
.LBB1_2884:
	v_mov_b32_e32 v2, 0
	v_cmp_ne_u16_sdwa s[8:9], v8, v2 src0_sel:BYTE_0 src1_sel:DWORD
	s_andn2_b64 s[4:5], s[4:5], exec
	s_and_b64 s[8:9], s[8:9], exec
	s_or_b64 s[4:5], s[4:5], s[8:9]
	s_or_b64 exec, exec, s[6:7]
	s_and_saveexec_b64 s[6:7], s[4:5]
	s_cbranch_execnz .LBB1_835
	s_branch .LBB1_836
.LBB1_2885:
	s_movk_i32 s4, 0x80
	v_cmp_eq_u16_sdwa s[12:13], v4, s4 src0_sel:BYTE_0 src1_sel:DWORD
	s_mov_b64 s[4:5], -1
                                        ; implicit-def: $sgpr10
	s_and_saveexec_b64 s[8:9], s[12:13]
; %bb.2886:
	s_mov_b32 s10, 0x7f800001
	s_xor_b64 s[4:5], exec, -1
; %bb.2887:
	s_or_b64 exec, exec, s[8:9]
	s_and_b64 s[4:5], s[4:5], exec
	s_or_saveexec_b64 s[6:7], s[6:7]
	v_mov_b32_e32 v3, s10
	s_xor_b64 exec, exec, s[6:7]
	s_cbranch_execz .LBB1_838
.LBB1_2888:
	v_mov_b32_e32 v3, 0
	v_cmp_ne_u16_sdwa s[8:9], v4, v3 src0_sel:BYTE_0 src1_sel:DWORD
	s_andn2_b64 s[4:5], s[4:5], exec
	s_and_b64 s[8:9], s[8:9], exec
	s_or_b64 s[4:5], s[4:5], s[8:9]
	s_or_b64 exec, exec, s[6:7]
	s_and_saveexec_b64 s[6:7], s[4:5]
	s_cbranch_execnz .LBB1_839
	s_branch .LBB1_840
.LBB1_2889:
	s_movk_i32 s4, 0x80
	v_cmp_eq_u16_sdwa s[12:13], v3, s4 src0_sel:BYTE_0 src1_sel:DWORD
	s_mov_b64 s[4:5], -1
                                        ; implicit-def: $sgpr10
	s_and_saveexec_b64 s[8:9], s[12:13]
; %bb.2890:
	s_mov_b32 s10, 0x7f800001
	s_xor_b64 s[4:5], exec, -1
; %bb.2891:
	s_or_b64 exec, exec, s[8:9]
	s_and_b64 s[4:5], s[4:5], exec
	s_or_saveexec_b64 s[6:7], s[6:7]
	v_mov_b32_e32 v2, s10
	s_xor_b64 exec, exec, s[6:7]
	s_cbranch_execz .LBB1_842
.LBB1_2892:
	v_mov_b32_e32 v2, 0
	v_cmp_ne_u16_sdwa s[8:9], v3, v2 src0_sel:BYTE_0 src1_sel:DWORD
	s_andn2_b64 s[4:5], s[4:5], exec
	s_and_b64 s[8:9], s[8:9], exec
	s_or_b64 s[4:5], s[4:5], s[8:9]
	s_or_b64 exec, exec, s[6:7]
	s_and_saveexec_b64 s[6:7], s[4:5]
	s_cbranch_execnz .LBB1_843
	s_branch .LBB1_844
.LBB1_2893:
	s_movk_i32 s4, 0x80
	v_cmp_eq_u16_sdwa s[12:13], v3, s4 src0_sel:BYTE_0 src1_sel:DWORD
	s_mov_b64 s[4:5], -1
                                        ; implicit-def: $sgpr10
	s_and_saveexec_b64 s[8:9], s[12:13]
; %bb.2894:
	s_mov_b32 s10, 0x7f800001
	s_xor_b64 s[4:5], exec, -1
; %bb.2895:
	s_or_b64 exec, exec, s[8:9]
	s_and_b64 s[4:5], s[4:5], exec
	s_or_saveexec_b64 s[6:7], s[6:7]
	v_mov_b32_e32 v6, s10
	s_xor_b64 exec, exec, s[6:7]
	s_cbranch_execz .LBB1_846
.LBB1_2896:
	v_mov_b32_e32 v6, 0
	v_cmp_ne_u16_sdwa s[8:9], v3, v6 src0_sel:BYTE_0 src1_sel:DWORD
	s_andn2_b64 s[4:5], s[4:5], exec
	s_and_b64 s[8:9], s[8:9], exec
	s_or_b64 s[4:5], s[4:5], s[8:9]
	s_or_b64 exec, exec, s[6:7]
	s_and_saveexec_b64 s[6:7], s[4:5]
	s_cbranch_execnz .LBB1_847
	s_branch .LBB1_848
.LBB1_2897:
	s_movk_i32 s4, 0x80
	v_cmp_eq_u16_e32 vcc, s4, v3
	s_mov_b64 s[4:5], -1
                                        ; implicit-def: $sgpr10
	s_and_saveexec_b64 s[8:9], vcc
; %bb.2898:
	s_mov_b32 s10, 0x7f800001
	s_xor_b64 s[4:5], exec, -1
; %bb.2899:
	s_or_b64 exec, exec, s[8:9]
	s_and_b64 s[4:5], s[4:5], exec
                                        ; implicit-def: $vgpr3
	s_or_saveexec_b64 s[6:7], s[6:7]
	v_mov_b32_e32 v2, s10
	s_xor_b64 exec, exec, s[6:7]
	s_cbranch_execz .LBB1_850
.LBB1_2900:
	v_cmp_ne_u16_e32 vcc, 0, v3
	s_andn2_b64 s[4:5], s[4:5], exec
	s_and_b64 s[8:9], vcc, exec
	v_mov_b32_e32 v2, 0
	s_or_b64 s[4:5], s[4:5], s[8:9]
	s_or_b64 exec, exec, s[6:7]
	s_and_saveexec_b64 s[6:7], s[4:5]
	s_cbranch_execnz .LBB1_851
	s_branch .LBB1_852
.LBB1_2901:
	s_movk_i32 s4, 0x80
	v_cmp_eq_u16_e32 vcc, s4, v3
	s_mov_b64 s[4:5], -1
                                        ; implicit-def: $sgpr10
	s_and_saveexec_b64 s[8:9], vcc
; %bb.2902:
	s_mov_b32 s10, 0x7f800001
	s_xor_b64 s[4:5], exec, -1
; %bb.2903:
	s_or_b64 exec, exec, s[8:9]
	s_and_b64 s[4:5], s[4:5], exec
                                        ; implicit-def: $vgpr3
	s_or_saveexec_b64 s[6:7], s[6:7]
	v_mov_b32_e32 v6, s10
	s_xor_b64 exec, exec, s[6:7]
	s_cbranch_execz .LBB1_854
.LBB1_2904:
	v_cmp_ne_u16_e32 vcc, 0, v3
	s_andn2_b64 s[4:5], s[4:5], exec
	s_and_b64 s[8:9], vcc, exec
	v_mov_b32_e32 v6, 0
	s_or_b64 s[4:5], s[4:5], s[8:9]
	s_or_b64 exec, exec, s[6:7]
	s_and_saveexec_b64 s[6:7], s[4:5]
	s_cbranch_execnz .LBB1_855
	s_branch .LBB1_856
.LBB1_2905:
	s_movk_i32 s4, 0x80
	v_cmp_eq_u16_sdwa s[12:13], v8, s4 src0_sel:BYTE_3 src1_sel:DWORD
	s_mov_b64 s[4:5], -1
                                        ; implicit-def: $sgpr10
	s_and_saveexec_b64 s[8:9], s[12:13]
; %bb.2906:
	s_mov_b32 s10, 0x7f800001
	s_xor_b64 s[4:5], exec, -1
; %bb.2907:
	s_or_b64 exec, exec, s[8:9]
	s_and_b64 s[4:5], s[4:5], exec
	s_or_saveexec_b64 s[6:7], s[6:7]
	v_mov_b32_e32 v2, s10
	s_xor_b64 exec, exec, s[6:7]
	s_cbranch_execz .LBB1_858
.LBB1_2908:
	v_mov_b32_e32 v2, 0
	v_cmp_ne_u16_sdwa s[8:9], v8, v2 src0_sel:BYTE_3 src1_sel:DWORD
	s_andn2_b64 s[4:5], s[4:5], exec
	s_and_b64 s[8:9], s[8:9], exec
	s_or_b64 s[4:5], s[4:5], s[8:9]
	s_or_b64 exec, exec, s[6:7]
	s_and_saveexec_b64 s[6:7], s[4:5]
	s_cbranch_execnz .LBB1_859
	s_branch .LBB1_860
.LBB1_2909:
	s_movk_i32 s4, 0x80
	v_cmp_eq_u16_sdwa s[12:13], v4, s4 src0_sel:BYTE_3 src1_sel:DWORD
	s_mov_b64 s[4:5], -1
                                        ; implicit-def: $sgpr10
	s_and_saveexec_b64 s[8:9], s[12:13]
; %bb.2910:
	s_mov_b32 s10, 0x7f800001
	s_xor_b64 s[4:5], exec, -1
; %bb.2911:
	s_or_b64 exec, exec, s[8:9]
	s_and_b64 s[4:5], s[4:5], exec
	s_or_saveexec_b64 s[6:7], s[6:7]
	v_mov_b32_e32 v3, s10
	s_xor_b64 exec, exec, s[6:7]
	s_cbranch_execz .LBB1_862
.LBB1_2912:
	v_mov_b32_e32 v3, 0
	v_cmp_ne_u16_sdwa s[8:9], v4, v3 src0_sel:BYTE_3 src1_sel:DWORD
	s_andn2_b64 s[4:5], s[4:5], exec
	s_and_b64 s[8:9], s[8:9], exec
	s_or_b64 s[4:5], s[4:5], s[8:9]
	s_or_b64 exec, exec, s[6:7]
	s_and_saveexec_b64 s[6:7], s[4:5]
	s_cbranch_execnz .LBB1_863
	s_branch .LBB1_864
.LBB1_2913:
	s_movk_i32 s4, 0x80
	v_cmp_eq_u16_sdwa s[12:13], v9, s4 src0_sel:BYTE_0 src1_sel:DWORD
	s_mov_b64 s[4:5], -1
                                        ; implicit-def: $sgpr10
	s_and_saveexec_b64 s[8:9], s[12:13]
; %bb.2914:
	s_mov_b32 s10, 0x7f800001
	s_xor_b64 s[4:5], exec, -1
; %bb.2915:
	s_or_b64 exec, exec, s[8:9]
	s_and_b64 s[4:5], s[4:5], exec
	s_or_saveexec_b64 s[6:7], s[6:7]
	v_mov_b32_e32 v2, s10
	s_xor_b64 exec, exec, s[6:7]
	s_cbranch_execz .LBB1_866
.LBB1_2916:
	v_mov_b32_e32 v2, 0
	v_cmp_ne_u16_sdwa s[8:9], v9, v2 src0_sel:BYTE_0 src1_sel:DWORD
	s_andn2_b64 s[4:5], s[4:5], exec
	s_and_b64 s[8:9], s[8:9], exec
	s_or_b64 s[4:5], s[4:5], s[8:9]
	s_or_b64 exec, exec, s[6:7]
	s_and_saveexec_b64 s[6:7], s[4:5]
	s_cbranch_execnz .LBB1_867
	s_branch .LBB1_868
.LBB1_2917:
	s_movk_i32 s4, 0x80
	v_cmp_eq_u16_sdwa s[12:13], v5, s4 src0_sel:BYTE_0 src1_sel:DWORD
	s_mov_b64 s[4:5], -1
                                        ; implicit-def: $sgpr10
	s_and_saveexec_b64 s[8:9], s[12:13]
; %bb.2918:
	s_mov_b32 s10, 0x7f800001
	s_xor_b64 s[4:5], exec, -1
; %bb.2919:
	s_or_b64 exec, exec, s[8:9]
	s_and_b64 s[4:5], s[4:5], exec
	s_or_saveexec_b64 s[6:7], s[6:7]
	v_mov_b32_e32 v3, s10
	s_xor_b64 exec, exec, s[6:7]
	s_cbranch_execz .LBB1_870
.LBB1_2920:
	v_mov_b32_e32 v3, 0
	v_cmp_ne_u16_sdwa s[8:9], v5, v3 src0_sel:BYTE_0 src1_sel:DWORD
	s_andn2_b64 s[4:5], s[4:5], exec
	s_and_b64 s[8:9], s[8:9], exec
	s_or_b64 s[4:5], s[4:5], s[8:9]
	s_or_b64 exec, exec, s[6:7]
	s_and_saveexec_b64 s[6:7], s[4:5]
	s_cbranch_execnz .LBB1_871
	s_branch .LBB1_872
.LBB1_2921:
	s_movk_i32 s4, 0x80
	v_cmp_eq_u16_sdwa s[12:13], v3, s4 src0_sel:BYTE_0 src1_sel:DWORD
	s_mov_b64 s[4:5], -1
                                        ; implicit-def: $sgpr10
	s_and_saveexec_b64 s[8:9], s[12:13]
; %bb.2922:
	s_mov_b32 s10, 0x7f800001
	s_xor_b64 s[4:5], exec, -1
; %bb.2923:
	s_or_b64 exec, exec, s[8:9]
	s_and_b64 s[4:5], s[4:5], exec
	s_or_saveexec_b64 s[6:7], s[6:7]
	v_mov_b32_e32 v2, s10
	s_xor_b64 exec, exec, s[6:7]
	s_cbranch_execz .LBB1_874
.LBB1_2924:
	v_mov_b32_e32 v2, 0
	v_cmp_ne_u16_sdwa s[8:9], v3, v2 src0_sel:BYTE_0 src1_sel:DWORD
	s_andn2_b64 s[4:5], s[4:5], exec
	s_and_b64 s[8:9], s[8:9], exec
	s_or_b64 s[4:5], s[4:5], s[8:9]
	s_or_b64 exec, exec, s[6:7]
	s_and_saveexec_b64 s[6:7], s[4:5]
	s_cbranch_execnz .LBB1_875
	s_branch .LBB1_876
.LBB1_2925:
	s_movk_i32 s4, 0x80
	v_cmp_eq_u16_sdwa s[12:13], v3, s4 src0_sel:BYTE_0 src1_sel:DWORD
	s_mov_b64 s[4:5], -1
                                        ; implicit-def: $sgpr10
	s_and_saveexec_b64 s[8:9], s[12:13]
; %bb.2926:
	s_mov_b32 s10, 0x7f800001
	s_xor_b64 s[4:5], exec, -1
; %bb.2927:
	s_or_b64 exec, exec, s[8:9]
	s_and_b64 s[4:5], s[4:5], exec
	s_or_saveexec_b64 s[6:7], s[6:7]
	v_mov_b32_e32 v4, s10
	s_xor_b64 exec, exec, s[6:7]
	s_cbranch_execz .LBB1_878
.LBB1_2928:
	v_mov_b32_e32 v4, 0
	v_cmp_ne_u16_sdwa s[8:9], v3, v4 src0_sel:BYTE_0 src1_sel:DWORD
	s_andn2_b64 s[4:5], s[4:5], exec
	s_and_b64 s[8:9], s[8:9], exec
	s_or_b64 s[4:5], s[4:5], s[8:9]
	s_or_b64 exec, exec, s[6:7]
	s_and_saveexec_b64 s[6:7], s[4:5]
	s_cbranch_execnz .LBB1_879
	s_branch .LBB1_880
.LBB1_2929:
	s_movk_i32 s4, 0x80
	v_cmp_eq_u16_e32 vcc, s4, v3
	s_mov_b64 s[4:5], -1
                                        ; implicit-def: $sgpr10
	s_and_saveexec_b64 s[8:9], vcc
; %bb.2930:
	s_mov_b32 s10, 0x7f800001
	s_xor_b64 s[4:5], exec, -1
; %bb.2931:
	s_or_b64 exec, exec, s[8:9]
	s_and_b64 s[4:5], s[4:5], exec
                                        ; implicit-def: $vgpr3
	s_or_saveexec_b64 s[6:7], s[6:7]
	v_mov_b32_e32 v2, s10
	s_xor_b64 exec, exec, s[6:7]
	s_cbranch_execz .LBB1_882
.LBB1_2932:
	v_cmp_ne_u16_e32 vcc, 0, v3
	s_andn2_b64 s[4:5], s[4:5], exec
	s_and_b64 s[8:9], vcc, exec
	v_mov_b32_e32 v2, 0
	s_or_b64 s[4:5], s[4:5], s[8:9]
	s_or_b64 exec, exec, s[6:7]
	s_and_saveexec_b64 s[6:7], s[4:5]
	s_cbranch_execnz .LBB1_883
	s_branch .LBB1_884
.LBB1_2933:
	s_movk_i32 s4, 0x80
	v_cmp_eq_u16_e32 vcc, s4, v3
	s_mov_b64 s[4:5], -1
                                        ; implicit-def: $sgpr10
	s_and_saveexec_b64 s[8:9], vcc
; %bb.2934:
	s_mov_b32 s10, 0x7f800001
	s_xor_b64 s[4:5], exec, -1
; %bb.2935:
	s_or_b64 exec, exec, s[8:9]
	s_and_b64 s[4:5], s[4:5], exec
                                        ; implicit-def: $vgpr3
	s_or_saveexec_b64 s[6:7], s[6:7]
	v_mov_b32_e32 v4, s10
	s_xor_b64 exec, exec, s[6:7]
	s_cbranch_execz .LBB1_886
.LBB1_2936:
	v_cmp_ne_u16_e32 vcc, 0, v3
	s_andn2_b64 s[4:5], s[4:5], exec
	s_and_b64 s[8:9], vcc, exec
	v_mov_b32_e32 v4, 0
	s_or_b64 s[4:5], s[4:5], s[8:9]
	s_or_b64 exec, exec, s[6:7]
	s_and_saveexec_b64 s[6:7], s[4:5]
	s_cbranch_execnz .LBB1_887
	s_branch .LBB1_888
.LBB1_2937:
	s_movk_i32 s4, 0x80
	v_cmp_eq_u16_sdwa s[12:13], v9, s4 src0_sel:BYTE_3 src1_sel:DWORD
	s_mov_b64 s[4:5], -1
                                        ; implicit-def: $sgpr10
	s_and_saveexec_b64 s[8:9], s[12:13]
; %bb.2938:
	s_mov_b32 s10, 0x7f800001
	s_xor_b64 s[4:5], exec, -1
; %bb.2939:
	s_or_b64 exec, exec, s[8:9]
	s_and_b64 s[4:5], s[4:5], exec
	s_or_saveexec_b64 s[6:7], s[6:7]
	v_mov_b32_e32 v2, s10
	s_xor_b64 exec, exec, s[6:7]
	s_cbranch_execz .LBB1_890
.LBB1_2940:
	v_mov_b32_e32 v2, 0
	v_cmp_ne_u16_sdwa s[8:9], v9, v2 src0_sel:BYTE_3 src1_sel:DWORD
	s_andn2_b64 s[4:5], s[4:5], exec
	s_and_b64 s[8:9], s[8:9], exec
	s_or_b64 s[4:5], s[4:5], s[8:9]
	s_or_b64 exec, exec, s[6:7]
	s_and_saveexec_b64 s[6:7], s[4:5]
	s_cbranch_execnz .LBB1_891
	s_branch .LBB1_892
.LBB1_2941:
	s_movk_i32 s4, 0x80
	v_cmp_eq_u16_sdwa s[12:13], v5, s4 src0_sel:BYTE_3 src1_sel:DWORD
	s_mov_b64 s[4:5], -1
                                        ; implicit-def: $sgpr10
	s_and_saveexec_b64 s[8:9], s[12:13]
; %bb.2942:
	s_mov_b32 s10, 0x7f800001
	s_xor_b64 s[4:5], exec, -1
; %bb.2943:
	s_or_b64 exec, exec, s[8:9]
	s_and_b64 s[4:5], s[4:5], exec
	s_or_saveexec_b64 s[6:7], s[6:7]
	v_mov_b32_e32 v3, s10
	s_xor_b64 exec, exec, s[6:7]
	s_cbranch_execz .LBB1_894
.LBB1_2944:
	v_mov_b32_e32 v3, 0
	v_cmp_ne_u16_sdwa s[8:9], v5, v3 src0_sel:BYTE_3 src1_sel:DWORD
	s_andn2_b64 s[4:5], s[4:5], exec
	s_and_b64 s[8:9], s[8:9], exec
	s_or_b64 s[4:5], s[4:5], s[8:9]
	s_or_b64 exec, exec, s[6:7]
	s_and_saveexec_b64 s[6:7], s[4:5]
	s_cbranch_execnz .LBB1_895
	s_branch .LBB1_896
.LBB1_2945:
	s_movk_i32 s4, 0x80
	v_cmp_eq_u16_sdwa s[12:13], v6, s4 src0_sel:BYTE_0 src1_sel:DWORD
	s_mov_b64 s[4:5], -1
                                        ; implicit-def: $sgpr10
	s_and_saveexec_b64 s[8:9], s[12:13]
; %bb.2946:
	s_mov_b32 s10, 0x7f800001
	s_xor_b64 s[4:5], exec, -1
; %bb.2947:
	s_or_b64 exec, exec, s[8:9]
	s_and_b64 s[4:5], s[4:5], exec
	s_or_saveexec_b64 s[6:7], s[6:7]
	v_mov_b32_e32 v12, s10
	s_xor_b64 exec, exec, s[6:7]
	s_cbranch_execz .LBB1_898
.LBB1_2948:
	v_mov_b32_e32 v12, 0
	v_cmp_ne_u16_sdwa s[8:9], v6, v12 src0_sel:BYTE_0 src1_sel:DWORD
	s_andn2_b64 s[4:5], s[4:5], exec
	s_and_b64 s[8:9], s[8:9], exec
	s_or_b64 s[4:5], s[4:5], s[8:9]
	s_or_b64 exec, exec, s[6:7]
	s_and_saveexec_b64 s[6:7], s[4:5]
	s_cbranch_execnz .LBB1_899
	s_branch .LBB1_900
.LBB1_2949:
	s_movk_i32 s4, 0x80
	v_cmp_eq_u16_sdwa s[12:13], v2, s4 src0_sel:BYTE_0 src1_sel:DWORD
	s_mov_b64 s[4:5], -1
                                        ; implicit-def: $sgpr10
	s_and_saveexec_b64 s[8:9], s[12:13]
; %bb.2950:
	s_mov_b32 s10, 0x7f800001
	s_xor_b64 s[4:5], exec, -1
; %bb.2951:
	s_or_b64 exec, exec, s[8:9]
	s_and_b64 s[4:5], s[4:5], exec
	s_or_saveexec_b64 s[6:7], s[6:7]
	v_mov_b32_e32 v13, s10
	s_xor_b64 exec, exec, s[6:7]
	s_cbranch_execz .LBB1_902
.LBB1_2952:
	v_mov_b32_e32 v13, 0
	v_cmp_ne_u16_sdwa s[8:9], v2, v13 src0_sel:BYTE_0 src1_sel:DWORD
	s_andn2_b64 s[4:5], s[4:5], exec
	s_and_b64 s[8:9], s[8:9], exec
	s_or_b64 s[4:5], s[4:5], s[8:9]
	s_or_b64 exec, exec, s[6:7]
	s_and_saveexec_b64 s[6:7], s[4:5]
	s_cbranch_execnz .LBB1_903
	s_branch .LBB1_904
.LBB1_2953:
	s_movk_i32 s4, 0x80
	v_cmp_eq_u16_sdwa s[12:13], v13, s4 src0_sel:BYTE_0 src1_sel:DWORD
	s_mov_b64 s[4:5], -1
                                        ; implicit-def: $sgpr10
	s_and_saveexec_b64 s[8:9], s[12:13]
; %bb.2954:
	s_mov_b32 s10, 0x7f800001
	s_xor_b64 s[4:5], exec, -1
; %bb.2955:
	s_or_b64 exec, exec, s[8:9]
	s_and_b64 s[4:5], s[4:5], exec
	s_or_saveexec_b64 s[6:7], s[6:7]
	v_mov_b32_e32 v12, s10
	s_xor_b64 exec, exec, s[6:7]
	s_cbranch_execz .LBB1_906
.LBB1_2956:
	v_mov_b32_e32 v12, 0
	v_cmp_ne_u16_sdwa s[8:9], v13, v12 src0_sel:BYTE_0 src1_sel:DWORD
	s_andn2_b64 s[4:5], s[4:5], exec
	s_and_b64 s[8:9], s[8:9], exec
	s_or_b64 s[4:5], s[4:5], s[8:9]
	s_or_b64 exec, exec, s[6:7]
	s_and_saveexec_b64 s[6:7], s[4:5]
	s_cbranch_execnz .LBB1_907
	s_branch .LBB1_908
.LBB1_2957:
	s_movk_i32 s4, 0x80
	v_cmp_eq_u16_sdwa s[12:13], v13, s4 src0_sel:BYTE_0 src1_sel:DWORD
	s_mov_b64 s[4:5], -1
                                        ; implicit-def: $sgpr10
	s_and_saveexec_b64 s[8:9], s[12:13]
; %bb.2958:
	s_mov_b32 s10, 0x7f800001
	s_xor_b64 s[4:5], exec, -1
; %bb.2959:
	s_or_b64 exec, exec, s[8:9]
	s_and_b64 s[4:5], s[4:5], exec
	s_or_saveexec_b64 s[6:7], s[6:7]
	v_mov_b32_e32 v14, s10
	s_xor_b64 exec, exec, s[6:7]
	s_cbranch_execz .LBB1_910
.LBB1_2960:
	v_mov_b32_e32 v14, 0
	v_cmp_ne_u16_sdwa s[8:9], v13, v14 src0_sel:BYTE_0 src1_sel:DWORD
	s_andn2_b64 s[4:5], s[4:5], exec
	s_and_b64 s[8:9], s[8:9], exec
	s_or_b64 s[4:5], s[4:5], s[8:9]
	s_or_b64 exec, exec, s[6:7]
	s_and_saveexec_b64 s[6:7], s[4:5]
	s_cbranch_execnz .LBB1_911
	s_branch .LBB1_912
.LBB1_2961:
	s_movk_i32 s4, 0x80
	v_cmp_eq_u16_e32 vcc, s4, v13
	s_mov_b64 s[4:5], -1
                                        ; implicit-def: $sgpr10
	s_and_saveexec_b64 s[8:9], vcc
; %bb.2962:
	s_mov_b32 s10, 0x7f800001
	s_xor_b64 s[4:5], exec, -1
; %bb.2963:
	s_or_b64 exec, exec, s[8:9]
	s_and_b64 s[4:5], s[4:5], exec
                                        ; implicit-def: $vgpr13
	s_or_saveexec_b64 s[6:7], s[6:7]
	v_mov_b32_e32 v12, s10
	s_xor_b64 exec, exec, s[6:7]
	s_cbranch_execz .LBB1_914
.LBB1_2964:
	v_cmp_ne_u16_e32 vcc, 0, v13
	s_andn2_b64 s[4:5], s[4:5], exec
	s_and_b64 s[8:9], vcc, exec
	v_mov_b32_e32 v12, 0
	s_or_b64 s[4:5], s[4:5], s[8:9]
	s_or_b64 exec, exec, s[6:7]
	s_and_saveexec_b64 s[6:7], s[4:5]
	s_cbranch_execnz .LBB1_915
	s_branch .LBB1_916
.LBB1_2965:
	s_movk_i32 s4, 0x80
	v_cmp_eq_u16_e32 vcc, s4, v13
	s_mov_b64 s[4:5], -1
                                        ; implicit-def: $sgpr10
	s_and_saveexec_b64 s[8:9], vcc
; %bb.2966:
	s_mov_b32 s10, 0x7f800001
	s_xor_b64 s[4:5], exec, -1
; %bb.2967:
	s_or_b64 exec, exec, s[8:9]
	s_and_b64 s[4:5], s[4:5], exec
                                        ; implicit-def: $vgpr13
	s_or_saveexec_b64 s[6:7], s[6:7]
	v_mov_b32_e32 v14, s10
	s_xor_b64 exec, exec, s[6:7]
	s_cbranch_execz .LBB1_918
.LBB1_2968:
	v_cmp_ne_u16_e32 vcc, 0, v13
	s_andn2_b64 s[4:5], s[4:5], exec
	s_and_b64 s[8:9], vcc, exec
	v_mov_b32_e32 v14, 0
	s_or_b64 s[4:5], s[4:5], s[8:9]
	s_or_b64 exec, exec, s[6:7]
	s_and_saveexec_b64 s[6:7], s[4:5]
	s_cbranch_execnz .LBB1_919
	s_branch .LBB1_920
.LBB1_2969:
	s_movk_i32 s4, 0x80
	v_cmp_eq_u16_sdwa s[12:13], v6, s4 src0_sel:BYTE_3 src1_sel:DWORD
	s_mov_b64 s[4:5], -1
                                        ; implicit-def: $sgpr10
	s_and_saveexec_b64 s[8:9], s[12:13]
; %bb.2970:
	s_mov_b32 s10, 0x7f800001
	s_xor_b64 s[4:5], exec, -1
; %bb.2971:
	s_or_b64 exec, exec, s[8:9]
	s_and_b64 s[4:5], s[4:5], exec
	s_or_saveexec_b64 s[6:7], s[6:7]
	v_mov_b32_e32 v12, s10
	s_xor_b64 exec, exec, s[6:7]
	s_cbranch_execz .LBB1_922
.LBB1_2972:
	v_mov_b32_e32 v12, 0
	v_cmp_ne_u16_sdwa s[8:9], v6, v12 src0_sel:BYTE_3 src1_sel:DWORD
	s_andn2_b64 s[4:5], s[4:5], exec
	s_and_b64 s[8:9], s[8:9], exec
	s_or_b64 s[4:5], s[4:5], s[8:9]
	s_or_b64 exec, exec, s[6:7]
	s_and_saveexec_b64 s[6:7], s[4:5]
	s_cbranch_execnz .LBB1_923
	s_branch .LBB1_924
.LBB1_2973:
	s_movk_i32 s4, 0x80
	v_cmp_eq_u16_sdwa s[12:13], v2, s4 src0_sel:BYTE_3 src1_sel:DWORD
	s_mov_b64 s[4:5], -1
                                        ; implicit-def: $sgpr10
	s_and_saveexec_b64 s[8:9], s[12:13]
; %bb.2974:
	s_mov_b32 s10, 0x7f800001
	s_xor_b64 s[4:5], exec, -1
; %bb.2975:
	s_or_b64 exec, exec, s[8:9]
	s_and_b64 s[4:5], s[4:5], exec
	s_or_saveexec_b64 s[6:7], s[6:7]
	v_mov_b32_e32 v6, s10
	s_xor_b64 exec, exec, s[6:7]
	s_cbranch_execz .LBB1_926
.LBB1_2976:
	v_mov_b32_e32 v6, 0
	v_cmp_ne_u16_sdwa s[8:9], v2, v6 src0_sel:BYTE_3 src1_sel:DWORD
	s_andn2_b64 s[4:5], s[4:5], exec
	s_and_b64 s[8:9], s[8:9], exec
	s_or_b64 s[4:5], s[4:5], s[8:9]
	s_or_b64 exec, exec, s[6:7]
	s_and_saveexec_b64 s[6:7], s[4:5]
	s_cbranch_execnz .LBB1_927
	s_branch .LBB1_928
.LBB1_2977:
	s_movk_i32 s4, 0x80
	v_cmp_eq_u16_sdwa s[12:13], v7, s4 src0_sel:BYTE_0 src1_sel:DWORD
	s_mov_b64 s[4:5], -1
                                        ; implicit-def: $sgpr10
	s_and_saveexec_b64 s[8:9], s[12:13]
; %bb.2978:
	s_mov_b32 s10, 0x7f800001
	s_xor_b64 s[4:5], exec, -1
; %bb.2979:
	s_or_b64 exec, exec, s[8:9]
	s_and_b64 s[4:5], s[4:5], exec
	s_or_saveexec_b64 s[6:7], s[6:7]
	v_mov_b32_e32 v2, s10
	s_xor_b64 exec, exec, s[6:7]
	s_cbranch_execz .LBB1_930
.LBB1_2980:
	v_mov_b32_e32 v2, 0
	v_cmp_ne_u16_sdwa s[8:9], v7, v2 src0_sel:BYTE_0 src1_sel:DWORD
	s_andn2_b64 s[4:5], s[4:5], exec
	s_and_b64 s[8:9], s[8:9], exec
	s_or_b64 s[4:5], s[4:5], s[8:9]
	s_or_b64 exec, exec, s[6:7]
	s_and_saveexec_b64 s[6:7], s[4:5]
	s_cbranch_execnz .LBB1_931
	s_branch .LBB1_932
.LBB1_2981:
	s_movk_i32 s4, 0x80
	v_cmp_eq_u16_sdwa s[12:13], v3, s4 src0_sel:BYTE_0 src1_sel:DWORD
	s_mov_b64 s[4:5], -1
                                        ; implicit-def: $sgpr10
	s_and_saveexec_b64 s[8:9], s[12:13]
; %bb.2982:
	s_mov_b32 s10, 0x7f800001
	s_xor_b64 s[4:5], exec, -1
; %bb.2983:
	s_or_b64 exec, exec, s[8:9]
	s_and_b64 s[4:5], s[4:5], exec
	s_or_saveexec_b64 s[6:7], s[6:7]
	v_mov_b32_e32 v6, s10
	s_xor_b64 exec, exec, s[6:7]
	s_cbranch_execz .LBB1_934
.LBB1_2984:
	v_mov_b32_e32 v6, 0
	v_cmp_ne_u16_sdwa s[8:9], v3, v6 src0_sel:BYTE_0 src1_sel:DWORD
	s_andn2_b64 s[4:5], s[4:5], exec
	s_and_b64 s[8:9], s[8:9], exec
	s_or_b64 s[4:5], s[4:5], s[8:9]
	s_or_b64 exec, exec, s[6:7]
	s_and_saveexec_b64 s[6:7], s[4:5]
	s_cbranch_execnz .LBB1_935
	s_branch .LBB1_936
.LBB1_2985:
	s_movk_i32 s4, 0x80
	v_cmp_eq_u16_sdwa s[12:13], v6, s4 src0_sel:BYTE_0 src1_sel:DWORD
	s_mov_b64 s[4:5], -1
                                        ; implicit-def: $sgpr10
	s_and_saveexec_b64 s[8:9], s[12:13]
; %bb.2986:
	s_mov_b32 s10, 0x7f800001
	s_xor_b64 s[4:5], exec, -1
; %bb.2987:
	s_or_b64 exec, exec, s[8:9]
	s_and_b64 s[4:5], s[4:5], exec
	s_or_saveexec_b64 s[6:7], s[6:7]
	v_mov_b32_e32 v2, s10
	s_xor_b64 exec, exec, s[6:7]
	s_cbranch_execz .LBB1_938
.LBB1_2988:
	v_mov_b32_e32 v2, 0
	v_cmp_ne_u16_sdwa s[8:9], v6, v2 src0_sel:BYTE_0 src1_sel:DWORD
	s_andn2_b64 s[4:5], s[4:5], exec
	s_and_b64 s[8:9], s[8:9], exec
	s_or_b64 s[4:5], s[4:5], s[8:9]
	s_or_b64 exec, exec, s[6:7]
	s_and_saveexec_b64 s[6:7], s[4:5]
	s_cbranch_execnz .LBB1_939
	s_branch .LBB1_940
.LBB1_2989:
	s_movk_i32 s4, 0x80
	v_cmp_eq_u16_sdwa s[12:13], v6, s4 src0_sel:BYTE_0 src1_sel:DWORD
	s_mov_b64 s[4:5], -1
                                        ; implicit-def: $sgpr10
	s_and_saveexec_b64 s[8:9], s[12:13]
; %bb.2990:
	s_mov_b32 s10, 0x7f800001
	s_xor_b64 s[4:5], exec, -1
; %bb.2991:
	s_or_b64 exec, exec, s[8:9]
	s_and_b64 s[4:5], s[4:5], exec
	s_or_saveexec_b64 s[6:7], s[6:7]
	v_mov_b32_e32 v12, s10
	s_xor_b64 exec, exec, s[6:7]
	s_cbranch_execz .LBB1_942
.LBB1_2992:
	v_mov_b32_e32 v12, 0
	v_cmp_ne_u16_sdwa s[8:9], v6, v12 src0_sel:BYTE_0 src1_sel:DWORD
	s_andn2_b64 s[4:5], s[4:5], exec
	s_and_b64 s[8:9], s[8:9], exec
	s_or_b64 s[4:5], s[4:5], s[8:9]
	s_or_b64 exec, exec, s[6:7]
	s_and_saveexec_b64 s[6:7], s[4:5]
	s_cbranch_execnz .LBB1_943
	s_branch .LBB1_944
.LBB1_2993:
	s_movk_i32 s4, 0x80
	v_cmp_eq_u16_e32 vcc, s4, v6
	s_mov_b64 s[4:5], -1
                                        ; implicit-def: $sgpr10
	s_and_saveexec_b64 s[8:9], vcc
; %bb.2994:
	s_mov_b32 s10, 0x7f800001
	s_xor_b64 s[4:5], exec, -1
; %bb.2995:
	s_or_b64 exec, exec, s[8:9]
	s_and_b64 s[4:5], s[4:5], exec
                                        ; implicit-def: $vgpr6
	s_or_saveexec_b64 s[6:7], s[6:7]
	v_mov_b32_e32 v2, s10
	s_xor_b64 exec, exec, s[6:7]
	s_cbranch_execz .LBB1_946
.LBB1_2996:
	v_cmp_ne_u16_e32 vcc, 0, v6
	s_andn2_b64 s[4:5], s[4:5], exec
	s_and_b64 s[8:9], vcc, exec
	v_mov_b32_e32 v2, 0
	s_or_b64 s[4:5], s[4:5], s[8:9]
	s_or_b64 exec, exec, s[6:7]
	s_and_saveexec_b64 s[6:7], s[4:5]
	s_cbranch_execnz .LBB1_947
	s_branch .LBB1_948
.LBB1_2997:
	s_movk_i32 s4, 0x80
	v_cmp_eq_u16_e32 vcc, s4, v6
	s_mov_b64 s[4:5], -1
                                        ; implicit-def: $sgpr10
	s_and_saveexec_b64 s[8:9], vcc
; %bb.2998:
	s_mov_b32 s10, 0x7f800001
	s_xor_b64 s[4:5], exec, -1
; %bb.2999:
	s_or_b64 exec, exec, s[8:9]
	s_and_b64 s[4:5], s[4:5], exec
                                        ; implicit-def: $vgpr6
	s_or_saveexec_b64 s[6:7], s[6:7]
	v_mov_b32_e32 v12, s10
	s_xor_b64 exec, exec, s[6:7]
	s_cbranch_execz .LBB1_950
.LBB1_3000:
	v_cmp_ne_u16_e32 vcc, 0, v6
	s_andn2_b64 s[4:5], s[4:5], exec
	s_and_b64 s[8:9], vcc, exec
	v_mov_b32_e32 v12, 0
	s_or_b64 s[4:5], s[4:5], s[8:9]
	s_or_b64 exec, exec, s[6:7]
	s_and_saveexec_b64 s[6:7], s[4:5]
	s_cbranch_execnz .LBB1_951
	s_branch .LBB1_952
.LBB1_3001:
	s_movk_i32 s4, 0x80
	v_cmp_eq_u16_sdwa s[12:13], v7, s4 src0_sel:BYTE_3 src1_sel:DWORD
	s_mov_b64 s[4:5], -1
                                        ; implicit-def: $sgpr10
	s_and_saveexec_b64 s[8:9], s[12:13]
; %bb.3002:
	s_mov_b32 s10, 0x7f800001
	s_xor_b64 s[4:5], exec, -1
; %bb.3003:
	s_or_b64 exec, exec, s[8:9]
	s_and_b64 s[4:5], s[4:5], exec
	s_or_saveexec_b64 s[6:7], s[6:7]
	v_mov_b32_e32 v2, s10
	s_xor_b64 exec, exec, s[6:7]
	s_cbranch_execz .LBB1_954
.LBB1_3004:
	v_mov_b32_e32 v2, 0
	v_cmp_ne_u16_sdwa s[8:9], v7, v2 src0_sel:BYTE_3 src1_sel:DWORD
	s_andn2_b64 s[4:5], s[4:5], exec
	s_and_b64 s[8:9], s[8:9], exec
	s_or_b64 s[4:5], s[4:5], s[8:9]
	s_or_b64 exec, exec, s[6:7]
	s_and_saveexec_b64 s[6:7], s[4:5]
	s_cbranch_execnz .LBB1_955
	s_branch .LBB1_956
.LBB1_3005:
	s_movk_i32 s4, 0x80
	v_cmp_eq_u16_sdwa s[12:13], v3, s4 src0_sel:BYTE_3 src1_sel:DWORD
	s_mov_b64 s[4:5], -1
                                        ; implicit-def: $sgpr10
	s_and_saveexec_b64 s[8:9], s[12:13]
; %bb.3006:
	s_mov_b32 s10, 0x7f800001
	s_xor_b64 s[4:5], exec, -1
; %bb.3007:
	s_or_b64 exec, exec, s[8:9]
	s_and_b64 s[4:5], s[4:5], exec
	s_or_saveexec_b64 s[6:7], s[6:7]
	v_mov_b32_e32 v6, s10
	s_xor_b64 exec, exec, s[6:7]
	s_cbranch_execz .LBB1_958
.LBB1_3008:
	v_mov_b32_e32 v6, 0
	v_cmp_ne_u16_sdwa s[8:9], v3, v6 src0_sel:BYTE_3 src1_sel:DWORD
	s_andn2_b64 s[4:5], s[4:5], exec
	s_and_b64 s[8:9], s[8:9], exec
	s_or_b64 s[4:5], s[4:5], s[8:9]
	s_or_b64 exec, exec, s[6:7]
	s_and_saveexec_b64 s[6:7], s[4:5]
	s_cbranch_execnz .LBB1_959
	s_branch .LBB1_960
.LBB1_3009:
	s_movk_i32 s4, 0x80
	v_cmp_eq_u16_sdwa s[12:13], v8, s4 src0_sel:BYTE_0 src1_sel:DWORD
	s_mov_b64 s[4:5], -1
                                        ; implicit-def: $sgpr10
	s_and_saveexec_b64 s[8:9], s[12:13]
; %bb.3010:
	s_mov_b32 s10, 0x7f800001
	s_xor_b64 s[4:5], exec, -1
; %bb.3011:
	s_or_b64 exec, exec, s[8:9]
	s_and_b64 s[4:5], s[4:5], exec
	s_or_saveexec_b64 s[6:7], s[6:7]
	v_mov_b32_e32 v2, s10
	s_xor_b64 exec, exec, s[6:7]
	s_cbranch_execz .LBB1_962
.LBB1_3012:
	v_mov_b32_e32 v2, 0
	v_cmp_ne_u16_sdwa s[8:9], v8, v2 src0_sel:BYTE_0 src1_sel:DWORD
	s_andn2_b64 s[4:5], s[4:5], exec
	s_and_b64 s[8:9], s[8:9], exec
	s_or_b64 s[4:5], s[4:5], s[8:9]
	s_or_b64 exec, exec, s[6:7]
	s_and_saveexec_b64 s[6:7], s[4:5]
	s_cbranch_execnz .LBB1_963
	s_branch .LBB1_964
.LBB1_3013:
	s_movk_i32 s4, 0x80
	v_cmp_eq_u16_sdwa s[12:13], v4, s4 src0_sel:BYTE_0 src1_sel:DWORD
	s_mov_b64 s[4:5], -1
                                        ; implicit-def: $sgpr10
	s_and_saveexec_b64 s[8:9], s[12:13]
; %bb.3014:
	s_mov_b32 s10, 0x7f800001
	s_xor_b64 s[4:5], exec, -1
; %bb.3015:
	s_or_b64 exec, exec, s[8:9]
	s_and_b64 s[4:5], s[4:5], exec
	s_or_saveexec_b64 s[6:7], s[6:7]
	v_mov_b32_e32 v3, s10
	s_xor_b64 exec, exec, s[6:7]
	s_cbranch_execz .LBB1_966
.LBB1_3016:
	v_mov_b32_e32 v3, 0
	v_cmp_ne_u16_sdwa s[8:9], v4, v3 src0_sel:BYTE_0 src1_sel:DWORD
	s_andn2_b64 s[4:5], s[4:5], exec
	s_and_b64 s[8:9], s[8:9], exec
	s_or_b64 s[4:5], s[4:5], s[8:9]
	s_or_b64 exec, exec, s[6:7]
	s_and_saveexec_b64 s[6:7], s[4:5]
	s_cbranch_execnz .LBB1_967
	s_branch .LBB1_968
.LBB1_3017:
	s_movk_i32 s4, 0x80
	v_cmp_eq_u16_sdwa s[12:13], v3, s4 src0_sel:BYTE_0 src1_sel:DWORD
	s_mov_b64 s[4:5], -1
                                        ; implicit-def: $sgpr10
	s_and_saveexec_b64 s[8:9], s[12:13]
; %bb.3018:
	s_mov_b32 s10, 0x7f800001
	s_xor_b64 s[4:5], exec, -1
; %bb.3019:
	s_or_b64 exec, exec, s[8:9]
	s_and_b64 s[4:5], s[4:5], exec
	s_or_saveexec_b64 s[6:7], s[6:7]
	v_mov_b32_e32 v2, s10
	s_xor_b64 exec, exec, s[6:7]
	s_cbranch_execz .LBB1_970
.LBB1_3020:
	v_mov_b32_e32 v2, 0
	v_cmp_ne_u16_sdwa s[8:9], v3, v2 src0_sel:BYTE_0 src1_sel:DWORD
	s_andn2_b64 s[4:5], s[4:5], exec
	s_and_b64 s[8:9], s[8:9], exec
	s_or_b64 s[4:5], s[4:5], s[8:9]
	s_or_b64 exec, exec, s[6:7]
	s_and_saveexec_b64 s[6:7], s[4:5]
	s_cbranch_execnz .LBB1_971
	s_branch .LBB1_972
.LBB1_3021:
	s_movk_i32 s4, 0x80
	v_cmp_eq_u16_sdwa s[12:13], v3, s4 src0_sel:BYTE_0 src1_sel:DWORD
	s_mov_b64 s[4:5], -1
                                        ; implicit-def: $sgpr10
	s_and_saveexec_b64 s[8:9], s[12:13]
; %bb.3022:
	s_mov_b32 s10, 0x7f800001
	s_xor_b64 s[4:5], exec, -1
; %bb.3023:
	s_or_b64 exec, exec, s[8:9]
	s_and_b64 s[4:5], s[4:5], exec
	s_or_saveexec_b64 s[6:7], s[6:7]
	v_mov_b32_e32 v6, s10
	s_xor_b64 exec, exec, s[6:7]
	s_cbranch_execz .LBB1_974
.LBB1_3024:
	v_mov_b32_e32 v6, 0
	v_cmp_ne_u16_sdwa s[8:9], v3, v6 src0_sel:BYTE_0 src1_sel:DWORD
	s_andn2_b64 s[4:5], s[4:5], exec
	s_and_b64 s[8:9], s[8:9], exec
	s_or_b64 s[4:5], s[4:5], s[8:9]
	s_or_b64 exec, exec, s[6:7]
	s_and_saveexec_b64 s[6:7], s[4:5]
	s_cbranch_execnz .LBB1_975
	s_branch .LBB1_976
.LBB1_3025:
	s_movk_i32 s4, 0x80
	v_cmp_eq_u16_e32 vcc, s4, v3
	s_mov_b64 s[4:5], -1
                                        ; implicit-def: $sgpr10
	s_and_saveexec_b64 s[8:9], vcc
; %bb.3026:
	s_mov_b32 s10, 0x7f800001
	s_xor_b64 s[4:5], exec, -1
; %bb.3027:
	s_or_b64 exec, exec, s[8:9]
	s_and_b64 s[4:5], s[4:5], exec
                                        ; implicit-def: $vgpr3
	s_or_saveexec_b64 s[6:7], s[6:7]
	v_mov_b32_e32 v2, s10
	s_xor_b64 exec, exec, s[6:7]
	s_cbranch_execz .LBB1_978
.LBB1_3028:
	v_cmp_ne_u16_e32 vcc, 0, v3
	s_andn2_b64 s[4:5], s[4:5], exec
	s_and_b64 s[8:9], vcc, exec
	v_mov_b32_e32 v2, 0
	s_or_b64 s[4:5], s[4:5], s[8:9]
	s_or_b64 exec, exec, s[6:7]
	s_and_saveexec_b64 s[6:7], s[4:5]
	s_cbranch_execnz .LBB1_979
	s_branch .LBB1_980
.LBB1_3029:
	s_movk_i32 s4, 0x80
	v_cmp_eq_u16_e32 vcc, s4, v3
	s_mov_b64 s[4:5], -1
                                        ; implicit-def: $sgpr10
	s_and_saveexec_b64 s[8:9], vcc
; %bb.3030:
	s_mov_b32 s10, 0x7f800001
	s_xor_b64 s[4:5], exec, -1
; %bb.3031:
	s_or_b64 exec, exec, s[8:9]
	s_and_b64 s[4:5], s[4:5], exec
                                        ; implicit-def: $vgpr3
	s_or_saveexec_b64 s[6:7], s[6:7]
	v_mov_b32_e32 v6, s10
	s_xor_b64 exec, exec, s[6:7]
	s_cbranch_execz .LBB1_982
.LBB1_3032:
	v_cmp_ne_u16_e32 vcc, 0, v3
	s_andn2_b64 s[4:5], s[4:5], exec
	s_and_b64 s[8:9], vcc, exec
	v_mov_b32_e32 v6, 0
	s_or_b64 s[4:5], s[4:5], s[8:9]
	s_or_b64 exec, exec, s[6:7]
	s_and_saveexec_b64 s[6:7], s[4:5]
	s_cbranch_execnz .LBB1_983
	s_branch .LBB1_984
.LBB1_3033:
	s_movk_i32 s4, 0x80
	v_cmp_eq_u16_sdwa s[12:13], v8, s4 src0_sel:BYTE_3 src1_sel:DWORD
	s_mov_b64 s[4:5], -1
                                        ; implicit-def: $sgpr10
	s_and_saveexec_b64 s[8:9], s[12:13]
; %bb.3034:
	s_mov_b32 s10, 0x7f800001
	s_xor_b64 s[4:5], exec, -1
; %bb.3035:
	s_or_b64 exec, exec, s[8:9]
	s_and_b64 s[4:5], s[4:5], exec
	s_or_saveexec_b64 s[6:7], s[6:7]
	v_mov_b32_e32 v2, s10
	s_xor_b64 exec, exec, s[6:7]
	s_cbranch_execz .LBB1_986
.LBB1_3036:
	v_mov_b32_e32 v2, 0
	v_cmp_ne_u16_sdwa s[8:9], v8, v2 src0_sel:BYTE_3 src1_sel:DWORD
	s_andn2_b64 s[4:5], s[4:5], exec
	s_and_b64 s[8:9], s[8:9], exec
	s_or_b64 s[4:5], s[4:5], s[8:9]
	s_or_b64 exec, exec, s[6:7]
	s_and_saveexec_b64 s[6:7], s[4:5]
	s_cbranch_execnz .LBB1_987
	s_branch .LBB1_988
.LBB1_3037:
	s_movk_i32 s4, 0x80
	v_cmp_eq_u16_sdwa s[12:13], v4, s4 src0_sel:BYTE_3 src1_sel:DWORD
	s_mov_b64 s[4:5], -1
                                        ; implicit-def: $sgpr10
	s_and_saveexec_b64 s[8:9], s[12:13]
; %bb.3038:
	s_mov_b32 s10, 0x7f800001
	s_xor_b64 s[4:5], exec, -1
; %bb.3039:
	s_or_b64 exec, exec, s[8:9]
	s_and_b64 s[4:5], s[4:5], exec
	s_or_saveexec_b64 s[6:7], s[6:7]
	v_mov_b32_e32 v3, s10
	s_xor_b64 exec, exec, s[6:7]
	s_cbranch_execz .LBB1_990
.LBB1_3040:
	v_mov_b32_e32 v3, 0
	v_cmp_ne_u16_sdwa s[8:9], v4, v3 src0_sel:BYTE_3 src1_sel:DWORD
	s_andn2_b64 s[4:5], s[4:5], exec
	s_and_b64 s[8:9], s[8:9], exec
	s_or_b64 s[4:5], s[4:5], s[8:9]
	s_or_b64 exec, exec, s[6:7]
	s_and_saveexec_b64 s[6:7], s[4:5]
	s_cbranch_execnz .LBB1_991
	s_branch .LBB1_992
.LBB1_3041:
	s_movk_i32 s4, 0x80
	v_cmp_eq_u16_sdwa s[12:13], v9, s4 src0_sel:BYTE_0 src1_sel:DWORD
	s_mov_b64 s[4:5], -1
                                        ; implicit-def: $sgpr10
	s_and_saveexec_b64 s[8:9], s[12:13]
; %bb.3042:
	s_mov_b32 s10, 0x7f800001
	s_xor_b64 s[4:5], exec, -1
; %bb.3043:
	s_or_b64 exec, exec, s[8:9]
	s_and_b64 s[4:5], s[4:5], exec
	s_or_saveexec_b64 s[6:7], s[6:7]
	v_mov_b32_e32 v2, s10
	s_xor_b64 exec, exec, s[6:7]
	s_cbranch_execz .LBB1_994
.LBB1_3044:
	v_mov_b32_e32 v2, 0
	v_cmp_ne_u16_sdwa s[8:9], v9, v2 src0_sel:BYTE_0 src1_sel:DWORD
	s_andn2_b64 s[4:5], s[4:5], exec
	s_and_b64 s[8:9], s[8:9], exec
	s_or_b64 s[4:5], s[4:5], s[8:9]
	s_or_b64 exec, exec, s[6:7]
	s_and_saveexec_b64 s[6:7], s[4:5]
	s_cbranch_execnz .LBB1_995
	s_branch .LBB1_996
.LBB1_3045:
	s_movk_i32 s4, 0x80
	v_cmp_eq_u16_sdwa s[12:13], v5, s4 src0_sel:BYTE_0 src1_sel:DWORD
	s_mov_b64 s[4:5], -1
                                        ; implicit-def: $sgpr10
	s_and_saveexec_b64 s[8:9], s[12:13]
; %bb.3046:
	s_mov_b32 s10, 0x7f800001
	s_xor_b64 s[4:5], exec, -1
; %bb.3047:
	s_or_b64 exec, exec, s[8:9]
	s_and_b64 s[4:5], s[4:5], exec
	s_or_saveexec_b64 s[6:7], s[6:7]
	v_mov_b32_e32 v3, s10
	s_xor_b64 exec, exec, s[6:7]
	s_cbranch_execz .LBB1_998
.LBB1_3048:
	v_mov_b32_e32 v3, 0
	v_cmp_ne_u16_sdwa s[8:9], v5, v3 src0_sel:BYTE_0 src1_sel:DWORD
	s_andn2_b64 s[4:5], s[4:5], exec
	s_and_b64 s[8:9], s[8:9], exec
	s_or_b64 s[4:5], s[4:5], s[8:9]
	s_or_b64 exec, exec, s[6:7]
	s_and_saveexec_b64 s[6:7], s[4:5]
	s_cbranch_execnz .LBB1_999
	s_branch .LBB1_1000
.LBB1_3049:
	s_movk_i32 s4, 0x80
	v_cmp_eq_u16_sdwa s[12:13], v3, s4 src0_sel:BYTE_0 src1_sel:DWORD
	s_mov_b64 s[4:5], -1
                                        ; implicit-def: $sgpr10
	s_and_saveexec_b64 s[8:9], s[12:13]
; %bb.3050:
	s_mov_b32 s10, 0x7f800001
	s_xor_b64 s[4:5], exec, -1
; %bb.3051:
	s_or_b64 exec, exec, s[8:9]
	s_and_b64 s[4:5], s[4:5], exec
	s_or_saveexec_b64 s[6:7], s[6:7]
	v_mov_b32_e32 v2, s10
	s_xor_b64 exec, exec, s[6:7]
	s_cbranch_execz .LBB1_1002
.LBB1_3052:
	v_mov_b32_e32 v2, 0
	v_cmp_ne_u16_sdwa s[8:9], v3, v2 src0_sel:BYTE_0 src1_sel:DWORD
	s_andn2_b64 s[4:5], s[4:5], exec
	s_and_b64 s[8:9], s[8:9], exec
	s_or_b64 s[4:5], s[4:5], s[8:9]
	s_or_b64 exec, exec, s[6:7]
	s_and_saveexec_b64 s[6:7], s[4:5]
	s_cbranch_execnz .LBB1_1003
	s_branch .LBB1_1004
.LBB1_3053:
	s_movk_i32 s4, 0x80
	v_cmp_eq_u16_sdwa s[12:13], v3, s4 src0_sel:BYTE_0 src1_sel:DWORD
	s_mov_b64 s[4:5], -1
                                        ; implicit-def: $sgpr10
	s_and_saveexec_b64 s[8:9], s[12:13]
; %bb.3054:
	s_mov_b32 s10, 0x7f800001
	s_xor_b64 s[4:5], exec, -1
; %bb.3055:
	s_or_b64 exec, exec, s[8:9]
	s_and_b64 s[4:5], s[4:5], exec
	s_or_saveexec_b64 s[6:7], s[6:7]
	v_mov_b32_e32 v4, s10
	s_xor_b64 exec, exec, s[6:7]
	s_cbranch_execz .LBB1_1006
.LBB1_3056:
	v_mov_b32_e32 v4, 0
	v_cmp_ne_u16_sdwa s[8:9], v3, v4 src0_sel:BYTE_0 src1_sel:DWORD
	s_andn2_b64 s[4:5], s[4:5], exec
	s_and_b64 s[8:9], s[8:9], exec
	s_or_b64 s[4:5], s[4:5], s[8:9]
	s_or_b64 exec, exec, s[6:7]
	s_and_saveexec_b64 s[6:7], s[4:5]
	s_cbranch_execnz .LBB1_1007
	s_branch .LBB1_1008
.LBB1_3057:
	s_movk_i32 s4, 0x80
	v_cmp_eq_u16_e32 vcc, s4, v3
	s_mov_b64 s[4:5], -1
                                        ; implicit-def: $sgpr10
	s_and_saveexec_b64 s[8:9], vcc
; %bb.3058:
	s_mov_b32 s10, 0x7f800001
	s_xor_b64 s[4:5], exec, -1
; %bb.3059:
	s_or_b64 exec, exec, s[8:9]
	s_and_b64 s[4:5], s[4:5], exec
                                        ; implicit-def: $vgpr3
	s_or_saveexec_b64 s[6:7], s[6:7]
	v_mov_b32_e32 v2, s10
	s_xor_b64 exec, exec, s[6:7]
	s_cbranch_execz .LBB1_1010
.LBB1_3060:
	v_cmp_ne_u16_e32 vcc, 0, v3
	s_andn2_b64 s[4:5], s[4:5], exec
	s_and_b64 s[8:9], vcc, exec
	v_mov_b32_e32 v2, 0
	s_or_b64 s[4:5], s[4:5], s[8:9]
	s_or_b64 exec, exec, s[6:7]
	s_and_saveexec_b64 s[6:7], s[4:5]
	s_cbranch_execnz .LBB1_1011
	s_branch .LBB1_1012
.LBB1_3061:
	s_movk_i32 s4, 0x80
	v_cmp_eq_u16_e32 vcc, s4, v3
	s_mov_b64 s[4:5], -1
                                        ; implicit-def: $sgpr10
	s_and_saveexec_b64 s[8:9], vcc
; %bb.3062:
	s_mov_b32 s10, 0x7f800001
	s_xor_b64 s[4:5], exec, -1
; %bb.3063:
	s_or_b64 exec, exec, s[8:9]
	s_and_b64 s[4:5], s[4:5], exec
                                        ; implicit-def: $vgpr3
	s_or_saveexec_b64 s[6:7], s[6:7]
	v_mov_b32_e32 v4, s10
	s_xor_b64 exec, exec, s[6:7]
	s_cbranch_execz .LBB1_1014
.LBB1_3064:
	v_cmp_ne_u16_e32 vcc, 0, v3
	s_andn2_b64 s[4:5], s[4:5], exec
	s_and_b64 s[8:9], vcc, exec
	v_mov_b32_e32 v4, 0
	s_or_b64 s[4:5], s[4:5], s[8:9]
	s_or_b64 exec, exec, s[6:7]
	s_and_saveexec_b64 s[6:7], s[4:5]
	s_cbranch_execnz .LBB1_1015
	s_branch .LBB1_1016
.LBB1_3065:
	s_movk_i32 s4, 0x80
	v_cmp_eq_u16_sdwa s[12:13], v9, s4 src0_sel:BYTE_3 src1_sel:DWORD
	s_mov_b64 s[4:5], -1
                                        ; implicit-def: $sgpr10
	s_and_saveexec_b64 s[8:9], s[12:13]
; %bb.3066:
	s_mov_b32 s10, 0x7f800001
	s_xor_b64 s[4:5], exec, -1
; %bb.3067:
	s_or_b64 exec, exec, s[8:9]
	s_and_b64 s[4:5], s[4:5], exec
	s_or_saveexec_b64 s[6:7], s[6:7]
	v_mov_b32_e32 v2, s10
	s_xor_b64 exec, exec, s[6:7]
	s_cbranch_execz .LBB1_1018
.LBB1_3068:
	v_mov_b32_e32 v2, 0
	v_cmp_ne_u16_sdwa s[8:9], v9, v2 src0_sel:BYTE_3 src1_sel:DWORD
	s_andn2_b64 s[4:5], s[4:5], exec
	s_and_b64 s[8:9], s[8:9], exec
	s_or_b64 s[4:5], s[4:5], s[8:9]
	s_or_b64 exec, exec, s[6:7]
	s_and_saveexec_b64 s[6:7], s[4:5]
	s_cbranch_execnz .LBB1_1019
	s_branch .LBB1_1020
.LBB1_3069:
	s_movk_i32 s4, 0x80
	v_cmp_eq_u16_sdwa s[12:13], v5, s4 src0_sel:BYTE_3 src1_sel:DWORD
	s_mov_b64 s[4:5], -1
                                        ; implicit-def: $sgpr10
	s_and_saveexec_b64 s[8:9], s[12:13]
; %bb.3070:
	s_mov_b32 s10, 0x7f800001
	s_xor_b64 s[4:5], exec, -1
; %bb.3071:
	s_or_b64 exec, exec, s[8:9]
	s_and_b64 s[4:5], s[4:5], exec
	s_or_saveexec_b64 s[6:7], s[6:7]
	v_mov_b32_e32 v3, s10
	s_xor_b64 exec, exec, s[6:7]
	s_cbranch_execz .LBB1_1022
.LBB1_3072:
	v_mov_b32_e32 v3, 0
	v_cmp_ne_u16_sdwa s[8:9], v5, v3 src0_sel:BYTE_3 src1_sel:DWORD
	s_andn2_b64 s[4:5], s[4:5], exec
	s_and_b64 s[8:9], s[8:9], exec
	s_or_b64 s[4:5], s[4:5], s[8:9]
	s_or_b64 exec, exec, s[6:7]
	s_and_saveexec_b64 s[6:7], s[4:5]
	s_cbranch_execnz .LBB1_1023
	s_branch .LBB1_1024
.LBB1_3073:
	s_movk_i32 s4, 0x80
	v_cmp_eq_u16_sdwa s[12:13], v6, s4 src0_sel:BYTE_0 src1_sel:DWORD
	s_mov_b64 s[4:5], -1
                                        ; implicit-def: $sgpr10
	s_and_saveexec_b64 s[8:9], s[12:13]
; %bb.3074:
	s_mov_b32 s10, 0x7f800001
	s_xor_b64 s[4:5], exec, -1
; %bb.3075:
	s_or_b64 exec, exec, s[8:9]
	s_and_b64 s[4:5], s[4:5], exec
	s_or_saveexec_b64 s[6:7], s[6:7]
	v_mov_b32_e32 v12, s10
	s_xor_b64 exec, exec, s[6:7]
	s_cbranch_execz .LBB1_1026
.LBB1_3076:
	v_mov_b32_e32 v12, 0
	v_cmp_ne_u16_sdwa s[8:9], v6, v12 src0_sel:BYTE_0 src1_sel:DWORD
	s_andn2_b64 s[4:5], s[4:5], exec
	s_and_b64 s[8:9], s[8:9], exec
	s_or_b64 s[4:5], s[4:5], s[8:9]
	s_or_b64 exec, exec, s[6:7]
	s_and_saveexec_b64 s[6:7], s[4:5]
	s_cbranch_execnz .LBB1_1027
	s_branch .LBB1_1028
.LBB1_3077:
	s_movk_i32 s4, 0x80
	v_cmp_eq_u16_sdwa s[12:13], v2, s4 src0_sel:BYTE_0 src1_sel:DWORD
	s_mov_b64 s[4:5], -1
                                        ; implicit-def: $sgpr10
	s_and_saveexec_b64 s[8:9], s[12:13]
; %bb.3078:
	s_mov_b32 s10, 0x7f800001
	s_xor_b64 s[4:5], exec, -1
; %bb.3079:
	s_or_b64 exec, exec, s[8:9]
	s_and_b64 s[4:5], s[4:5], exec
	s_or_saveexec_b64 s[6:7], s[6:7]
	v_mov_b32_e32 v13, s10
	s_xor_b64 exec, exec, s[6:7]
	s_cbranch_execz .LBB1_1030
.LBB1_3080:
	v_mov_b32_e32 v13, 0
	v_cmp_ne_u16_sdwa s[8:9], v2, v13 src0_sel:BYTE_0 src1_sel:DWORD
	s_andn2_b64 s[4:5], s[4:5], exec
	s_and_b64 s[8:9], s[8:9], exec
	s_or_b64 s[4:5], s[4:5], s[8:9]
	s_or_b64 exec, exec, s[6:7]
	s_and_saveexec_b64 s[6:7], s[4:5]
	s_cbranch_execnz .LBB1_1031
	s_branch .LBB1_1032
.LBB1_3081:
	s_movk_i32 s4, 0x80
	v_cmp_eq_u16_sdwa s[12:13], v13, s4 src0_sel:BYTE_0 src1_sel:DWORD
	s_mov_b64 s[4:5], -1
                                        ; implicit-def: $sgpr10
	s_and_saveexec_b64 s[8:9], s[12:13]
; %bb.3082:
	s_mov_b32 s10, 0x7f800001
	s_xor_b64 s[4:5], exec, -1
; %bb.3083:
	s_or_b64 exec, exec, s[8:9]
	s_and_b64 s[4:5], s[4:5], exec
	s_or_saveexec_b64 s[6:7], s[6:7]
	v_mov_b32_e32 v12, s10
	s_xor_b64 exec, exec, s[6:7]
	s_cbranch_execz .LBB1_1034
.LBB1_3084:
	v_mov_b32_e32 v12, 0
	v_cmp_ne_u16_sdwa s[8:9], v13, v12 src0_sel:BYTE_0 src1_sel:DWORD
	s_andn2_b64 s[4:5], s[4:5], exec
	s_and_b64 s[8:9], s[8:9], exec
	s_or_b64 s[4:5], s[4:5], s[8:9]
	s_or_b64 exec, exec, s[6:7]
	s_and_saveexec_b64 s[6:7], s[4:5]
	s_cbranch_execnz .LBB1_1035
	s_branch .LBB1_1036
.LBB1_3085:
	s_movk_i32 s4, 0x80
	v_cmp_eq_u16_sdwa s[12:13], v13, s4 src0_sel:BYTE_0 src1_sel:DWORD
	s_mov_b64 s[4:5], -1
                                        ; implicit-def: $sgpr10
	s_and_saveexec_b64 s[8:9], s[12:13]
; %bb.3086:
	s_mov_b32 s10, 0x7f800001
	s_xor_b64 s[4:5], exec, -1
; %bb.3087:
	s_or_b64 exec, exec, s[8:9]
	s_and_b64 s[4:5], s[4:5], exec
	s_or_saveexec_b64 s[6:7], s[6:7]
	v_mov_b32_e32 v14, s10
	s_xor_b64 exec, exec, s[6:7]
	s_cbranch_execz .LBB1_1038
.LBB1_3088:
	v_mov_b32_e32 v14, 0
	v_cmp_ne_u16_sdwa s[8:9], v13, v14 src0_sel:BYTE_0 src1_sel:DWORD
	s_andn2_b64 s[4:5], s[4:5], exec
	s_and_b64 s[8:9], s[8:9], exec
	s_or_b64 s[4:5], s[4:5], s[8:9]
	s_or_b64 exec, exec, s[6:7]
	s_and_saveexec_b64 s[6:7], s[4:5]
	s_cbranch_execnz .LBB1_1039
	s_branch .LBB1_1040
.LBB1_3089:
	s_movk_i32 s4, 0x80
	v_cmp_eq_u16_e32 vcc, s4, v13
	s_mov_b64 s[4:5], -1
                                        ; implicit-def: $sgpr10
	s_and_saveexec_b64 s[8:9], vcc
; %bb.3090:
	s_mov_b32 s10, 0x7f800001
	s_xor_b64 s[4:5], exec, -1
; %bb.3091:
	s_or_b64 exec, exec, s[8:9]
	s_and_b64 s[4:5], s[4:5], exec
                                        ; implicit-def: $vgpr13
	s_or_saveexec_b64 s[6:7], s[6:7]
	v_mov_b32_e32 v12, s10
	s_xor_b64 exec, exec, s[6:7]
	s_cbranch_execz .LBB1_1042
.LBB1_3092:
	v_cmp_ne_u16_e32 vcc, 0, v13
	s_andn2_b64 s[4:5], s[4:5], exec
	s_and_b64 s[8:9], vcc, exec
	v_mov_b32_e32 v12, 0
	s_or_b64 s[4:5], s[4:5], s[8:9]
	s_or_b64 exec, exec, s[6:7]
	s_and_saveexec_b64 s[6:7], s[4:5]
	s_cbranch_execnz .LBB1_1043
	s_branch .LBB1_1044
.LBB1_3093:
	s_movk_i32 s4, 0x80
	v_cmp_eq_u16_e32 vcc, s4, v13
	s_mov_b64 s[4:5], -1
                                        ; implicit-def: $sgpr10
	s_and_saveexec_b64 s[8:9], vcc
; %bb.3094:
	s_mov_b32 s10, 0x7f800001
	s_xor_b64 s[4:5], exec, -1
; %bb.3095:
	s_or_b64 exec, exec, s[8:9]
	s_and_b64 s[4:5], s[4:5], exec
                                        ; implicit-def: $vgpr13
	s_or_saveexec_b64 s[6:7], s[6:7]
	v_mov_b32_e32 v14, s10
	s_xor_b64 exec, exec, s[6:7]
	s_cbranch_execz .LBB1_1046
.LBB1_3096:
	v_cmp_ne_u16_e32 vcc, 0, v13
	s_andn2_b64 s[4:5], s[4:5], exec
	s_and_b64 s[8:9], vcc, exec
	v_mov_b32_e32 v14, 0
	s_or_b64 s[4:5], s[4:5], s[8:9]
	s_or_b64 exec, exec, s[6:7]
	s_and_saveexec_b64 s[6:7], s[4:5]
	s_cbranch_execnz .LBB1_1047
	s_branch .LBB1_1048
.LBB1_3097:
	s_movk_i32 s4, 0x80
	v_cmp_eq_u16_sdwa s[12:13], v6, s4 src0_sel:BYTE_3 src1_sel:DWORD
	s_mov_b64 s[4:5], -1
                                        ; implicit-def: $sgpr10
	s_and_saveexec_b64 s[8:9], s[12:13]
; %bb.3098:
	s_mov_b32 s10, 0x7f800001
	s_xor_b64 s[4:5], exec, -1
; %bb.3099:
	s_or_b64 exec, exec, s[8:9]
	s_and_b64 s[4:5], s[4:5], exec
	s_or_saveexec_b64 s[6:7], s[6:7]
	v_mov_b32_e32 v12, s10
	s_xor_b64 exec, exec, s[6:7]
	s_cbranch_execz .LBB1_1050
.LBB1_3100:
	v_mov_b32_e32 v12, 0
	v_cmp_ne_u16_sdwa s[8:9], v6, v12 src0_sel:BYTE_3 src1_sel:DWORD
	s_andn2_b64 s[4:5], s[4:5], exec
	s_and_b64 s[8:9], s[8:9], exec
	s_or_b64 s[4:5], s[4:5], s[8:9]
	s_or_b64 exec, exec, s[6:7]
	s_and_saveexec_b64 s[6:7], s[4:5]
	s_cbranch_execnz .LBB1_1051
	s_branch .LBB1_1052
.LBB1_3101:
	s_movk_i32 s4, 0x80
	v_cmp_eq_u16_sdwa s[12:13], v2, s4 src0_sel:BYTE_3 src1_sel:DWORD
	s_mov_b64 s[4:5], -1
                                        ; implicit-def: $sgpr10
	s_and_saveexec_b64 s[8:9], s[12:13]
; %bb.3102:
	s_mov_b32 s10, 0x7f800001
	s_xor_b64 s[4:5], exec, -1
; %bb.3103:
	s_or_b64 exec, exec, s[8:9]
	s_and_b64 s[4:5], s[4:5], exec
	s_or_saveexec_b64 s[6:7], s[6:7]
	v_mov_b32_e32 v6, s10
	s_xor_b64 exec, exec, s[6:7]
	s_cbranch_execz .LBB1_1054
.LBB1_3104:
	v_mov_b32_e32 v6, 0
	v_cmp_ne_u16_sdwa s[8:9], v2, v6 src0_sel:BYTE_3 src1_sel:DWORD
	s_andn2_b64 s[4:5], s[4:5], exec
	s_and_b64 s[8:9], s[8:9], exec
	s_or_b64 s[4:5], s[4:5], s[8:9]
	s_or_b64 exec, exec, s[6:7]
	s_and_saveexec_b64 s[6:7], s[4:5]
	s_cbranch_execnz .LBB1_1055
	s_branch .LBB1_1056
.LBB1_3105:
	s_movk_i32 s4, 0x80
	v_cmp_eq_u16_sdwa s[12:13], v7, s4 src0_sel:BYTE_0 src1_sel:DWORD
	s_mov_b64 s[4:5], -1
                                        ; implicit-def: $sgpr10
	s_and_saveexec_b64 s[8:9], s[12:13]
; %bb.3106:
	s_mov_b32 s10, 0x7f800001
	s_xor_b64 s[4:5], exec, -1
; %bb.3107:
	s_or_b64 exec, exec, s[8:9]
	s_and_b64 s[4:5], s[4:5], exec
	s_or_saveexec_b64 s[6:7], s[6:7]
	v_mov_b32_e32 v2, s10
	s_xor_b64 exec, exec, s[6:7]
	s_cbranch_execz .LBB1_1058
.LBB1_3108:
	v_mov_b32_e32 v2, 0
	v_cmp_ne_u16_sdwa s[8:9], v7, v2 src0_sel:BYTE_0 src1_sel:DWORD
	s_andn2_b64 s[4:5], s[4:5], exec
	s_and_b64 s[8:9], s[8:9], exec
	s_or_b64 s[4:5], s[4:5], s[8:9]
	s_or_b64 exec, exec, s[6:7]
	s_and_saveexec_b64 s[6:7], s[4:5]
	s_cbranch_execnz .LBB1_1059
	s_branch .LBB1_1060
.LBB1_3109:
	s_movk_i32 s4, 0x80
	v_cmp_eq_u16_sdwa s[12:13], v3, s4 src0_sel:BYTE_0 src1_sel:DWORD
	s_mov_b64 s[4:5], -1
                                        ; implicit-def: $sgpr10
	s_and_saveexec_b64 s[8:9], s[12:13]
; %bb.3110:
	s_mov_b32 s10, 0x7f800001
	s_xor_b64 s[4:5], exec, -1
; %bb.3111:
	s_or_b64 exec, exec, s[8:9]
	s_and_b64 s[4:5], s[4:5], exec
	s_or_saveexec_b64 s[6:7], s[6:7]
	v_mov_b32_e32 v6, s10
	s_xor_b64 exec, exec, s[6:7]
	s_cbranch_execz .LBB1_1062
.LBB1_3112:
	v_mov_b32_e32 v6, 0
	v_cmp_ne_u16_sdwa s[8:9], v3, v6 src0_sel:BYTE_0 src1_sel:DWORD
	s_andn2_b64 s[4:5], s[4:5], exec
	s_and_b64 s[8:9], s[8:9], exec
	s_or_b64 s[4:5], s[4:5], s[8:9]
	s_or_b64 exec, exec, s[6:7]
	s_and_saveexec_b64 s[6:7], s[4:5]
	s_cbranch_execnz .LBB1_1063
	s_branch .LBB1_1064
.LBB1_3113:
	s_movk_i32 s4, 0x80
	v_cmp_eq_u16_sdwa s[12:13], v6, s4 src0_sel:BYTE_0 src1_sel:DWORD
	s_mov_b64 s[4:5], -1
                                        ; implicit-def: $sgpr10
	s_and_saveexec_b64 s[8:9], s[12:13]
; %bb.3114:
	s_mov_b32 s10, 0x7f800001
	s_xor_b64 s[4:5], exec, -1
; %bb.3115:
	s_or_b64 exec, exec, s[8:9]
	s_and_b64 s[4:5], s[4:5], exec
	s_or_saveexec_b64 s[6:7], s[6:7]
	v_mov_b32_e32 v2, s10
	s_xor_b64 exec, exec, s[6:7]
	s_cbranch_execz .LBB1_1066
.LBB1_3116:
	v_mov_b32_e32 v2, 0
	v_cmp_ne_u16_sdwa s[8:9], v6, v2 src0_sel:BYTE_0 src1_sel:DWORD
	s_andn2_b64 s[4:5], s[4:5], exec
	s_and_b64 s[8:9], s[8:9], exec
	s_or_b64 s[4:5], s[4:5], s[8:9]
	s_or_b64 exec, exec, s[6:7]
	s_and_saveexec_b64 s[6:7], s[4:5]
	s_cbranch_execnz .LBB1_1067
	s_branch .LBB1_1068
.LBB1_3117:
	s_movk_i32 s4, 0x80
	v_cmp_eq_u16_sdwa s[12:13], v6, s4 src0_sel:BYTE_0 src1_sel:DWORD
	s_mov_b64 s[4:5], -1
                                        ; implicit-def: $sgpr10
	s_and_saveexec_b64 s[8:9], s[12:13]
; %bb.3118:
	s_mov_b32 s10, 0x7f800001
	s_xor_b64 s[4:5], exec, -1
; %bb.3119:
	s_or_b64 exec, exec, s[8:9]
	s_and_b64 s[4:5], s[4:5], exec
	s_or_saveexec_b64 s[6:7], s[6:7]
	v_mov_b32_e32 v12, s10
	s_xor_b64 exec, exec, s[6:7]
	s_cbranch_execz .LBB1_1070
.LBB1_3120:
	v_mov_b32_e32 v12, 0
	v_cmp_ne_u16_sdwa s[8:9], v6, v12 src0_sel:BYTE_0 src1_sel:DWORD
	s_andn2_b64 s[4:5], s[4:5], exec
	s_and_b64 s[8:9], s[8:9], exec
	s_or_b64 s[4:5], s[4:5], s[8:9]
	s_or_b64 exec, exec, s[6:7]
	s_and_saveexec_b64 s[6:7], s[4:5]
	s_cbranch_execnz .LBB1_1071
	s_branch .LBB1_1072
.LBB1_3121:
	s_movk_i32 s4, 0x80
	v_cmp_eq_u16_e32 vcc, s4, v6
	s_mov_b64 s[4:5], -1
                                        ; implicit-def: $sgpr10
	s_and_saveexec_b64 s[8:9], vcc
; %bb.3122:
	s_mov_b32 s10, 0x7f800001
	s_xor_b64 s[4:5], exec, -1
; %bb.3123:
	s_or_b64 exec, exec, s[8:9]
	s_and_b64 s[4:5], s[4:5], exec
                                        ; implicit-def: $vgpr6
	s_or_saveexec_b64 s[6:7], s[6:7]
	v_mov_b32_e32 v2, s10
	s_xor_b64 exec, exec, s[6:7]
	s_cbranch_execz .LBB1_1074
.LBB1_3124:
	v_cmp_ne_u16_e32 vcc, 0, v6
	s_andn2_b64 s[4:5], s[4:5], exec
	s_and_b64 s[8:9], vcc, exec
	v_mov_b32_e32 v2, 0
	s_or_b64 s[4:5], s[4:5], s[8:9]
	s_or_b64 exec, exec, s[6:7]
	s_and_saveexec_b64 s[6:7], s[4:5]
	s_cbranch_execnz .LBB1_1075
	s_branch .LBB1_1076
.LBB1_3125:
	s_movk_i32 s4, 0x80
	v_cmp_eq_u16_e32 vcc, s4, v6
	s_mov_b64 s[4:5], -1
                                        ; implicit-def: $sgpr10
	s_and_saveexec_b64 s[8:9], vcc
; %bb.3126:
	s_mov_b32 s10, 0x7f800001
	s_xor_b64 s[4:5], exec, -1
; %bb.3127:
	s_or_b64 exec, exec, s[8:9]
	s_and_b64 s[4:5], s[4:5], exec
                                        ; implicit-def: $vgpr6
	s_or_saveexec_b64 s[6:7], s[6:7]
	v_mov_b32_e32 v12, s10
	s_xor_b64 exec, exec, s[6:7]
	s_cbranch_execz .LBB1_1078
.LBB1_3128:
	v_cmp_ne_u16_e32 vcc, 0, v6
	s_andn2_b64 s[4:5], s[4:5], exec
	s_and_b64 s[8:9], vcc, exec
	v_mov_b32_e32 v12, 0
	s_or_b64 s[4:5], s[4:5], s[8:9]
	s_or_b64 exec, exec, s[6:7]
	s_and_saveexec_b64 s[6:7], s[4:5]
	s_cbranch_execnz .LBB1_1079
	s_branch .LBB1_1080
.LBB1_3129:
	s_movk_i32 s4, 0x80
	v_cmp_eq_u16_sdwa s[12:13], v7, s4 src0_sel:BYTE_3 src1_sel:DWORD
	s_mov_b64 s[4:5], -1
                                        ; implicit-def: $sgpr10
	s_and_saveexec_b64 s[8:9], s[12:13]
; %bb.3130:
	s_mov_b32 s10, 0x7f800001
	s_xor_b64 s[4:5], exec, -1
; %bb.3131:
	s_or_b64 exec, exec, s[8:9]
	s_and_b64 s[4:5], s[4:5], exec
	s_or_saveexec_b64 s[6:7], s[6:7]
	v_mov_b32_e32 v2, s10
	s_xor_b64 exec, exec, s[6:7]
	s_cbranch_execz .LBB1_1082
.LBB1_3132:
	v_mov_b32_e32 v2, 0
	v_cmp_ne_u16_sdwa s[8:9], v7, v2 src0_sel:BYTE_3 src1_sel:DWORD
	s_andn2_b64 s[4:5], s[4:5], exec
	s_and_b64 s[8:9], s[8:9], exec
	s_or_b64 s[4:5], s[4:5], s[8:9]
	s_or_b64 exec, exec, s[6:7]
	s_and_saveexec_b64 s[6:7], s[4:5]
	s_cbranch_execnz .LBB1_1083
	s_branch .LBB1_1084
.LBB1_3133:
	s_movk_i32 s4, 0x80
	v_cmp_eq_u16_sdwa s[12:13], v3, s4 src0_sel:BYTE_3 src1_sel:DWORD
	s_mov_b64 s[4:5], -1
                                        ; implicit-def: $sgpr10
	s_and_saveexec_b64 s[8:9], s[12:13]
; %bb.3134:
	s_mov_b32 s10, 0x7f800001
	s_xor_b64 s[4:5], exec, -1
; %bb.3135:
	s_or_b64 exec, exec, s[8:9]
	s_and_b64 s[4:5], s[4:5], exec
	s_or_saveexec_b64 s[6:7], s[6:7]
	v_mov_b32_e32 v6, s10
	s_xor_b64 exec, exec, s[6:7]
	s_cbranch_execz .LBB1_1086
.LBB1_3136:
	v_mov_b32_e32 v6, 0
	v_cmp_ne_u16_sdwa s[8:9], v3, v6 src0_sel:BYTE_3 src1_sel:DWORD
	s_andn2_b64 s[4:5], s[4:5], exec
	s_and_b64 s[8:9], s[8:9], exec
	s_or_b64 s[4:5], s[4:5], s[8:9]
	s_or_b64 exec, exec, s[6:7]
	s_and_saveexec_b64 s[6:7], s[4:5]
	s_cbranch_execnz .LBB1_1087
	s_branch .LBB1_1088
.LBB1_3137:
	s_movk_i32 s4, 0x80
	v_cmp_eq_u16_sdwa s[12:13], v8, s4 src0_sel:BYTE_0 src1_sel:DWORD
	s_mov_b64 s[4:5], -1
                                        ; implicit-def: $sgpr10
	s_and_saveexec_b64 s[8:9], s[12:13]
; %bb.3138:
	s_mov_b32 s10, 0x7f800001
	s_xor_b64 s[4:5], exec, -1
; %bb.3139:
	s_or_b64 exec, exec, s[8:9]
	s_and_b64 s[4:5], s[4:5], exec
	s_or_saveexec_b64 s[6:7], s[6:7]
	v_mov_b32_e32 v2, s10
	s_xor_b64 exec, exec, s[6:7]
	s_cbranch_execz .LBB1_1090
.LBB1_3140:
	v_mov_b32_e32 v2, 0
	v_cmp_ne_u16_sdwa s[8:9], v8, v2 src0_sel:BYTE_0 src1_sel:DWORD
	s_andn2_b64 s[4:5], s[4:5], exec
	s_and_b64 s[8:9], s[8:9], exec
	s_or_b64 s[4:5], s[4:5], s[8:9]
	s_or_b64 exec, exec, s[6:7]
	s_and_saveexec_b64 s[6:7], s[4:5]
	s_cbranch_execnz .LBB1_1091
	s_branch .LBB1_1092
.LBB1_3141:
	s_movk_i32 s4, 0x80
	v_cmp_eq_u16_sdwa s[12:13], v4, s4 src0_sel:BYTE_0 src1_sel:DWORD
	s_mov_b64 s[4:5], -1
                                        ; implicit-def: $sgpr10
	s_and_saveexec_b64 s[8:9], s[12:13]
; %bb.3142:
	s_mov_b32 s10, 0x7f800001
	s_xor_b64 s[4:5], exec, -1
; %bb.3143:
	s_or_b64 exec, exec, s[8:9]
	s_and_b64 s[4:5], s[4:5], exec
	s_or_saveexec_b64 s[6:7], s[6:7]
	v_mov_b32_e32 v3, s10
	s_xor_b64 exec, exec, s[6:7]
	s_cbranch_execz .LBB1_1094
.LBB1_3144:
	v_mov_b32_e32 v3, 0
	v_cmp_ne_u16_sdwa s[8:9], v4, v3 src0_sel:BYTE_0 src1_sel:DWORD
	s_andn2_b64 s[4:5], s[4:5], exec
	s_and_b64 s[8:9], s[8:9], exec
	s_or_b64 s[4:5], s[4:5], s[8:9]
	s_or_b64 exec, exec, s[6:7]
	s_and_saveexec_b64 s[6:7], s[4:5]
	s_cbranch_execnz .LBB1_1095
	s_branch .LBB1_1096
.LBB1_3145:
	s_movk_i32 s4, 0x80
	v_cmp_eq_u16_sdwa s[12:13], v3, s4 src0_sel:BYTE_0 src1_sel:DWORD
	s_mov_b64 s[4:5], -1
                                        ; implicit-def: $sgpr10
	s_and_saveexec_b64 s[8:9], s[12:13]
; %bb.3146:
	s_mov_b32 s10, 0x7f800001
	s_xor_b64 s[4:5], exec, -1
; %bb.3147:
	s_or_b64 exec, exec, s[8:9]
	s_and_b64 s[4:5], s[4:5], exec
	s_or_saveexec_b64 s[6:7], s[6:7]
	v_mov_b32_e32 v2, s10
	s_xor_b64 exec, exec, s[6:7]
	s_cbranch_execz .LBB1_1098
.LBB1_3148:
	v_mov_b32_e32 v2, 0
	v_cmp_ne_u16_sdwa s[8:9], v3, v2 src0_sel:BYTE_0 src1_sel:DWORD
	s_andn2_b64 s[4:5], s[4:5], exec
	s_and_b64 s[8:9], s[8:9], exec
	s_or_b64 s[4:5], s[4:5], s[8:9]
	s_or_b64 exec, exec, s[6:7]
	s_and_saveexec_b64 s[6:7], s[4:5]
	s_cbranch_execnz .LBB1_1099
	s_branch .LBB1_1100
.LBB1_3149:
	s_movk_i32 s4, 0x80
	v_cmp_eq_u16_sdwa s[12:13], v3, s4 src0_sel:BYTE_0 src1_sel:DWORD
	s_mov_b64 s[4:5], -1
                                        ; implicit-def: $sgpr10
	s_and_saveexec_b64 s[8:9], s[12:13]
; %bb.3150:
	s_mov_b32 s10, 0x7f800001
	s_xor_b64 s[4:5], exec, -1
; %bb.3151:
	s_or_b64 exec, exec, s[8:9]
	s_and_b64 s[4:5], s[4:5], exec
	s_or_saveexec_b64 s[6:7], s[6:7]
	v_mov_b32_e32 v6, s10
	s_xor_b64 exec, exec, s[6:7]
	s_cbranch_execz .LBB1_1102
.LBB1_3152:
	v_mov_b32_e32 v6, 0
	v_cmp_ne_u16_sdwa s[8:9], v3, v6 src0_sel:BYTE_0 src1_sel:DWORD
	s_andn2_b64 s[4:5], s[4:5], exec
	s_and_b64 s[8:9], s[8:9], exec
	s_or_b64 s[4:5], s[4:5], s[8:9]
	s_or_b64 exec, exec, s[6:7]
	s_and_saveexec_b64 s[6:7], s[4:5]
	s_cbranch_execnz .LBB1_1103
	s_branch .LBB1_1104
.LBB1_3153:
	s_movk_i32 s4, 0x80
	v_cmp_eq_u16_e32 vcc, s4, v3
	s_mov_b64 s[4:5], -1
                                        ; implicit-def: $sgpr10
	s_and_saveexec_b64 s[8:9], vcc
; %bb.3154:
	s_mov_b32 s10, 0x7f800001
	s_xor_b64 s[4:5], exec, -1
; %bb.3155:
	s_or_b64 exec, exec, s[8:9]
	s_and_b64 s[4:5], s[4:5], exec
                                        ; implicit-def: $vgpr3
	s_or_saveexec_b64 s[6:7], s[6:7]
	v_mov_b32_e32 v2, s10
	s_xor_b64 exec, exec, s[6:7]
	s_cbranch_execz .LBB1_1106
.LBB1_3156:
	v_cmp_ne_u16_e32 vcc, 0, v3
	s_andn2_b64 s[4:5], s[4:5], exec
	s_and_b64 s[8:9], vcc, exec
	v_mov_b32_e32 v2, 0
	s_or_b64 s[4:5], s[4:5], s[8:9]
	s_or_b64 exec, exec, s[6:7]
	s_and_saveexec_b64 s[6:7], s[4:5]
	s_cbranch_execnz .LBB1_1107
	s_branch .LBB1_1108
.LBB1_3157:
	s_movk_i32 s4, 0x80
	v_cmp_eq_u16_e32 vcc, s4, v3
	s_mov_b64 s[4:5], -1
                                        ; implicit-def: $sgpr10
	s_and_saveexec_b64 s[8:9], vcc
; %bb.3158:
	s_mov_b32 s10, 0x7f800001
	s_xor_b64 s[4:5], exec, -1
; %bb.3159:
	s_or_b64 exec, exec, s[8:9]
	s_and_b64 s[4:5], s[4:5], exec
                                        ; implicit-def: $vgpr3
	s_or_saveexec_b64 s[6:7], s[6:7]
	v_mov_b32_e32 v6, s10
	s_xor_b64 exec, exec, s[6:7]
	s_cbranch_execz .LBB1_1110
.LBB1_3160:
	v_cmp_ne_u16_e32 vcc, 0, v3
	s_andn2_b64 s[4:5], s[4:5], exec
	s_and_b64 s[8:9], vcc, exec
	v_mov_b32_e32 v6, 0
	s_or_b64 s[4:5], s[4:5], s[8:9]
	s_or_b64 exec, exec, s[6:7]
	s_and_saveexec_b64 s[6:7], s[4:5]
	s_cbranch_execnz .LBB1_1111
	s_branch .LBB1_1112
.LBB1_3161:
	s_movk_i32 s4, 0x80
	v_cmp_eq_u16_sdwa s[12:13], v8, s4 src0_sel:BYTE_3 src1_sel:DWORD
	s_mov_b64 s[4:5], -1
                                        ; implicit-def: $sgpr10
	s_and_saveexec_b64 s[8:9], s[12:13]
; %bb.3162:
	s_mov_b32 s10, 0x7f800001
	s_xor_b64 s[4:5], exec, -1
; %bb.3163:
	s_or_b64 exec, exec, s[8:9]
	s_and_b64 s[4:5], s[4:5], exec
	s_or_saveexec_b64 s[6:7], s[6:7]
	v_mov_b32_e32 v2, s10
	s_xor_b64 exec, exec, s[6:7]
	s_cbranch_execz .LBB1_1114
.LBB1_3164:
	v_mov_b32_e32 v2, 0
	v_cmp_ne_u16_sdwa s[8:9], v8, v2 src0_sel:BYTE_3 src1_sel:DWORD
	s_andn2_b64 s[4:5], s[4:5], exec
	s_and_b64 s[8:9], s[8:9], exec
	s_or_b64 s[4:5], s[4:5], s[8:9]
	s_or_b64 exec, exec, s[6:7]
	s_and_saveexec_b64 s[6:7], s[4:5]
	s_cbranch_execnz .LBB1_1115
	s_branch .LBB1_1116
.LBB1_3165:
	s_movk_i32 s4, 0x80
	v_cmp_eq_u16_sdwa s[12:13], v4, s4 src0_sel:BYTE_3 src1_sel:DWORD
	s_mov_b64 s[4:5], -1
                                        ; implicit-def: $sgpr10
	s_and_saveexec_b64 s[8:9], s[12:13]
; %bb.3166:
	s_mov_b32 s10, 0x7f800001
	s_xor_b64 s[4:5], exec, -1
; %bb.3167:
	s_or_b64 exec, exec, s[8:9]
	s_and_b64 s[4:5], s[4:5], exec
	s_or_saveexec_b64 s[6:7], s[6:7]
	v_mov_b32_e32 v3, s10
	s_xor_b64 exec, exec, s[6:7]
	s_cbranch_execz .LBB1_1118
.LBB1_3168:
	v_mov_b32_e32 v3, 0
	v_cmp_ne_u16_sdwa s[8:9], v4, v3 src0_sel:BYTE_3 src1_sel:DWORD
	s_andn2_b64 s[4:5], s[4:5], exec
	s_and_b64 s[8:9], s[8:9], exec
	s_or_b64 s[4:5], s[4:5], s[8:9]
	s_or_b64 exec, exec, s[6:7]
	s_and_saveexec_b64 s[6:7], s[4:5]
	s_cbranch_execnz .LBB1_1119
	s_branch .LBB1_1120
.LBB1_3169:
	s_movk_i32 s4, 0x80
	v_cmp_eq_u16_sdwa s[12:13], v9, s4 src0_sel:BYTE_0 src1_sel:DWORD
	s_mov_b64 s[4:5], -1
                                        ; implicit-def: $sgpr10
	s_and_saveexec_b64 s[8:9], s[12:13]
; %bb.3170:
	s_mov_b32 s10, 0x7f800001
	s_xor_b64 s[4:5], exec, -1
; %bb.3171:
	s_or_b64 exec, exec, s[8:9]
	s_and_b64 s[4:5], s[4:5], exec
	s_or_saveexec_b64 s[6:7], s[6:7]
	v_mov_b32_e32 v2, s10
	s_xor_b64 exec, exec, s[6:7]
	s_cbranch_execz .LBB1_1122
.LBB1_3172:
	v_mov_b32_e32 v2, 0
	v_cmp_ne_u16_sdwa s[8:9], v9, v2 src0_sel:BYTE_0 src1_sel:DWORD
	s_andn2_b64 s[4:5], s[4:5], exec
	s_and_b64 s[8:9], s[8:9], exec
	s_or_b64 s[4:5], s[4:5], s[8:9]
	s_or_b64 exec, exec, s[6:7]
	s_and_saveexec_b64 s[6:7], s[4:5]
	s_cbranch_execnz .LBB1_1123
	s_branch .LBB1_1124
.LBB1_3173:
	s_movk_i32 s4, 0x80
	v_cmp_eq_u16_sdwa s[12:13], v5, s4 src0_sel:BYTE_0 src1_sel:DWORD
	s_mov_b64 s[4:5], -1
                                        ; implicit-def: $sgpr10
	s_and_saveexec_b64 s[8:9], s[12:13]
; %bb.3174:
	s_mov_b32 s10, 0x7f800001
	s_xor_b64 s[4:5], exec, -1
; %bb.3175:
	s_or_b64 exec, exec, s[8:9]
	s_and_b64 s[4:5], s[4:5], exec
	s_or_saveexec_b64 s[6:7], s[6:7]
	v_mov_b32_e32 v3, s10
	s_xor_b64 exec, exec, s[6:7]
	s_cbranch_execz .LBB1_1126
.LBB1_3176:
	v_mov_b32_e32 v3, 0
	v_cmp_ne_u16_sdwa s[8:9], v5, v3 src0_sel:BYTE_0 src1_sel:DWORD
	s_andn2_b64 s[4:5], s[4:5], exec
	s_and_b64 s[8:9], s[8:9], exec
	s_or_b64 s[4:5], s[4:5], s[8:9]
	s_or_b64 exec, exec, s[6:7]
	s_and_saveexec_b64 s[6:7], s[4:5]
	s_cbranch_execnz .LBB1_1127
	s_branch .LBB1_1128
.LBB1_3177:
	s_movk_i32 s4, 0x80
	v_cmp_eq_u16_sdwa s[12:13], v3, s4 src0_sel:BYTE_0 src1_sel:DWORD
	s_mov_b64 s[4:5], -1
                                        ; implicit-def: $sgpr10
	s_and_saveexec_b64 s[8:9], s[12:13]
; %bb.3178:
	s_mov_b32 s10, 0x7f800001
	s_xor_b64 s[4:5], exec, -1
; %bb.3179:
	s_or_b64 exec, exec, s[8:9]
	s_and_b64 s[4:5], s[4:5], exec
	s_or_saveexec_b64 s[6:7], s[6:7]
	v_mov_b32_e32 v2, s10
	s_xor_b64 exec, exec, s[6:7]
	s_cbranch_execz .LBB1_1130
.LBB1_3180:
	v_mov_b32_e32 v2, 0
	v_cmp_ne_u16_sdwa s[8:9], v3, v2 src0_sel:BYTE_0 src1_sel:DWORD
	s_andn2_b64 s[4:5], s[4:5], exec
	s_and_b64 s[8:9], s[8:9], exec
	s_or_b64 s[4:5], s[4:5], s[8:9]
	s_or_b64 exec, exec, s[6:7]
	s_and_saveexec_b64 s[6:7], s[4:5]
	s_cbranch_execnz .LBB1_1131
	s_branch .LBB1_1132
.LBB1_3181:
	s_movk_i32 s4, 0x80
	v_cmp_eq_u16_sdwa s[12:13], v3, s4 src0_sel:BYTE_0 src1_sel:DWORD
	s_mov_b64 s[4:5], -1
                                        ; implicit-def: $sgpr10
	s_and_saveexec_b64 s[8:9], s[12:13]
; %bb.3182:
	s_mov_b32 s10, 0x7f800001
	s_xor_b64 s[4:5], exec, -1
; %bb.3183:
	s_or_b64 exec, exec, s[8:9]
	s_and_b64 s[4:5], s[4:5], exec
	s_or_saveexec_b64 s[6:7], s[6:7]
	v_mov_b32_e32 v4, s10
	s_xor_b64 exec, exec, s[6:7]
	s_cbranch_execz .LBB1_1134
.LBB1_3184:
	v_mov_b32_e32 v4, 0
	v_cmp_ne_u16_sdwa s[8:9], v3, v4 src0_sel:BYTE_0 src1_sel:DWORD
	s_andn2_b64 s[4:5], s[4:5], exec
	s_and_b64 s[8:9], s[8:9], exec
	s_or_b64 s[4:5], s[4:5], s[8:9]
	s_or_b64 exec, exec, s[6:7]
	s_and_saveexec_b64 s[6:7], s[4:5]
	s_cbranch_execnz .LBB1_1135
	s_branch .LBB1_1136
.LBB1_3185:
	s_movk_i32 s4, 0x80
	v_cmp_eq_u16_e32 vcc, s4, v3
	s_mov_b64 s[4:5], -1
                                        ; implicit-def: $sgpr10
	s_and_saveexec_b64 s[8:9], vcc
; %bb.3186:
	s_mov_b32 s10, 0x7f800001
	s_xor_b64 s[4:5], exec, -1
; %bb.3187:
	s_or_b64 exec, exec, s[8:9]
	s_and_b64 s[4:5], s[4:5], exec
                                        ; implicit-def: $vgpr3
	s_or_saveexec_b64 s[6:7], s[6:7]
	v_mov_b32_e32 v2, s10
	s_xor_b64 exec, exec, s[6:7]
	s_cbranch_execz .LBB1_1138
.LBB1_3188:
	v_cmp_ne_u16_e32 vcc, 0, v3
	s_andn2_b64 s[4:5], s[4:5], exec
	s_and_b64 s[8:9], vcc, exec
	v_mov_b32_e32 v2, 0
	s_or_b64 s[4:5], s[4:5], s[8:9]
	s_or_b64 exec, exec, s[6:7]
	s_and_saveexec_b64 s[6:7], s[4:5]
	s_cbranch_execnz .LBB1_1139
	s_branch .LBB1_1140
.LBB1_3189:
	s_movk_i32 s4, 0x80
	v_cmp_eq_u16_e32 vcc, s4, v3
	s_mov_b64 s[4:5], -1
                                        ; implicit-def: $sgpr10
	s_and_saveexec_b64 s[8:9], vcc
; %bb.3190:
	s_mov_b32 s10, 0x7f800001
	s_xor_b64 s[4:5], exec, -1
; %bb.3191:
	s_or_b64 exec, exec, s[8:9]
	s_and_b64 s[4:5], s[4:5], exec
                                        ; implicit-def: $vgpr3
	s_or_saveexec_b64 s[6:7], s[6:7]
	v_mov_b32_e32 v4, s10
	s_xor_b64 exec, exec, s[6:7]
	s_cbranch_execz .LBB1_1142
.LBB1_3192:
	v_cmp_ne_u16_e32 vcc, 0, v3
	s_andn2_b64 s[4:5], s[4:5], exec
	s_and_b64 s[8:9], vcc, exec
	v_mov_b32_e32 v4, 0
	s_or_b64 s[4:5], s[4:5], s[8:9]
	s_or_b64 exec, exec, s[6:7]
	s_and_saveexec_b64 s[6:7], s[4:5]
	s_cbranch_execnz .LBB1_1143
	s_branch .LBB1_1144
.LBB1_3193:
	s_movk_i32 s4, 0x80
	v_cmp_eq_u16_sdwa s[12:13], v9, s4 src0_sel:BYTE_3 src1_sel:DWORD
	s_mov_b64 s[4:5], -1
                                        ; implicit-def: $sgpr10
	s_and_saveexec_b64 s[8:9], s[12:13]
; %bb.3194:
	s_mov_b32 s10, 0x7f800001
	s_xor_b64 s[4:5], exec, -1
; %bb.3195:
	s_or_b64 exec, exec, s[8:9]
	s_and_b64 s[4:5], s[4:5], exec
	s_or_saveexec_b64 s[6:7], s[6:7]
	v_mov_b32_e32 v2, s10
	s_xor_b64 exec, exec, s[6:7]
	s_cbranch_execz .LBB1_1146
.LBB1_3196:
	v_mov_b32_e32 v2, 0
	v_cmp_ne_u16_sdwa s[8:9], v9, v2 src0_sel:BYTE_3 src1_sel:DWORD
	s_andn2_b64 s[4:5], s[4:5], exec
	s_and_b64 s[8:9], s[8:9], exec
	s_or_b64 s[4:5], s[4:5], s[8:9]
	s_or_b64 exec, exec, s[6:7]
	s_and_saveexec_b64 s[6:7], s[4:5]
	s_cbranch_execnz .LBB1_1147
	s_branch .LBB1_1148
.LBB1_3197:
	s_movk_i32 s4, 0x80
	v_cmp_eq_u16_sdwa s[12:13], v5, s4 src0_sel:BYTE_3 src1_sel:DWORD
	s_mov_b64 s[4:5], -1
                                        ; implicit-def: $sgpr10
	s_and_saveexec_b64 s[8:9], s[12:13]
; %bb.3198:
	s_mov_b32 s10, 0x7f800001
	s_xor_b64 s[4:5], exec, -1
; %bb.3199:
	s_or_b64 exec, exec, s[8:9]
	s_and_b64 s[4:5], s[4:5], exec
	s_or_saveexec_b64 s[6:7], s[6:7]
	v_mov_b32_e32 v3, s10
	s_xor_b64 exec, exec, s[6:7]
	s_cbranch_execz .LBB1_1150
.LBB1_3200:
	v_mov_b32_e32 v3, 0
	v_cmp_ne_u16_sdwa s[8:9], v5, v3 src0_sel:BYTE_3 src1_sel:DWORD
	s_andn2_b64 s[4:5], s[4:5], exec
	s_and_b64 s[8:9], s[8:9], exec
	s_or_b64 s[4:5], s[4:5], s[8:9]
	s_or_b64 exec, exec, s[6:7]
	s_and_saveexec_b64 s[6:7], s[4:5]
	s_cbranch_execnz .LBB1_1151
	s_branch .LBB1_1152
.LBB1_3201:
	s_movk_i32 s4, 0x80
	v_cmp_eq_u16_sdwa s[12:13], v6, s4 src0_sel:BYTE_0 src1_sel:DWORD
	s_mov_b64 s[4:5], -1
                                        ; implicit-def: $sgpr10
	s_and_saveexec_b64 s[8:9], s[12:13]
; %bb.3202:
	s_mov_b32 s10, 0x7f800001
	s_xor_b64 s[4:5], exec, -1
; %bb.3203:
	s_or_b64 exec, exec, s[8:9]
	s_and_b64 s[4:5], s[4:5], exec
	s_or_saveexec_b64 s[6:7], s[6:7]
	v_mov_b32_e32 v12, s10
	s_xor_b64 exec, exec, s[6:7]
	s_cbranch_execz .LBB1_1154
.LBB1_3204:
	v_mov_b32_e32 v12, 0
	v_cmp_ne_u16_sdwa s[8:9], v6, v12 src0_sel:BYTE_0 src1_sel:DWORD
	s_andn2_b64 s[4:5], s[4:5], exec
	s_and_b64 s[8:9], s[8:9], exec
	s_or_b64 s[4:5], s[4:5], s[8:9]
	s_or_b64 exec, exec, s[6:7]
	s_and_saveexec_b64 s[6:7], s[4:5]
	s_cbranch_execnz .LBB1_1155
	s_branch .LBB1_1156
.LBB1_3205:
	s_movk_i32 s4, 0x80
	v_cmp_eq_u16_sdwa s[12:13], v2, s4 src0_sel:BYTE_0 src1_sel:DWORD
	s_mov_b64 s[4:5], -1
                                        ; implicit-def: $sgpr10
	s_and_saveexec_b64 s[8:9], s[12:13]
; %bb.3206:
	s_mov_b32 s10, 0x7f800001
	s_xor_b64 s[4:5], exec, -1
; %bb.3207:
	s_or_b64 exec, exec, s[8:9]
	s_and_b64 s[4:5], s[4:5], exec
	s_or_saveexec_b64 s[6:7], s[6:7]
	v_mov_b32_e32 v13, s10
	s_xor_b64 exec, exec, s[6:7]
	s_cbranch_execz .LBB1_1158
.LBB1_3208:
	v_mov_b32_e32 v13, 0
	v_cmp_ne_u16_sdwa s[8:9], v2, v13 src0_sel:BYTE_0 src1_sel:DWORD
	s_andn2_b64 s[4:5], s[4:5], exec
	s_and_b64 s[8:9], s[8:9], exec
	s_or_b64 s[4:5], s[4:5], s[8:9]
	s_or_b64 exec, exec, s[6:7]
	s_and_saveexec_b64 s[6:7], s[4:5]
	s_cbranch_execnz .LBB1_1159
	s_branch .LBB1_1160
.LBB1_3209:
	s_movk_i32 s4, 0x80
	v_cmp_eq_u16_sdwa s[12:13], v13, s4 src0_sel:BYTE_0 src1_sel:DWORD
	s_mov_b64 s[4:5], -1
                                        ; implicit-def: $sgpr10
	s_and_saveexec_b64 s[8:9], s[12:13]
; %bb.3210:
	s_mov_b32 s10, 0x7f800001
	s_xor_b64 s[4:5], exec, -1
; %bb.3211:
	s_or_b64 exec, exec, s[8:9]
	s_and_b64 s[4:5], s[4:5], exec
	s_or_saveexec_b64 s[6:7], s[6:7]
	v_mov_b32_e32 v12, s10
	s_xor_b64 exec, exec, s[6:7]
	s_cbranch_execz .LBB1_1162
.LBB1_3212:
	v_mov_b32_e32 v12, 0
	v_cmp_ne_u16_sdwa s[8:9], v13, v12 src0_sel:BYTE_0 src1_sel:DWORD
	s_andn2_b64 s[4:5], s[4:5], exec
	s_and_b64 s[8:9], s[8:9], exec
	s_or_b64 s[4:5], s[4:5], s[8:9]
	s_or_b64 exec, exec, s[6:7]
	s_and_saveexec_b64 s[6:7], s[4:5]
	s_cbranch_execnz .LBB1_1163
	s_branch .LBB1_1164
.LBB1_3213:
	s_movk_i32 s4, 0x80
	v_cmp_eq_u16_sdwa s[12:13], v13, s4 src0_sel:BYTE_0 src1_sel:DWORD
	s_mov_b64 s[4:5], -1
                                        ; implicit-def: $sgpr10
	s_and_saveexec_b64 s[8:9], s[12:13]
; %bb.3214:
	s_mov_b32 s10, 0x7f800001
	s_xor_b64 s[4:5], exec, -1
; %bb.3215:
	s_or_b64 exec, exec, s[8:9]
	s_and_b64 s[4:5], s[4:5], exec
	s_or_saveexec_b64 s[6:7], s[6:7]
	v_mov_b32_e32 v14, s10
	s_xor_b64 exec, exec, s[6:7]
	s_cbranch_execz .LBB1_1166
.LBB1_3216:
	v_mov_b32_e32 v14, 0
	v_cmp_ne_u16_sdwa s[8:9], v13, v14 src0_sel:BYTE_0 src1_sel:DWORD
	s_andn2_b64 s[4:5], s[4:5], exec
	s_and_b64 s[8:9], s[8:9], exec
	s_or_b64 s[4:5], s[4:5], s[8:9]
	s_or_b64 exec, exec, s[6:7]
	s_and_saveexec_b64 s[6:7], s[4:5]
	s_cbranch_execnz .LBB1_1167
	s_branch .LBB1_1168
.LBB1_3217:
	s_movk_i32 s4, 0x80
	v_cmp_eq_u16_e32 vcc, s4, v13
	s_mov_b64 s[4:5], -1
                                        ; implicit-def: $sgpr10
	s_and_saveexec_b64 s[8:9], vcc
; %bb.3218:
	s_mov_b32 s10, 0x7f800001
	s_xor_b64 s[4:5], exec, -1
; %bb.3219:
	s_or_b64 exec, exec, s[8:9]
	s_and_b64 s[4:5], s[4:5], exec
                                        ; implicit-def: $vgpr13
	s_or_saveexec_b64 s[6:7], s[6:7]
	v_mov_b32_e32 v12, s10
	s_xor_b64 exec, exec, s[6:7]
	s_cbranch_execz .LBB1_1170
.LBB1_3220:
	v_cmp_ne_u16_e32 vcc, 0, v13
	s_andn2_b64 s[4:5], s[4:5], exec
	s_and_b64 s[8:9], vcc, exec
	v_mov_b32_e32 v12, 0
	s_or_b64 s[4:5], s[4:5], s[8:9]
	s_or_b64 exec, exec, s[6:7]
	s_and_saveexec_b64 s[6:7], s[4:5]
	s_cbranch_execnz .LBB1_1171
	s_branch .LBB1_1172
.LBB1_3221:
	s_movk_i32 s4, 0x80
	v_cmp_eq_u16_e32 vcc, s4, v13
	s_mov_b64 s[4:5], -1
                                        ; implicit-def: $sgpr10
	s_and_saveexec_b64 s[8:9], vcc
; %bb.3222:
	s_mov_b32 s10, 0x7f800001
	s_xor_b64 s[4:5], exec, -1
; %bb.3223:
	s_or_b64 exec, exec, s[8:9]
	s_and_b64 s[4:5], s[4:5], exec
                                        ; implicit-def: $vgpr13
	s_or_saveexec_b64 s[6:7], s[6:7]
	v_mov_b32_e32 v14, s10
	s_xor_b64 exec, exec, s[6:7]
	s_cbranch_execz .LBB1_1174
.LBB1_3224:
	v_cmp_ne_u16_e32 vcc, 0, v13
	s_andn2_b64 s[4:5], s[4:5], exec
	s_and_b64 s[8:9], vcc, exec
	v_mov_b32_e32 v14, 0
	s_or_b64 s[4:5], s[4:5], s[8:9]
	s_or_b64 exec, exec, s[6:7]
	s_and_saveexec_b64 s[6:7], s[4:5]
	s_cbranch_execnz .LBB1_1175
	s_branch .LBB1_1176
.LBB1_3225:
	s_movk_i32 s4, 0x80
	v_cmp_eq_u16_sdwa s[12:13], v6, s4 src0_sel:BYTE_3 src1_sel:DWORD
	s_mov_b64 s[4:5], -1
                                        ; implicit-def: $sgpr10
	s_and_saveexec_b64 s[8:9], s[12:13]
; %bb.3226:
	s_mov_b32 s10, 0x7f800001
	s_xor_b64 s[4:5], exec, -1
; %bb.3227:
	s_or_b64 exec, exec, s[8:9]
	s_and_b64 s[4:5], s[4:5], exec
	s_or_saveexec_b64 s[6:7], s[6:7]
	v_mov_b32_e32 v12, s10
	s_xor_b64 exec, exec, s[6:7]
	s_cbranch_execz .LBB1_1178
.LBB1_3228:
	v_mov_b32_e32 v12, 0
	v_cmp_ne_u16_sdwa s[8:9], v6, v12 src0_sel:BYTE_3 src1_sel:DWORD
	s_andn2_b64 s[4:5], s[4:5], exec
	s_and_b64 s[8:9], s[8:9], exec
	s_or_b64 s[4:5], s[4:5], s[8:9]
	s_or_b64 exec, exec, s[6:7]
	s_and_saveexec_b64 s[6:7], s[4:5]
	s_cbranch_execnz .LBB1_1179
	s_branch .LBB1_1180
.LBB1_3229:
	s_movk_i32 s4, 0x80
	v_cmp_eq_u16_sdwa s[12:13], v2, s4 src0_sel:BYTE_3 src1_sel:DWORD
	s_mov_b64 s[4:5], -1
                                        ; implicit-def: $sgpr10
	s_and_saveexec_b64 s[8:9], s[12:13]
; %bb.3230:
	s_mov_b32 s10, 0x7f800001
	s_xor_b64 s[4:5], exec, -1
; %bb.3231:
	s_or_b64 exec, exec, s[8:9]
	s_and_b64 s[4:5], s[4:5], exec
	s_or_saveexec_b64 s[6:7], s[6:7]
	v_mov_b32_e32 v6, s10
	s_xor_b64 exec, exec, s[6:7]
	s_cbranch_execz .LBB1_1182
.LBB1_3232:
	v_mov_b32_e32 v6, 0
	v_cmp_ne_u16_sdwa s[8:9], v2, v6 src0_sel:BYTE_3 src1_sel:DWORD
	s_andn2_b64 s[4:5], s[4:5], exec
	s_and_b64 s[8:9], s[8:9], exec
	s_or_b64 s[4:5], s[4:5], s[8:9]
	s_or_b64 exec, exec, s[6:7]
	s_and_saveexec_b64 s[6:7], s[4:5]
	s_cbranch_execnz .LBB1_1183
	s_branch .LBB1_1184
.LBB1_3233:
	s_movk_i32 s4, 0x80
	v_cmp_eq_u16_sdwa s[12:13], v7, s4 src0_sel:BYTE_0 src1_sel:DWORD
	s_mov_b64 s[4:5], -1
                                        ; implicit-def: $sgpr10
	s_and_saveexec_b64 s[8:9], s[12:13]
; %bb.3234:
	s_mov_b32 s10, 0x7f800001
	s_xor_b64 s[4:5], exec, -1
; %bb.3235:
	s_or_b64 exec, exec, s[8:9]
	s_and_b64 s[4:5], s[4:5], exec
	s_or_saveexec_b64 s[6:7], s[6:7]
	v_mov_b32_e32 v2, s10
	s_xor_b64 exec, exec, s[6:7]
	s_cbranch_execz .LBB1_1186
.LBB1_3236:
	v_mov_b32_e32 v2, 0
	v_cmp_ne_u16_sdwa s[8:9], v7, v2 src0_sel:BYTE_0 src1_sel:DWORD
	s_andn2_b64 s[4:5], s[4:5], exec
	s_and_b64 s[8:9], s[8:9], exec
	s_or_b64 s[4:5], s[4:5], s[8:9]
	s_or_b64 exec, exec, s[6:7]
	s_and_saveexec_b64 s[6:7], s[4:5]
	s_cbranch_execnz .LBB1_1187
	s_branch .LBB1_1188
.LBB1_3237:
	s_movk_i32 s4, 0x80
	v_cmp_eq_u16_sdwa s[12:13], v3, s4 src0_sel:BYTE_0 src1_sel:DWORD
	s_mov_b64 s[4:5], -1
                                        ; implicit-def: $sgpr10
	s_and_saveexec_b64 s[8:9], s[12:13]
; %bb.3238:
	s_mov_b32 s10, 0x7f800001
	s_xor_b64 s[4:5], exec, -1
; %bb.3239:
	s_or_b64 exec, exec, s[8:9]
	s_and_b64 s[4:5], s[4:5], exec
	s_or_saveexec_b64 s[6:7], s[6:7]
	v_mov_b32_e32 v6, s10
	s_xor_b64 exec, exec, s[6:7]
	s_cbranch_execz .LBB1_1190
.LBB1_3240:
	v_mov_b32_e32 v6, 0
	v_cmp_ne_u16_sdwa s[8:9], v3, v6 src0_sel:BYTE_0 src1_sel:DWORD
	s_andn2_b64 s[4:5], s[4:5], exec
	s_and_b64 s[8:9], s[8:9], exec
	s_or_b64 s[4:5], s[4:5], s[8:9]
	s_or_b64 exec, exec, s[6:7]
	s_and_saveexec_b64 s[6:7], s[4:5]
	s_cbranch_execnz .LBB1_1191
	s_branch .LBB1_1192
.LBB1_3241:
	s_movk_i32 s4, 0x80
	v_cmp_eq_u16_sdwa s[12:13], v6, s4 src0_sel:BYTE_0 src1_sel:DWORD
	s_mov_b64 s[4:5], -1
                                        ; implicit-def: $sgpr10
	s_and_saveexec_b64 s[8:9], s[12:13]
; %bb.3242:
	s_mov_b32 s10, 0x7f800001
	s_xor_b64 s[4:5], exec, -1
; %bb.3243:
	s_or_b64 exec, exec, s[8:9]
	s_and_b64 s[4:5], s[4:5], exec
	s_or_saveexec_b64 s[6:7], s[6:7]
	v_mov_b32_e32 v2, s10
	s_xor_b64 exec, exec, s[6:7]
	s_cbranch_execz .LBB1_1194
.LBB1_3244:
	v_mov_b32_e32 v2, 0
	v_cmp_ne_u16_sdwa s[8:9], v6, v2 src0_sel:BYTE_0 src1_sel:DWORD
	s_andn2_b64 s[4:5], s[4:5], exec
	s_and_b64 s[8:9], s[8:9], exec
	s_or_b64 s[4:5], s[4:5], s[8:9]
	s_or_b64 exec, exec, s[6:7]
	s_and_saveexec_b64 s[6:7], s[4:5]
	s_cbranch_execnz .LBB1_1195
	s_branch .LBB1_1196
.LBB1_3245:
	s_movk_i32 s4, 0x80
	v_cmp_eq_u16_sdwa s[12:13], v6, s4 src0_sel:BYTE_0 src1_sel:DWORD
	s_mov_b64 s[4:5], -1
                                        ; implicit-def: $sgpr10
	s_and_saveexec_b64 s[8:9], s[12:13]
; %bb.3246:
	s_mov_b32 s10, 0x7f800001
	s_xor_b64 s[4:5], exec, -1
; %bb.3247:
	s_or_b64 exec, exec, s[8:9]
	s_and_b64 s[4:5], s[4:5], exec
	s_or_saveexec_b64 s[6:7], s[6:7]
	v_mov_b32_e32 v12, s10
	s_xor_b64 exec, exec, s[6:7]
	s_cbranch_execz .LBB1_1198
.LBB1_3248:
	v_mov_b32_e32 v12, 0
	v_cmp_ne_u16_sdwa s[8:9], v6, v12 src0_sel:BYTE_0 src1_sel:DWORD
	s_andn2_b64 s[4:5], s[4:5], exec
	s_and_b64 s[8:9], s[8:9], exec
	s_or_b64 s[4:5], s[4:5], s[8:9]
	s_or_b64 exec, exec, s[6:7]
	s_and_saveexec_b64 s[6:7], s[4:5]
	s_cbranch_execnz .LBB1_1199
	s_branch .LBB1_1200
.LBB1_3249:
	s_movk_i32 s4, 0x80
	v_cmp_eq_u16_e32 vcc, s4, v6
	s_mov_b64 s[4:5], -1
                                        ; implicit-def: $sgpr10
	s_and_saveexec_b64 s[8:9], vcc
; %bb.3250:
	s_mov_b32 s10, 0x7f800001
	s_xor_b64 s[4:5], exec, -1
; %bb.3251:
	s_or_b64 exec, exec, s[8:9]
	s_and_b64 s[4:5], s[4:5], exec
                                        ; implicit-def: $vgpr6
	s_or_saveexec_b64 s[6:7], s[6:7]
	v_mov_b32_e32 v2, s10
	s_xor_b64 exec, exec, s[6:7]
	s_cbranch_execz .LBB1_1202
.LBB1_3252:
	v_cmp_ne_u16_e32 vcc, 0, v6
	s_andn2_b64 s[4:5], s[4:5], exec
	s_and_b64 s[8:9], vcc, exec
	v_mov_b32_e32 v2, 0
	s_or_b64 s[4:5], s[4:5], s[8:9]
	s_or_b64 exec, exec, s[6:7]
	s_and_saveexec_b64 s[6:7], s[4:5]
	s_cbranch_execnz .LBB1_1203
	s_branch .LBB1_1204
.LBB1_3253:
	s_movk_i32 s4, 0x80
	v_cmp_eq_u16_e32 vcc, s4, v6
	s_mov_b64 s[4:5], -1
                                        ; implicit-def: $sgpr10
	s_and_saveexec_b64 s[8:9], vcc
; %bb.3254:
	s_mov_b32 s10, 0x7f800001
	s_xor_b64 s[4:5], exec, -1
; %bb.3255:
	s_or_b64 exec, exec, s[8:9]
	s_and_b64 s[4:5], s[4:5], exec
                                        ; implicit-def: $vgpr6
	s_or_saveexec_b64 s[6:7], s[6:7]
	v_mov_b32_e32 v12, s10
	s_xor_b64 exec, exec, s[6:7]
	s_cbranch_execz .LBB1_1206
.LBB1_3256:
	v_cmp_ne_u16_e32 vcc, 0, v6
	s_andn2_b64 s[4:5], s[4:5], exec
	s_and_b64 s[8:9], vcc, exec
	v_mov_b32_e32 v12, 0
	s_or_b64 s[4:5], s[4:5], s[8:9]
	s_or_b64 exec, exec, s[6:7]
	s_and_saveexec_b64 s[6:7], s[4:5]
	s_cbranch_execnz .LBB1_1207
	s_branch .LBB1_1208
.LBB1_3257:
	s_movk_i32 s4, 0x80
	v_cmp_eq_u16_sdwa s[12:13], v7, s4 src0_sel:BYTE_3 src1_sel:DWORD
	s_mov_b64 s[4:5], -1
                                        ; implicit-def: $sgpr10
	s_and_saveexec_b64 s[8:9], s[12:13]
; %bb.3258:
	s_mov_b32 s10, 0x7f800001
	s_xor_b64 s[4:5], exec, -1
; %bb.3259:
	s_or_b64 exec, exec, s[8:9]
	s_and_b64 s[4:5], s[4:5], exec
	s_or_saveexec_b64 s[6:7], s[6:7]
	v_mov_b32_e32 v2, s10
	s_xor_b64 exec, exec, s[6:7]
	s_cbranch_execz .LBB1_1210
.LBB1_3260:
	v_mov_b32_e32 v2, 0
	v_cmp_ne_u16_sdwa s[8:9], v7, v2 src0_sel:BYTE_3 src1_sel:DWORD
	s_andn2_b64 s[4:5], s[4:5], exec
	s_and_b64 s[8:9], s[8:9], exec
	s_or_b64 s[4:5], s[4:5], s[8:9]
	s_or_b64 exec, exec, s[6:7]
	s_and_saveexec_b64 s[6:7], s[4:5]
	s_cbranch_execnz .LBB1_1211
	s_branch .LBB1_1212
.LBB1_3261:
	s_movk_i32 s4, 0x80
	v_cmp_eq_u16_sdwa s[12:13], v3, s4 src0_sel:BYTE_3 src1_sel:DWORD
	s_mov_b64 s[4:5], -1
                                        ; implicit-def: $sgpr10
	s_and_saveexec_b64 s[8:9], s[12:13]
; %bb.3262:
	s_mov_b32 s10, 0x7f800001
	s_xor_b64 s[4:5], exec, -1
; %bb.3263:
	s_or_b64 exec, exec, s[8:9]
	s_and_b64 s[4:5], s[4:5], exec
	s_or_saveexec_b64 s[6:7], s[6:7]
	v_mov_b32_e32 v6, s10
	s_xor_b64 exec, exec, s[6:7]
	s_cbranch_execz .LBB1_1214
.LBB1_3264:
	v_mov_b32_e32 v6, 0
	v_cmp_ne_u16_sdwa s[8:9], v3, v6 src0_sel:BYTE_3 src1_sel:DWORD
	s_andn2_b64 s[4:5], s[4:5], exec
	s_and_b64 s[8:9], s[8:9], exec
	s_or_b64 s[4:5], s[4:5], s[8:9]
	s_or_b64 exec, exec, s[6:7]
	s_and_saveexec_b64 s[6:7], s[4:5]
	s_cbranch_execnz .LBB1_1215
	s_branch .LBB1_1216
.LBB1_3265:
	s_movk_i32 s4, 0x80
	v_cmp_eq_u16_sdwa s[12:13], v8, s4 src0_sel:BYTE_0 src1_sel:DWORD
	s_mov_b64 s[4:5], -1
                                        ; implicit-def: $sgpr10
	s_and_saveexec_b64 s[8:9], s[12:13]
; %bb.3266:
	s_mov_b32 s10, 0x7f800001
	s_xor_b64 s[4:5], exec, -1
; %bb.3267:
	s_or_b64 exec, exec, s[8:9]
	s_and_b64 s[4:5], s[4:5], exec
	s_or_saveexec_b64 s[6:7], s[6:7]
	v_mov_b32_e32 v2, s10
	s_xor_b64 exec, exec, s[6:7]
	s_cbranch_execz .LBB1_1218
.LBB1_3268:
	v_mov_b32_e32 v2, 0
	v_cmp_ne_u16_sdwa s[8:9], v8, v2 src0_sel:BYTE_0 src1_sel:DWORD
	s_andn2_b64 s[4:5], s[4:5], exec
	s_and_b64 s[8:9], s[8:9], exec
	s_or_b64 s[4:5], s[4:5], s[8:9]
	s_or_b64 exec, exec, s[6:7]
	s_and_saveexec_b64 s[6:7], s[4:5]
	s_cbranch_execnz .LBB1_1219
	s_branch .LBB1_1220
.LBB1_3269:
	s_movk_i32 s4, 0x80
	v_cmp_eq_u16_sdwa s[12:13], v4, s4 src0_sel:BYTE_0 src1_sel:DWORD
	s_mov_b64 s[4:5], -1
                                        ; implicit-def: $sgpr10
	s_and_saveexec_b64 s[8:9], s[12:13]
; %bb.3270:
	s_mov_b32 s10, 0x7f800001
	s_xor_b64 s[4:5], exec, -1
; %bb.3271:
	s_or_b64 exec, exec, s[8:9]
	s_and_b64 s[4:5], s[4:5], exec
	s_or_saveexec_b64 s[6:7], s[6:7]
	v_mov_b32_e32 v3, s10
	s_xor_b64 exec, exec, s[6:7]
	s_cbranch_execz .LBB1_1222
.LBB1_3272:
	v_mov_b32_e32 v3, 0
	v_cmp_ne_u16_sdwa s[8:9], v4, v3 src0_sel:BYTE_0 src1_sel:DWORD
	s_andn2_b64 s[4:5], s[4:5], exec
	s_and_b64 s[8:9], s[8:9], exec
	s_or_b64 s[4:5], s[4:5], s[8:9]
	s_or_b64 exec, exec, s[6:7]
	s_and_saveexec_b64 s[6:7], s[4:5]
	s_cbranch_execnz .LBB1_1223
	s_branch .LBB1_1224
.LBB1_3273:
	s_movk_i32 s4, 0x80
	v_cmp_eq_u16_sdwa s[12:13], v3, s4 src0_sel:BYTE_0 src1_sel:DWORD
	s_mov_b64 s[4:5], -1
                                        ; implicit-def: $sgpr10
	s_and_saveexec_b64 s[8:9], s[12:13]
; %bb.3274:
	s_mov_b32 s10, 0x7f800001
	s_xor_b64 s[4:5], exec, -1
; %bb.3275:
	s_or_b64 exec, exec, s[8:9]
	s_and_b64 s[4:5], s[4:5], exec
	s_or_saveexec_b64 s[6:7], s[6:7]
	v_mov_b32_e32 v2, s10
	s_xor_b64 exec, exec, s[6:7]
	s_cbranch_execz .LBB1_1226
.LBB1_3276:
	v_mov_b32_e32 v2, 0
	v_cmp_ne_u16_sdwa s[8:9], v3, v2 src0_sel:BYTE_0 src1_sel:DWORD
	s_andn2_b64 s[4:5], s[4:5], exec
	s_and_b64 s[8:9], s[8:9], exec
	s_or_b64 s[4:5], s[4:5], s[8:9]
	s_or_b64 exec, exec, s[6:7]
	s_and_saveexec_b64 s[6:7], s[4:5]
	s_cbranch_execnz .LBB1_1227
	s_branch .LBB1_1228
.LBB1_3277:
	s_movk_i32 s4, 0x80
	v_cmp_eq_u16_sdwa s[12:13], v3, s4 src0_sel:BYTE_0 src1_sel:DWORD
	s_mov_b64 s[4:5], -1
                                        ; implicit-def: $sgpr10
	s_and_saveexec_b64 s[8:9], s[12:13]
; %bb.3278:
	s_mov_b32 s10, 0x7f800001
	s_xor_b64 s[4:5], exec, -1
; %bb.3279:
	s_or_b64 exec, exec, s[8:9]
	s_and_b64 s[4:5], s[4:5], exec
	s_or_saveexec_b64 s[6:7], s[6:7]
	v_mov_b32_e32 v6, s10
	s_xor_b64 exec, exec, s[6:7]
	s_cbranch_execz .LBB1_1230
.LBB1_3280:
	v_mov_b32_e32 v6, 0
	v_cmp_ne_u16_sdwa s[8:9], v3, v6 src0_sel:BYTE_0 src1_sel:DWORD
	s_andn2_b64 s[4:5], s[4:5], exec
	s_and_b64 s[8:9], s[8:9], exec
	s_or_b64 s[4:5], s[4:5], s[8:9]
	s_or_b64 exec, exec, s[6:7]
	s_and_saveexec_b64 s[6:7], s[4:5]
	s_cbranch_execnz .LBB1_1231
	s_branch .LBB1_1232
.LBB1_3281:
	s_movk_i32 s4, 0x80
	v_cmp_eq_u16_e32 vcc, s4, v3
	s_mov_b64 s[4:5], -1
                                        ; implicit-def: $sgpr10
	s_and_saveexec_b64 s[8:9], vcc
; %bb.3282:
	s_mov_b32 s10, 0x7f800001
	s_xor_b64 s[4:5], exec, -1
; %bb.3283:
	s_or_b64 exec, exec, s[8:9]
	s_and_b64 s[4:5], s[4:5], exec
                                        ; implicit-def: $vgpr3
	s_or_saveexec_b64 s[6:7], s[6:7]
	v_mov_b32_e32 v2, s10
	s_xor_b64 exec, exec, s[6:7]
	s_cbranch_execz .LBB1_1234
.LBB1_3284:
	v_cmp_ne_u16_e32 vcc, 0, v3
	s_andn2_b64 s[4:5], s[4:5], exec
	s_and_b64 s[8:9], vcc, exec
	v_mov_b32_e32 v2, 0
	s_or_b64 s[4:5], s[4:5], s[8:9]
	s_or_b64 exec, exec, s[6:7]
	s_and_saveexec_b64 s[6:7], s[4:5]
	s_cbranch_execnz .LBB1_1235
	s_branch .LBB1_1236
.LBB1_3285:
	s_movk_i32 s4, 0x80
	v_cmp_eq_u16_e32 vcc, s4, v3
	s_mov_b64 s[4:5], -1
                                        ; implicit-def: $sgpr10
	s_and_saveexec_b64 s[8:9], vcc
; %bb.3286:
	s_mov_b32 s10, 0x7f800001
	s_xor_b64 s[4:5], exec, -1
; %bb.3287:
	s_or_b64 exec, exec, s[8:9]
	s_and_b64 s[4:5], s[4:5], exec
                                        ; implicit-def: $vgpr3
	s_or_saveexec_b64 s[6:7], s[6:7]
	v_mov_b32_e32 v6, s10
	s_xor_b64 exec, exec, s[6:7]
	s_cbranch_execz .LBB1_1238
.LBB1_3288:
	v_cmp_ne_u16_e32 vcc, 0, v3
	s_andn2_b64 s[4:5], s[4:5], exec
	s_and_b64 s[8:9], vcc, exec
	v_mov_b32_e32 v6, 0
	s_or_b64 s[4:5], s[4:5], s[8:9]
	s_or_b64 exec, exec, s[6:7]
	s_and_saveexec_b64 s[6:7], s[4:5]
	s_cbranch_execnz .LBB1_1239
	s_branch .LBB1_1240
.LBB1_3289:
	s_movk_i32 s4, 0x80
	v_cmp_eq_u16_sdwa s[12:13], v8, s4 src0_sel:BYTE_3 src1_sel:DWORD
	s_mov_b64 s[4:5], -1
                                        ; implicit-def: $sgpr10
	s_and_saveexec_b64 s[8:9], s[12:13]
; %bb.3290:
	s_mov_b32 s10, 0x7f800001
	s_xor_b64 s[4:5], exec, -1
; %bb.3291:
	s_or_b64 exec, exec, s[8:9]
	s_and_b64 s[4:5], s[4:5], exec
	s_or_saveexec_b64 s[6:7], s[6:7]
	v_mov_b32_e32 v2, s10
	s_xor_b64 exec, exec, s[6:7]
	s_cbranch_execz .LBB1_1242
.LBB1_3292:
	v_mov_b32_e32 v2, 0
	v_cmp_ne_u16_sdwa s[8:9], v8, v2 src0_sel:BYTE_3 src1_sel:DWORD
	s_andn2_b64 s[4:5], s[4:5], exec
	s_and_b64 s[8:9], s[8:9], exec
	s_or_b64 s[4:5], s[4:5], s[8:9]
	s_or_b64 exec, exec, s[6:7]
	s_and_saveexec_b64 s[6:7], s[4:5]
	s_cbranch_execnz .LBB1_1243
	s_branch .LBB1_1244
.LBB1_3293:
	s_movk_i32 s4, 0x80
	v_cmp_eq_u16_sdwa s[12:13], v4, s4 src0_sel:BYTE_3 src1_sel:DWORD
	s_mov_b64 s[4:5], -1
                                        ; implicit-def: $sgpr10
	s_and_saveexec_b64 s[8:9], s[12:13]
; %bb.3294:
	s_mov_b32 s10, 0x7f800001
	s_xor_b64 s[4:5], exec, -1
; %bb.3295:
	s_or_b64 exec, exec, s[8:9]
	s_and_b64 s[4:5], s[4:5], exec
	s_or_saveexec_b64 s[6:7], s[6:7]
	v_mov_b32_e32 v3, s10
	s_xor_b64 exec, exec, s[6:7]
	s_cbranch_execz .LBB1_1246
.LBB1_3296:
	v_mov_b32_e32 v3, 0
	v_cmp_ne_u16_sdwa s[8:9], v4, v3 src0_sel:BYTE_3 src1_sel:DWORD
	s_andn2_b64 s[4:5], s[4:5], exec
	s_and_b64 s[8:9], s[8:9], exec
	s_or_b64 s[4:5], s[4:5], s[8:9]
	s_or_b64 exec, exec, s[6:7]
	s_and_saveexec_b64 s[6:7], s[4:5]
	s_cbranch_execnz .LBB1_1247
	s_branch .LBB1_1248
.LBB1_3297:
	s_movk_i32 s4, 0x80
	v_cmp_eq_u16_sdwa s[12:13], v9, s4 src0_sel:BYTE_0 src1_sel:DWORD
	s_mov_b64 s[4:5], -1
                                        ; implicit-def: $sgpr10
	s_and_saveexec_b64 s[8:9], s[12:13]
; %bb.3298:
	s_mov_b32 s10, 0x7f800001
	s_xor_b64 s[4:5], exec, -1
; %bb.3299:
	s_or_b64 exec, exec, s[8:9]
	s_and_b64 s[4:5], s[4:5], exec
	s_or_saveexec_b64 s[6:7], s[6:7]
	v_mov_b32_e32 v2, s10
	s_xor_b64 exec, exec, s[6:7]
	s_cbranch_execz .LBB1_1250
.LBB1_3300:
	v_mov_b32_e32 v2, 0
	v_cmp_ne_u16_sdwa s[8:9], v9, v2 src0_sel:BYTE_0 src1_sel:DWORD
	s_andn2_b64 s[4:5], s[4:5], exec
	s_and_b64 s[8:9], s[8:9], exec
	s_or_b64 s[4:5], s[4:5], s[8:9]
	s_or_b64 exec, exec, s[6:7]
	s_and_saveexec_b64 s[6:7], s[4:5]
	s_cbranch_execnz .LBB1_1251
	s_branch .LBB1_1252
.LBB1_3301:
	s_movk_i32 s4, 0x80
	v_cmp_eq_u16_sdwa s[12:13], v5, s4 src0_sel:BYTE_0 src1_sel:DWORD
	s_mov_b64 s[4:5], -1
                                        ; implicit-def: $sgpr10
	s_and_saveexec_b64 s[8:9], s[12:13]
; %bb.3302:
	s_mov_b32 s10, 0x7f800001
	s_xor_b64 s[4:5], exec, -1
; %bb.3303:
	s_or_b64 exec, exec, s[8:9]
	s_and_b64 s[4:5], s[4:5], exec
	s_or_saveexec_b64 s[6:7], s[6:7]
	v_mov_b32_e32 v3, s10
	s_xor_b64 exec, exec, s[6:7]
	s_cbranch_execz .LBB1_1254
.LBB1_3304:
	v_mov_b32_e32 v3, 0
	v_cmp_ne_u16_sdwa s[8:9], v5, v3 src0_sel:BYTE_0 src1_sel:DWORD
	s_andn2_b64 s[4:5], s[4:5], exec
	s_and_b64 s[8:9], s[8:9], exec
	s_or_b64 s[4:5], s[4:5], s[8:9]
	s_or_b64 exec, exec, s[6:7]
	s_and_saveexec_b64 s[6:7], s[4:5]
	s_cbranch_execnz .LBB1_1255
	s_branch .LBB1_1256
.LBB1_3305:
	s_movk_i32 s4, 0x80
	v_cmp_eq_u16_sdwa s[12:13], v3, s4 src0_sel:BYTE_0 src1_sel:DWORD
	s_mov_b64 s[4:5], -1
                                        ; implicit-def: $sgpr10
	s_and_saveexec_b64 s[8:9], s[12:13]
; %bb.3306:
	s_mov_b32 s10, 0x7f800001
	s_xor_b64 s[4:5], exec, -1
; %bb.3307:
	s_or_b64 exec, exec, s[8:9]
	s_and_b64 s[4:5], s[4:5], exec
	s_or_saveexec_b64 s[6:7], s[6:7]
	v_mov_b32_e32 v2, s10
	s_xor_b64 exec, exec, s[6:7]
	s_cbranch_execz .LBB1_1258
.LBB1_3308:
	v_mov_b32_e32 v2, 0
	v_cmp_ne_u16_sdwa s[8:9], v3, v2 src0_sel:BYTE_0 src1_sel:DWORD
	s_andn2_b64 s[4:5], s[4:5], exec
	s_and_b64 s[8:9], s[8:9], exec
	s_or_b64 s[4:5], s[4:5], s[8:9]
	s_or_b64 exec, exec, s[6:7]
	s_and_saveexec_b64 s[6:7], s[4:5]
	s_cbranch_execnz .LBB1_1259
	s_branch .LBB1_1260
.LBB1_3309:
	s_movk_i32 s4, 0x80
	v_cmp_eq_u16_sdwa s[12:13], v3, s4 src0_sel:BYTE_0 src1_sel:DWORD
	s_mov_b64 s[4:5], -1
                                        ; implicit-def: $sgpr10
	s_and_saveexec_b64 s[8:9], s[12:13]
; %bb.3310:
	s_mov_b32 s10, 0x7f800001
	s_xor_b64 s[4:5], exec, -1
; %bb.3311:
	s_or_b64 exec, exec, s[8:9]
	s_and_b64 s[4:5], s[4:5], exec
	s_or_saveexec_b64 s[6:7], s[6:7]
	v_mov_b32_e32 v4, s10
	s_xor_b64 exec, exec, s[6:7]
	s_cbranch_execz .LBB1_1262
.LBB1_3312:
	v_mov_b32_e32 v4, 0
	v_cmp_ne_u16_sdwa s[8:9], v3, v4 src0_sel:BYTE_0 src1_sel:DWORD
	s_andn2_b64 s[4:5], s[4:5], exec
	s_and_b64 s[8:9], s[8:9], exec
	s_or_b64 s[4:5], s[4:5], s[8:9]
	s_or_b64 exec, exec, s[6:7]
	s_and_saveexec_b64 s[6:7], s[4:5]
	s_cbranch_execnz .LBB1_1263
	s_branch .LBB1_1264
.LBB1_3313:
	s_movk_i32 s4, 0x80
	v_cmp_eq_u16_e32 vcc, s4, v3
	s_mov_b64 s[4:5], -1
                                        ; implicit-def: $sgpr10
	s_and_saveexec_b64 s[8:9], vcc
; %bb.3314:
	s_mov_b32 s10, 0x7f800001
	s_xor_b64 s[4:5], exec, -1
; %bb.3315:
	s_or_b64 exec, exec, s[8:9]
	s_and_b64 s[4:5], s[4:5], exec
                                        ; implicit-def: $vgpr3
	s_or_saveexec_b64 s[6:7], s[6:7]
	v_mov_b32_e32 v2, s10
	s_xor_b64 exec, exec, s[6:7]
	s_cbranch_execz .LBB1_1266
.LBB1_3316:
	v_cmp_ne_u16_e32 vcc, 0, v3
	s_andn2_b64 s[4:5], s[4:5], exec
	s_and_b64 s[8:9], vcc, exec
	v_mov_b32_e32 v2, 0
	s_or_b64 s[4:5], s[4:5], s[8:9]
	s_or_b64 exec, exec, s[6:7]
	s_and_saveexec_b64 s[6:7], s[4:5]
	s_cbranch_execnz .LBB1_1267
	s_branch .LBB1_1268
.LBB1_3317:
	s_movk_i32 s4, 0x80
	v_cmp_eq_u16_e32 vcc, s4, v3
	s_mov_b64 s[4:5], -1
                                        ; implicit-def: $sgpr10
	s_and_saveexec_b64 s[8:9], vcc
; %bb.3318:
	s_mov_b32 s10, 0x7f800001
	s_xor_b64 s[4:5], exec, -1
; %bb.3319:
	s_or_b64 exec, exec, s[8:9]
	s_and_b64 s[4:5], s[4:5], exec
                                        ; implicit-def: $vgpr3
	s_or_saveexec_b64 s[6:7], s[6:7]
	v_mov_b32_e32 v4, s10
	s_xor_b64 exec, exec, s[6:7]
	s_cbranch_execz .LBB1_1270
.LBB1_3320:
	v_cmp_ne_u16_e32 vcc, 0, v3
	s_andn2_b64 s[4:5], s[4:5], exec
	s_and_b64 s[8:9], vcc, exec
	v_mov_b32_e32 v4, 0
	s_or_b64 s[4:5], s[4:5], s[8:9]
	s_or_b64 exec, exec, s[6:7]
	s_and_saveexec_b64 s[6:7], s[4:5]
	s_cbranch_execnz .LBB1_1271
	s_branch .LBB1_1272
.LBB1_3321:
	s_movk_i32 s4, 0x80
	v_cmp_eq_u16_sdwa s[12:13], v9, s4 src0_sel:BYTE_3 src1_sel:DWORD
	s_mov_b64 s[4:5], -1
                                        ; implicit-def: $sgpr10
	s_and_saveexec_b64 s[8:9], s[12:13]
; %bb.3322:
	s_mov_b32 s10, 0x7f800001
	s_xor_b64 s[4:5], exec, -1
; %bb.3323:
	s_or_b64 exec, exec, s[8:9]
	s_and_b64 s[4:5], s[4:5], exec
	s_or_saveexec_b64 s[6:7], s[6:7]
	v_mov_b32_e32 v2, s10
	s_xor_b64 exec, exec, s[6:7]
	s_cbranch_execz .LBB1_1274
.LBB1_3324:
	v_mov_b32_e32 v2, 0
	v_cmp_ne_u16_sdwa s[8:9], v9, v2 src0_sel:BYTE_3 src1_sel:DWORD
	s_andn2_b64 s[4:5], s[4:5], exec
	s_and_b64 s[8:9], s[8:9], exec
	s_or_b64 s[4:5], s[4:5], s[8:9]
	s_or_b64 exec, exec, s[6:7]
	s_and_saveexec_b64 s[6:7], s[4:5]
	s_cbranch_execnz .LBB1_1275
	s_branch .LBB1_1276
.LBB1_3325:
	s_movk_i32 s4, 0x80
	v_cmp_eq_u16_sdwa s[12:13], v5, s4 src0_sel:BYTE_3 src1_sel:DWORD
	s_mov_b64 s[4:5], -1
                                        ; implicit-def: $sgpr10
	s_and_saveexec_b64 s[8:9], s[12:13]
; %bb.3326:
	s_mov_b32 s10, 0x7f800001
	s_xor_b64 s[4:5], exec, -1
; %bb.3327:
	s_or_b64 exec, exec, s[8:9]
	s_and_b64 s[4:5], s[4:5], exec
	s_or_saveexec_b64 s[6:7], s[6:7]
	v_mov_b32_e32 v3, s10
	s_xor_b64 exec, exec, s[6:7]
	s_cbranch_execz .LBB1_1278
.LBB1_3328:
	v_mov_b32_e32 v3, 0
	v_cmp_ne_u16_sdwa s[8:9], v5, v3 src0_sel:BYTE_3 src1_sel:DWORD
	s_andn2_b64 s[4:5], s[4:5], exec
	s_and_b64 s[8:9], s[8:9], exec
	s_or_b64 s[4:5], s[4:5], s[8:9]
	s_or_b64 exec, exec, s[6:7]
	s_and_saveexec_b64 s[6:7], s[4:5]
	s_cbranch_execnz .LBB1_1279
	s_branch .LBB1_1280
.LBB1_3329:
	s_movk_i32 s4, 0x80
	v_cmp_eq_u16_sdwa s[12:13], v6, s4 src0_sel:BYTE_0 src1_sel:DWORD
	s_mov_b64 s[4:5], -1
                                        ; implicit-def: $sgpr10
	s_and_saveexec_b64 s[8:9], s[12:13]
; %bb.3330:
	s_mov_b32 s10, 0x7f800001
	s_xor_b64 s[4:5], exec, -1
; %bb.3331:
	s_or_b64 exec, exec, s[8:9]
	s_and_b64 s[4:5], s[4:5], exec
	s_or_saveexec_b64 s[6:7], s[6:7]
	v_mov_b32_e32 v12, s10
	s_xor_b64 exec, exec, s[6:7]
	s_cbranch_execz .LBB1_1282
.LBB1_3332:
	v_mov_b32_e32 v12, 0
	v_cmp_ne_u16_sdwa s[8:9], v6, v12 src0_sel:BYTE_0 src1_sel:DWORD
	s_andn2_b64 s[4:5], s[4:5], exec
	s_and_b64 s[8:9], s[8:9], exec
	s_or_b64 s[4:5], s[4:5], s[8:9]
	s_or_b64 exec, exec, s[6:7]
	s_and_saveexec_b64 s[6:7], s[4:5]
	s_cbranch_execnz .LBB1_1283
	s_branch .LBB1_1284
.LBB1_3333:
	s_movk_i32 s4, 0x80
	v_cmp_eq_u16_sdwa s[12:13], v2, s4 src0_sel:BYTE_0 src1_sel:DWORD
	s_mov_b64 s[4:5], -1
                                        ; implicit-def: $sgpr10
	s_and_saveexec_b64 s[8:9], s[12:13]
; %bb.3334:
	s_mov_b32 s10, 0x7f800001
	s_xor_b64 s[4:5], exec, -1
; %bb.3335:
	s_or_b64 exec, exec, s[8:9]
	s_and_b64 s[4:5], s[4:5], exec
	s_or_saveexec_b64 s[6:7], s[6:7]
	v_mov_b32_e32 v13, s10
	s_xor_b64 exec, exec, s[6:7]
	s_cbranch_execz .LBB1_1286
.LBB1_3336:
	v_mov_b32_e32 v13, 0
	v_cmp_ne_u16_sdwa s[8:9], v2, v13 src0_sel:BYTE_0 src1_sel:DWORD
	s_andn2_b64 s[4:5], s[4:5], exec
	s_and_b64 s[8:9], s[8:9], exec
	s_or_b64 s[4:5], s[4:5], s[8:9]
	s_or_b64 exec, exec, s[6:7]
	s_and_saveexec_b64 s[6:7], s[4:5]
	s_cbranch_execnz .LBB1_1287
	s_branch .LBB1_1288
.LBB1_3337:
	s_movk_i32 s4, 0x80
	v_cmp_eq_u16_sdwa s[12:13], v13, s4 src0_sel:BYTE_0 src1_sel:DWORD
	s_mov_b64 s[4:5], -1
                                        ; implicit-def: $sgpr10
	s_and_saveexec_b64 s[8:9], s[12:13]
; %bb.3338:
	s_mov_b32 s10, 0x7f800001
	s_xor_b64 s[4:5], exec, -1
; %bb.3339:
	s_or_b64 exec, exec, s[8:9]
	s_and_b64 s[4:5], s[4:5], exec
	s_or_saveexec_b64 s[6:7], s[6:7]
	v_mov_b32_e32 v12, s10
	s_xor_b64 exec, exec, s[6:7]
	s_cbranch_execz .LBB1_1290
.LBB1_3340:
	v_mov_b32_e32 v12, 0
	v_cmp_ne_u16_sdwa s[8:9], v13, v12 src0_sel:BYTE_0 src1_sel:DWORD
	s_andn2_b64 s[4:5], s[4:5], exec
	s_and_b64 s[8:9], s[8:9], exec
	s_or_b64 s[4:5], s[4:5], s[8:9]
	s_or_b64 exec, exec, s[6:7]
	s_and_saveexec_b64 s[6:7], s[4:5]
	s_cbranch_execnz .LBB1_1291
	s_branch .LBB1_1292
.LBB1_3341:
	s_movk_i32 s4, 0x80
	v_cmp_eq_u16_sdwa s[12:13], v13, s4 src0_sel:BYTE_0 src1_sel:DWORD
	s_mov_b64 s[4:5], -1
                                        ; implicit-def: $sgpr10
	s_and_saveexec_b64 s[8:9], s[12:13]
; %bb.3342:
	s_mov_b32 s10, 0x7f800001
	s_xor_b64 s[4:5], exec, -1
; %bb.3343:
	s_or_b64 exec, exec, s[8:9]
	s_and_b64 s[4:5], s[4:5], exec
	s_or_saveexec_b64 s[6:7], s[6:7]
	v_mov_b32_e32 v14, s10
	s_xor_b64 exec, exec, s[6:7]
	s_cbranch_execz .LBB1_1294
.LBB1_3344:
	v_mov_b32_e32 v14, 0
	v_cmp_ne_u16_sdwa s[8:9], v13, v14 src0_sel:BYTE_0 src1_sel:DWORD
	s_andn2_b64 s[4:5], s[4:5], exec
	s_and_b64 s[8:9], s[8:9], exec
	s_or_b64 s[4:5], s[4:5], s[8:9]
	s_or_b64 exec, exec, s[6:7]
	s_and_saveexec_b64 s[6:7], s[4:5]
	s_cbranch_execnz .LBB1_1295
	s_branch .LBB1_1296
.LBB1_3345:
	s_movk_i32 s4, 0x80
	v_cmp_eq_u16_e32 vcc, s4, v13
	s_mov_b64 s[4:5], -1
                                        ; implicit-def: $sgpr10
	s_and_saveexec_b64 s[8:9], vcc
; %bb.3346:
	s_mov_b32 s10, 0x7f800001
	s_xor_b64 s[4:5], exec, -1
; %bb.3347:
	s_or_b64 exec, exec, s[8:9]
	s_and_b64 s[4:5], s[4:5], exec
                                        ; implicit-def: $vgpr13
	s_or_saveexec_b64 s[6:7], s[6:7]
	v_mov_b32_e32 v12, s10
	s_xor_b64 exec, exec, s[6:7]
	s_cbranch_execz .LBB1_1298
.LBB1_3348:
	v_cmp_ne_u16_e32 vcc, 0, v13
	s_andn2_b64 s[4:5], s[4:5], exec
	s_and_b64 s[8:9], vcc, exec
	v_mov_b32_e32 v12, 0
	s_or_b64 s[4:5], s[4:5], s[8:9]
	s_or_b64 exec, exec, s[6:7]
	s_and_saveexec_b64 s[6:7], s[4:5]
	s_cbranch_execnz .LBB1_1299
	s_branch .LBB1_1300
.LBB1_3349:
	s_movk_i32 s4, 0x80
	v_cmp_eq_u16_e32 vcc, s4, v13
	s_mov_b64 s[4:5], -1
                                        ; implicit-def: $sgpr10
	s_and_saveexec_b64 s[8:9], vcc
; %bb.3350:
	s_mov_b32 s10, 0x7f800001
	s_xor_b64 s[4:5], exec, -1
; %bb.3351:
	s_or_b64 exec, exec, s[8:9]
	s_and_b64 s[4:5], s[4:5], exec
                                        ; implicit-def: $vgpr13
	s_or_saveexec_b64 s[6:7], s[6:7]
	v_mov_b32_e32 v14, s10
	s_xor_b64 exec, exec, s[6:7]
	s_cbranch_execz .LBB1_1302
.LBB1_3352:
	v_cmp_ne_u16_e32 vcc, 0, v13
	s_andn2_b64 s[4:5], s[4:5], exec
	s_and_b64 s[8:9], vcc, exec
	v_mov_b32_e32 v14, 0
	s_or_b64 s[4:5], s[4:5], s[8:9]
	s_or_b64 exec, exec, s[6:7]
	s_and_saveexec_b64 s[6:7], s[4:5]
	s_cbranch_execnz .LBB1_1303
	s_branch .LBB1_1304
.LBB1_3353:
	s_movk_i32 s4, 0x80
	v_cmp_eq_u16_sdwa s[12:13], v6, s4 src0_sel:BYTE_3 src1_sel:DWORD
	s_mov_b64 s[4:5], -1
                                        ; implicit-def: $sgpr10
	s_and_saveexec_b64 s[8:9], s[12:13]
; %bb.3354:
	s_mov_b32 s10, 0x7f800001
	s_xor_b64 s[4:5], exec, -1
; %bb.3355:
	s_or_b64 exec, exec, s[8:9]
	s_and_b64 s[4:5], s[4:5], exec
	s_or_saveexec_b64 s[6:7], s[6:7]
	v_mov_b32_e32 v12, s10
	s_xor_b64 exec, exec, s[6:7]
	s_cbranch_execz .LBB1_1306
.LBB1_3356:
	v_mov_b32_e32 v12, 0
	v_cmp_ne_u16_sdwa s[8:9], v6, v12 src0_sel:BYTE_3 src1_sel:DWORD
	s_andn2_b64 s[4:5], s[4:5], exec
	s_and_b64 s[8:9], s[8:9], exec
	s_or_b64 s[4:5], s[4:5], s[8:9]
	s_or_b64 exec, exec, s[6:7]
	s_and_saveexec_b64 s[6:7], s[4:5]
	s_cbranch_execnz .LBB1_1307
	s_branch .LBB1_1308
.LBB1_3357:
	s_movk_i32 s4, 0x80
	v_cmp_eq_u16_sdwa s[12:13], v2, s4 src0_sel:BYTE_3 src1_sel:DWORD
	s_mov_b64 s[4:5], -1
                                        ; implicit-def: $sgpr10
	s_and_saveexec_b64 s[8:9], s[12:13]
; %bb.3358:
	s_mov_b32 s10, 0x7f800001
	s_xor_b64 s[4:5], exec, -1
; %bb.3359:
	s_or_b64 exec, exec, s[8:9]
	s_and_b64 s[4:5], s[4:5], exec
	s_or_saveexec_b64 s[6:7], s[6:7]
	v_mov_b32_e32 v6, s10
	s_xor_b64 exec, exec, s[6:7]
	s_cbranch_execz .LBB1_1310
.LBB1_3360:
	v_mov_b32_e32 v6, 0
	v_cmp_ne_u16_sdwa s[8:9], v2, v6 src0_sel:BYTE_3 src1_sel:DWORD
	s_andn2_b64 s[4:5], s[4:5], exec
	s_and_b64 s[8:9], s[8:9], exec
	s_or_b64 s[4:5], s[4:5], s[8:9]
	s_or_b64 exec, exec, s[6:7]
	s_and_saveexec_b64 s[6:7], s[4:5]
	s_cbranch_execnz .LBB1_1311
	s_branch .LBB1_1312
.LBB1_3361:
	s_movk_i32 s4, 0x80
	v_cmp_eq_u16_sdwa s[12:13], v7, s4 src0_sel:BYTE_0 src1_sel:DWORD
	s_mov_b64 s[4:5], -1
                                        ; implicit-def: $sgpr10
	s_and_saveexec_b64 s[8:9], s[12:13]
; %bb.3362:
	s_mov_b32 s10, 0x7f800001
	s_xor_b64 s[4:5], exec, -1
; %bb.3363:
	s_or_b64 exec, exec, s[8:9]
	s_and_b64 s[4:5], s[4:5], exec
	s_or_saveexec_b64 s[6:7], s[6:7]
	v_mov_b32_e32 v2, s10
	s_xor_b64 exec, exec, s[6:7]
	s_cbranch_execz .LBB1_1314
.LBB1_3364:
	v_mov_b32_e32 v2, 0
	v_cmp_ne_u16_sdwa s[8:9], v7, v2 src0_sel:BYTE_0 src1_sel:DWORD
	s_andn2_b64 s[4:5], s[4:5], exec
	s_and_b64 s[8:9], s[8:9], exec
	s_or_b64 s[4:5], s[4:5], s[8:9]
	s_or_b64 exec, exec, s[6:7]
	s_and_saveexec_b64 s[6:7], s[4:5]
	s_cbranch_execnz .LBB1_1315
	s_branch .LBB1_1316
.LBB1_3365:
	s_movk_i32 s4, 0x80
	v_cmp_eq_u16_sdwa s[12:13], v3, s4 src0_sel:BYTE_0 src1_sel:DWORD
	s_mov_b64 s[4:5], -1
                                        ; implicit-def: $sgpr10
	s_and_saveexec_b64 s[8:9], s[12:13]
; %bb.3366:
	s_mov_b32 s10, 0x7f800001
	s_xor_b64 s[4:5], exec, -1
; %bb.3367:
	s_or_b64 exec, exec, s[8:9]
	s_and_b64 s[4:5], s[4:5], exec
	s_or_saveexec_b64 s[6:7], s[6:7]
	v_mov_b32_e32 v6, s10
	s_xor_b64 exec, exec, s[6:7]
	s_cbranch_execz .LBB1_1318
.LBB1_3368:
	v_mov_b32_e32 v6, 0
	v_cmp_ne_u16_sdwa s[8:9], v3, v6 src0_sel:BYTE_0 src1_sel:DWORD
	s_andn2_b64 s[4:5], s[4:5], exec
	s_and_b64 s[8:9], s[8:9], exec
	s_or_b64 s[4:5], s[4:5], s[8:9]
	s_or_b64 exec, exec, s[6:7]
	s_and_saveexec_b64 s[6:7], s[4:5]
	s_cbranch_execnz .LBB1_1319
	s_branch .LBB1_1320
.LBB1_3369:
	s_movk_i32 s4, 0x80
	v_cmp_eq_u16_sdwa s[12:13], v6, s4 src0_sel:BYTE_0 src1_sel:DWORD
	s_mov_b64 s[4:5], -1
                                        ; implicit-def: $sgpr10
	s_and_saveexec_b64 s[8:9], s[12:13]
; %bb.3370:
	s_mov_b32 s10, 0x7f800001
	s_xor_b64 s[4:5], exec, -1
; %bb.3371:
	s_or_b64 exec, exec, s[8:9]
	s_and_b64 s[4:5], s[4:5], exec
	s_or_saveexec_b64 s[6:7], s[6:7]
	v_mov_b32_e32 v2, s10
	s_xor_b64 exec, exec, s[6:7]
	s_cbranch_execz .LBB1_1322
.LBB1_3372:
	v_mov_b32_e32 v2, 0
	v_cmp_ne_u16_sdwa s[8:9], v6, v2 src0_sel:BYTE_0 src1_sel:DWORD
	s_andn2_b64 s[4:5], s[4:5], exec
	s_and_b64 s[8:9], s[8:9], exec
	s_or_b64 s[4:5], s[4:5], s[8:9]
	s_or_b64 exec, exec, s[6:7]
	s_and_saveexec_b64 s[6:7], s[4:5]
	s_cbranch_execnz .LBB1_1323
	s_branch .LBB1_1324
.LBB1_3373:
	s_movk_i32 s4, 0x80
	v_cmp_eq_u16_sdwa s[12:13], v6, s4 src0_sel:BYTE_0 src1_sel:DWORD
	s_mov_b64 s[4:5], -1
                                        ; implicit-def: $sgpr10
	s_and_saveexec_b64 s[8:9], s[12:13]
; %bb.3374:
	s_mov_b32 s10, 0x7f800001
	s_xor_b64 s[4:5], exec, -1
; %bb.3375:
	s_or_b64 exec, exec, s[8:9]
	s_and_b64 s[4:5], s[4:5], exec
	s_or_saveexec_b64 s[6:7], s[6:7]
	v_mov_b32_e32 v12, s10
	s_xor_b64 exec, exec, s[6:7]
	s_cbranch_execz .LBB1_1326
.LBB1_3376:
	v_mov_b32_e32 v12, 0
	v_cmp_ne_u16_sdwa s[8:9], v6, v12 src0_sel:BYTE_0 src1_sel:DWORD
	s_andn2_b64 s[4:5], s[4:5], exec
	s_and_b64 s[8:9], s[8:9], exec
	s_or_b64 s[4:5], s[4:5], s[8:9]
	s_or_b64 exec, exec, s[6:7]
	s_and_saveexec_b64 s[6:7], s[4:5]
	s_cbranch_execnz .LBB1_1327
	s_branch .LBB1_1328
.LBB1_3377:
	s_movk_i32 s4, 0x80
	v_cmp_eq_u16_e32 vcc, s4, v6
	s_mov_b64 s[4:5], -1
                                        ; implicit-def: $sgpr10
	s_and_saveexec_b64 s[8:9], vcc
; %bb.3378:
	s_mov_b32 s10, 0x7f800001
	s_xor_b64 s[4:5], exec, -1
; %bb.3379:
	s_or_b64 exec, exec, s[8:9]
	s_and_b64 s[4:5], s[4:5], exec
                                        ; implicit-def: $vgpr6
	s_or_saveexec_b64 s[6:7], s[6:7]
	v_mov_b32_e32 v2, s10
	s_xor_b64 exec, exec, s[6:7]
	s_cbranch_execz .LBB1_1330
.LBB1_3380:
	v_cmp_ne_u16_e32 vcc, 0, v6
	s_andn2_b64 s[4:5], s[4:5], exec
	s_and_b64 s[8:9], vcc, exec
	v_mov_b32_e32 v2, 0
	s_or_b64 s[4:5], s[4:5], s[8:9]
	s_or_b64 exec, exec, s[6:7]
	s_and_saveexec_b64 s[6:7], s[4:5]
	s_cbranch_execnz .LBB1_1331
	s_branch .LBB1_1332
.LBB1_3381:
	s_movk_i32 s4, 0x80
	v_cmp_eq_u16_e32 vcc, s4, v6
	s_mov_b64 s[4:5], -1
                                        ; implicit-def: $sgpr10
	s_and_saveexec_b64 s[8:9], vcc
; %bb.3382:
	s_mov_b32 s10, 0x7f800001
	s_xor_b64 s[4:5], exec, -1
; %bb.3383:
	s_or_b64 exec, exec, s[8:9]
	s_and_b64 s[4:5], s[4:5], exec
                                        ; implicit-def: $vgpr6
	s_or_saveexec_b64 s[6:7], s[6:7]
	v_mov_b32_e32 v12, s10
	s_xor_b64 exec, exec, s[6:7]
	s_cbranch_execz .LBB1_1334
.LBB1_3384:
	v_cmp_ne_u16_e32 vcc, 0, v6
	s_andn2_b64 s[4:5], s[4:5], exec
	s_and_b64 s[8:9], vcc, exec
	v_mov_b32_e32 v12, 0
	s_or_b64 s[4:5], s[4:5], s[8:9]
	s_or_b64 exec, exec, s[6:7]
	s_and_saveexec_b64 s[6:7], s[4:5]
	s_cbranch_execnz .LBB1_1335
	s_branch .LBB1_1336
.LBB1_3385:
	s_movk_i32 s4, 0x80
	v_cmp_eq_u16_sdwa s[12:13], v7, s4 src0_sel:BYTE_3 src1_sel:DWORD
	s_mov_b64 s[4:5], -1
                                        ; implicit-def: $sgpr10
	s_and_saveexec_b64 s[8:9], s[12:13]
; %bb.3386:
	s_mov_b32 s10, 0x7f800001
	s_xor_b64 s[4:5], exec, -1
; %bb.3387:
	s_or_b64 exec, exec, s[8:9]
	s_and_b64 s[4:5], s[4:5], exec
	s_or_saveexec_b64 s[6:7], s[6:7]
	v_mov_b32_e32 v2, s10
	s_xor_b64 exec, exec, s[6:7]
	s_cbranch_execz .LBB1_1338
.LBB1_3388:
	v_mov_b32_e32 v2, 0
	v_cmp_ne_u16_sdwa s[8:9], v7, v2 src0_sel:BYTE_3 src1_sel:DWORD
	s_andn2_b64 s[4:5], s[4:5], exec
	s_and_b64 s[8:9], s[8:9], exec
	s_or_b64 s[4:5], s[4:5], s[8:9]
	s_or_b64 exec, exec, s[6:7]
	s_and_saveexec_b64 s[6:7], s[4:5]
	s_cbranch_execnz .LBB1_1339
	s_branch .LBB1_1340
.LBB1_3389:
	s_movk_i32 s4, 0x80
	v_cmp_eq_u16_sdwa s[12:13], v3, s4 src0_sel:BYTE_3 src1_sel:DWORD
	s_mov_b64 s[4:5], -1
                                        ; implicit-def: $sgpr10
	s_and_saveexec_b64 s[8:9], s[12:13]
; %bb.3390:
	s_mov_b32 s10, 0x7f800001
	s_xor_b64 s[4:5], exec, -1
; %bb.3391:
	s_or_b64 exec, exec, s[8:9]
	s_and_b64 s[4:5], s[4:5], exec
	s_or_saveexec_b64 s[6:7], s[6:7]
	v_mov_b32_e32 v6, s10
	s_xor_b64 exec, exec, s[6:7]
	s_cbranch_execz .LBB1_1342
.LBB1_3392:
	v_mov_b32_e32 v6, 0
	v_cmp_ne_u16_sdwa s[8:9], v3, v6 src0_sel:BYTE_3 src1_sel:DWORD
	s_andn2_b64 s[4:5], s[4:5], exec
	s_and_b64 s[8:9], s[8:9], exec
	s_or_b64 s[4:5], s[4:5], s[8:9]
	s_or_b64 exec, exec, s[6:7]
	s_and_saveexec_b64 s[6:7], s[4:5]
	s_cbranch_execnz .LBB1_1343
	s_branch .LBB1_1344
.LBB1_3393:
	s_movk_i32 s4, 0x80
	v_cmp_eq_u16_sdwa s[12:13], v8, s4 src0_sel:BYTE_0 src1_sel:DWORD
	s_mov_b64 s[4:5], -1
                                        ; implicit-def: $sgpr10
	s_and_saveexec_b64 s[8:9], s[12:13]
; %bb.3394:
	s_mov_b32 s10, 0x7f800001
	s_xor_b64 s[4:5], exec, -1
; %bb.3395:
	s_or_b64 exec, exec, s[8:9]
	s_and_b64 s[4:5], s[4:5], exec
	s_or_saveexec_b64 s[6:7], s[6:7]
	v_mov_b32_e32 v2, s10
	s_xor_b64 exec, exec, s[6:7]
	s_cbranch_execz .LBB1_1346
.LBB1_3396:
	v_mov_b32_e32 v2, 0
	v_cmp_ne_u16_sdwa s[8:9], v8, v2 src0_sel:BYTE_0 src1_sel:DWORD
	s_andn2_b64 s[4:5], s[4:5], exec
	s_and_b64 s[8:9], s[8:9], exec
	s_or_b64 s[4:5], s[4:5], s[8:9]
	s_or_b64 exec, exec, s[6:7]
	s_and_saveexec_b64 s[6:7], s[4:5]
	s_cbranch_execnz .LBB1_1347
	s_branch .LBB1_1348
.LBB1_3397:
	s_movk_i32 s4, 0x80
	v_cmp_eq_u16_sdwa s[12:13], v4, s4 src0_sel:BYTE_0 src1_sel:DWORD
	s_mov_b64 s[4:5], -1
                                        ; implicit-def: $sgpr10
	s_and_saveexec_b64 s[8:9], s[12:13]
; %bb.3398:
	s_mov_b32 s10, 0x7f800001
	s_xor_b64 s[4:5], exec, -1
; %bb.3399:
	s_or_b64 exec, exec, s[8:9]
	s_and_b64 s[4:5], s[4:5], exec
	s_or_saveexec_b64 s[6:7], s[6:7]
	v_mov_b32_e32 v3, s10
	s_xor_b64 exec, exec, s[6:7]
	s_cbranch_execz .LBB1_1350
.LBB1_3400:
	v_mov_b32_e32 v3, 0
	v_cmp_ne_u16_sdwa s[8:9], v4, v3 src0_sel:BYTE_0 src1_sel:DWORD
	s_andn2_b64 s[4:5], s[4:5], exec
	s_and_b64 s[8:9], s[8:9], exec
	s_or_b64 s[4:5], s[4:5], s[8:9]
	s_or_b64 exec, exec, s[6:7]
	s_and_saveexec_b64 s[6:7], s[4:5]
	s_cbranch_execnz .LBB1_1351
	s_branch .LBB1_1352
.LBB1_3401:
	s_movk_i32 s4, 0x80
	v_cmp_eq_u16_sdwa s[12:13], v3, s4 src0_sel:BYTE_0 src1_sel:DWORD
	s_mov_b64 s[4:5], -1
                                        ; implicit-def: $sgpr10
	s_and_saveexec_b64 s[8:9], s[12:13]
; %bb.3402:
	s_mov_b32 s10, 0x7f800001
	s_xor_b64 s[4:5], exec, -1
; %bb.3403:
	s_or_b64 exec, exec, s[8:9]
	s_and_b64 s[4:5], s[4:5], exec
	s_or_saveexec_b64 s[6:7], s[6:7]
	v_mov_b32_e32 v2, s10
	s_xor_b64 exec, exec, s[6:7]
	s_cbranch_execz .LBB1_1354
.LBB1_3404:
	v_mov_b32_e32 v2, 0
	v_cmp_ne_u16_sdwa s[8:9], v3, v2 src0_sel:BYTE_0 src1_sel:DWORD
	s_andn2_b64 s[4:5], s[4:5], exec
	s_and_b64 s[8:9], s[8:9], exec
	s_or_b64 s[4:5], s[4:5], s[8:9]
	s_or_b64 exec, exec, s[6:7]
	s_and_saveexec_b64 s[6:7], s[4:5]
	s_cbranch_execnz .LBB1_1355
	s_branch .LBB1_1356
.LBB1_3405:
	s_movk_i32 s4, 0x80
	v_cmp_eq_u16_sdwa s[12:13], v3, s4 src0_sel:BYTE_0 src1_sel:DWORD
	s_mov_b64 s[4:5], -1
                                        ; implicit-def: $sgpr10
	s_and_saveexec_b64 s[8:9], s[12:13]
; %bb.3406:
	s_mov_b32 s10, 0x7f800001
	s_xor_b64 s[4:5], exec, -1
; %bb.3407:
	s_or_b64 exec, exec, s[8:9]
	s_and_b64 s[4:5], s[4:5], exec
	s_or_saveexec_b64 s[6:7], s[6:7]
	v_mov_b32_e32 v6, s10
	s_xor_b64 exec, exec, s[6:7]
	s_cbranch_execz .LBB1_1358
.LBB1_3408:
	v_mov_b32_e32 v6, 0
	v_cmp_ne_u16_sdwa s[8:9], v3, v6 src0_sel:BYTE_0 src1_sel:DWORD
	s_andn2_b64 s[4:5], s[4:5], exec
	s_and_b64 s[8:9], s[8:9], exec
	s_or_b64 s[4:5], s[4:5], s[8:9]
	s_or_b64 exec, exec, s[6:7]
	s_and_saveexec_b64 s[6:7], s[4:5]
	s_cbranch_execnz .LBB1_1359
	s_branch .LBB1_1360
.LBB1_3409:
	s_movk_i32 s4, 0x80
	v_cmp_eq_u16_e32 vcc, s4, v3
	s_mov_b64 s[4:5], -1
                                        ; implicit-def: $sgpr10
	s_and_saveexec_b64 s[8:9], vcc
; %bb.3410:
	s_mov_b32 s10, 0x7f800001
	s_xor_b64 s[4:5], exec, -1
; %bb.3411:
	s_or_b64 exec, exec, s[8:9]
	s_and_b64 s[4:5], s[4:5], exec
                                        ; implicit-def: $vgpr3
	s_or_saveexec_b64 s[6:7], s[6:7]
	v_mov_b32_e32 v2, s10
	s_xor_b64 exec, exec, s[6:7]
	s_cbranch_execz .LBB1_1362
.LBB1_3412:
	v_cmp_ne_u16_e32 vcc, 0, v3
	s_andn2_b64 s[4:5], s[4:5], exec
	s_and_b64 s[8:9], vcc, exec
	v_mov_b32_e32 v2, 0
	s_or_b64 s[4:5], s[4:5], s[8:9]
	s_or_b64 exec, exec, s[6:7]
	s_and_saveexec_b64 s[6:7], s[4:5]
	s_cbranch_execnz .LBB1_1363
	s_branch .LBB1_1364
.LBB1_3413:
	s_movk_i32 s4, 0x80
	v_cmp_eq_u16_e32 vcc, s4, v3
	s_mov_b64 s[4:5], -1
                                        ; implicit-def: $sgpr10
	s_and_saveexec_b64 s[8:9], vcc
; %bb.3414:
	s_mov_b32 s10, 0x7f800001
	s_xor_b64 s[4:5], exec, -1
; %bb.3415:
	s_or_b64 exec, exec, s[8:9]
	s_and_b64 s[4:5], s[4:5], exec
                                        ; implicit-def: $vgpr3
	s_or_saveexec_b64 s[6:7], s[6:7]
	v_mov_b32_e32 v6, s10
	s_xor_b64 exec, exec, s[6:7]
	s_cbranch_execz .LBB1_1366
.LBB1_3416:
	v_cmp_ne_u16_e32 vcc, 0, v3
	s_andn2_b64 s[4:5], s[4:5], exec
	s_and_b64 s[8:9], vcc, exec
	v_mov_b32_e32 v6, 0
	s_or_b64 s[4:5], s[4:5], s[8:9]
	s_or_b64 exec, exec, s[6:7]
	s_and_saveexec_b64 s[6:7], s[4:5]
	s_cbranch_execnz .LBB1_1367
	s_branch .LBB1_1368
.LBB1_3417:
	s_movk_i32 s4, 0x80
	v_cmp_eq_u16_sdwa s[12:13], v8, s4 src0_sel:BYTE_3 src1_sel:DWORD
	s_mov_b64 s[4:5], -1
                                        ; implicit-def: $sgpr10
	s_and_saveexec_b64 s[8:9], s[12:13]
; %bb.3418:
	s_mov_b32 s10, 0x7f800001
	s_xor_b64 s[4:5], exec, -1
; %bb.3419:
	s_or_b64 exec, exec, s[8:9]
	s_and_b64 s[4:5], s[4:5], exec
	s_or_saveexec_b64 s[6:7], s[6:7]
	v_mov_b32_e32 v2, s10
	s_xor_b64 exec, exec, s[6:7]
	s_cbranch_execz .LBB1_1370
.LBB1_3420:
	v_mov_b32_e32 v2, 0
	v_cmp_ne_u16_sdwa s[8:9], v8, v2 src0_sel:BYTE_3 src1_sel:DWORD
	s_andn2_b64 s[4:5], s[4:5], exec
	s_and_b64 s[8:9], s[8:9], exec
	s_or_b64 s[4:5], s[4:5], s[8:9]
	s_or_b64 exec, exec, s[6:7]
	s_and_saveexec_b64 s[6:7], s[4:5]
	s_cbranch_execnz .LBB1_1371
	s_branch .LBB1_1372
.LBB1_3421:
	s_movk_i32 s4, 0x80
	v_cmp_eq_u16_sdwa s[12:13], v4, s4 src0_sel:BYTE_3 src1_sel:DWORD
	s_mov_b64 s[4:5], -1
                                        ; implicit-def: $sgpr10
	s_and_saveexec_b64 s[8:9], s[12:13]
; %bb.3422:
	s_mov_b32 s10, 0x7f800001
	s_xor_b64 s[4:5], exec, -1
; %bb.3423:
	s_or_b64 exec, exec, s[8:9]
	s_and_b64 s[4:5], s[4:5], exec
	s_or_saveexec_b64 s[6:7], s[6:7]
	v_mov_b32_e32 v3, s10
	s_xor_b64 exec, exec, s[6:7]
	s_cbranch_execz .LBB1_1374
.LBB1_3424:
	v_mov_b32_e32 v3, 0
	v_cmp_ne_u16_sdwa s[8:9], v4, v3 src0_sel:BYTE_3 src1_sel:DWORD
	s_andn2_b64 s[4:5], s[4:5], exec
	s_and_b64 s[8:9], s[8:9], exec
	s_or_b64 s[4:5], s[4:5], s[8:9]
	s_or_b64 exec, exec, s[6:7]
	s_and_saveexec_b64 s[6:7], s[4:5]
	s_cbranch_execnz .LBB1_1375
	s_branch .LBB1_1376
.LBB1_3425:
	s_movk_i32 s4, 0x80
	v_cmp_eq_u16_sdwa s[12:13], v9, s4 src0_sel:BYTE_0 src1_sel:DWORD
	s_mov_b64 s[4:5], -1
                                        ; implicit-def: $sgpr10
	s_and_saveexec_b64 s[8:9], s[12:13]
; %bb.3426:
	s_mov_b32 s10, 0x7f800001
	s_xor_b64 s[4:5], exec, -1
; %bb.3427:
	s_or_b64 exec, exec, s[8:9]
	s_and_b64 s[4:5], s[4:5], exec
	s_or_saveexec_b64 s[6:7], s[6:7]
	v_mov_b32_e32 v2, s10
	s_xor_b64 exec, exec, s[6:7]
	s_cbranch_execz .LBB1_1378
.LBB1_3428:
	v_mov_b32_e32 v2, 0
	v_cmp_ne_u16_sdwa s[8:9], v9, v2 src0_sel:BYTE_0 src1_sel:DWORD
	s_andn2_b64 s[4:5], s[4:5], exec
	s_and_b64 s[8:9], s[8:9], exec
	s_or_b64 s[4:5], s[4:5], s[8:9]
	s_or_b64 exec, exec, s[6:7]
	s_and_saveexec_b64 s[6:7], s[4:5]
	s_cbranch_execnz .LBB1_1379
	s_branch .LBB1_1380
.LBB1_3429:
	s_movk_i32 s4, 0x80
	v_cmp_eq_u16_sdwa s[12:13], v5, s4 src0_sel:BYTE_0 src1_sel:DWORD
	s_mov_b64 s[4:5], -1
                                        ; implicit-def: $sgpr10
	s_and_saveexec_b64 s[8:9], s[12:13]
; %bb.3430:
	s_mov_b32 s10, 0x7f800001
	s_xor_b64 s[4:5], exec, -1
; %bb.3431:
	s_or_b64 exec, exec, s[8:9]
	s_and_b64 s[4:5], s[4:5], exec
	s_or_saveexec_b64 s[6:7], s[6:7]
	v_mov_b32_e32 v3, s10
	s_xor_b64 exec, exec, s[6:7]
	s_cbranch_execz .LBB1_1382
.LBB1_3432:
	v_mov_b32_e32 v3, 0
	v_cmp_ne_u16_sdwa s[8:9], v5, v3 src0_sel:BYTE_0 src1_sel:DWORD
	s_andn2_b64 s[4:5], s[4:5], exec
	s_and_b64 s[8:9], s[8:9], exec
	s_or_b64 s[4:5], s[4:5], s[8:9]
	s_or_b64 exec, exec, s[6:7]
	s_and_saveexec_b64 s[6:7], s[4:5]
	s_cbranch_execnz .LBB1_1383
	s_branch .LBB1_1384
.LBB1_3433:
	s_movk_i32 s4, 0x80
	v_cmp_eq_u16_sdwa s[12:13], v3, s4 src0_sel:BYTE_0 src1_sel:DWORD
	s_mov_b64 s[4:5], -1
                                        ; implicit-def: $sgpr10
	s_and_saveexec_b64 s[8:9], s[12:13]
; %bb.3434:
	s_mov_b32 s10, 0x7f800001
	s_xor_b64 s[4:5], exec, -1
; %bb.3435:
	s_or_b64 exec, exec, s[8:9]
	s_and_b64 s[4:5], s[4:5], exec
	s_or_saveexec_b64 s[6:7], s[6:7]
	v_mov_b32_e32 v2, s10
	s_xor_b64 exec, exec, s[6:7]
	s_cbranch_execz .LBB1_1386
.LBB1_3436:
	v_mov_b32_e32 v2, 0
	v_cmp_ne_u16_sdwa s[8:9], v3, v2 src0_sel:BYTE_0 src1_sel:DWORD
	s_andn2_b64 s[4:5], s[4:5], exec
	s_and_b64 s[8:9], s[8:9], exec
	s_or_b64 s[4:5], s[4:5], s[8:9]
	s_or_b64 exec, exec, s[6:7]
	s_and_saveexec_b64 s[6:7], s[4:5]
	s_cbranch_execnz .LBB1_1387
	s_branch .LBB1_1388
.LBB1_3437:
	s_movk_i32 s4, 0x80
	v_cmp_eq_u16_sdwa s[12:13], v3, s4 src0_sel:BYTE_0 src1_sel:DWORD
	s_mov_b64 s[4:5], -1
                                        ; implicit-def: $sgpr10
	s_and_saveexec_b64 s[8:9], s[12:13]
; %bb.3438:
	s_mov_b32 s10, 0x7f800001
	s_xor_b64 s[4:5], exec, -1
; %bb.3439:
	s_or_b64 exec, exec, s[8:9]
	s_and_b64 s[4:5], s[4:5], exec
	s_or_saveexec_b64 s[6:7], s[6:7]
	v_mov_b32_e32 v4, s10
	s_xor_b64 exec, exec, s[6:7]
	s_cbranch_execz .LBB1_1390
.LBB1_3440:
	v_mov_b32_e32 v4, 0
	v_cmp_ne_u16_sdwa s[8:9], v3, v4 src0_sel:BYTE_0 src1_sel:DWORD
	s_andn2_b64 s[4:5], s[4:5], exec
	s_and_b64 s[8:9], s[8:9], exec
	s_or_b64 s[4:5], s[4:5], s[8:9]
	s_or_b64 exec, exec, s[6:7]
	s_and_saveexec_b64 s[6:7], s[4:5]
	s_cbranch_execnz .LBB1_1391
	s_branch .LBB1_1392
.LBB1_3441:
	s_movk_i32 s4, 0x80
	v_cmp_eq_u16_e32 vcc, s4, v3
	s_mov_b64 s[4:5], -1
                                        ; implicit-def: $sgpr10
	s_and_saveexec_b64 s[8:9], vcc
; %bb.3442:
	s_mov_b32 s10, 0x7f800001
	s_xor_b64 s[4:5], exec, -1
; %bb.3443:
	s_or_b64 exec, exec, s[8:9]
	s_and_b64 s[4:5], s[4:5], exec
                                        ; implicit-def: $vgpr3
	s_or_saveexec_b64 s[6:7], s[6:7]
	v_mov_b32_e32 v2, s10
	s_xor_b64 exec, exec, s[6:7]
	s_cbranch_execz .LBB1_1394
.LBB1_3444:
	v_cmp_ne_u16_e32 vcc, 0, v3
	s_andn2_b64 s[4:5], s[4:5], exec
	s_and_b64 s[8:9], vcc, exec
	v_mov_b32_e32 v2, 0
	s_or_b64 s[4:5], s[4:5], s[8:9]
	s_or_b64 exec, exec, s[6:7]
	s_and_saveexec_b64 s[6:7], s[4:5]
	s_cbranch_execnz .LBB1_1395
	s_branch .LBB1_1396
.LBB1_3445:
	s_movk_i32 s4, 0x80
	v_cmp_eq_u16_e32 vcc, s4, v3
	s_mov_b64 s[4:5], -1
                                        ; implicit-def: $sgpr10
	s_and_saveexec_b64 s[8:9], vcc
; %bb.3446:
	s_mov_b32 s10, 0x7f800001
	s_xor_b64 s[4:5], exec, -1
; %bb.3447:
	s_or_b64 exec, exec, s[8:9]
	s_and_b64 s[4:5], s[4:5], exec
                                        ; implicit-def: $vgpr3
	s_or_saveexec_b64 s[6:7], s[6:7]
	v_mov_b32_e32 v4, s10
	s_xor_b64 exec, exec, s[6:7]
	s_cbranch_execz .LBB1_1398
.LBB1_3448:
	v_cmp_ne_u16_e32 vcc, 0, v3
	s_andn2_b64 s[4:5], s[4:5], exec
	s_and_b64 s[8:9], vcc, exec
	v_mov_b32_e32 v4, 0
	s_or_b64 s[4:5], s[4:5], s[8:9]
	s_or_b64 exec, exec, s[6:7]
	s_and_saveexec_b64 s[6:7], s[4:5]
	s_cbranch_execnz .LBB1_1399
	s_branch .LBB1_1400
.LBB1_3449:
	s_movk_i32 s4, 0x80
	v_cmp_eq_u16_sdwa s[12:13], v9, s4 src0_sel:BYTE_3 src1_sel:DWORD
	s_mov_b64 s[4:5], -1
                                        ; implicit-def: $sgpr10
	s_and_saveexec_b64 s[8:9], s[12:13]
; %bb.3450:
	s_mov_b32 s10, 0x7f800001
	s_xor_b64 s[4:5], exec, -1
; %bb.3451:
	s_or_b64 exec, exec, s[8:9]
	s_and_b64 s[4:5], s[4:5], exec
	s_or_saveexec_b64 s[6:7], s[6:7]
	v_mov_b32_e32 v2, s10
	s_xor_b64 exec, exec, s[6:7]
	s_cbranch_execz .LBB1_1402
.LBB1_3452:
	v_mov_b32_e32 v2, 0
	v_cmp_ne_u16_sdwa s[8:9], v9, v2 src0_sel:BYTE_3 src1_sel:DWORD
	s_andn2_b64 s[4:5], s[4:5], exec
	s_and_b64 s[8:9], s[8:9], exec
	s_or_b64 s[4:5], s[4:5], s[8:9]
	s_or_b64 exec, exec, s[6:7]
	s_and_saveexec_b64 s[6:7], s[4:5]
	s_cbranch_execnz .LBB1_1403
	s_branch .LBB1_1404
.LBB1_3453:
	s_movk_i32 s4, 0x80
	v_cmp_eq_u16_sdwa s[12:13], v5, s4 src0_sel:BYTE_3 src1_sel:DWORD
	s_mov_b64 s[4:5], -1
                                        ; implicit-def: $sgpr10
	s_and_saveexec_b64 s[8:9], s[12:13]
; %bb.3454:
	s_mov_b32 s10, 0x7f800001
	s_xor_b64 s[4:5], exec, -1
; %bb.3455:
	s_or_b64 exec, exec, s[8:9]
	s_and_b64 s[4:5], s[4:5], exec
	s_or_saveexec_b64 s[6:7], s[6:7]
	v_mov_b32_e32 v3, s10
	s_xor_b64 exec, exec, s[6:7]
	s_cbranch_execz .LBB1_1406
.LBB1_3456:
	v_mov_b32_e32 v3, 0
	v_cmp_ne_u16_sdwa s[8:9], v5, v3 src0_sel:BYTE_3 src1_sel:DWORD
	s_andn2_b64 s[4:5], s[4:5], exec
	s_and_b64 s[8:9], s[8:9], exec
	s_or_b64 s[4:5], s[4:5], s[8:9]
	s_or_b64 exec, exec, s[6:7]
	s_and_saveexec_b64 s[6:7], s[4:5]
	s_cbranch_execnz .LBB1_1407
	s_branch .LBB1_1408
.LBB1_3457:
	s_movk_i32 s4, 0x80
	v_cmp_eq_u16_sdwa s[12:13], v6, s4 src0_sel:BYTE_0 src1_sel:DWORD
	s_mov_b64 s[4:5], -1
                                        ; implicit-def: $sgpr10
	s_and_saveexec_b64 s[8:9], s[12:13]
; %bb.3458:
	s_mov_b32 s10, 0x7f800001
	s_xor_b64 s[4:5], exec, -1
; %bb.3459:
	s_or_b64 exec, exec, s[8:9]
	s_and_b64 s[4:5], s[4:5], exec
	s_or_saveexec_b64 s[6:7], s[6:7]
	v_mov_b32_e32 v12, s10
	s_xor_b64 exec, exec, s[6:7]
	s_cbranch_execz .LBB1_1410
.LBB1_3460:
	v_mov_b32_e32 v12, 0
	v_cmp_ne_u16_sdwa s[8:9], v6, v12 src0_sel:BYTE_0 src1_sel:DWORD
	s_andn2_b64 s[4:5], s[4:5], exec
	s_and_b64 s[8:9], s[8:9], exec
	s_or_b64 s[4:5], s[4:5], s[8:9]
	s_or_b64 exec, exec, s[6:7]
	s_and_saveexec_b64 s[6:7], s[4:5]
	s_cbranch_execnz .LBB1_1411
	s_branch .LBB1_1412
.LBB1_3461:
	s_movk_i32 s4, 0x80
	v_cmp_eq_u16_sdwa s[12:13], v2, s4 src0_sel:BYTE_0 src1_sel:DWORD
	s_mov_b64 s[4:5], -1
                                        ; implicit-def: $sgpr10
	s_and_saveexec_b64 s[8:9], s[12:13]
; %bb.3462:
	s_mov_b32 s10, 0x7f800001
	s_xor_b64 s[4:5], exec, -1
; %bb.3463:
	s_or_b64 exec, exec, s[8:9]
	s_and_b64 s[4:5], s[4:5], exec
	s_or_saveexec_b64 s[6:7], s[6:7]
	v_mov_b32_e32 v13, s10
	s_xor_b64 exec, exec, s[6:7]
	s_cbranch_execz .LBB1_1414
.LBB1_3464:
	v_mov_b32_e32 v13, 0
	v_cmp_ne_u16_sdwa s[8:9], v2, v13 src0_sel:BYTE_0 src1_sel:DWORD
	s_andn2_b64 s[4:5], s[4:5], exec
	s_and_b64 s[8:9], s[8:9], exec
	s_or_b64 s[4:5], s[4:5], s[8:9]
	s_or_b64 exec, exec, s[6:7]
	s_and_saveexec_b64 s[6:7], s[4:5]
	s_cbranch_execnz .LBB1_1415
	s_branch .LBB1_1416
.LBB1_3465:
	s_movk_i32 s4, 0x80
	v_cmp_eq_u16_sdwa s[12:13], v13, s4 src0_sel:BYTE_0 src1_sel:DWORD
	s_mov_b64 s[4:5], -1
                                        ; implicit-def: $sgpr10
	s_and_saveexec_b64 s[8:9], s[12:13]
; %bb.3466:
	s_mov_b32 s10, 0x7f800001
	s_xor_b64 s[4:5], exec, -1
; %bb.3467:
	s_or_b64 exec, exec, s[8:9]
	s_and_b64 s[4:5], s[4:5], exec
	s_or_saveexec_b64 s[6:7], s[6:7]
	v_mov_b32_e32 v12, s10
	s_xor_b64 exec, exec, s[6:7]
	s_cbranch_execz .LBB1_1418
.LBB1_3468:
	v_mov_b32_e32 v12, 0
	v_cmp_ne_u16_sdwa s[8:9], v13, v12 src0_sel:BYTE_0 src1_sel:DWORD
	s_andn2_b64 s[4:5], s[4:5], exec
	s_and_b64 s[8:9], s[8:9], exec
	s_or_b64 s[4:5], s[4:5], s[8:9]
	s_or_b64 exec, exec, s[6:7]
	s_and_saveexec_b64 s[6:7], s[4:5]
	s_cbranch_execnz .LBB1_1419
	s_branch .LBB1_1420
.LBB1_3469:
	s_movk_i32 s4, 0x80
	v_cmp_eq_u16_sdwa s[12:13], v13, s4 src0_sel:BYTE_0 src1_sel:DWORD
	s_mov_b64 s[4:5], -1
                                        ; implicit-def: $sgpr10
	s_and_saveexec_b64 s[8:9], s[12:13]
; %bb.3470:
	s_mov_b32 s10, 0x7f800001
	s_xor_b64 s[4:5], exec, -1
; %bb.3471:
	s_or_b64 exec, exec, s[8:9]
	s_and_b64 s[4:5], s[4:5], exec
	s_or_saveexec_b64 s[6:7], s[6:7]
	v_mov_b32_e32 v14, s10
	s_xor_b64 exec, exec, s[6:7]
	s_cbranch_execz .LBB1_1422
.LBB1_3472:
	v_mov_b32_e32 v14, 0
	v_cmp_ne_u16_sdwa s[8:9], v13, v14 src0_sel:BYTE_0 src1_sel:DWORD
	s_andn2_b64 s[4:5], s[4:5], exec
	s_and_b64 s[8:9], s[8:9], exec
	s_or_b64 s[4:5], s[4:5], s[8:9]
	s_or_b64 exec, exec, s[6:7]
	s_and_saveexec_b64 s[6:7], s[4:5]
	s_cbranch_execnz .LBB1_1423
	s_branch .LBB1_1424
.LBB1_3473:
	s_movk_i32 s4, 0x80
	v_cmp_eq_u16_e32 vcc, s4, v13
	s_mov_b64 s[4:5], -1
                                        ; implicit-def: $sgpr10
	s_and_saveexec_b64 s[8:9], vcc
; %bb.3474:
	s_mov_b32 s10, 0x7f800001
	s_xor_b64 s[4:5], exec, -1
; %bb.3475:
	s_or_b64 exec, exec, s[8:9]
	s_and_b64 s[4:5], s[4:5], exec
                                        ; implicit-def: $vgpr13
	s_or_saveexec_b64 s[6:7], s[6:7]
	v_mov_b32_e32 v12, s10
	s_xor_b64 exec, exec, s[6:7]
	s_cbranch_execz .LBB1_1426
.LBB1_3476:
	v_cmp_ne_u16_e32 vcc, 0, v13
	s_andn2_b64 s[4:5], s[4:5], exec
	s_and_b64 s[8:9], vcc, exec
	v_mov_b32_e32 v12, 0
	s_or_b64 s[4:5], s[4:5], s[8:9]
	s_or_b64 exec, exec, s[6:7]
	s_and_saveexec_b64 s[6:7], s[4:5]
	s_cbranch_execnz .LBB1_1427
	s_branch .LBB1_1428
.LBB1_3477:
	s_movk_i32 s4, 0x80
	v_cmp_eq_u16_e32 vcc, s4, v13
	s_mov_b64 s[4:5], -1
                                        ; implicit-def: $sgpr10
	s_and_saveexec_b64 s[8:9], vcc
; %bb.3478:
	s_mov_b32 s10, 0x7f800001
	s_xor_b64 s[4:5], exec, -1
; %bb.3479:
	s_or_b64 exec, exec, s[8:9]
	s_and_b64 s[4:5], s[4:5], exec
                                        ; implicit-def: $vgpr13
	s_or_saveexec_b64 s[6:7], s[6:7]
	v_mov_b32_e32 v14, s10
	s_xor_b64 exec, exec, s[6:7]
	s_cbranch_execz .LBB1_1430
.LBB1_3480:
	v_cmp_ne_u16_e32 vcc, 0, v13
	s_andn2_b64 s[4:5], s[4:5], exec
	s_and_b64 s[8:9], vcc, exec
	v_mov_b32_e32 v14, 0
	s_or_b64 s[4:5], s[4:5], s[8:9]
	s_or_b64 exec, exec, s[6:7]
	s_and_saveexec_b64 s[6:7], s[4:5]
	s_cbranch_execnz .LBB1_1431
	s_branch .LBB1_1432
.LBB1_3481:
	s_movk_i32 s4, 0x80
	v_cmp_eq_u16_sdwa s[12:13], v6, s4 src0_sel:BYTE_3 src1_sel:DWORD
	s_mov_b64 s[4:5], -1
                                        ; implicit-def: $sgpr10
	s_and_saveexec_b64 s[8:9], s[12:13]
; %bb.3482:
	s_mov_b32 s10, 0x7f800001
	s_xor_b64 s[4:5], exec, -1
; %bb.3483:
	s_or_b64 exec, exec, s[8:9]
	s_and_b64 s[4:5], s[4:5], exec
	s_or_saveexec_b64 s[6:7], s[6:7]
	v_mov_b32_e32 v12, s10
	s_xor_b64 exec, exec, s[6:7]
	s_cbranch_execz .LBB1_1434
.LBB1_3484:
	v_mov_b32_e32 v12, 0
	v_cmp_ne_u16_sdwa s[8:9], v6, v12 src0_sel:BYTE_3 src1_sel:DWORD
	s_andn2_b64 s[4:5], s[4:5], exec
	s_and_b64 s[8:9], s[8:9], exec
	s_or_b64 s[4:5], s[4:5], s[8:9]
	s_or_b64 exec, exec, s[6:7]
	s_and_saveexec_b64 s[6:7], s[4:5]
	s_cbranch_execnz .LBB1_1435
	s_branch .LBB1_1436
.LBB1_3485:
	s_movk_i32 s4, 0x80
	v_cmp_eq_u16_sdwa s[12:13], v2, s4 src0_sel:BYTE_3 src1_sel:DWORD
	s_mov_b64 s[4:5], -1
                                        ; implicit-def: $sgpr10
	s_and_saveexec_b64 s[8:9], s[12:13]
; %bb.3486:
	s_mov_b32 s10, 0x7f800001
	s_xor_b64 s[4:5], exec, -1
; %bb.3487:
	s_or_b64 exec, exec, s[8:9]
	s_and_b64 s[4:5], s[4:5], exec
	s_or_saveexec_b64 s[6:7], s[6:7]
	v_mov_b32_e32 v6, s10
	s_xor_b64 exec, exec, s[6:7]
	s_cbranch_execz .LBB1_1438
.LBB1_3488:
	v_mov_b32_e32 v6, 0
	v_cmp_ne_u16_sdwa s[8:9], v2, v6 src0_sel:BYTE_3 src1_sel:DWORD
	s_andn2_b64 s[4:5], s[4:5], exec
	s_and_b64 s[8:9], s[8:9], exec
	s_or_b64 s[4:5], s[4:5], s[8:9]
	s_or_b64 exec, exec, s[6:7]
	s_and_saveexec_b64 s[6:7], s[4:5]
	s_cbranch_execnz .LBB1_1439
	s_branch .LBB1_1440
.LBB1_3489:
	s_movk_i32 s4, 0x80
	v_cmp_eq_u16_sdwa s[12:13], v7, s4 src0_sel:BYTE_0 src1_sel:DWORD
	s_mov_b64 s[4:5], -1
                                        ; implicit-def: $sgpr10
	s_and_saveexec_b64 s[8:9], s[12:13]
; %bb.3490:
	s_mov_b32 s10, 0x7f800001
	s_xor_b64 s[4:5], exec, -1
; %bb.3491:
	s_or_b64 exec, exec, s[8:9]
	s_and_b64 s[4:5], s[4:5], exec
	s_or_saveexec_b64 s[6:7], s[6:7]
	v_mov_b32_e32 v2, s10
	s_xor_b64 exec, exec, s[6:7]
	s_cbranch_execz .LBB1_1442
.LBB1_3492:
	v_mov_b32_e32 v2, 0
	v_cmp_ne_u16_sdwa s[8:9], v7, v2 src0_sel:BYTE_0 src1_sel:DWORD
	s_andn2_b64 s[4:5], s[4:5], exec
	s_and_b64 s[8:9], s[8:9], exec
	s_or_b64 s[4:5], s[4:5], s[8:9]
	s_or_b64 exec, exec, s[6:7]
	s_and_saveexec_b64 s[6:7], s[4:5]
	s_cbranch_execnz .LBB1_1443
	s_branch .LBB1_1444
.LBB1_3493:
	s_movk_i32 s4, 0x80
	v_cmp_eq_u16_sdwa s[12:13], v3, s4 src0_sel:BYTE_0 src1_sel:DWORD
	s_mov_b64 s[4:5], -1
                                        ; implicit-def: $sgpr10
	s_and_saveexec_b64 s[8:9], s[12:13]
; %bb.3494:
	s_mov_b32 s10, 0x7f800001
	s_xor_b64 s[4:5], exec, -1
; %bb.3495:
	s_or_b64 exec, exec, s[8:9]
	s_and_b64 s[4:5], s[4:5], exec
	s_or_saveexec_b64 s[6:7], s[6:7]
	v_mov_b32_e32 v6, s10
	s_xor_b64 exec, exec, s[6:7]
	s_cbranch_execz .LBB1_1446
.LBB1_3496:
	v_mov_b32_e32 v6, 0
	v_cmp_ne_u16_sdwa s[8:9], v3, v6 src0_sel:BYTE_0 src1_sel:DWORD
	s_andn2_b64 s[4:5], s[4:5], exec
	s_and_b64 s[8:9], s[8:9], exec
	s_or_b64 s[4:5], s[4:5], s[8:9]
	s_or_b64 exec, exec, s[6:7]
	s_and_saveexec_b64 s[6:7], s[4:5]
	s_cbranch_execnz .LBB1_1447
	s_branch .LBB1_1448
.LBB1_3497:
	s_movk_i32 s4, 0x80
	v_cmp_eq_u16_sdwa s[12:13], v6, s4 src0_sel:BYTE_0 src1_sel:DWORD
	s_mov_b64 s[4:5], -1
                                        ; implicit-def: $sgpr10
	s_and_saveexec_b64 s[8:9], s[12:13]
; %bb.3498:
	s_mov_b32 s10, 0x7f800001
	s_xor_b64 s[4:5], exec, -1
; %bb.3499:
	s_or_b64 exec, exec, s[8:9]
	s_and_b64 s[4:5], s[4:5], exec
	s_or_saveexec_b64 s[6:7], s[6:7]
	v_mov_b32_e32 v2, s10
	s_xor_b64 exec, exec, s[6:7]
	s_cbranch_execz .LBB1_1450
.LBB1_3500:
	v_mov_b32_e32 v2, 0
	v_cmp_ne_u16_sdwa s[8:9], v6, v2 src0_sel:BYTE_0 src1_sel:DWORD
	s_andn2_b64 s[4:5], s[4:5], exec
	s_and_b64 s[8:9], s[8:9], exec
	s_or_b64 s[4:5], s[4:5], s[8:9]
	s_or_b64 exec, exec, s[6:7]
	s_and_saveexec_b64 s[6:7], s[4:5]
	s_cbranch_execnz .LBB1_1451
	s_branch .LBB1_1452
.LBB1_3501:
	s_movk_i32 s4, 0x80
	v_cmp_eq_u16_sdwa s[12:13], v6, s4 src0_sel:BYTE_0 src1_sel:DWORD
	s_mov_b64 s[4:5], -1
                                        ; implicit-def: $sgpr10
	s_and_saveexec_b64 s[8:9], s[12:13]
; %bb.3502:
	s_mov_b32 s10, 0x7f800001
	s_xor_b64 s[4:5], exec, -1
; %bb.3503:
	s_or_b64 exec, exec, s[8:9]
	s_and_b64 s[4:5], s[4:5], exec
	s_or_saveexec_b64 s[6:7], s[6:7]
	v_mov_b32_e32 v12, s10
	s_xor_b64 exec, exec, s[6:7]
	s_cbranch_execz .LBB1_1454
.LBB1_3504:
	v_mov_b32_e32 v12, 0
	v_cmp_ne_u16_sdwa s[8:9], v6, v12 src0_sel:BYTE_0 src1_sel:DWORD
	s_andn2_b64 s[4:5], s[4:5], exec
	s_and_b64 s[8:9], s[8:9], exec
	s_or_b64 s[4:5], s[4:5], s[8:9]
	s_or_b64 exec, exec, s[6:7]
	s_and_saveexec_b64 s[6:7], s[4:5]
	s_cbranch_execnz .LBB1_1455
	s_branch .LBB1_1456
.LBB1_3505:
	s_movk_i32 s4, 0x80
	v_cmp_eq_u16_e32 vcc, s4, v6
	s_mov_b64 s[4:5], -1
                                        ; implicit-def: $sgpr10
	s_and_saveexec_b64 s[8:9], vcc
; %bb.3506:
	s_mov_b32 s10, 0x7f800001
	s_xor_b64 s[4:5], exec, -1
; %bb.3507:
	s_or_b64 exec, exec, s[8:9]
	s_and_b64 s[4:5], s[4:5], exec
                                        ; implicit-def: $vgpr6
	s_or_saveexec_b64 s[6:7], s[6:7]
	v_mov_b32_e32 v2, s10
	s_xor_b64 exec, exec, s[6:7]
	s_cbranch_execz .LBB1_1458
.LBB1_3508:
	v_cmp_ne_u16_e32 vcc, 0, v6
	s_andn2_b64 s[4:5], s[4:5], exec
	s_and_b64 s[8:9], vcc, exec
	v_mov_b32_e32 v2, 0
	s_or_b64 s[4:5], s[4:5], s[8:9]
	s_or_b64 exec, exec, s[6:7]
	s_and_saveexec_b64 s[6:7], s[4:5]
	s_cbranch_execnz .LBB1_1459
	s_branch .LBB1_1460
.LBB1_3509:
	s_movk_i32 s4, 0x80
	v_cmp_eq_u16_e32 vcc, s4, v6
	s_mov_b64 s[4:5], -1
                                        ; implicit-def: $sgpr10
	s_and_saveexec_b64 s[8:9], vcc
; %bb.3510:
	s_mov_b32 s10, 0x7f800001
	s_xor_b64 s[4:5], exec, -1
; %bb.3511:
	s_or_b64 exec, exec, s[8:9]
	s_and_b64 s[4:5], s[4:5], exec
                                        ; implicit-def: $vgpr6
	s_or_saveexec_b64 s[6:7], s[6:7]
	v_mov_b32_e32 v12, s10
	s_xor_b64 exec, exec, s[6:7]
	s_cbranch_execz .LBB1_1462
.LBB1_3512:
	v_cmp_ne_u16_e32 vcc, 0, v6
	s_andn2_b64 s[4:5], s[4:5], exec
	s_and_b64 s[8:9], vcc, exec
	v_mov_b32_e32 v12, 0
	s_or_b64 s[4:5], s[4:5], s[8:9]
	s_or_b64 exec, exec, s[6:7]
	s_and_saveexec_b64 s[6:7], s[4:5]
	s_cbranch_execnz .LBB1_1463
	s_branch .LBB1_1464
.LBB1_3513:
	s_movk_i32 s4, 0x80
	v_cmp_eq_u16_sdwa s[12:13], v7, s4 src0_sel:BYTE_3 src1_sel:DWORD
	s_mov_b64 s[4:5], -1
                                        ; implicit-def: $sgpr10
	s_and_saveexec_b64 s[8:9], s[12:13]
; %bb.3514:
	s_mov_b32 s10, 0x7f800001
	s_xor_b64 s[4:5], exec, -1
; %bb.3515:
	s_or_b64 exec, exec, s[8:9]
	s_and_b64 s[4:5], s[4:5], exec
	s_or_saveexec_b64 s[6:7], s[6:7]
	v_mov_b32_e32 v2, s10
	s_xor_b64 exec, exec, s[6:7]
	s_cbranch_execz .LBB1_1466
.LBB1_3516:
	v_mov_b32_e32 v2, 0
	v_cmp_ne_u16_sdwa s[8:9], v7, v2 src0_sel:BYTE_3 src1_sel:DWORD
	s_andn2_b64 s[4:5], s[4:5], exec
	s_and_b64 s[8:9], s[8:9], exec
	s_or_b64 s[4:5], s[4:5], s[8:9]
	s_or_b64 exec, exec, s[6:7]
	s_and_saveexec_b64 s[6:7], s[4:5]
	s_cbranch_execnz .LBB1_1467
	s_branch .LBB1_1468
.LBB1_3517:
	s_movk_i32 s4, 0x80
	v_cmp_eq_u16_sdwa s[12:13], v3, s4 src0_sel:BYTE_3 src1_sel:DWORD
	s_mov_b64 s[4:5], -1
                                        ; implicit-def: $sgpr10
	s_and_saveexec_b64 s[8:9], s[12:13]
; %bb.3518:
	s_mov_b32 s10, 0x7f800001
	s_xor_b64 s[4:5], exec, -1
; %bb.3519:
	s_or_b64 exec, exec, s[8:9]
	s_and_b64 s[4:5], s[4:5], exec
	s_or_saveexec_b64 s[6:7], s[6:7]
	v_mov_b32_e32 v6, s10
	s_xor_b64 exec, exec, s[6:7]
	s_cbranch_execz .LBB1_1470
.LBB1_3520:
	v_mov_b32_e32 v6, 0
	v_cmp_ne_u16_sdwa s[8:9], v3, v6 src0_sel:BYTE_3 src1_sel:DWORD
	s_andn2_b64 s[4:5], s[4:5], exec
	s_and_b64 s[8:9], s[8:9], exec
	s_or_b64 s[4:5], s[4:5], s[8:9]
	s_or_b64 exec, exec, s[6:7]
	s_and_saveexec_b64 s[6:7], s[4:5]
	s_cbranch_execnz .LBB1_1471
	s_branch .LBB1_1472
.LBB1_3521:
	s_movk_i32 s4, 0x80
	v_cmp_eq_u16_sdwa s[12:13], v8, s4 src0_sel:BYTE_0 src1_sel:DWORD
	s_mov_b64 s[4:5], -1
                                        ; implicit-def: $sgpr10
	s_and_saveexec_b64 s[8:9], s[12:13]
; %bb.3522:
	s_mov_b32 s10, 0x7f800001
	s_xor_b64 s[4:5], exec, -1
; %bb.3523:
	s_or_b64 exec, exec, s[8:9]
	s_and_b64 s[4:5], s[4:5], exec
	s_or_saveexec_b64 s[6:7], s[6:7]
	v_mov_b32_e32 v2, s10
	s_xor_b64 exec, exec, s[6:7]
	s_cbranch_execz .LBB1_1474
.LBB1_3524:
	v_mov_b32_e32 v2, 0
	v_cmp_ne_u16_sdwa s[8:9], v8, v2 src0_sel:BYTE_0 src1_sel:DWORD
	s_andn2_b64 s[4:5], s[4:5], exec
	s_and_b64 s[8:9], s[8:9], exec
	s_or_b64 s[4:5], s[4:5], s[8:9]
	s_or_b64 exec, exec, s[6:7]
	s_and_saveexec_b64 s[6:7], s[4:5]
	s_cbranch_execnz .LBB1_1475
	s_branch .LBB1_1476
.LBB1_3525:
	s_movk_i32 s4, 0x80
	v_cmp_eq_u16_sdwa s[12:13], v4, s4 src0_sel:BYTE_0 src1_sel:DWORD
	s_mov_b64 s[4:5], -1
                                        ; implicit-def: $sgpr10
	s_and_saveexec_b64 s[8:9], s[12:13]
; %bb.3526:
	s_mov_b32 s10, 0x7f800001
	s_xor_b64 s[4:5], exec, -1
; %bb.3527:
	s_or_b64 exec, exec, s[8:9]
	s_and_b64 s[4:5], s[4:5], exec
	s_or_saveexec_b64 s[6:7], s[6:7]
	v_mov_b32_e32 v3, s10
	s_xor_b64 exec, exec, s[6:7]
	s_cbranch_execz .LBB1_1478
.LBB1_3528:
	v_mov_b32_e32 v3, 0
	v_cmp_ne_u16_sdwa s[8:9], v4, v3 src0_sel:BYTE_0 src1_sel:DWORD
	s_andn2_b64 s[4:5], s[4:5], exec
	s_and_b64 s[8:9], s[8:9], exec
	s_or_b64 s[4:5], s[4:5], s[8:9]
	s_or_b64 exec, exec, s[6:7]
	s_and_saveexec_b64 s[6:7], s[4:5]
	s_cbranch_execnz .LBB1_1479
	s_branch .LBB1_1480
.LBB1_3529:
	s_movk_i32 s4, 0x80
	v_cmp_eq_u16_sdwa s[12:13], v3, s4 src0_sel:BYTE_0 src1_sel:DWORD
	s_mov_b64 s[4:5], -1
                                        ; implicit-def: $sgpr10
	s_and_saveexec_b64 s[8:9], s[12:13]
; %bb.3530:
	s_mov_b32 s10, 0x7f800001
	s_xor_b64 s[4:5], exec, -1
; %bb.3531:
	s_or_b64 exec, exec, s[8:9]
	s_and_b64 s[4:5], s[4:5], exec
	s_or_saveexec_b64 s[6:7], s[6:7]
	v_mov_b32_e32 v2, s10
	s_xor_b64 exec, exec, s[6:7]
	s_cbranch_execz .LBB1_1482
.LBB1_3532:
	v_mov_b32_e32 v2, 0
	v_cmp_ne_u16_sdwa s[8:9], v3, v2 src0_sel:BYTE_0 src1_sel:DWORD
	s_andn2_b64 s[4:5], s[4:5], exec
	s_and_b64 s[8:9], s[8:9], exec
	s_or_b64 s[4:5], s[4:5], s[8:9]
	s_or_b64 exec, exec, s[6:7]
	s_and_saveexec_b64 s[6:7], s[4:5]
	s_cbranch_execnz .LBB1_1483
	s_branch .LBB1_1484
.LBB1_3533:
	s_movk_i32 s4, 0x80
	v_cmp_eq_u16_sdwa s[12:13], v3, s4 src0_sel:BYTE_0 src1_sel:DWORD
	s_mov_b64 s[4:5], -1
                                        ; implicit-def: $sgpr10
	s_and_saveexec_b64 s[8:9], s[12:13]
; %bb.3534:
	s_mov_b32 s10, 0x7f800001
	s_xor_b64 s[4:5], exec, -1
; %bb.3535:
	s_or_b64 exec, exec, s[8:9]
	s_and_b64 s[4:5], s[4:5], exec
	s_or_saveexec_b64 s[6:7], s[6:7]
	v_mov_b32_e32 v6, s10
	s_xor_b64 exec, exec, s[6:7]
	s_cbranch_execz .LBB1_1486
.LBB1_3536:
	v_mov_b32_e32 v6, 0
	v_cmp_ne_u16_sdwa s[8:9], v3, v6 src0_sel:BYTE_0 src1_sel:DWORD
	s_andn2_b64 s[4:5], s[4:5], exec
	s_and_b64 s[8:9], s[8:9], exec
	s_or_b64 s[4:5], s[4:5], s[8:9]
	s_or_b64 exec, exec, s[6:7]
	s_and_saveexec_b64 s[6:7], s[4:5]
	s_cbranch_execnz .LBB1_1487
	s_branch .LBB1_1488
.LBB1_3537:
	s_movk_i32 s4, 0x80
	v_cmp_eq_u16_e32 vcc, s4, v3
	s_mov_b64 s[4:5], -1
                                        ; implicit-def: $sgpr10
	s_and_saveexec_b64 s[8:9], vcc
; %bb.3538:
	s_mov_b32 s10, 0x7f800001
	s_xor_b64 s[4:5], exec, -1
; %bb.3539:
	s_or_b64 exec, exec, s[8:9]
	s_and_b64 s[4:5], s[4:5], exec
                                        ; implicit-def: $vgpr3
	s_or_saveexec_b64 s[6:7], s[6:7]
	v_mov_b32_e32 v2, s10
	s_xor_b64 exec, exec, s[6:7]
	s_cbranch_execz .LBB1_1490
.LBB1_3540:
	v_cmp_ne_u16_e32 vcc, 0, v3
	s_andn2_b64 s[4:5], s[4:5], exec
	s_and_b64 s[8:9], vcc, exec
	v_mov_b32_e32 v2, 0
	s_or_b64 s[4:5], s[4:5], s[8:9]
	s_or_b64 exec, exec, s[6:7]
	s_and_saveexec_b64 s[6:7], s[4:5]
	s_cbranch_execnz .LBB1_1491
	s_branch .LBB1_1492
.LBB1_3541:
	s_movk_i32 s4, 0x80
	v_cmp_eq_u16_e32 vcc, s4, v3
	s_mov_b64 s[4:5], -1
                                        ; implicit-def: $sgpr10
	s_and_saveexec_b64 s[8:9], vcc
; %bb.3542:
	s_mov_b32 s10, 0x7f800001
	s_xor_b64 s[4:5], exec, -1
; %bb.3543:
	s_or_b64 exec, exec, s[8:9]
	s_and_b64 s[4:5], s[4:5], exec
                                        ; implicit-def: $vgpr3
	s_or_saveexec_b64 s[6:7], s[6:7]
	v_mov_b32_e32 v6, s10
	s_xor_b64 exec, exec, s[6:7]
	s_cbranch_execz .LBB1_1494
.LBB1_3544:
	v_cmp_ne_u16_e32 vcc, 0, v3
	s_andn2_b64 s[4:5], s[4:5], exec
	s_and_b64 s[8:9], vcc, exec
	v_mov_b32_e32 v6, 0
	s_or_b64 s[4:5], s[4:5], s[8:9]
	s_or_b64 exec, exec, s[6:7]
	s_and_saveexec_b64 s[6:7], s[4:5]
	s_cbranch_execnz .LBB1_1495
	s_branch .LBB1_1496
.LBB1_3545:
	s_movk_i32 s4, 0x80
	v_cmp_eq_u16_sdwa s[12:13], v8, s4 src0_sel:BYTE_3 src1_sel:DWORD
	s_mov_b64 s[4:5], -1
                                        ; implicit-def: $sgpr10
	s_and_saveexec_b64 s[8:9], s[12:13]
; %bb.3546:
	s_mov_b32 s10, 0x7f800001
	s_xor_b64 s[4:5], exec, -1
; %bb.3547:
	s_or_b64 exec, exec, s[8:9]
	s_and_b64 s[4:5], s[4:5], exec
	s_or_saveexec_b64 s[6:7], s[6:7]
	v_mov_b32_e32 v2, s10
	s_xor_b64 exec, exec, s[6:7]
	s_cbranch_execz .LBB1_1498
.LBB1_3548:
	v_mov_b32_e32 v2, 0
	v_cmp_ne_u16_sdwa s[8:9], v8, v2 src0_sel:BYTE_3 src1_sel:DWORD
	s_andn2_b64 s[4:5], s[4:5], exec
	s_and_b64 s[8:9], s[8:9], exec
	s_or_b64 s[4:5], s[4:5], s[8:9]
	s_or_b64 exec, exec, s[6:7]
	s_and_saveexec_b64 s[6:7], s[4:5]
	s_cbranch_execnz .LBB1_1499
	s_branch .LBB1_1500
.LBB1_3549:
	s_movk_i32 s4, 0x80
	v_cmp_eq_u16_sdwa s[12:13], v4, s4 src0_sel:BYTE_3 src1_sel:DWORD
	s_mov_b64 s[4:5], -1
                                        ; implicit-def: $sgpr10
	s_and_saveexec_b64 s[8:9], s[12:13]
; %bb.3550:
	s_mov_b32 s10, 0x7f800001
	s_xor_b64 s[4:5], exec, -1
; %bb.3551:
	s_or_b64 exec, exec, s[8:9]
	s_and_b64 s[4:5], s[4:5], exec
	s_or_saveexec_b64 s[6:7], s[6:7]
	v_mov_b32_e32 v3, s10
	s_xor_b64 exec, exec, s[6:7]
	s_cbranch_execz .LBB1_1502
.LBB1_3552:
	v_mov_b32_e32 v3, 0
	v_cmp_ne_u16_sdwa s[8:9], v4, v3 src0_sel:BYTE_3 src1_sel:DWORD
	s_andn2_b64 s[4:5], s[4:5], exec
	s_and_b64 s[8:9], s[8:9], exec
	s_or_b64 s[4:5], s[4:5], s[8:9]
	s_or_b64 exec, exec, s[6:7]
	s_and_saveexec_b64 s[6:7], s[4:5]
	s_cbranch_execnz .LBB1_1503
	s_branch .LBB1_1504
.LBB1_3553:
	s_movk_i32 s4, 0x80
	v_cmp_eq_u16_sdwa s[12:13], v9, s4 src0_sel:BYTE_0 src1_sel:DWORD
	s_mov_b64 s[4:5], -1
                                        ; implicit-def: $sgpr10
	s_and_saveexec_b64 s[8:9], s[12:13]
; %bb.3554:
	s_mov_b32 s10, 0x7f800001
	s_xor_b64 s[4:5], exec, -1
; %bb.3555:
	s_or_b64 exec, exec, s[8:9]
	s_and_b64 s[4:5], s[4:5], exec
	s_or_saveexec_b64 s[6:7], s[6:7]
	v_mov_b32_e32 v2, s10
	s_xor_b64 exec, exec, s[6:7]
	s_cbranch_execz .LBB1_1506
.LBB1_3556:
	v_mov_b32_e32 v2, 0
	v_cmp_ne_u16_sdwa s[8:9], v9, v2 src0_sel:BYTE_0 src1_sel:DWORD
	s_andn2_b64 s[4:5], s[4:5], exec
	s_and_b64 s[8:9], s[8:9], exec
	s_or_b64 s[4:5], s[4:5], s[8:9]
	s_or_b64 exec, exec, s[6:7]
	s_and_saveexec_b64 s[6:7], s[4:5]
	s_cbranch_execnz .LBB1_1507
	s_branch .LBB1_1508
.LBB1_3557:
	s_movk_i32 s4, 0x80
	v_cmp_eq_u16_sdwa s[12:13], v5, s4 src0_sel:BYTE_0 src1_sel:DWORD
	s_mov_b64 s[4:5], -1
                                        ; implicit-def: $sgpr10
	s_and_saveexec_b64 s[8:9], s[12:13]
; %bb.3558:
	s_mov_b32 s10, 0x7f800001
	s_xor_b64 s[4:5], exec, -1
; %bb.3559:
	s_or_b64 exec, exec, s[8:9]
	s_and_b64 s[4:5], s[4:5], exec
	s_or_saveexec_b64 s[6:7], s[6:7]
	v_mov_b32_e32 v3, s10
	s_xor_b64 exec, exec, s[6:7]
	s_cbranch_execz .LBB1_1510
.LBB1_3560:
	v_mov_b32_e32 v3, 0
	v_cmp_ne_u16_sdwa s[8:9], v5, v3 src0_sel:BYTE_0 src1_sel:DWORD
	s_andn2_b64 s[4:5], s[4:5], exec
	s_and_b64 s[8:9], s[8:9], exec
	s_or_b64 s[4:5], s[4:5], s[8:9]
	s_or_b64 exec, exec, s[6:7]
	s_and_saveexec_b64 s[6:7], s[4:5]
	s_cbranch_execnz .LBB1_1511
	s_branch .LBB1_1512
.LBB1_3561:
	s_movk_i32 s4, 0x80
	v_cmp_eq_u16_sdwa s[12:13], v3, s4 src0_sel:BYTE_0 src1_sel:DWORD
	s_mov_b64 s[4:5], -1
                                        ; implicit-def: $sgpr10
	s_and_saveexec_b64 s[8:9], s[12:13]
; %bb.3562:
	s_mov_b32 s10, 0x7f800001
	s_xor_b64 s[4:5], exec, -1
; %bb.3563:
	s_or_b64 exec, exec, s[8:9]
	s_and_b64 s[4:5], s[4:5], exec
	s_or_saveexec_b64 s[6:7], s[6:7]
	v_mov_b32_e32 v2, s10
	s_xor_b64 exec, exec, s[6:7]
	s_cbranch_execz .LBB1_1514
.LBB1_3564:
	v_mov_b32_e32 v2, 0
	v_cmp_ne_u16_sdwa s[8:9], v3, v2 src0_sel:BYTE_0 src1_sel:DWORD
	s_andn2_b64 s[4:5], s[4:5], exec
	s_and_b64 s[8:9], s[8:9], exec
	s_or_b64 s[4:5], s[4:5], s[8:9]
	s_or_b64 exec, exec, s[6:7]
	s_and_saveexec_b64 s[6:7], s[4:5]
	s_cbranch_execnz .LBB1_1515
	s_branch .LBB1_1516
.LBB1_3565:
	s_movk_i32 s4, 0x80
	v_cmp_eq_u16_sdwa s[12:13], v3, s4 src0_sel:BYTE_0 src1_sel:DWORD
	s_mov_b64 s[4:5], -1
                                        ; implicit-def: $sgpr10
	s_and_saveexec_b64 s[8:9], s[12:13]
; %bb.3566:
	s_mov_b32 s10, 0x7f800001
	s_xor_b64 s[4:5], exec, -1
; %bb.3567:
	s_or_b64 exec, exec, s[8:9]
	s_and_b64 s[4:5], s[4:5], exec
	s_or_saveexec_b64 s[6:7], s[6:7]
	v_mov_b32_e32 v4, s10
	s_xor_b64 exec, exec, s[6:7]
	s_cbranch_execz .LBB1_1518
.LBB1_3568:
	v_mov_b32_e32 v4, 0
	v_cmp_ne_u16_sdwa s[8:9], v3, v4 src0_sel:BYTE_0 src1_sel:DWORD
	s_andn2_b64 s[4:5], s[4:5], exec
	s_and_b64 s[8:9], s[8:9], exec
	s_or_b64 s[4:5], s[4:5], s[8:9]
	s_or_b64 exec, exec, s[6:7]
	s_and_saveexec_b64 s[6:7], s[4:5]
	s_cbranch_execnz .LBB1_1519
	s_branch .LBB1_1520
.LBB1_3569:
	s_movk_i32 s4, 0x80
	v_cmp_eq_u16_e32 vcc, s4, v3
	s_mov_b64 s[4:5], -1
                                        ; implicit-def: $sgpr10
	s_and_saveexec_b64 s[8:9], vcc
; %bb.3570:
	s_mov_b32 s10, 0x7f800001
	s_xor_b64 s[4:5], exec, -1
; %bb.3571:
	s_or_b64 exec, exec, s[8:9]
	s_and_b64 s[4:5], s[4:5], exec
                                        ; implicit-def: $vgpr3
	s_or_saveexec_b64 s[6:7], s[6:7]
	v_mov_b32_e32 v2, s10
	s_xor_b64 exec, exec, s[6:7]
	s_cbranch_execz .LBB1_1522
.LBB1_3572:
	v_cmp_ne_u16_e32 vcc, 0, v3
	s_andn2_b64 s[4:5], s[4:5], exec
	s_and_b64 s[8:9], vcc, exec
	v_mov_b32_e32 v2, 0
	s_or_b64 s[4:5], s[4:5], s[8:9]
	s_or_b64 exec, exec, s[6:7]
	s_and_saveexec_b64 s[6:7], s[4:5]
	s_cbranch_execnz .LBB1_1523
	s_branch .LBB1_1524
.LBB1_3573:
	s_movk_i32 s4, 0x80
	v_cmp_eq_u16_e32 vcc, s4, v3
	s_mov_b64 s[4:5], -1
                                        ; implicit-def: $sgpr10
	s_and_saveexec_b64 s[8:9], vcc
; %bb.3574:
	s_mov_b32 s10, 0x7f800001
	s_xor_b64 s[4:5], exec, -1
; %bb.3575:
	s_or_b64 exec, exec, s[8:9]
	s_and_b64 s[4:5], s[4:5], exec
                                        ; implicit-def: $vgpr3
	s_or_saveexec_b64 s[6:7], s[6:7]
	v_mov_b32_e32 v4, s10
	s_xor_b64 exec, exec, s[6:7]
	s_cbranch_execz .LBB1_1526
.LBB1_3576:
	v_cmp_ne_u16_e32 vcc, 0, v3
	s_andn2_b64 s[4:5], s[4:5], exec
	s_and_b64 s[8:9], vcc, exec
	v_mov_b32_e32 v4, 0
	s_or_b64 s[4:5], s[4:5], s[8:9]
	s_or_b64 exec, exec, s[6:7]
	s_and_saveexec_b64 s[6:7], s[4:5]
	s_cbranch_execnz .LBB1_1527
	s_branch .LBB1_1528
.LBB1_3577:
	s_movk_i32 s4, 0x80
	v_cmp_eq_u16_sdwa s[12:13], v9, s4 src0_sel:BYTE_3 src1_sel:DWORD
	s_mov_b64 s[4:5], -1
                                        ; implicit-def: $sgpr10
	s_and_saveexec_b64 s[8:9], s[12:13]
; %bb.3578:
	s_mov_b32 s10, 0x7f800001
	s_xor_b64 s[4:5], exec, -1
; %bb.3579:
	s_or_b64 exec, exec, s[8:9]
	s_and_b64 s[4:5], s[4:5], exec
	s_or_saveexec_b64 s[6:7], s[6:7]
	v_mov_b32_e32 v2, s10
	s_xor_b64 exec, exec, s[6:7]
	s_cbranch_execz .LBB1_1530
.LBB1_3580:
	v_mov_b32_e32 v2, 0
	v_cmp_ne_u16_sdwa s[8:9], v9, v2 src0_sel:BYTE_3 src1_sel:DWORD
	s_andn2_b64 s[4:5], s[4:5], exec
	s_and_b64 s[8:9], s[8:9], exec
	s_or_b64 s[4:5], s[4:5], s[8:9]
	s_or_b64 exec, exec, s[6:7]
	s_and_saveexec_b64 s[6:7], s[4:5]
	s_cbranch_execnz .LBB1_1531
	s_branch .LBB1_1532
.LBB1_3581:
	s_movk_i32 s4, 0x80
	v_cmp_eq_u16_sdwa s[12:13], v5, s4 src0_sel:BYTE_3 src1_sel:DWORD
	s_mov_b64 s[4:5], -1
                                        ; implicit-def: $sgpr10
	s_and_saveexec_b64 s[8:9], s[12:13]
; %bb.3582:
	s_mov_b32 s10, 0x7f800001
	s_xor_b64 s[4:5], exec, -1
; %bb.3583:
	s_or_b64 exec, exec, s[8:9]
	s_and_b64 s[4:5], s[4:5], exec
	s_or_saveexec_b64 s[6:7], s[6:7]
	v_mov_b32_e32 v3, s10
	s_xor_b64 exec, exec, s[6:7]
	s_cbranch_execz .LBB1_1534
.LBB1_3584:
	v_mov_b32_e32 v3, 0
	v_cmp_ne_u16_sdwa s[8:9], v5, v3 src0_sel:BYTE_3 src1_sel:DWORD
	s_andn2_b64 s[4:5], s[4:5], exec
	s_and_b64 s[8:9], s[8:9], exec
	s_or_b64 s[4:5], s[4:5], s[8:9]
	s_or_b64 exec, exec, s[6:7]
	s_and_saveexec_b64 s[6:7], s[4:5]
	s_cbranch_execnz .LBB1_1535
	s_branch .LBB1_1536
.LBB1_3585:
	s_movk_i32 s4, 0x80
	v_cmp_eq_u16_sdwa s[12:13], v6, s4 src0_sel:BYTE_0 src1_sel:DWORD
	s_mov_b64 s[4:5], -1
                                        ; implicit-def: $sgpr10
	s_and_saveexec_b64 s[8:9], s[12:13]
; %bb.3586:
	s_mov_b32 s10, 0x7f800001
	s_xor_b64 s[4:5], exec, -1
; %bb.3587:
	s_or_b64 exec, exec, s[8:9]
	s_and_b64 s[4:5], s[4:5], exec
	s_or_saveexec_b64 s[6:7], s[6:7]
	v_mov_b32_e32 v12, s10
	s_xor_b64 exec, exec, s[6:7]
	s_cbranch_execz .LBB1_1538
.LBB1_3588:
	v_mov_b32_e32 v12, 0
	v_cmp_ne_u16_sdwa s[8:9], v6, v12 src0_sel:BYTE_0 src1_sel:DWORD
	s_andn2_b64 s[4:5], s[4:5], exec
	s_and_b64 s[8:9], s[8:9], exec
	s_or_b64 s[4:5], s[4:5], s[8:9]
	s_or_b64 exec, exec, s[6:7]
	s_and_saveexec_b64 s[6:7], s[4:5]
	s_cbranch_execnz .LBB1_1539
	s_branch .LBB1_1540
.LBB1_3589:
	s_movk_i32 s4, 0x80
	v_cmp_eq_u16_sdwa s[12:13], v2, s4 src0_sel:BYTE_0 src1_sel:DWORD
	s_mov_b64 s[4:5], -1
                                        ; implicit-def: $sgpr10
	s_and_saveexec_b64 s[8:9], s[12:13]
; %bb.3590:
	s_mov_b32 s10, 0x7f800001
	s_xor_b64 s[4:5], exec, -1
; %bb.3591:
	s_or_b64 exec, exec, s[8:9]
	s_and_b64 s[4:5], s[4:5], exec
	s_or_saveexec_b64 s[6:7], s[6:7]
	v_mov_b32_e32 v13, s10
	s_xor_b64 exec, exec, s[6:7]
	s_cbranch_execz .LBB1_1542
.LBB1_3592:
	v_mov_b32_e32 v13, 0
	v_cmp_ne_u16_sdwa s[8:9], v2, v13 src0_sel:BYTE_0 src1_sel:DWORD
	s_andn2_b64 s[4:5], s[4:5], exec
	s_and_b64 s[8:9], s[8:9], exec
	s_or_b64 s[4:5], s[4:5], s[8:9]
	s_or_b64 exec, exec, s[6:7]
	s_and_saveexec_b64 s[6:7], s[4:5]
	s_cbranch_execnz .LBB1_1543
	s_branch .LBB1_1544
.LBB1_3593:
	s_movk_i32 s4, 0x80
	v_cmp_eq_u16_sdwa s[12:13], v13, s4 src0_sel:BYTE_0 src1_sel:DWORD
	s_mov_b64 s[4:5], -1
                                        ; implicit-def: $sgpr10
	s_and_saveexec_b64 s[8:9], s[12:13]
; %bb.3594:
	s_mov_b32 s10, 0x7f800001
	s_xor_b64 s[4:5], exec, -1
; %bb.3595:
	s_or_b64 exec, exec, s[8:9]
	s_and_b64 s[4:5], s[4:5], exec
	s_or_saveexec_b64 s[6:7], s[6:7]
	v_mov_b32_e32 v12, s10
	s_xor_b64 exec, exec, s[6:7]
	s_cbranch_execz .LBB1_1546
.LBB1_3596:
	v_mov_b32_e32 v12, 0
	v_cmp_ne_u16_sdwa s[8:9], v13, v12 src0_sel:BYTE_0 src1_sel:DWORD
	s_andn2_b64 s[4:5], s[4:5], exec
	s_and_b64 s[8:9], s[8:9], exec
	s_or_b64 s[4:5], s[4:5], s[8:9]
	s_or_b64 exec, exec, s[6:7]
	s_and_saveexec_b64 s[6:7], s[4:5]
	s_cbranch_execnz .LBB1_1547
	s_branch .LBB1_1548
.LBB1_3597:
	s_movk_i32 s4, 0x80
	v_cmp_eq_u16_sdwa s[12:13], v13, s4 src0_sel:BYTE_0 src1_sel:DWORD
	s_mov_b64 s[4:5], -1
                                        ; implicit-def: $sgpr10
	s_and_saveexec_b64 s[8:9], s[12:13]
; %bb.3598:
	s_mov_b32 s10, 0x7f800001
	s_xor_b64 s[4:5], exec, -1
; %bb.3599:
	s_or_b64 exec, exec, s[8:9]
	s_and_b64 s[4:5], s[4:5], exec
	s_or_saveexec_b64 s[6:7], s[6:7]
	v_mov_b32_e32 v14, s10
	s_xor_b64 exec, exec, s[6:7]
	s_cbranch_execz .LBB1_1550
.LBB1_3600:
	v_mov_b32_e32 v14, 0
	v_cmp_ne_u16_sdwa s[8:9], v13, v14 src0_sel:BYTE_0 src1_sel:DWORD
	s_andn2_b64 s[4:5], s[4:5], exec
	s_and_b64 s[8:9], s[8:9], exec
	s_or_b64 s[4:5], s[4:5], s[8:9]
	s_or_b64 exec, exec, s[6:7]
	s_and_saveexec_b64 s[6:7], s[4:5]
	s_cbranch_execnz .LBB1_1551
	s_branch .LBB1_1552
.LBB1_3601:
	s_movk_i32 s4, 0x80
	v_cmp_eq_u16_e32 vcc, s4, v13
	s_mov_b64 s[4:5], -1
                                        ; implicit-def: $sgpr10
	s_and_saveexec_b64 s[8:9], vcc
; %bb.3602:
	s_mov_b32 s10, 0x7f800001
	s_xor_b64 s[4:5], exec, -1
; %bb.3603:
	s_or_b64 exec, exec, s[8:9]
	s_and_b64 s[4:5], s[4:5], exec
                                        ; implicit-def: $vgpr13
	s_or_saveexec_b64 s[6:7], s[6:7]
	v_mov_b32_e32 v12, s10
	s_xor_b64 exec, exec, s[6:7]
	s_cbranch_execz .LBB1_1554
.LBB1_3604:
	v_cmp_ne_u16_e32 vcc, 0, v13
	s_andn2_b64 s[4:5], s[4:5], exec
	s_and_b64 s[8:9], vcc, exec
	v_mov_b32_e32 v12, 0
	s_or_b64 s[4:5], s[4:5], s[8:9]
	s_or_b64 exec, exec, s[6:7]
	s_and_saveexec_b64 s[6:7], s[4:5]
	s_cbranch_execnz .LBB1_1555
	s_branch .LBB1_1556
.LBB1_3605:
	s_movk_i32 s4, 0x80
	v_cmp_eq_u16_e32 vcc, s4, v13
	s_mov_b64 s[4:5], -1
                                        ; implicit-def: $sgpr10
	s_and_saveexec_b64 s[8:9], vcc
; %bb.3606:
	s_mov_b32 s10, 0x7f800001
	s_xor_b64 s[4:5], exec, -1
; %bb.3607:
	s_or_b64 exec, exec, s[8:9]
	s_and_b64 s[4:5], s[4:5], exec
                                        ; implicit-def: $vgpr13
	s_or_saveexec_b64 s[6:7], s[6:7]
	v_mov_b32_e32 v14, s10
	s_xor_b64 exec, exec, s[6:7]
	s_cbranch_execz .LBB1_1558
.LBB1_3608:
	v_cmp_ne_u16_e32 vcc, 0, v13
	s_andn2_b64 s[4:5], s[4:5], exec
	s_and_b64 s[8:9], vcc, exec
	v_mov_b32_e32 v14, 0
	s_or_b64 s[4:5], s[4:5], s[8:9]
	s_or_b64 exec, exec, s[6:7]
	s_and_saveexec_b64 s[6:7], s[4:5]
	s_cbranch_execnz .LBB1_1559
	s_branch .LBB1_1560
.LBB1_3609:
	s_movk_i32 s4, 0x80
	v_cmp_eq_u16_sdwa s[12:13], v6, s4 src0_sel:BYTE_3 src1_sel:DWORD
	s_mov_b64 s[4:5], -1
                                        ; implicit-def: $sgpr10
	s_and_saveexec_b64 s[8:9], s[12:13]
; %bb.3610:
	s_mov_b32 s10, 0x7f800001
	s_xor_b64 s[4:5], exec, -1
; %bb.3611:
	s_or_b64 exec, exec, s[8:9]
	s_and_b64 s[4:5], s[4:5], exec
	s_or_saveexec_b64 s[6:7], s[6:7]
	v_mov_b32_e32 v12, s10
	s_xor_b64 exec, exec, s[6:7]
	s_cbranch_execz .LBB1_1562
.LBB1_3612:
	v_mov_b32_e32 v12, 0
	v_cmp_ne_u16_sdwa s[8:9], v6, v12 src0_sel:BYTE_3 src1_sel:DWORD
	s_andn2_b64 s[4:5], s[4:5], exec
	s_and_b64 s[8:9], s[8:9], exec
	s_or_b64 s[4:5], s[4:5], s[8:9]
	s_or_b64 exec, exec, s[6:7]
	s_and_saveexec_b64 s[6:7], s[4:5]
	s_cbranch_execnz .LBB1_1563
	s_branch .LBB1_1564
.LBB1_3613:
	s_movk_i32 s4, 0x80
	v_cmp_eq_u16_sdwa s[12:13], v2, s4 src0_sel:BYTE_3 src1_sel:DWORD
	s_mov_b64 s[4:5], -1
                                        ; implicit-def: $sgpr10
	s_and_saveexec_b64 s[8:9], s[12:13]
; %bb.3614:
	s_mov_b32 s10, 0x7f800001
	s_xor_b64 s[4:5], exec, -1
; %bb.3615:
	s_or_b64 exec, exec, s[8:9]
	s_and_b64 s[4:5], s[4:5], exec
	s_or_saveexec_b64 s[6:7], s[6:7]
	v_mov_b32_e32 v6, s10
	s_xor_b64 exec, exec, s[6:7]
	s_cbranch_execz .LBB1_1566
.LBB1_3616:
	v_mov_b32_e32 v6, 0
	v_cmp_ne_u16_sdwa s[8:9], v2, v6 src0_sel:BYTE_3 src1_sel:DWORD
	s_andn2_b64 s[4:5], s[4:5], exec
	s_and_b64 s[8:9], s[8:9], exec
	s_or_b64 s[4:5], s[4:5], s[8:9]
	s_or_b64 exec, exec, s[6:7]
	s_and_saveexec_b64 s[6:7], s[4:5]
	s_cbranch_execnz .LBB1_1567
	s_branch .LBB1_1568
.LBB1_3617:
	s_movk_i32 s4, 0x80
	v_cmp_eq_u16_sdwa s[12:13], v7, s4 src0_sel:BYTE_0 src1_sel:DWORD
	s_mov_b64 s[4:5], -1
                                        ; implicit-def: $sgpr10
	s_and_saveexec_b64 s[8:9], s[12:13]
; %bb.3618:
	s_mov_b32 s10, 0x7f800001
	s_xor_b64 s[4:5], exec, -1
; %bb.3619:
	s_or_b64 exec, exec, s[8:9]
	s_and_b64 s[4:5], s[4:5], exec
	s_or_saveexec_b64 s[6:7], s[6:7]
	v_mov_b32_e32 v2, s10
	s_xor_b64 exec, exec, s[6:7]
	s_cbranch_execz .LBB1_1570
.LBB1_3620:
	v_mov_b32_e32 v2, 0
	v_cmp_ne_u16_sdwa s[8:9], v7, v2 src0_sel:BYTE_0 src1_sel:DWORD
	s_andn2_b64 s[4:5], s[4:5], exec
	s_and_b64 s[8:9], s[8:9], exec
	s_or_b64 s[4:5], s[4:5], s[8:9]
	s_or_b64 exec, exec, s[6:7]
	s_and_saveexec_b64 s[6:7], s[4:5]
	s_cbranch_execnz .LBB1_1571
	s_branch .LBB1_1572
.LBB1_3621:
	s_movk_i32 s4, 0x80
	v_cmp_eq_u16_sdwa s[12:13], v3, s4 src0_sel:BYTE_0 src1_sel:DWORD
	s_mov_b64 s[4:5], -1
                                        ; implicit-def: $sgpr10
	s_and_saveexec_b64 s[8:9], s[12:13]
; %bb.3622:
	s_mov_b32 s10, 0x7f800001
	s_xor_b64 s[4:5], exec, -1
; %bb.3623:
	s_or_b64 exec, exec, s[8:9]
	s_and_b64 s[4:5], s[4:5], exec
	s_or_saveexec_b64 s[6:7], s[6:7]
	v_mov_b32_e32 v6, s10
	s_xor_b64 exec, exec, s[6:7]
	s_cbranch_execz .LBB1_1574
.LBB1_3624:
	v_mov_b32_e32 v6, 0
	v_cmp_ne_u16_sdwa s[8:9], v3, v6 src0_sel:BYTE_0 src1_sel:DWORD
	s_andn2_b64 s[4:5], s[4:5], exec
	s_and_b64 s[8:9], s[8:9], exec
	s_or_b64 s[4:5], s[4:5], s[8:9]
	s_or_b64 exec, exec, s[6:7]
	s_and_saveexec_b64 s[6:7], s[4:5]
	s_cbranch_execnz .LBB1_1575
	s_branch .LBB1_1576
.LBB1_3625:
	s_movk_i32 s4, 0x80
	v_cmp_eq_u16_sdwa s[12:13], v6, s4 src0_sel:BYTE_0 src1_sel:DWORD
	s_mov_b64 s[4:5], -1
                                        ; implicit-def: $sgpr10
	s_and_saveexec_b64 s[8:9], s[12:13]
; %bb.3626:
	s_mov_b32 s10, 0x7f800001
	s_xor_b64 s[4:5], exec, -1
; %bb.3627:
	s_or_b64 exec, exec, s[8:9]
	s_and_b64 s[4:5], s[4:5], exec
	s_or_saveexec_b64 s[6:7], s[6:7]
	v_mov_b32_e32 v2, s10
	s_xor_b64 exec, exec, s[6:7]
	s_cbranch_execz .LBB1_1578
.LBB1_3628:
	v_mov_b32_e32 v2, 0
	v_cmp_ne_u16_sdwa s[8:9], v6, v2 src0_sel:BYTE_0 src1_sel:DWORD
	s_andn2_b64 s[4:5], s[4:5], exec
	s_and_b64 s[8:9], s[8:9], exec
	s_or_b64 s[4:5], s[4:5], s[8:9]
	s_or_b64 exec, exec, s[6:7]
	s_and_saveexec_b64 s[6:7], s[4:5]
	s_cbranch_execnz .LBB1_1579
	s_branch .LBB1_1580
.LBB1_3629:
	s_movk_i32 s4, 0x80
	v_cmp_eq_u16_sdwa s[12:13], v6, s4 src0_sel:BYTE_0 src1_sel:DWORD
	s_mov_b64 s[4:5], -1
                                        ; implicit-def: $sgpr10
	s_and_saveexec_b64 s[8:9], s[12:13]
; %bb.3630:
	s_mov_b32 s10, 0x7f800001
	s_xor_b64 s[4:5], exec, -1
; %bb.3631:
	s_or_b64 exec, exec, s[8:9]
	s_and_b64 s[4:5], s[4:5], exec
	s_or_saveexec_b64 s[6:7], s[6:7]
	v_mov_b32_e32 v12, s10
	s_xor_b64 exec, exec, s[6:7]
	s_cbranch_execz .LBB1_1582
.LBB1_3632:
	v_mov_b32_e32 v12, 0
	v_cmp_ne_u16_sdwa s[8:9], v6, v12 src0_sel:BYTE_0 src1_sel:DWORD
	s_andn2_b64 s[4:5], s[4:5], exec
	s_and_b64 s[8:9], s[8:9], exec
	s_or_b64 s[4:5], s[4:5], s[8:9]
	s_or_b64 exec, exec, s[6:7]
	s_and_saveexec_b64 s[6:7], s[4:5]
	s_cbranch_execnz .LBB1_1583
	s_branch .LBB1_1584
.LBB1_3633:
	s_movk_i32 s4, 0x80
	v_cmp_eq_u16_e32 vcc, s4, v6
	s_mov_b64 s[4:5], -1
                                        ; implicit-def: $sgpr10
	s_and_saveexec_b64 s[8:9], vcc
; %bb.3634:
	s_mov_b32 s10, 0x7f800001
	s_xor_b64 s[4:5], exec, -1
; %bb.3635:
	s_or_b64 exec, exec, s[8:9]
	s_and_b64 s[4:5], s[4:5], exec
                                        ; implicit-def: $vgpr6
	s_or_saveexec_b64 s[6:7], s[6:7]
	v_mov_b32_e32 v2, s10
	s_xor_b64 exec, exec, s[6:7]
	s_cbranch_execz .LBB1_1586
.LBB1_3636:
	v_cmp_ne_u16_e32 vcc, 0, v6
	s_andn2_b64 s[4:5], s[4:5], exec
	s_and_b64 s[8:9], vcc, exec
	v_mov_b32_e32 v2, 0
	s_or_b64 s[4:5], s[4:5], s[8:9]
	s_or_b64 exec, exec, s[6:7]
	s_and_saveexec_b64 s[6:7], s[4:5]
	s_cbranch_execnz .LBB1_1587
	s_branch .LBB1_1588
.LBB1_3637:
	s_movk_i32 s4, 0x80
	v_cmp_eq_u16_e32 vcc, s4, v6
	s_mov_b64 s[4:5], -1
                                        ; implicit-def: $sgpr10
	s_and_saveexec_b64 s[8:9], vcc
; %bb.3638:
	s_mov_b32 s10, 0x7f800001
	s_xor_b64 s[4:5], exec, -1
; %bb.3639:
	s_or_b64 exec, exec, s[8:9]
	s_and_b64 s[4:5], s[4:5], exec
                                        ; implicit-def: $vgpr6
	s_or_saveexec_b64 s[6:7], s[6:7]
	v_mov_b32_e32 v12, s10
	s_xor_b64 exec, exec, s[6:7]
	s_cbranch_execz .LBB1_1590
.LBB1_3640:
	v_cmp_ne_u16_e32 vcc, 0, v6
	s_andn2_b64 s[4:5], s[4:5], exec
	s_and_b64 s[8:9], vcc, exec
	v_mov_b32_e32 v12, 0
	s_or_b64 s[4:5], s[4:5], s[8:9]
	s_or_b64 exec, exec, s[6:7]
	s_and_saveexec_b64 s[6:7], s[4:5]
	s_cbranch_execnz .LBB1_1591
	s_branch .LBB1_1592
.LBB1_3641:
	s_movk_i32 s4, 0x80
	v_cmp_eq_u16_sdwa s[12:13], v7, s4 src0_sel:BYTE_3 src1_sel:DWORD
	s_mov_b64 s[4:5], -1
                                        ; implicit-def: $sgpr10
	s_and_saveexec_b64 s[8:9], s[12:13]
; %bb.3642:
	s_mov_b32 s10, 0x7f800001
	s_xor_b64 s[4:5], exec, -1
; %bb.3643:
	s_or_b64 exec, exec, s[8:9]
	s_and_b64 s[4:5], s[4:5], exec
	s_or_saveexec_b64 s[6:7], s[6:7]
	v_mov_b32_e32 v2, s10
	s_xor_b64 exec, exec, s[6:7]
	s_cbranch_execz .LBB1_1594
.LBB1_3644:
	v_mov_b32_e32 v2, 0
	v_cmp_ne_u16_sdwa s[8:9], v7, v2 src0_sel:BYTE_3 src1_sel:DWORD
	s_andn2_b64 s[4:5], s[4:5], exec
	s_and_b64 s[8:9], s[8:9], exec
	s_or_b64 s[4:5], s[4:5], s[8:9]
	s_or_b64 exec, exec, s[6:7]
	s_and_saveexec_b64 s[6:7], s[4:5]
	s_cbranch_execnz .LBB1_1595
	s_branch .LBB1_1596
.LBB1_3645:
	s_movk_i32 s4, 0x80
	v_cmp_eq_u16_sdwa s[12:13], v3, s4 src0_sel:BYTE_3 src1_sel:DWORD
	s_mov_b64 s[4:5], -1
                                        ; implicit-def: $sgpr10
	s_and_saveexec_b64 s[8:9], s[12:13]
; %bb.3646:
	s_mov_b32 s10, 0x7f800001
	s_xor_b64 s[4:5], exec, -1
; %bb.3647:
	s_or_b64 exec, exec, s[8:9]
	s_and_b64 s[4:5], s[4:5], exec
	s_or_saveexec_b64 s[6:7], s[6:7]
	v_mov_b32_e32 v6, s10
	s_xor_b64 exec, exec, s[6:7]
	s_cbranch_execz .LBB1_1598
.LBB1_3648:
	v_mov_b32_e32 v6, 0
	v_cmp_ne_u16_sdwa s[8:9], v3, v6 src0_sel:BYTE_3 src1_sel:DWORD
	s_andn2_b64 s[4:5], s[4:5], exec
	s_and_b64 s[8:9], s[8:9], exec
	s_or_b64 s[4:5], s[4:5], s[8:9]
	s_or_b64 exec, exec, s[6:7]
	s_and_saveexec_b64 s[6:7], s[4:5]
	s_cbranch_execnz .LBB1_1599
	s_branch .LBB1_1600
.LBB1_3649:
	s_movk_i32 s4, 0x80
	v_cmp_eq_u16_sdwa s[12:13], v8, s4 src0_sel:BYTE_0 src1_sel:DWORD
	s_mov_b64 s[4:5], -1
                                        ; implicit-def: $sgpr10
	s_and_saveexec_b64 s[8:9], s[12:13]
; %bb.3650:
	s_mov_b32 s10, 0x7f800001
	s_xor_b64 s[4:5], exec, -1
; %bb.3651:
	s_or_b64 exec, exec, s[8:9]
	s_and_b64 s[4:5], s[4:5], exec
	s_or_saveexec_b64 s[6:7], s[6:7]
	v_mov_b32_e32 v2, s10
	s_xor_b64 exec, exec, s[6:7]
	s_cbranch_execz .LBB1_1602
.LBB1_3652:
	v_mov_b32_e32 v2, 0
	v_cmp_ne_u16_sdwa s[8:9], v8, v2 src0_sel:BYTE_0 src1_sel:DWORD
	s_andn2_b64 s[4:5], s[4:5], exec
	s_and_b64 s[8:9], s[8:9], exec
	s_or_b64 s[4:5], s[4:5], s[8:9]
	s_or_b64 exec, exec, s[6:7]
	s_and_saveexec_b64 s[6:7], s[4:5]
	s_cbranch_execnz .LBB1_1603
	s_branch .LBB1_1604
.LBB1_3653:
	s_movk_i32 s4, 0x80
	v_cmp_eq_u16_sdwa s[12:13], v4, s4 src0_sel:BYTE_0 src1_sel:DWORD
	s_mov_b64 s[4:5], -1
                                        ; implicit-def: $sgpr10
	s_and_saveexec_b64 s[8:9], s[12:13]
; %bb.3654:
	s_mov_b32 s10, 0x7f800001
	s_xor_b64 s[4:5], exec, -1
; %bb.3655:
	s_or_b64 exec, exec, s[8:9]
	s_and_b64 s[4:5], s[4:5], exec
	s_or_saveexec_b64 s[6:7], s[6:7]
	v_mov_b32_e32 v3, s10
	s_xor_b64 exec, exec, s[6:7]
	s_cbranch_execz .LBB1_1606
.LBB1_3656:
	v_mov_b32_e32 v3, 0
	v_cmp_ne_u16_sdwa s[8:9], v4, v3 src0_sel:BYTE_0 src1_sel:DWORD
	s_andn2_b64 s[4:5], s[4:5], exec
	s_and_b64 s[8:9], s[8:9], exec
	s_or_b64 s[4:5], s[4:5], s[8:9]
	s_or_b64 exec, exec, s[6:7]
	s_and_saveexec_b64 s[6:7], s[4:5]
	s_cbranch_execnz .LBB1_1607
	s_branch .LBB1_1608
.LBB1_3657:
	s_movk_i32 s4, 0x80
	v_cmp_eq_u16_sdwa s[12:13], v3, s4 src0_sel:BYTE_0 src1_sel:DWORD
	s_mov_b64 s[4:5], -1
                                        ; implicit-def: $sgpr10
	s_and_saveexec_b64 s[8:9], s[12:13]
; %bb.3658:
	s_mov_b32 s10, 0x7f800001
	s_xor_b64 s[4:5], exec, -1
; %bb.3659:
	s_or_b64 exec, exec, s[8:9]
	s_and_b64 s[4:5], s[4:5], exec
	s_or_saveexec_b64 s[6:7], s[6:7]
	v_mov_b32_e32 v2, s10
	s_xor_b64 exec, exec, s[6:7]
	s_cbranch_execz .LBB1_1610
.LBB1_3660:
	v_mov_b32_e32 v2, 0
	v_cmp_ne_u16_sdwa s[8:9], v3, v2 src0_sel:BYTE_0 src1_sel:DWORD
	s_andn2_b64 s[4:5], s[4:5], exec
	s_and_b64 s[8:9], s[8:9], exec
	s_or_b64 s[4:5], s[4:5], s[8:9]
	s_or_b64 exec, exec, s[6:7]
	s_and_saveexec_b64 s[6:7], s[4:5]
	s_cbranch_execnz .LBB1_1611
	s_branch .LBB1_1612
.LBB1_3661:
	s_movk_i32 s4, 0x80
	v_cmp_eq_u16_sdwa s[12:13], v3, s4 src0_sel:BYTE_0 src1_sel:DWORD
	s_mov_b64 s[4:5], -1
                                        ; implicit-def: $sgpr10
	s_and_saveexec_b64 s[8:9], s[12:13]
; %bb.3662:
	s_mov_b32 s10, 0x7f800001
	s_xor_b64 s[4:5], exec, -1
; %bb.3663:
	s_or_b64 exec, exec, s[8:9]
	s_and_b64 s[4:5], s[4:5], exec
	s_or_saveexec_b64 s[6:7], s[6:7]
	v_mov_b32_e32 v6, s10
	s_xor_b64 exec, exec, s[6:7]
	s_cbranch_execz .LBB1_1614
.LBB1_3664:
	v_mov_b32_e32 v6, 0
	v_cmp_ne_u16_sdwa s[8:9], v3, v6 src0_sel:BYTE_0 src1_sel:DWORD
	s_andn2_b64 s[4:5], s[4:5], exec
	s_and_b64 s[8:9], s[8:9], exec
	s_or_b64 s[4:5], s[4:5], s[8:9]
	s_or_b64 exec, exec, s[6:7]
	s_and_saveexec_b64 s[6:7], s[4:5]
	s_cbranch_execnz .LBB1_1615
	s_branch .LBB1_1616
.LBB1_3665:
	s_movk_i32 s4, 0x80
	v_cmp_eq_u16_e32 vcc, s4, v3
	s_mov_b64 s[4:5], -1
                                        ; implicit-def: $sgpr10
	s_and_saveexec_b64 s[8:9], vcc
; %bb.3666:
	s_mov_b32 s10, 0x7f800001
	s_xor_b64 s[4:5], exec, -1
; %bb.3667:
	s_or_b64 exec, exec, s[8:9]
	s_and_b64 s[4:5], s[4:5], exec
                                        ; implicit-def: $vgpr3
	s_or_saveexec_b64 s[6:7], s[6:7]
	v_mov_b32_e32 v2, s10
	s_xor_b64 exec, exec, s[6:7]
	s_cbranch_execz .LBB1_1618
.LBB1_3668:
	v_cmp_ne_u16_e32 vcc, 0, v3
	s_andn2_b64 s[4:5], s[4:5], exec
	s_and_b64 s[8:9], vcc, exec
	v_mov_b32_e32 v2, 0
	s_or_b64 s[4:5], s[4:5], s[8:9]
	s_or_b64 exec, exec, s[6:7]
	s_and_saveexec_b64 s[6:7], s[4:5]
	s_cbranch_execnz .LBB1_1619
	s_branch .LBB1_1620
.LBB1_3669:
	s_movk_i32 s4, 0x80
	v_cmp_eq_u16_e32 vcc, s4, v3
	s_mov_b64 s[4:5], -1
                                        ; implicit-def: $sgpr10
	s_and_saveexec_b64 s[8:9], vcc
; %bb.3670:
	s_mov_b32 s10, 0x7f800001
	s_xor_b64 s[4:5], exec, -1
; %bb.3671:
	s_or_b64 exec, exec, s[8:9]
	s_and_b64 s[4:5], s[4:5], exec
                                        ; implicit-def: $vgpr3
	s_or_saveexec_b64 s[6:7], s[6:7]
	v_mov_b32_e32 v6, s10
	s_xor_b64 exec, exec, s[6:7]
	s_cbranch_execz .LBB1_1622
.LBB1_3672:
	v_cmp_ne_u16_e32 vcc, 0, v3
	s_andn2_b64 s[4:5], s[4:5], exec
	s_and_b64 s[8:9], vcc, exec
	v_mov_b32_e32 v6, 0
	s_or_b64 s[4:5], s[4:5], s[8:9]
	s_or_b64 exec, exec, s[6:7]
	s_and_saveexec_b64 s[6:7], s[4:5]
	s_cbranch_execnz .LBB1_1623
	s_branch .LBB1_1624
.LBB1_3673:
	s_movk_i32 s4, 0x80
	v_cmp_eq_u16_sdwa s[12:13], v8, s4 src0_sel:BYTE_3 src1_sel:DWORD
	s_mov_b64 s[4:5], -1
                                        ; implicit-def: $sgpr10
	s_and_saveexec_b64 s[8:9], s[12:13]
; %bb.3674:
	s_mov_b32 s10, 0x7f800001
	s_xor_b64 s[4:5], exec, -1
; %bb.3675:
	s_or_b64 exec, exec, s[8:9]
	s_and_b64 s[4:5], s[4:5], exec
	s_or_saveexec_b64 s[6:7], s[6:7]
	v_mov_b32_e32 v2, s10
	s_xor_b64 exec, exec, s[6:7]
	s_cbranch_execz .LBB1_1626
.LBB1_3676:
	v_mov_b32_e32 v2, 0
	v_cmp_ne_u16_sdwa s[8:9], v8, v2 src0_sel:BYTE_3 src1_sel:DWORD
	s_andn2_b64 s[4:5], s[4:5], exec
	s_and_b64 s[8:9], s[8:9], exec
	s_or_b64 s[4:5], s[4:5], s[8:9]
	s_or_b64 exec, exec, s[6:7]
	s_and_saveexec_b64 s[6:7], s[4:5]
	s_cbranch_execnz .LBB1_1627
	s_branch .LBB1_1628
.LBB1_3677:
	s_movk_i32 s4, 0x80
	v_cmp_eq_u16_sdwa s[12:13], v4, s4 src0_sel:BYTE_3 src1_sel:DWORD
	s_mov_b64 s[4:5], -1
                                        ; implicit-def: $sgpr10
	s_and_saveexec_b64 s[8:9], s[12:13]
; %bb.3678:
	s_mov_b32 s10, 0x7f800001
	s_xor_b64 s[4:5], exec, -1
; %bb.3679:
	s_or_b64 exec, exec, s[8:9]
	s_and_b64 s[4:5], s[4:5], exec
	s_or_saveexec_b64 s[6:7], s[6:7]
	v_mov_b32_e32 v3, s10
	s_xor_b64 exec, exec, s[6:7]
	s_cbranch_execz .LBB1_1630
.LBB1_3680:
	v_mov_b32_e32 v3, 0
	v_cmp_ne_u16_sdwa s[8:9], v4, v3 src0_sel:BYTE_3 src1_sel:DWORD
	s_andn2_b64 s[4:5], s[4:5], exec
	s_and_b64 s[8:9], s[8:9], exec
	s_or_b64 s[4:5], s[4:5], s[8:9]
	s_or_b64 exec, exec, s[6:7]
	s_and_saveexec_b64 s[6:7], s[4:5]
	s_cbranch_execnz .LBB1_1631
	s_branch .LBB1_1632
.LBB1_3681:
	s_movk_i32 s4, 0x80
	v_cmp_eq_u16_sdwa s[12:13], v9, s4 src0_sel:BYTE_0 src1_sel:DWORD
	s_mov_b64 s[4:5], -1
                                        ; implicit-def: $sgpr10
	s_and_saveexec_b64 s[8:9], s[12:13]
; %bb.3682:
	s_mov_b32 s10, 0x7f800001
	s_xor_b64 s[4:5], exec, -1
; %bb.3683:
	s_or_b64 exec, exec, s[8:9]
	s_and_b64 s[4:5], s[4:5], exec
	s_or_saveexec_b64 s[6:7], s[6:7]
	v_mov_b32_e32 v2, s10
	s_xor_b64 exec, exec, s[6:7]
	s_cbranch_execz .LBB1_1634
.LBB1_3684:
	v_mov_b32_e32 v2, 0
	v_cmp_ne_u16_sdwa s[8:9], v9, v2 src0_sel:BYTE_0 src1_sel:DWORD
	s_andn2_b64 s[4:5], s[4:5], exec
	s_and_b64 s[8:9], s[8:9], exec
	s_or_b64 s[4:5], s[4:5], s[8:9]
	s_or_b64 exec, exec, s[6:7]
	s_and_saveexec_b64 s[6:7], s[4:5]
	s_cbranch_execnz .LBB1_1635
	s_branch .LBB1_1636
.LBB1_3685:
	s_movk_i32 s4, 0x80
	v_cmp_eq_u16_sdwa s[12:13], v5, s4 src0_sel:BYTE_0 src1_sel:DWORD
	s_mov_b64 s[4:5], -1
                                        ; implicit-def: $sgpr10
	s_and_saveexec_b64 s[8:9], s[12:13]
; %bb.3686:
	s_mov_b32 s10, 0x7f800001
	s_xor_b64 s[4:5], exec, -1
; %bb.3687:
	s_or_b64 exec, exec, s[8:9]
	s_and_b64 s[4:5], s[4:5], exec
	s_or_saveexec_b64 s[6:7], s[6:7]
	v_mov_b32_e32 v3, s10
	s_xor_b64 exec, exec, s[6:7]
	s_cbranch_execz .LBB1_1638
.LBB1_3688:
	v_mov_b32_e32 v3, 0
	v_cmp_ne_u16_sdwa s[8:9], v5, v3 src0_sel:BYTE_0 src1_sel:DWORD
	s_andn2_b64 s[4:5], s[4:5], exec
	s_and_b64 s[8:9], s[8:9], exec
	s_or_b64 s[4:5], s[4:5], s[8:9]
	s_or_b64 exec, exec, s[6:7]
	s_and_saveexec_b64 s[6:7], s[4:5]
	s_cbranch_execnz .LBB1_1639
	s_branch .LBB1_1640
.LBB1_3689:
	s_movk_i32 s4, 0x80
	v_cmp_eq_u16_sdwa s[12:13], v3, s4 src0_sel:BYTE_0 src1_sel:DWORD
	s_mov_b64 s[4:5], -1
                                        ; implicit-def: $sgpr10
	s_and_saveexec_b64 s[8:9], s[12:13]
; %bb.3690:
	s_mov_b32 s10, 0x7f800001
	s_xor_b64 s[4:5], exec, -1
; %bb.3691:
	s_or_b64 exec, exec, s[8:9]
	s_and_b64 s[4:5], s[4:5], exec
	s_or_saveexec_b64 s[6:7], s[6:7]
	v_mov_b32_e32 v2, s10
	s_xor_b64 exec, exec, s[6:7]
	s_cbranch_execz .LBB1_1642
.LBB1_3692:
	v_mov_b32_e32 v2, 0
	v_cmp_ne_u16_sdwa s[8:9], v3, v2 src0_sel:BYTE_0 src1_sel:DWORD
	s_andn2_b64 s[4:5], s[4:5], exec
	s_and_b64 s[8:9], s[8:9], exec
	s_or_b64 s[4:5], s[4:5], s[8:9]
	s_or_b64 exec, exec, s[6:7]
	s_and_saveexec_b64 s[6:7], s[4:5]
	s_cbranch_execnz .LBB1_1643
	s_branch .LBB1_1644
.LBB1_3693:
	s_movk_i32 s4, 0x80
	v_cmp_eq_u16_sdwa s[12:13], v3, s4 src0_sel:BYTE_0 src1_sel:DWORD
	s_mov_b64 s[4:5], -1
                                        ; implicit-def: $sgpr10
	s_and_saveexec_b64 s[8:9], s[12:13]
; %bb.3694:
	s_mov_b32 s10, 0x7f800001
	s_xor_b64 s[4:5], exec, -1
; %bb.3695:
	s_or_b64 exec, exec, s[8:9]
	s_and_b64 s[4:5], s[4:5], exec
	s_or_saveexec_b64 s[6:7], s[6:7]
	v_mov_b32_e32 v4, s10
	s_xor_b64 exec, exec, s[6:7]
	s_cbranch_execz .LBB1_1646
.LBB1_3696:
	v_mov_b32_e32 v4, 0
	v_cmp_ne_u16_sdwa s[8:9], v3, v4 src0_sel:BYTE_0 src1_sel:DWORD
	s_andn2_b64 s[4:5], s[4:5], exec
	s_and_b64 s[8:9], s[8:9], exec
	s_or_b64 s[4:5], s[4:5], s[8:9]
	s_or_b64 exec, exec, s[6:7]
	s_and_saveexec_b64 s[6:7], s[4:5]
	s_cbranch_execnz .LBB1_1647
	s_branch .LBB1_1648
.LBB1_3697:
	s_movk_i32 s4, 0x80
	v_cmp_eq_u16_e32 vcc, s4, v3
	s_mov_b64 s[4:5], -1
                                        ; implicit-def: $sgpr10
	s_and_saveexec_b64 s[8:9], vcc
; %bb.3698:
	s_mov_b32 s10, 0x7f800001
	s_xor_b64 s[4:5], exec, -1
; %bb.3699:
	s_or_b64 exec, exec, s[8:9]
	s_and_b64 s[4:5], s[4:5], exec
                                        ; implicit-def: $vgpr3
	s_or_saveexec_b64 s[6:7], s[6:7]
	v_mov_b32_e32 v2, s10
	s_xor_b64 exec, exec, s[6:7]
	s_cbranch_execz .LBB1_1650
.LBB1_3700:
	v_cmp_ne_u16_e32 vcc, 0, v3
	s_andn2_b64 s[4:5], s[4:5], exec
	s_and_b64 s[8:9], vcc, exec
	v_mov_b32_e32 v2, 0
	s_or_b64 s[4:5], s[4:5], s[8:9]
	s_or_b64 exec, exec, s[6:7]
	s_and_saveexec_b64 s[6:7], s[4:5]
	s_cbranch_execnz .LBB1_1651
	s_branch .LBB1_1652
.LBB1_3701:
	s_movk_i32 s4, 0x80
	v_cmp_eq_u16_e32 vcc, s4, v3
	s_mov_b64 s[4:5], -1
                                        ; implicit-def: $sgpr10
	s_and_saveexec_b64 s[8:9], vcc
; %bb.3702:
	s_mov_b32 s10, 0x7f800001
	s_xor_b64 s[4:5], exec, -1
; %bb.3703:
	s_or_b64 exec, exec, s[8:9]
	s_and_b64 s[4:5], s[4:5], exec
                                        ; implicit-def: $vgpr3
	s_or_saveexec_b64 s[6:7], s[6:7]
	v_mov_b32_e32 v4, s10
	s_xor_b64 exec, exec, s[6:7]
	s_cbranch_execz .LBB1_1654
.LBB1_3704:
	v_cmp_ne_u16_e32 vcc, 0, v3
	s_andn2_b64 s[4:5], s[4:5], exec
	s_and_b64 s[8:9], vcc, exec
	v_mov_b32_e32 v4, 0
	s_or_b64 s[4:5], s[4:5], s[8:9]
	s_or_b64 exec, exec, s[6:7]
	s_and_saveexec_b64 s[6:7], s[4:5]
	s_cbranch_execnz .LBB1_1655
	s_branch .LBB1_1656
.LBB1_3705:
	s_movk_i32 s4, 0x80
	v_cmp_eq_u16_sdwa s[12:13], v9, s4 src0_sel:BYTE_3 src1_sel:DWORD
	s_mov_b64 s[4:5], -1
                                        ; implicit-def: $sgpr10
	s_and_saveexec_b64 s[8:9], s[12:13]
; %bb.3706:
	s_mov_b32 s10, 0x7f800001
	s_xor_b64 s[4:5], exec, -1
; %bb.3707:
	s_or_b64 exec, exec, s[8:9]
	s_and_b64 s[4:5], s[4:5], exec
	s_or_saveexec_b64 s[6:7], s[6:7]
	v_mov_b32_e32 v2, s10
	s_xor_b64 exec, exec, s[6:7]
	s_cbranch_execz .LBB1_1658
.LBB1_3708:
	v_mov_b32_e32 v2, 0
	v_cmp_ne_u16_sdwa s[8:9], v9, v2 src0_sel:BYTE_3 src1_sel:DWORD
	s_andn2_b64 s[4:5], s[4:5], exec
	s_and_b64 s[8:9], s[8:9], exec
	s_or_b64 s[4:5], s[4:5], s[8:9]
	s_or_b64 exec, exec, s[6:7]
	s_and_saveexec_b64 s[6:7], s[4:5]
	s_cbranch_execnz .LBB1_1659
	s_branch .LBB1_1660
.LBB1_3709:
	s_movk_i32 s4, 0x80
	v_cmp_eq_u16_sdwa s[12:13], v5, s4 src0_sel:BYTE_3 src1_sel:DWORD
	s_mov_b64 s[4:5], -1
                                        ; implicit-def: $sgpr10
	s_and_saveexec_b64 s[8:9], s[12:13]
; %bb.3710:
	s_mov_b32 s10, 0x7f800001
	s_xor_b64 s[4:5], exec, -1
; %bb.3711:
	s_or_b64 exec, exec, s[8:9]
	s_and_b64 s[4:5], s[4:5], exec
	s_or_saveexec_b64 s[6:7], s[6:7]
	v_mov_b32_e32 v3, s10
	s_xor_b64 exec, exec, s[6:7]
	s_cbranch_execz .LBB1_1662
.LBB1_3712:
	v_mov_b32_e32 v3, 0
	v_cmp_ne_u16_sdwa s[8:9], v5, v3 src0_sel:BYTE_3 src1_sel:DWORD
	s_andn2_b64 s[4:5], s[4:5], exec
	s_and_b64 s[8:9], s[8:9], exec
	s_or_b64 s[4:5], s[4:5], s[8:9]
	s_or_b64 exec, exec, s[6:7]
	s_and_saveexec_b64 s[6:7], s[4:5]
	s_cbranch_execnz .LBB1_1663
	s_branch .LBB1_1664
.LBB1_3713:
	s_movk_i32 s4, 0x80
	v_cmp_eq_u16_sdwa s[12:13], v6, s4 src0_sel:BYTE_0 src1_sel:DWORD
	s_mov_b64 s[4:5], -1
                                        ; implicit-def: $sgpr10
	s_and_saveexec_b64 s[8:9], s[12:13]
; %bb.3714:
	s_mov_b32 s10, 0x7f800001
	s_xor_b64 s[4:5], exec, -1
; %bb.3715:
	s_or_b64 exec, exec, s[8:9]
	s_and_b64 s[4:5], s[4:5], exec
	s_or_saveexec_b64 s[6:7], s[6:7]
	v_mov_b32_e32 v12, s10
	s_xor_b64 exec, exec, s[6:7]
	s_cbranch_execz .LBB1_1666
.LBB1_3716:
	v_mov_b32_e32 v12, 0
	v_cmp_ne_u16_sdwa s[8:9], v6, v12 src0_sel:BYTE_0 src1_sel:DWORD
	s_andn2_b64 s[4:5], s[4:5], exec
	s_and_b64 s[8:9], s[8:9], exec
	s_or_b64 s[4:5], s[4:5], s[8:9]
	s_or_b64 exec, exec, s[6:7]
	s_and_saveexec_b64 s[6:7], s[4:5]
	s_cbranch_execnz .LBB1_1667
	s_branch .LBB1_1668
.LBB1_3717:
	s_movk_i32 s4, 0x80
	v_cmp_eq_u16_sdwa s[12:13], v2, s4 src0_sel:BYTE_0 src1_sel:DWORD
	s_mov_b64 s[4:5], -1
                                        ; implicit-def: $sgpr10
	s_and_saveexec_b64 s[8:9], s[12:13]
; %bb.3718:
	s_mov_b32 s10, 0x7f800001
	s_xor_b64 s[4:5], exec, -1
; %bb.3719:
	s_or_b64 exec, exec, s[8:9]
	s_and_b64 s[4:5], s[4:5], exec
	s_or_saveexec_b64 s[6:7], s[6:7]
	v_mov_b32_e32 v13, s10
	s_xor_b64 exec, exec, s[6:7]
	s_cbranch_execz .LBB1_1670
.LBB1_3720:
	v_mov_b32_e32 v13, 0
	v_cmp_ne_u16_sdwa s[8:9], v2, v13 src0_sel:BYTE_0 src1_sel:DWORD
	s_andn2_b64 s[4:5], s[4:5], exec
	s_and_b64 s[8:9], s[8:9], exec
	s_or_b64 s[4:5], s[4:5], s[8:9]
	s_or_b64 exec, exec, s[6:7]
	s_and_saveexec_b64 s[6:7], s[4:5]
	s_cbranch_execnz .LBB1_1671
	s_branch .LBB1_1672
.LBB1_3721:
	s_movk_i32 s4, 0x80
	v_cmp_eq_u16_sdwa s[12:13], v13, s4 src0_sel:BYTE_0 src1_sel:DWORD
	s_mov_b64 s[4:5], -1
                                        ; implicit-def: $sgpr10
	s_and_saveexec_b64 s[8:9], s[12:13]
; %bb.3722:
	s_mov_b32 s10, 0x7f800001
	s_xor_b64 s[4:5], exec, -1
; %bb.3723:
	s_or_b64 exec, exec, s[8:9]
	s_and_b64 s[4:5], s[4:5], exec
	s_or_saveexec_b64 s[6:7], s[6:7]
	v_mov_b32_e32 v12, s10
	s_xor_b64 exec, exec, s[6:7]
	s_cbranch_execz .LBB1_1674
.LBB1_3724:
	v_mov_b32_e32 v12, 0
	v_cmp_ne_u16_sdwa s[8:9], v13, v12 src0_sel:BYTE_0 src1_sel:DWORD
	s_andn2_b64 s[4:5], s[4:5], exec
	s_and_b64 s[8:9], s[8:9], exec
	s_or_b64 s[4:5], s[4:5], s[8:9]
	s_or_b64 exec, exec, s[6:7]
	s_and_saveexec_b64 s[6:7], s[4:5]
	s_cbranch_execnz .LBB1_1675
	s_branch .LBB1_1676
.LBB1_3725:
	s_movk_i32 s4, 0x80
	v_cmp_eq_u16_sdwa s[12:13], v13, s4 src0_sel:BYTE_0 src1_sel:DWORD
	s_mov_b64 s[4:5], -1
                                        ; implicit-def: $sgpr10
	s_and_saveexec_b64 s[8:9], s[12:13]
; %bb.3726:
	s_mov_b32 s10, 0x7f800001
	s_xor_b64 s[4:5], exec, -1
; %bb.3727:
	s_or_b64 exec, exec, s[8:9]
	s_and_b64 s[4:5], s[4:5], exec
	s_or_saveexec_b64 s[6:7], s[6:7]
	v_mov_b32_e32 v14, s10
	s_xor_b64 exec, exec, s[6:7]
	s_cbranch_execz .LBB1_1678
.LBB1_3728:
	v_mov_b32_e32 v14, 0
	v_cmp_ne_u16_sdwa s[8:9], v13, v14 src0_sel:BYTE_0 src1_sel:DWORD
	s_andn2_b64 s[4:5], s[4:5], exec
	s_and_b64 s[8:9], s[8:9], exec
	s_or_b64 s[4:5], s[4:5], s[8:9]
	s_or_b64 exec, exec, s[6:7]
	s_and_saveexec_b64 s[6:7], s[4:5]
	s_cbranch_execnz .LBB1_1679
	s_branch .LBB1_1680
.LBB1_3729:
	s_movk_i32 s4, 0x80
	v_cmp_eq_u16_e32 vcc, s4, v13
	s_mov_b64 s[4:5], -1
                                        ; implicit-def: $sgpr10
	s_and_saveexec_b64 s[8:9], vcc
; %bb.3730:
	s_mov_b32 s10, 0x7f800001
	s_xor_b64 s[4:5], exec, -1
; %bb.3731:
	s_or_b64 exec, exec, s[8:9]
	s_and_b64 s[4:5], s[4:5], exec
                                        ; implicit-def: $vgpr13
	s_or_saveexec_b64 s[6:7], s[6:7]
	v_mov_b32_e32 v12, s10
	s_xor_b64 exec, exec, s[6:7]
	s_cbranch_execz .LBB1_1682
.LBB1_3732:
	v_cmp_ne_u16_e32 vcc, 0, v13
	s_andn2_b64 s[4:5], s[4:5], exec
	s_and_b64 s[8:9], vcc, exec
	v_mov_b32_e32 v12, 0
	s_or_b64 s[4:5], s[4:5], s[8:9]
	s_or_b64 exec, exec, s[6:7]
	s_and_saveexec_b64 s[6:7], s[4:5]
	s_cbranch_execnz .LBB1_1683
	s_branch .LBB1_1684
.LBB1_3733:
	s_movk_i32 s4, 0x80
	v_cmp_eq_u16_e32 vcc, s4, v13
	s_mov_b64 s[4:5], -1
                                        ; implicit-def: $sgpr10
	s_and_saveexec_b64 s[8:9], vcc
; %bb.3734:
	s_mov_b32 s10, 0x7f800001
	s_xor_b64 s[4:5], exec, -1
; %bb.3735:
	s_or_b64 exec, exec, s[8:9]
	s_and_b64 s[4:5], s[4:5], exec
                                        ; implicit-def: $vgpr13
	s_or_saveexec_b64 s[6:7], s[6:7]
	v_mov_b32_e32 v14, s10
	s_xor_b64 exec, exec, s[6:7]
	s_cbranch_execz .LBB1_1686
.LBB1_3736:
	v_cmp_ne_u16_e32 vcc, 0, v13
	s_andn2_b64 s[4:5], s[4:5], exec
	s_and_b64 s[8:9], vcc, exec
	v_mov_b32_e32 v14, 0
	s_or_b64 s[4:5], s[4:5], s[8:9]
	s_or_b64 exec, exec, s[6:7]
	s_and_saveexec_b64 s[6:7], s[4:5]
	s_cbranch_execnz .LBB1_1687
	s_branch .LBB1_1688
.LBB1_3737:
	s_movk_i32 s4, 0x80
	v_cmp_eq_u16_sdwa s[12:13], v6, s4 src0_sel:BYTE_3 src1_sel:DWORD
	s_mov_b64 s[4:5], -1
                                        ; implicit-def: $sgpr10
	s_and_saveexec_b64 s[8:9], s[12:13]
; %bb.3738:
	s_mov_b32 s10, 0x7f800001
	s_xor_b64 s[4:5], exec, -1
; %bb.3739:
	s_or_b64 exec, exec, s[8:9]
	s_and_b64 s[4:5], s[4:5], exec
	s_or_saveexec_b64 s[6:7], s[6:7]
	v_mov_b32_e32 v12, s10
	s_xor_b64 exec, exec, s[6:7]
	s_cbranch_execz .LBB1_1690
.LBB1_3740:
	v_mov_b32_e32 v12, 0
	v_cmp_ne_u16_sdwa s[8:9], v6, v12 src0_sel:BYTE_3 src1_sel:DWORD
	s_andn2_b64 s[4:5], s[4:5], exec
	s_and_b64 s[8:9], s[8:9], exec
	s_or_b64 s[4:5], s[4:5], s[8:9]
	s_or_b64 exec, exec, s[6:7]
	s_and_saveexec_b64 s[6:7], s[4:5]
	s_cbranch_execnz .LBB1_1691
	s_branch .LBB1_1692
.LBB1_3741:
	s_movk_i32 s4, 0x80
	v_cmp_eq_u16_sdwa s[12:13], v2, s4 src0_sel:BYTE_3 src1_sel:DWORD
	s_mov_b64 s[4:5], -1
                                        ; implicit-def: $sgpr10
	s_and_saveexec_b64 s[8:9], s[12:13]
; %bb.3742:
	s_mov_b32 s10, 0x7f800001
	s_xor_b64 s[4:5], exec, -1
; %bb.3743:
	s_or_b64 exec, exec, s[8:9]
	s_and_b64 s[4:5], s[4:5], exec
	s_or_saveexec_b64 s[6:7], s[6:7]
	v_mov_b32_e32 v6, s10
	s_xor_b64 exec, exec, s[6:7]
	s_cbranch_execz .LBB1_1694
.LBB1_3744:
	v_mov_b32_e32 v6, 0
	v_cmp_ne_u16_sdwa s[8:9], v2, v6 src0_sel:BYTE_3 src1_sel:DWORD
	s_andn2_b64 s[4:5], s[4:5], exec
	s_and_b64 s[8:9], s[8:9], exec
	s_or_b64 s[4:5], s[4:5], s[8:9]
	s_or_b64 exec, exec, s[6:7]
	s_and_saveexec_b64 s[6:7], s[4:5]
	s_cbranch_execnz .LBB1_1695
	s_branch .LBB1_1696
.LBB1_3745:
	s_movk_i32 s4, 0x80
	v_cmp_eq_u16_sdwa s[12:13], v7, s4 src0_sel:BYTE_0 src1_sel:DWORD
	s_mov_b64 s[4:5], -1
                                        ; implicit-def: $sgpr10
	s_and_saveexec_b64 s[8:9], s[12:13]
; %bb.3746:
	s_mov_b32 s10, 0x7f800001
	s_xor_b64 s[4:5], exec, -1
; %bb.3747:
	s_or_b64 exec, exec, s[8:9]
	s_and_b64 s[4:5], s[4:5], exec
	s_or_saveexec_b64 s[6:7], s[6:7]
	v_mov_b32_e32 v2, s10
	s_xor_b64 exec, exec, s[6:7]
	s_cbranch_execz .LBB1_1698
.LBB1_3748:
	v_mov_b32_e32 v2, 0
	v_cmp_ne_u16_sdwa s[8:9], v7, v2 src0_sel:BYTE_0 src1_sel:DWORD
	s_andn2_b64 s[4:5], s[4:5], exec
	s_and_b64 s[8:9], s[8:9], exec
	s_or_b64 s[4:5], s[4:5], s[8:9]
	s_or_b64 exec, exec, s[6:7]
	s_and_saveexec_b64 s[6:7], s[4:5]
	s_cbranch_execnz .LBB1_1699
	s_branch .LBB1_1700
.LBB1_3749:
	s_movk_i32 s4, 0x80
	v_cmp_eq_u16_sdwa s[12:13], v3, s4 src0_sel:BYTE_0 src1_sel:DWORD
	s_mov_b64 s[4:5], -1
                                        ; implicit-def: $sgpr10
	s_and_saveexec_b64 s[8:9], s[12:13]
; %bb.3750:
	s_mov_b32 s10, 0x7f800001
	s_xor_b64 s[4:5], exec, -1
; %bb.3751:
	s_or_b64 exec, exec, s[8:9]
	s_and_b64 s[4:5], s[4:5], exec
	s_or_saveexec_b64 s[6:7], s[6:7]
	v_mov_b32_e32 v6, s10
	s_xor_b64 exec, exec, s[6:7]
	s_cbranch_execz .LBB1_1702
.LBB1_3752:
	v_mov_b32_e32 v6, 0
	v_cmp_ne_u16_sdwa s[8:9], v3, v6 src0_sel:BYTE_0 src1_sel:DWORD
	s_andn2_b64 s[4:5], s[4:5], exec
	s_and_b64 s[8:9], s[8:9], exec
	s_or_b64 s[4:5], s[4:5], s[8:9]
	s_or_b64 exec, exec, s[6:7]
	s_and_saveexec_b64 s[6:7], s[4:5]
	s_cbranch_execnz .LBB1_1703
	s_branch .LBB1_1704
.LBB1_3753:
	s_movk_i32 s4, 0x80
	v_cmp_eq_u16_sdwa s[12:13], v6, s4 src0_sel:BYTE_0 src1_sel:DWORD
	s_mov_b64 s[4:5], -1
                                        ; implicit-def: $sgpr10
	s_and_saveexec_b64 s[8:9], s[12:13]
; %bb.3754:
	s_mov_b32 s10, 0x7f800001
	s_xor_b64 s[4:5], exec, -1
; %bb.3755:
	s_or_b64 exec, exec, s[8:9]
	s_and_b64 s[4:5], s[4:5], exec
	s_or_saveexec_b64 s[6:7], s[6:7]
	v_mov_b32_e32 v2, s10
	s_xor_b64 exec, exec, s[6:7]
	s_cbranch_execz .LBB1_1706
.LBB1_3756:
	v_mov_b32_e32 v2, 0
	v_cmp_ne_u16_sdwa s[8:9], v6, v2 src0_sel:BYTE_0 src1_sel:DWORD
	s_andn2_b64 s[4:5], s[4:5], exec
	s_and_b64 s[8:9], s[8:9], exec
	s_or_b64 s[4:5], s[4:5], s[8:9]
	s_or_b64 exec, exec, s[6:7]
	s_and_saveexec_b64 s[6:7], s[4:5]
	s_cbranch_execnz .LBB1_1707
	s_branch .LBB1_1708
.LBB1_3757:
	s_movk_i32 s4, 0x80
	v_cmp_eq_u16_sdwa s[12:13], v6, s4 src0_sel:BYTE_0 src1_sel:DWORD
	s_mov_b64 s[4:5], -1
                                        ; implicit-def: $sgpr10
	s_and_saveexec_b64 s[8:9], s[12:13]
; %bb.3758:
	s_mov_b32 s10, 0x7f800001
	s_xor_b64 s[4:5], exec, -1
; %bb.3759:
	s_or_b64 exec, exec, s[8:9]
	s_and_b64 s[4:5], s[4:5], exec
	s_or_saveexec_b64 s[6:7], s[6:7]
	v_mov_b32_e32 v12, s10
	s_xor_b64 exec, exec, s[6:7]
	s_cbranch_execz .LBB1_1710
.LBB1_3760:
	v_mov_b32_e32 v12, 0
	v_cmp_ne_u16_sdwa s[8:9], v6, v12 src0_sel:BYTE_0 src1_sel:DWORD
	s_andn2_b64 s[4:5], s[4:5], exec
	s_and_b64 s[8:9], s[8:9], exec
	s_or_b64 s[4:5], s[4:5], s[8:9]
	s_or_b64 exec, exec, s[6:7]
	s_and_saveexec_b64 s[6:7], s[4:5]
	s_cbranch_execnz .LBB1_1711
	s_branch .LBB1_1712
.LBB1_3761:
	s_movk_i32 s4, 0x80
	v_cmp_eq_u16_e32 vcc, s4, v6
	s_mov_b64 s[4:5], -1
                                        ; implicit-def: $sgpr10
	s_and_saveexec_b64 s[8:9], vcc
; %bb.3762:
	s_mov_b32 s10, 0x7f800001
	s_xor_b64 s[4:5], exec, -1
; %bb.3763:
	s_or_b64 exec, exec, s[8:9]
	s_and_b64 s[4:5], s[4:5], exec
                                        ; implicit-def: $vgpr6
	s_or_saveexec_b64 s[6:7], s[6:7]
	v_mov_b32_e32 v2, s10
	s_xor_b64 exec, exec, s[6:7]
	s_cbranch_execz .LBB1_1714
.LBB1_3764:
	v_cmp_ne_u16_e32 vcc, 0, v6
	s_andn2_b64 s[4:5], s[4:5], exec
	s_and_b64 s[8:9], vcc, exec
	v_mov_b32_e32 v2, 0
	s_or_b64 s[4:5], s[4:5], s[8:9]
	s_or_b64 exec, exec, s[6:7]
	s_and_saveexec_b64 s[6:7], s[4:5]
	s_cbranch_execnz .LBB1_1715
	s_branch .LBB1_1716
.LBB1_3765:
	s_movk_i32 s4, 0x80
	v_cmp_eq_u16_e32 vcc, s4, v6
	s_mov_b64 s[4:5], -1
                                        ; implicit-def: $sgpr10
	s_and_saveexec_b64 s[8:9], vcc
; %bb.3766:
	s_mov_b32 s10, 0x7f800001
	s_xor_b64 s[4:5], exec, -1
; %bb.3767:
	s_or_b64 exec, exec, s[8:9]
	s_and_b64 s[4:5], s[4:5], exec
                                        ; implicit-def: $vgpr6
	s_or_saveexec_b64 s[6:7], s[6:7]
	v_mov_b32_e32 v12, s10
	s_xor_b64 exec, exec, s[6:7]
	s_cbranch_execz .LBB1_1718
.LBB1_3768:
	v_cmp_ne_u16_e32 vcc, 0, v6
	s_andn2_b64 s[4:5], s[4:5], exec
	s_and_b64 s[8:9], vcc, exec
	v_mov_b32_e32 v12, 0
	s_or_b64 s[4:5], s[4:5], s[8:9]
	s_or_b64 exec, exec, s[6:7]
	s_and_saveexec_b64 s[6:7], s[4:5]
	s_cbranch_execnz .LBB1_1719
	s_branch .LBB1_1720
.LBB1_3769:
	s_movk_i32 s4, 0x80
	v_cmp_eq_u16_sdwa s[12:13], v7, s4 src0_sel:BYTE_3 src1_sel:DWORD
	s_mov_b64 s[4:5], -1
                                        ; implicit-def: $sgpr10
	s_and_saveexec_b64 s[8:9], s[12:13]
; %bb.3770:
	s_mov_b32 s10, 0x7f800001
	s_xor_b64 s[4:5], exec, -1
; %bb.3771:
	s_or_b64 exec, exec, s[8:9]
	s_and_b64 s[4:5], s[4:5], exec
	s_or_saveexec_b64 s[6:7], s[6:7]
	v_mov_b32_e32 v2, s10
	s_xor_b64 exec, exec, s[6:7]
	s_cbranch_execz .LBB1_1722
.LBB1_3772:
	v_mov_b32_e32 v2, 0
	v_cmp_ne_u16_sdwa s[8:9], v7, v2 src0_sel:BYTE_3 src1_sel:DWORD
	s_andn2_b64 s[4:5], s[4:5], exec
	s_and_b64 s[8:9], s[8:9], exec
	s_or_b64 s[4:5], s[4:5], s[8:9]
	s_or_b64 exec, exec, s[6:7]
	s_and_saveexec_b64 s[6:7], s[4:5]
	s_cbranch_execnz .LBB1_1723
	s_branch .LBB1_1724
.LBB1_3773:
	s_movk_i32 s4, 0x80
	v_cmp_eq_u16_sdwa s[12:13], v3, s4 src0_sel:BYTE_3 src1_sel:DWORD
	s_mov_b64 s[4:5], -1
                                        ; implicit-def: $sgpr10
	s_and_saveexec_b64 s[8:9], s[12:13]
; %bb.3774:
	s_mov_b32 s10, 0x7f800001
	s_xor_b64 s[4:5], exec, -1
; %bb.3775:
	s_or_b64 exec, exec, s[8:9]
	s_and_b64 s[4:5], s[4:5], exec
	s_or_saveexec_b64 s[6:7], s[6:7]
	v_mov_b32_e32 v6, s10
	s_xor_b64 exec, exec, s[6:7]
	s_cbranch_execz .LBB1_1726
.LBB1_3776:
	v_mov_b32_e32 v6, 0
	v_cmp_ne_u16_sdwa s[8:9], v3, v6 src0_sel:BYTE_3 src1_sel:DWORD
	s_andn2_b64 s[4:5], s[4:5], exec
	s_and_b64 s[8:9], s[8:9], exec
	s_or_b64 s[4:5], s[4:5], s[8:9]
	s_or_b64 exec, exec, s[6:7]
	s_and_saveexec_b64 s[6:7], s[4:5]
	s_cbranch_execnz .LBB1_1727
	s_branch .LBB1_1728
.LBB1_3777:
	s_movk_i32 s4, 0x80
	v_cmp_eq_u16_sdwa s[12:13], v8, s4 src0_sel:BYTE_0 src1_sel:DWORD
	s_mov_b64 s[4:5], -1
                                        ; implicit-def: $sgpr10
	s_and_saveexec_b64 s[8:9], s[12:13]
; %bb.3778:
	s_mov_b32 s10, 0x7f800001
	s_xor_b64 s[4:5], exec, -1
; %bb.3779:
	s_or_b64 exec, exec, s[8:9]
	s_and_b64 s[4:5], s[4:5], exec
	s_or_saveexec_b64 s[6:7], s[6:7]
	v_mov_b32_e32 v2, s10
	s_xor_b64 exec, exec, s[6:7]
	s_cbranch_execz .LBB1_1730
.LBB1_3780:
	v_mov_b32_e32 v2, 0
	v_cmp_ne_u16_sdwa s[8:9], v8, v2 src0_sel:BYTE_0 src1_sel:DWORD
	s_andn2_b64 s[4:5], s[4:5], exec
	s_and_b64 s[8:9], s[8:9], exec
	s_or_b64 s[4:5], s[4:5], s[8:9]
	s_or_b64 exec, exec, s[6:7]
	s_and_saveexec_b64 s[6:7], s[4:5]
	s_cbranch_execnz .LBB1_1731
	s_branch .LBB1_1732
.LBB1_3781:
	s_movk_i32 s4, 0x80
	v_cmp_eq_u16_sdwa s[12:13], v4, s4 src0_sel:BYTE_0 src1_sel:DWORD
	s_mov_b64 s[4:5], -1
                                        ; implicit-def: $sgpr10
	s_and_saveexec_b64 s[8:9], s[12:13]
; %bb.3782:
	s_mov_b32 s10, 0x7f800001
	s_xor_b64 s[4:5], exec, -1
; %bb.3783:
	s_or_b64 exec, exec, s[8:9]
	s_and_b64 s[4:5], s[4:5], exec
	s_or_saveexec_b64 s[6:7], s[6:7]
	v_mov_b32_e32 v3, s10
	s_xor_b64 exec, exec, s[6:7]
	s_cbranch_execz .LBB1_1734
.LBB1_3784:
	v_mov_b32_e32 v3, 0
	v_cmp_ne_u16_sdwa s[8:9], v4, v3 src0_sel:BYTE_0 src1_sel:DWORD
	s_andn2_b64 s[4:5], s[4:5], exec
	s_and_b64 s[8:9], s[8:9], exec
	s_or_b64 s[4:5], s[4:5], s[8:9]
	s_or_b64 exec, exec, s[6:7]
	s_and_saveexec_b64 s[6:7], s[4:5]
	s_cbranch_execnz .LBB1_1735
	s_branch .LBB1_1736
.LBB1_3785:
	s_movk_i32 s4, 0x80
	v_cmp_eq_u16_sdwa s[12:13], v3, s4 src0_sel:BYTE_0 src1_sel:DWORD
	s_mov_b64 s[4:5], -1
                                        ; implicit-def: $sgpr10
	s_and_saveexec_b64 s[8:9], s[12:13]
; %bb.3786:
	s_mov_b32 s10, 0x7f800001
	s_xor_b64 s[4:5], exec, -1
; %bb.3787:
	s_or_b64 exec, exec, s[8:9]
	s_and_b64 s[4:5], s[4:5], exec
	s_or_saveexec_b64 s[6:7], s[6:7]
	v_mov_b32_e32 v2, s10
	s_xor_b64 exec, exec, s[6:7]
	s_cbranch_execz .LBB1_1738
.LBB1_3788:
	v_mov_b32_e32 v2, 0
	v_cmp_ne_u16_sdwa s[8:9], v3, v2 src0_sel:BYTE_0 src1_sel:DWORD
	s_andn2_b64 s[4:5], s[4:5], exec
	s_and_b64 s[8:9], s[8:9], exec
	s_or_b64 s[4:5], s[4:5], s[8:9]
	s_or_b64 exec, exec, s[6:7]
	s_and_saveexec_b64 s[6:7], s[4:5]
	s_cbranch_execnz .LBB1_1739
	s_branch .LBB1_1740
.LBB1_3789:
	s_movk_i32 s4, 0x80
	v_cmp_eq_u16_sdwa s[12:13], v3, s4 src0_sel:BYTE_0 src1_sel:DWORD
	s_mov_b64 s[4:5], -1
                                        ; implicit-def: $sgpr10
	s_and_saveexec_b64 s[8:9], s[12:13]
; %bb.3790:
	s_mov_b32 s10, 0x7f800001
	s_xor_b64 s[4:5], exec, -1
; %bb.3791:
	s_or_b64 exec, exec, s[8:9]
	s_and_b64 s[4:5], s[4:5], exec
	s_or_saveexec_b64 s[6:7], s[6:7]
	v_mov_b32_e32 v6, s10
	s_xor_b64 exec, exec, s[6:7]
	s_cbranch_execz .LBB1_1742
.LBB1_3792:
	v_mov_b32_e32 v6, 0
	v_cmp_ne_u16_sdwa s[8:9], v3, v6 src0_sel:BYTE_0 src1_sel:DWORD
	s_andn2_b64 s[4:5], s[4:5], exec
	s_and_b64 s[8:9], s[8:9], exec
	s_or_b64 s[4:5], s[4:5], s[8:9]
	s_or_b64 exec, exec, s[6:7]
	s_and_saveexec_b64 s[6:7], s[4:5]
	s_cbranch_execnz .LBB1_1743
	s_branch .LBB1_1744
.LBB1_3793:
	s_movk_i32 s4, 0x80
	v_cmp_eq_u16_e32 vcc, s4, v3
	s_mov_b64 s[4:5], -1
                                        ; implicit-def: $sgpr10
	s_and_saveexec_b64 s[8:9], vcc
; %bb.3794:
	s_mov_b32 s10, 0x7f800001
	s_xor_b64 s[4:5], exec, -1
; %bb.3795:
	s_or_b64 exec, exec, s[8:9]
	s_and_b64 s[4:5], s[4:5], exec
                                        ; implicit-def: $vgpr3
	s_or_saveexec_b64 s[6:7], s[6:7]
	v_mov_b32_e32 v2, s10
	s_xor_b64 exec, exec, s[6:7]
	s_cbranch_execz .LBB1_1746
.LBB1_3796:
	v_cmp_ne_u16_e32 vcc, 0, v3
	s_andn2_b64 s[4:5], s[4:5], exec
	s_and_b64 s[8:9], vcc, exec
	v_mov_b32_e32 v2, 0
	s_or_b64 s[4:5], s[4:5], s[8:9]
	s_or_b64 exec, exec, s[6:7]
	s_and_saveexec_b64 s[6:7], s[4:5]
	s_cbranch_execnz .LBB1_1747
	s_branch .LBB1_1748
.LBB1_3797:
	s_movk_i32 s4, 0x80
	v_cmp_eq_u16_e32 vcc, s4, v3
	s_mov_b64 s[4:5], -1
                                        ; implicit-def: $sgpr10
	s_and_saveexec_b64 s[8:9], vcc
; %bb.3798:
	s_mov_b32 s10, 0x7f800001
	s_xor_b64 s[4:5], exec, -1
; %bb.3799:
	s_or_b64 exec, exec, s[8:9]
	s_and_b64 s[4:5], s[4:5], exec
                                        ; implicit-def: $vgpr3
	s_or_saveexec_b64 s[6:7], s[6:7]
	v_mov_b32_e32 v6, s10
	s_xor_b64 exec, exec, s[6:7]
	s_cbranch_execz .LBB1_1750
.LBB1_3800:
	v_cmp_ne_u16_e32 vcc, 0, v3
	s_andn2_b64 s[4:5], s[4:5], exec
	s_and_b64 s[8:9], vcc, exec
	v_mov_b32_e32 v6, 0
	s_or_b64 s[4:5], s[4:5], s[8:9]
	s_or_b64 exec, exec, s[6:7]
	s_and_saveexec_b64 s[6:7], s[4:5]
	s_cbranch_execnz .LBB1_1751
	s_branch .LBB1_1752
.LBB1_3801:
	s_movk_i32 s4, 0x80
	v_cmp_eq_u16_sdwa s[12:13], v8, s4 src0_sel:BYTE_3 src1_sel:DWORD
	s_mov_b64 s[4:5], -1
                                        ; implicit-def: $sgpr10
	s_and_saveexec_b64 s[8:9], s[12:13]
; %bb.3802:
	s_mov_b32 s10, 0x7f800001
	s_xor_b64 s[4:5], exec, -1
; %bb.3803:
	s_or_b64 exec, exec, s[8:9]
	s_and_b64 s[4:5], s[4:5], exec
	s_or_saveexec_b64 s[6:7], s[6:7]
	v_mov_b32_e32 v2, s10
	s_xor_b64 exec, exec, s[6:7]
	s_cbranch_execz .LBB1_1754
.LBB1_3804:
	v_mov_b32_e32 v2, 0
	v_cmp_ne_u16_sdwa s[8:9], v8, v2 src0_sel:BYTE_3 src1_sel:DWORD
	s_andn2_b64 s[4:5], s[4:5], exec
	s_and_b64 s[8:9], s[8:9], exec
	s_or_b64 s[4:5], s[4:5], s[8:9]
	s_or_b64 exec, exec, s[6:7]
	s_and_saveexec_b64 s[6:7], s[4:5]
	s_cbranch_execnz .LBB1_1755
	s_branch .LBB1_1756
.LBB1_3805:
	s_movk_i32 s4, 0x80
	v_cmp_eq_u16_sdwa s[12:13], v4, s4 src0_sel:BYTE_3 src1_sel:DWORD
	s_mov_b64 s[4:5], -1
                                        ; implicit-def: $sgpr10
	s_and_saveexec_b64 s[8:9], s[12:13]
; %bb.3806:
	s_mov_b32 s10, 0x7f800001
	s_xor_b64 s[4:5], exec, -1
; %bb.3807:
	s_or_b64 exec, exec, s[8:9]
	s_and_b64 s[4:5], s[4:5], exec
	s_or_saveexec_b64 s[6:7], s[6:7]
	v_mov_b32_e32 v3, s10
	s_xor_b64 exec, exec, s[6:7]
	s_cbranch_execz .LBB1_1758
.LBB1_3808:
	v_mov_b32_e32 v3, 0
	v_cmp_ne_u16_sdwa s[8:9], v4, v3 src0_sel:BYTE_3 src1_sel:DWORD
	s_andn2_b64 s[4:5], s[4:5], exec
	s_and_b64 s[8:9], s[8:9], exec
	s_or_b64 s[4:5], s[4:5], s[8:9]
	s_or_b64 exec, exec, s[6:7]
	s_and_saveexec_b64 s[6:7], s[4:5]
	s_cbranch_execnz .LBB1_1759
	s_branch .LBB1_1760
.LBB1_3809:
	s_movk_i32 s4, 0x80
	v_cmp_eq_u16_sdwa s[12:13], v9, s4 src0_sel:BYTE_0 src1_sel:DWORD
	s_mov_b64 s[4:5], -1
                                        ; implicit-def: $sgpr10
	s_and_saveexec_b64 s[8:9], s[12:13]
; %bb.3810:
	s_mov_b32 s10, 0x7f800001
	s_xor_b64 s[4:5], exec, -1
; %bb.3811:
	s_or_b64 exec, exec, s[8:9]
	s_and_b64 s[4:5], s[4:5], exec
	s_or_saveexec_b64 s[6:7], s[6:7]
	v_mov_b32_e32 v2, s10
	s_xor_b64 exec, exec, s[6:7]
	s_cbranch_execz .LBB1_1762
.LBB1_3812:
	v_mov_b32_e32 v2, 0
	v_cmp_ne_u16_sdwa s[8:9], v9, v2 src0_sel:BYTE_0 src1_sel:DWORD
	s_andn2_b64 s[4:5], s[4:5], exec
	s_and_b64 s[8:9], s[8:9], exec
	s_or_b64 s[4:5], s[4:5], s[8:9]
	s_or_b64 exec, exec, s[6:7]
	s_and_saveexec_b64 s[6:7], s[4:5]
	s_cbranch_execnz .LBB1_1763
	s_branch .LBB1_1764
.LBB1_3813:
	s_movk_i32 s4, 0x80
	v_cmp_eq_u16_sdwa s[12:13], v5, s4 src0_sel:BYTE_0 src1_sel:DWORD
	s_mov_b64 s[4:5], -1
                                        ; implicit-def: $sgpr10
	s_and_saveexec_b64 s[8:9], s[12:13]
; %bb.3814:
	s_mov_b32 s10, 0x7f800001
	s_xor_b64 s[4:5], exec, -1
; %bb.3815:
	s_or_b64 exec, exec, s[8:9]
	s_and_b64 s[4:5], s[4:5], exec
	s_or_saveexec_b64 s[6:7], s[6:7]
	v_mov_b32_e32 v3, s10
	s_xor_b64 exec, exec, s[6:7]
	s_cbranch_execz .LBB1_1766
.LBB1_3816:
	v_mov_b32_e32 v3, 0
	v_cmp_ne_u16_sdwa s[8:9], v5, v3 src0_sel:BYTE_0 src1_sel:DWORD
	s_andn2_b64 s[4:5], s[4:5], exec
	s_and_b64 s[8:9], s[8:9], exec
	s_or_b64 s[4:5], s[4:5], s[8:9]
	s_or_b64 exec, exec, s[6:7]
	s_and_saveexec_b64 s[6:7], s[4:5]
	s_cbranch_execnz .LBB1_1767
	s_branch .LBB1_1768
.LBB1_3817:
	s_movk_i32 s4, 0x80
	v_cmp_eq_u16_sdwa s[12:13], v3, s4 src0_sel:BYTE_0 src1_sel:DWORD
	s_mov_b64 s[4:5], -1
                                        ; implicit-def: $sgpr10
	s_and_saveexec_b64 s[8:9], s[12:13]
; %bb.3818:
	s_mov_b32 s10, 0x7f800001
	s_xor_b64 s[4:5], exec, -1
; %bb.3819:
	s_or_b64 exec, exec, s[8:9]
	s_and_b64 s[4:5], s[4:5], exec
	s_or_saveexec_b64 s[6:7], s[6:7]
	v_mov_b32_e32 v2, s10
	s_xor_b64 exec, exec, s[6:7]
	s_cbranch_execz .LBB1_1770
.LBB1_3820:
	v_mov_b32_e32 v2, 0
	v_cmp_ne_u16_sdwa s[8:9], v3, v2 src0_sel:BYTE_0 src1_sel:DWORD
	s_andn2_b64 s[4:5], s[4:5], exec
	s_and_b64 s[8:9], s[8:9], exec
	s_or_b64 s[4:5], s[4:5], s[8:9]
	s_or_b64 exec, exec, s[6:7]
	s_and_saveexec_b64 s[6:7], s[4:5]
	s_cbranch_execnz .LBB1_1771
	s_branch .LBB1_1772
.LBB1_3821:
	s_movk_i32 s4, 0x80
	v_cmp_eq_u16_sdwa s[12:13], v3, s4 src0_sel:BYTE_0 src1_sel:DWORD
	s_mov_b64 s[4:5], -1
                                        ; implicit-def: $sgpr10
	s_and_saveexec_b64 s[8:9], s[12:13]
; %bb.3822:
	s_mov_b32 s10, 0x7f800001
	s_xor_b64 s[4:5], exec, -1
; %bb.3823:
	s_or_b64 exec, exec, s[8:9]
	s_and_b64 s[4:5], s[4:5], exec
	s_or_saveexec_b64 s[6:7], s[6:7]
	v_mov_b32_e32 v4, s10
	s_xor_b64 exec, exec, s[6:7]
	s_cbranch_execz .LBB1_1774
.LBB1_3824:
	v_mov_b32_e32 v4, 0
	v_cmp_ne_u16_sdwa s[8:9], v3, v4 src0_sel:BYTE_0 src1_sel:DWORD
	s_andn2_b64 s[4:5], s[4:5], exec
	s_and_b64 s[8:9], s[8:9], exec
	s_or_b64 s[4:5], s[4:5], s[8:9]
	s_or_b64 exec, exec, s[6:7]
	s_and_saveexec_b64 s[6:7], s[4:5]
	s_cbranch_execnz .LBB1_1775
	s_branch .LBB1_1776
.LBB1_3825:
	s_movk_i32 s4, 0x80
	v_cmp_eq_u16_e32 vcc, s4, v3
	s_mov_b64 s[4:5], -1
                                        ; implicit-def: $sgpr10
	s_and_saveexec_b64 s[8:9], vcc
; %bb.3826:
	s_mov_b32 s10, 0x7f800001
	s_xor_b64 s[4:5], exec, -1
; %bb.3827:
	s_or_b64 exec, exec, s[8:9]
	s_and_b64 s[4:5], s[4:5], exec
                                        ; implicit-def: $vgpr3
	s_or_saveexec_b64 s[6:7], s[6:7]
	v_mov_b32_e32 v2, s10
	s_xor_b64 exec, exec, s[6:7]
	s_cbranch_execz .LBB1_1778
.LBB1_3828:
	v_cmp_ne_u16_e32 vcc, 0, v3
	s_andn2_b64 s[4:5], s[4:5], exec
	s_and_b64 s[8:9], vcc, exec
	v_mov_b32_e32 v2, 0
	s_or_b64 s[4:5], s[4:5], s[8:9]
	s_or_b64 exec, exec, s[6:7]
	s_and_saveexec_b64 s[6:7], s[4:5]
	s_cbranch_execnz .LBB1_1779
	s_branch .LBB1_1780
.LBB1_3829:
	s_movk_i32 s4, 0x80
	v_cmp_eq_u16_e32 vcc, s4, v3
	s_mov_b64 s[4:5], -1
                                        ; implicit-def: $sgpr10
	s_and_saveexec_b64 s[8:9], vcc
; %bb.3830:
	s_mov_b32 s10, 0x7f800001
	s_xor_b64 s[4:5], exec, -1
; %bb.3831:
	s_or_b64 exec, exec, s[8:9]
	s_and_b64 s[4:5], s[4:5], exec
                                        ; implicit-def: $vgpr3
	s_or_saveexec_b64 s[6:7], s[6:7]
	v_mov_b32_e32 v4, s10
	s_xor_b64 exec, exec, s[6:7]
	s_cbranch_execz .LBB1_1782
.LBB1_3832:
	v_cmp_ne_u16_e32 vcc, 0, v3
	s_andn2_b64 s[4:5], s[4:5], exec
	s_and_b64 s[8:9], vcc, exec
	v_mov_b32_e32 v4, 0
	s_or_b64 s[4:5], s[4:5], s[8:9]
	s_or_b64 exec, exec, s[6:7]
	s_and_saveexec_b64 s[6:7], s[4:5]
	s_cbranch_execnz .LBB1_1783
	s_branch .LBB1_1784
.LBB1_3833:
	s_movk_i32 s4, 0x80
	v_cmp_eq_u16_sdwa s[12:13], v9, s4 src0_sel:BYTE_3 src1_sel:DWORD
	s_mov_b64 s[4:5], -1
                                        ; implicit-def: $sgpr10
	s_and_saveexec_b64 s[8:9], s[12:13]
; %bb.3834:
	s_mov_b32 s10, 0x7f800001
	s_xor_b64 s[4:5], exec, -1
; %bb.3835:
	s_or_b64 exec, exec, s[8:9]
	s_and_b64 s[4:5], s[4:5], exec
	s_or_saveexec_b64 s[6:7], s[6:7]
	v_mov_b32_e32 v2, s10
	s_xor_b64 exec, exec, s[6:7]
	s_cbranch_execz .LBB1_1786
.LBB1_3836:
	v_mov_b32_e32 v2, 0
	v_cmp_ne_u16_sdwa s[8:9], v9, v2 src0_sel:BYTE_3 src1_sel:DWORD
	s_andn2_b64 s[4:5], s[4:5], exec
	s_and_b64 s[8:9], s[8:9], exec
	s_or_b64 s[4:5], s[4:5], s[8:9]
	s_or_b64 exec, exec, s[6:7]
	s_and_saveexec_b64 s[6:7], s[4:5]
	s_cbranch_execnz .LBB1_1787
	s_branch .LBB1_1788
.LBB1_3837:
	s_movk_i32 s4, 0x80
	v_cmp_eq_u16_sdwa s[12:13], v5, s4 src0_sel:BYTE_3 src1_sel:DWORD
	s_mov_b64 s[4:5], -1
                                        ; implicit-def: $sgpr10
	s_and_saveexec_b64 s[8:9], s[12:13]
; %bb.3838:
	s_mov_b32 s10, 0x7f800001
	s_xor_b64 s[4:5], exec, -1
; %bb.3839:
	s_or_b64 exec, exec, s[8:9]
	s_and_b64 s[4:5], s[4:5], exec
	s_or_saveexec_b64 s[6:7], s[6:7]
	v_mov_b32_e32 v3, s10
	s_xor_b64 exec, exec, s[6:7]
	s_cbranch_execz .LBB1_1790
.LBB1_3840:
	v_mov_b32_e32 v3, 0
	v_cmp_ne_u16_sdwa s[8:9], v5, v3 src0_sel:BYTE_3 src1_sel:DWORD
	s_andn2_b64 s[4:5], s[4:5], exec
	s_and_b64 s[8:9], s[8:9], exec
	s_or_b64 s[4:5], s[4:5], s[8:9]
	s_or_b64 exec, exec, s[6:7]
	s_and_saveexec_b64 s[6:7], s[4:5]
	s_cbranch_execnz .LBB1_1791
	s_branch .LBB1_1792
.LBB1_3841:
	s_movk_i32 s4, 0x80
	v_cmp_eq_u16_sdwa s[12:13], v6, s4 src0_sel:BYTE_0 src1_sel:DWORD
	s_mov_b64 s[4:5], -1
                                        ; implicit-def: $sgpr10
	s_and_saveexec_b64 s[8:9], s[12:13]
; %bb.3842:
	s_mov_b32 s10, 0x7f800001
	s_xor_b64 s[4:5], exec, -1
; %bb.3843:
	s_or_b64 exec, exec, s[8:9]
	s_and_b64 s[4:5], s[4:5], exec
	s_or_saveexec_b64 s[6:7], s[6:7]
	v_mov_b32_e32 v12, s10
	s_xor_b64 exec, exec, s[6:7]
	s_cbranch_execz .LBB1_1794
.LBB1_3844:
	v_mov_b32_e32 v12, 0
	v_cmp_ne_u16_sdwa s[8:9], v6, v12 src0_sel:BYTE_0 src1_sel:DWORD
	s_andn2_b64 s[4:5], s[4:5], exec
	s_and_b64 s[8:9], s[8:9], exec
	s_or_b64 s[4:5], s[4:5], s[8:9]
	s_or_b64 exec, exec, s[6:7]
	s_and_saveexec_b64 s[6:7], s[4:5]
	s_cbranch_execnz .LBB1_1795
	s_branch .LBB1_1796
.LBB1_3845:
	s_movk_i32 s4, 0x80
	v_cmp_eq_u16_sdwa s[12:13], v2, s4 src0_sel:BYTE_0 src1_sel:DWORD
	s_mov_b64 s[4:5], -1
                                        ; implicit-def: $sgpr10
	s_and_saveexec_b64 s[8:9], s[12:13]
; %bb.3846:
	s_mov_b32 s10, 0x7f800001
	s_xor_b64 s[4:5], exec, -1
; %bb.3847:
	s_or_b64 exec, exec, s[8:9]
	s_and_b64 s[4:5], s[4:5], exec
	s_or_saveexec_b64 s[6:7], s[6:7]
	v_mov_b32_e32 v13, s10
	s_xor_b64 exec, exec, s[6:7]
	s_cbranch_execz .LBB1_1798
.LBB1_3848:
	v_mov_b32_e32 v13, 0
	v_cmp_ne_u16_sdwa s[8:9], v2, v13 src0_sel:BYTE_0 src1_sel:DWORD
	s_andn2_b64 s[4:5], s[4:5], exec
	s_and_b64 s[8:9], s[8:9], exec
	s_or_b64 s[4:5], s[4:5], s[8:9]
	s_or_b64 exec, exec, s[6:7]
	s_and_saveexec_b64 s[6:7], s[4:5]
	s_cbranch_execnz .LBB1_1799
	s_branch .LBB1_1800
.LBB1_3849:
	s_movk_i32 s4, 0x80
	v_cmp_eq_u16_sdwa s[12:13], v13, s4 src0_sel:BYTE_0 src1_sel:DWORD
	s_mov_b64 s[4:5], -1
                                        ; implicit-def: $sgpr10
	s_and_saveexec_b64 s[8:9], s[12:13]
; %bb.3850:
	s_mov_b32 s10, 0x7f800001
	s_xor_b64 s[4:5], exec, -1
; %bb.3851:
	s_or_b64 exec, exec, s[8:9]
	s_and_b64 s[4:5], s[4:5], exec
	s_or_saveexec_b64 s[6:7], s[6:7]
	v_mov_b32_e32 v12, s10
	s_xor_b64 exec, exec, s[6:7]
	s_cbranch_execz .LBB1_1802
.LBB1_3852:
	v_mov_b32_e32 v12, 0
	v_cmp_ne_u16_sdwa s[8:9], v13, v12 src0_sel:BYTE_0 src1_sel:DWORD
	s_andn2_b64 s[4:5], s[4:5], exec
	s_and_b64 s[8:9], s[8:9], exec
	s_or_b64 s[4:5], s[4:5], s[8:9]
	s_or_b64 exec, exec, s[6:7]
	s_and_saveexec_b64 s[6:7], s[4:5]
	s_cbranch_execnz .LBB1_1803
	s_branch .LBB1_1804
.LBB1_3853:
	s_movk_i32 s4, 0x80
	v_cmp_eq_u16_sdwa s[12:13], v13, s4 src0_sel:BYTE_0 src1_sel:DWORD
	s_mov_b64 s[4:5], -1
                                        ; implicit-def: $sgpr10
	s_and_saveexec_b64 s[8:9], s[12:13]
; %bb.3854:
	s_mov_b32 s10, 0x7f800001
	s_xor_b64 s[4:5], exec, -1
; %bb.3855:
	s_or_b64 exec, exec, s[8:9]
	s_and_b64 s[4:5], s[4:5], exec
	s_or_saveexec_b64 s[6:7], s[6:7]
	v_mov_b32_e32 v14, s10
	s_xor_b64 exec, exec, s[6:7]
	s_cbranch_execz .LBB1_1806
.LBB1_3856:
	v_mov_b32_e32 v14, 0
	v_cmp_ne_u16_sdwa s[8:9], v13, v14 src0_sel:BYTE_0 src1_sel:DWORD
	s_andn2_b64 s[4:5], s[4:5], exec
	s_and_b64 s[8:9], s[8:9], exec
	s_or_b64 s[4:5], s[4:5], s[8:9]
	s_or_b64 exec, exec, s[6:7]
	s_and_saveexec_b64 s[6:7], s[4:5]
	s_cbranch_execnz .LBB1_1807
	s_branch .LBB1_1808
.LBB1_3857:
	s_movk_i32 s4, 0x80
	v_cmp_eq_u16_e32 vcc, s4, v13
	s_mov_b64 s[4:5], -1
                                        ; implicit-def: $sgpr10
	s_and_saveexec_b64 s[8:9], vcc
; %bb.3858:
	s_mov_b32 s10, 0x7f800001
	s_xor_b64 s[4:5], exec, -1
; %bb.3859:
	s_or_b64 exec, exec, s[8:9]
	s_and_b64 s[4:5], s[4:5], exec
                                        ; implicit-def: $vgpr13
	s_or_saveexec_b64 s[6:7], s[6:7]
	v_mov_b32_e32 v12, s10
	s_xor_b64 exec, exec, s[6:7]
	s_cbranch_execz .LBB1_1810
.LBB1_3860:
	v_cmp_ne_u16_e32 vcc, 0, v13
	s_andn2_b64 s[4:5], s[4:5], exec
	s_and_b64 s[8:9], vcc, exec
	v_mov_b32_e32 v12, 0
	s_or_b64 s[4:5], s[4:5], s[8:9]
	s_or_b64 exec, exec, s[6:7]
	s_and_saveexec_b64 s[6:7], s[4:5]
	s_cbranch_execnz .LBB1_1811
	s_branch .LBB1_1812
.LBB1_3861:
	s_movk_i32 s4, 0x80
	v_cmp_eq_u16_e32 vcc, s4, v13
	s_mov_b64 s[4:5], -1
                                        ; implicit-def: $sgpr10
	s_and_saveexec_b64 s[8:9], vcc
; %bb.3862:
	s_mov_b32 s10, 0x7f800001
	s_xor_b64 s[4:5], exec, -1
; %bb.3863:
	s_or_b64 exec, exec, s[8:9]
	s_and_b64 s[4:5], s[4:5], exec
                                        ; implicit-def: $vgpr13
	s_or_saveexec_b64 s[6:7], s[6:7]
	v_mov_b32_e32 v14, s10
	s_xor_b64 exec, exec, s[6:7]
	s_cbranch_execz .LBB1_1814
.LBB1_3864:
	v_cmp_ne_u16_e32 vcc, 0, v13
	s_andn2_b64 s[4:5], s[4:5], exec
	s_and_b64 s[8:9], vcc, exec
	v_mov_b32_e32 v14, 0
	s_or_b64 s[4:5], s[4:5], s[8:9]
	s_or_b64 exec, exec, s[6:7]
	s_and_saveexec_b64 s[6:7], s[4:5]
	s_cbranch_execnz .LBB1_1815
	s_branch .LBB1_1816
.LBB1_3865:
	s_movk_i32 s4, 0x80
	v_cmp_eq_u16_sdwa s[12:13], v6, s4 src0_sel:BYTE_3 src1_sel:DWORD
	s_mov_b64 s[4:5], -1
                                        ; implicit-def: $sgpr10
	s_and_saveexec_b64 s[8:9], s[12:13]
; %bb.3866:
	s_mov_b32 s10, 0x7f800001
	s_xor_b64 s[4:5], exec, -1
; %bb.3867:
	s_or_b64 exec, exec, s[8:9]
	s_and_b64 s[4:5], s[4:5], exec
	s_or_saveexec_b64 s[6:7], s[6:7]
	v_mov_b32_e32 v12, s10
	s_xor_b64 exec, exec, s[6:7]
	s_cbranch_execz .LBB1_1818
.LBB1_3868:
	v_mov_b32_e32 v12, 0
	v_cmp_ne_u16_sdwa s[8:9], v6, v12 src0_sel:BYTE_3 src1_sel:DWORD
	s_andn2_b64 s[4:5], s[4:5], exec
	s_and_b64 s[8:9], s[8:9], exec
	s_or_b64 s[4:5], s[4:5], s[8:9]
	s_or_b64 exec, exec, s[6:7]
	s_and_saveexec_b64 s[6:7], s[4:5]
	s_cbranch_execnz .LBB1_1819
	s_branch .LBB1_1820
.LBB1_3869:
	s_movk_i32 s4, 0x80
	v_cmp_eq_u16_sdwa s[12:13], v2, s4 src0_sel:BYTE_3 src1_sel:DWORD
	s_mov_b64 s[4:5], -1
                                        ; implicit-def: $sgpr10
	s_and_saveexec_b64 s[8:9], s[12:13]
; %bb.3870:
	s_mov_b32 s10, 0x7f800001
	s_xor_b64 s[4:5], exec, -1
; %bb.3871:
	s_or_b64 exec, exec, s[8:9]
	s_and_b64 s[4:5], s[4:5], exec
	s_or_saveexec_b64 s[6:7], s[6:7]
	v_mov_b32_e32 v6, s10
	s_xor_b64 exec, exec, s[6:7]
	s_cbranch_execz .LBB1_1822
.LBB1_3872:
	v_mov_b32_e32 v6, 0
	v_cmp_ne_u16_sdwa s[8:9], v2, v6 src0_sel:BYTE_3 src1_sel:DWORD
	s_andn2_b64 s[4:5], s[4:5], exec
	s_and_b64 s[8:9], s[8:9], exec
	s_or_b64 s[4:5], s[4:5], s[8:9]
	s_or_b64 exec, exec, s[6:7]
	s_and_saveexec_b64 s[6:7], s[4:5]
	s_cbranch_execnz .LBB1_1823
	s_branch .LBB1_1824
.LBB1_3873:
	s_movk_i32 s4, 0x80
	v_cmp_eq_u16_sdwa s[12:13], v7, s4 src0_sel:BYTE_0 src1_sel:DWORD
	s_mov_b64 s[4:5], -1
                                        ; implicit-def: $sgpr10
	s_and_saveexec_b64 s[8:9], s[12:13]
; %bb.3874:
	s_mov_b32 s10, 0x7f800001
	s_xor_b64 s[4:5], exec, -1
; %bb.3875:
	s_or_b64 exec, exec, s[8:9]
	s_and_b64 s[4:5], s[4:5], exec
	s_or_saveexec_b64 s[6:7], s[6:7]
	v_mov_b32_e32 v2, s10
	s_xor_b64 exec, exec, s[6:7]
	s_cbranch_execz .LBB1_1826
.LBB1_3876:
	v_mov_b32_e32 v2, 0
	v_cmp_ne_u16_sdwa s[8:9], v7, v2 src0_sel:BYTE_0 src1_sel:DWORD
	s_andn2_b64 s[4:5], s[4:5], exec
	s_and_b64 s[8:9], s[8:9], exec
	s_or_b64 s[4:5], s[4:5], s[8:9]
	s_or_b64 exec, exec, s[6:7]
	s_and_saveexec_b64 s[6:7], s[4:5]
	s_cbranch_execnz .LBB1_1827
	s_branch .LBB1_1828
.LBB1_3877:
	s_movk_i32 s4, 0x80
	v_cmp_eq_u16_sdwa s[12:13], v3, s4 src0_sel:BYTE_0 src1_sel:DWORD
	s_mov_b64 s[4:5], -1
                                        ; implicit-def: $sgpr10
	s_and_saveexec_b64 s[8:9], s[12:13]
; %bb.3878:
	s_mov_b32 s10, 0x7f800001
	s_xor_b64 s[4:5], exec, -1
; %bb.3879:
	s_or_b64 exec, exec, s[8:9]
	s_and_b64 s[4:5], s[4:5], exec
	s_or_saveexec_b64 s[6:7], s[6:7]
	v_mov_b32_e32 v6, s10
	s_xor_b64 exec, exec, s[6:7]
	s_cbranch_execz .LBB1_1830
.LBB1_3880:
	v_mov_b32_e32 v6, 0
	v_cmp_ne_u16_sdwa s[8:9], v3, v6 src0_sel:BYTE_0 src1_sel:DWORD
	s_andn2_b64 s[4:5], s[4:5], exec
	s_and_b64 s[8:9], s[8:9], exec
	s_or_b64 s[4:5], s[4:5], s[8:9]
	s_or_b64 exec, exec, s[6:7]
	s_and_saveexec_b64 s[6:7], s[4:5]
	s_cbranch_execnz .LBB1_1831
	s_branch .LBB1_1832
.LBB1_3881:
	s_movk_i32 s4, 0x80
	v_cmp_eq_u16_sdwa s[12:13], v6, s4 src0_sel:BYTE_0 src1_sel:DWORD
	s_mov_b64 s[4:5], -1
                                        ; implicit-def: $sgpr10
	s_and_saveexec_b64 s[8:9], s[12:13]
; %bb.3882:
	s_mov_b32 s10, 0x7f800001
	s_xor_b64 s[4:5], exec, -1
; %bb.3883:
	s_or_b64 exec, exec, s[8:9]
	s_and_b64 s[4:5], s[4:5], exec
	s_or_saveexec_b64 s[6:7], s[6:7]
	v_mov_b32_e32 v2, s10
	s_xor_b64 exec, exec, s[6:7]
	s_cbranch_execz .LBB1_1834
.LBB1_3884:
	v_mov_b32_e32 v2, 0
	v_cmp_ne_u16_sdwa s[8:9], v6, v2 src0_sel:BYTE_0 src1_sel:DWORD
	s_andn2_b64 s[4:5], s[4:5], exec
	s_and_b64 s[8:9], s[8:9], exec
	s_or_b64 s[4:5], s[4:5], s[8:9]
	s_or_b64 exec, exec, s[6:7]
	s_and_saveexec_b64 s[6:7], s[4:5]
	s_cbranch_execnz .LBB1_1835
	s_branch .LBB1_1836
.LBB1_3885:
	s_movk_i32 s4, 0x80
	v_cmp_eq_u16_sdwa s[12:13], v6, s4 src0_sel:BYTE_0 src1_sel:DWORD
	s_mov_b64 s[4:5], -1
                                        ; implicit-def: $sgpr10
	s_and_saveexec_b64 s[8:9], s[12:13]
; %bb.3886:
	s_mov_b32 s10, 0x7f800001
	s_xor_b64 s[4:5], exec, -1
; %bb.3887:
	s_or_b64 exec, exec, s[8:9]
	s_and_b64 s[4:5], s[4:5], exec
	s_or_saveexec_b64 s[6:7], s[6:7]
	v_mov_b32_e32 v12, s10
	s_xor_b64 exec, exec, s[6:7]
	s_cbranch_execz .LBB1_1838
.LBB1_3888:
	v_mov_b32_e32 v12, 0
	v_cmp_ne_u16_sdwa s[8:9], v6, v12 src0_sel:BYTE_0 src1_sel:DWORD
	s_andn2_b64 s[4:5], s[4:5], exec
	s_and_b64 s[8:9], s[8:9], exec
	s_or_b64 s[4:5], s[4:5], s[8:9]
	s_or_b64 exec, exec, s[6:7]
	s_and_saveexec_b64 s[6:7], s[4:5]
	s_cbranch_execnz .LBB1_1839
	s_branch .LBB1_1840
.LBB1_3889:
	s_movk_i32 s4, 0x80
	v_cmp_eq_u16_e32 vcc, s4, v6
	s_mov_b64 s[4:5], -1
                                        ; implicit-def: $sgpr10
	s_and_saveexec_b64 s[8:9], vcc
; %bb.3890:
	s_mov_b32 s10, 0x7f800001
	s_xor_b64 s[4:5], exec, -1
; %bb.3891:
	s_or_b64 exec, exec, s[8:9]
	s_and_b64 s[4:5], s[4:5], exec
                                        ; implicit-def: $vgpr6
	s_or_saveexec_b64 s[6:7], s[6:7]
	v_mov_b32_e32 v2, s10
	s_xor_b64 exec, exec, s[6:7]
	s_cbranch_execz .LBB1_1842
.LBB1_3892:
	v_cmp_ne_u16_e32 vcc, 0, v6
	s_andn2_b64 s[4:5], s[4:5], exec
	s_and_b64 s[8:9], vcc, exec
	v_mov_b32_e32 v2, 0
	s_or_b64 s[4:5], s[4:5], s[8:9]
	s_or_b64 exec, exec, s[6:7]
	s_and_saveexec_b64 s[6:7], s[4:5]
	s_cbranch_execnz .LBB1_1843
	s_branch .LBB1_1844
.LBB1_3893:
	s_movk_i32 s4, 0x80
	v_cmp_eq_u16_e32 vcc, s4, v6
	s_mov_b64 s[4:5], -1
                                        ; implicit-def: $sgpr10
	s_and_saveexec_b64 s[8:9], vcc
; %bb.3894:
	s_mov_b32 s10, 0x7f800001
	s_xor_b64 s[4:5], exec, -1
; %bb.3895:
	s_or_b64 exec, exec, s[8:9]
	s_and_b64 s[4:5], s[4:5], exec
                                        ; implicit-def: $vgpr6
	s_or_saveexec_b64 s[6:7], s[6:7]
	v_mov_b32_e32 v12, s10
	s_xor_b64 exec, exec, s[6:7]
	s_cbranch_execz .LBB1_1846
.LBB1_3896:
	v_cmp_ne_u16_e32 vcc, 0, v6
	s_andn2_b64 s[4:5], s[4:5], exec
	s_and_b64 s[8:9], vcc, exec
	v_mov_b32_e32 v12, 0
	s_or_b64 s[4:5], s[4:5], s[8:9]
	s_or_b64 exec, exec, s[6:7]
	s_and_saveexec_b64 s[6:7], s[4:5]
	s_cbranch_execnz .LBB1_1847
	s_branch .LBB1_1848
.LBB1_3897:
	s_movk_i32 s4, 0x80
	v_cmp_eq_u16_sdwa s[12:13], v7, s4 src0_sel:BYTE_3 src1_sel:DWORD
	s_mov_b64 s[4:5], -1
                                        ; implicit-def: $sgpr10
	s_and_saveexec_b64 s[8:9], s[12:13]
; %bb.3898:
	s_mov_b32 s10, 0x7f800001
	s_xor_b64 s[4:5], exec, -1
; %bb.3899:
	s_or_b64 exec, exec, s[8:9]
	s_and_b64 s[4:5], s[4:5], exec
	s_or_saveexec_b64 s[6:7], s[6:7]
	v_mov_b32_e32 v2, s10
	s_xor_b64 exec, exec, s[6:7]
	s_cbranch_execz .LBB1_1850
.LBB1_3900:
	v_mov_b32_e32 v2, 0
	v_cmp_ne_u16_sdwa s[8:9], v7, v2 src0_sel:BYTE_3 src1_sel:DWORD
	s_andn2_b64 s[4:5], s[4:5], exec
	s_and_b64 s[8:9], s[8:9], exec
	s_or_b64 s[4:5], s[4:5], s[8:9]
	s_or_b64 exec, exec, s[6:7]
	s_and_saveexec_b64 s[6:7], s[4:5]
	s_cbranch_execnz .LBB1_1851
	s_branch .LBB1_1852
.LBB1_3901:
	s_movk_i32 s4, 0x80
	v_cmp_eq_u16_sdwa s[12:13], v3, s4 src0_sel:BYTE_3 src1_sel:DWORD
	s_mov_b64 s[4:5], -1
                                        ; implicit-def: $sgpr10
	s_and_saveexec_b64 s[8:9], s[12:13]
; %bb.3902:
	s_mov_b32 s10, 0x7f800001
	s_xor_b64 s[4:5], exec, -1
; %bb.3903:
	s_or_b64 exec, exec, s[8:9]
	s_and_b64 s[4:5], s[4:5], exec
	s_or_saveexec_b64 s[6:7], s[6:7]
	v_mov_b32_e32 v6, s10
	s_xor_b64 exec, exec, s[6:7]
	s_cbranch_execz .LBB1_1854
.LBB1_3904:
	v_mov_b32_e32 v6, 0
	v_cmp_ne_u16_sdwa s[8:9], v3, v6 src0_sel:BYTE_3 src1_sel:DWORD
	s_andn2_b64 s[4:5], s[4:5], exec
	s_and_b64 s[8:9], s[8:9], exec
	s_or_b64 s[4:5], s[4:5], s[8:9]
	s_or_b64 exec, exec, s[6:7]
	s_and_saveexec_b64 s[6:7], s[4:5]
	s_cbranch_execnz .LBB1_1855
	s_branch .LBB1_1856
.LBB1_3905:
	s_movk_i32 s4, 0x80
	v_cmp_eq_u16_sdwa s[12:13], v8, s4 src0_sel:BYTE_0 src1_sel:DWORD
	s_mov_b64 s[4:5], -1
                                        ; implicit-def: $sgpr10
	s_and_saveexec_b64 s[8:9], s[12:13]
; %bb.3906:
	s_mov_b32 s10, 0x7f800001
	s_xor_b64 s[4:5], exec, -1
; %bb.3907:
	s_or_b64 exec, exec, s[8:9]
	s_and_b64 s[4:5], s[4:5], exec
	s_or_saveexec_b64 s[6:7], s[6:7]
	v_mov_b32_e32 v2, s10
	s_xor_b64 exec, exec, s[6:7]
	s_cbranch_execz .LBB1_1858
.LBB1_3908:
	v_mov_b32_e32 v2, 0
	v_cmp_ne_u16_sdwa s[8:9], v8, v2 src0_sel:BYTE_0 src1_sel:DWORD
	s_andn2_b64 s[4:5], s[4:5], exec
	s_and_b64 s[8:9], s[8:9], exec
	s_or_b64 s[4:5], s[4:5], s[8:9]
	s_or_b64 exec, exec, s[6:7]
	s_and_saveexec_b64 s[6:7], s[4:5]
	s_cbranch_execnz .LBB1_1859
	s_branch .LBB1_1860
.LBB1_3909:
	s_movk_i32 s4, 0x80
	v_cmp_eq_u16_sdwa s[12:13], v4, s4 src0_sel:BYTE_0 src1_sel:DWORD
	s_mov_b64 s[4:5], -1
                                        ; implicit-def: $sgpr10
	s_and_saveexec_b64 s[8:9], s[12:13]
; %bb.3910:
	s_mov_b32 s10, 0x7f800001
	s_xor_b64 s[4:5], exec, -1
; %bb.3911:
	s_or_b64 exec, exec, s[8:9]
	s_and_b64 s[4:5], s[4:5], exec
	s_or_saveexec_b64 s[6:7], s[6:7]
	v_mov_b32_e32 v3, s10
	s_xor_b64 exec, exec, s[6:7]
	s_cbranch_execz .LBB1_1862
.LBB1_3912:
	v_mov_b32_e32 v3, 0
	v_cmp_ne_u16_sdwa s[8:9], v4, v3 src0_sel:BYTE_0 src1_sel:DWORD
	s_andn2_b64 s[4:5], s[4:5], exec
	s_and_b64 s[8:9], s[8:9], exec
	s_or_b64 s[4:5], s[4:5], s[8:9]
	s_or_b64 exec, exec, s[6:7]
	s_and_saveexec_b64 s[6:7], s[4:5]
	s_cbranch_execnz .LBB1_1863
	s_branch .LBB1_1864
.LBB1_3913:
	s_movk_i32 s4, 0x80
	v_cmp_eq_u16_sdwa s[12:13], v3, s4 src0_sel:BYTE_0 src1_sel:DWORD
	s_mov_b64 s[4:5], -1
                                        ; implicit-def: $sgpr10
	s_and_saveexec_b64 s[8:9], s[12:13]
; %bb.3914:
	s_mov_b32 s10, 0x7f800001
	s_xor_b64 s[4:5], exec, -1
; %bb.3915:
	s_or_b64 exec, exec, s[8:9]
	s_and_b64 s[4:5], s[4:5], exec
	s_or_saveexec_b64 s[6:7], s[6:7]
	v_mov_b32_e32 v2, s10
	s_xor_b64 exec, exec, s[6:7]
	s_cbranch_execz .LBB1_1866
.LBB1_3916:
	v_mov_b32_e32 v2, 0
	v_cmp_ne_u16_sdwa s[8:9], v3, v2 src0_sel:BYTE_0 src1_sel:DWORD
	s_andn2_b64 s[4:5], s[4:5], exec
	s_and_b64 s[8:9], s[8:9], exec
	s_or_b64 s[4:5], s[4:5], s[8:9]
	s_or_b64 exec, exec, s[6:7]
	s_and_saveexec_b64 s[6:7], s[4:5]
	s_cbranch_execnz .LBB1_1867
	s_branch .LBB1_1868
.LBB1_3917:
	s_movk_i32 s4, 0x80
	v_cmp_eq_u16_sdwa s[12:13], v3, s4 src0_sel:BYTE_0 src1_sel:DWORD
	s_mov_b64 s[4:5], -1
                                        ; implicit-def: $sgpr10
	s_and_saveexec_b64 s[8:9], s[12:13]
; %bb.3918:
	s_mov_b32 s10, 0x7f800001
	s_xor_b64 s[4:5], exec, -1
; %bb.3919:
	s_or_b64 exec, exec, s[8:9]
	s_and_b64 s[4:5], s[4:5], exec
	s_or_saveexec_b64 s[6:7], s[6:7]
	v_mov_b32_e32 v6, s10
	s_xor_b64 exec, exec, s[6:7]
	s_cbranch_execz .LBB1_1870
.LBB1_3920:
	v_mov_b32_e32 v6, 0
	v_cmp_ne_u16_sdwa s[8:9], v3, v6 src0_sel:BYTE_0 src1_sel:DWORD
	s_andn2_b64 s[4:5], s[4:5], exec
	s_and_b64 s[8:9], s[8:9], exec
	s_or_b64 s[4:5], s[4:5], s[8:9]
	s_or_b64 exec, exec, s[6:7]
	s_and_saveexec_b64 s[6:7], s[4:5]
	s_cbranch_execnz .LBB1_1871
	s_branch .LBB1_1872
.LBB1_3921:
	s_movk_i32 s4, 0x80
	v_cmp_eq_u16_e32 vcc, s4, v3
	s_mov_b64 s[4:5], -1
                                        ; implicit-def: $sgpr10
	s_and_saveexec_b64 s[8:9], vcc
; %bb.3922:
	s_mov_b32 s10, 0x7f800001
	s_xor_b64 s[4:5], exec, -1
; %bb.3923:
	s_or_b64 exec, exec, s[8:9]
	s_and_b64 s[4:5], s[4:5], exec
                                        ; implicit-def: $vgpr3
	s_or_saveexec_b64 s[6:7], s[6:7]
	v_mov_b32_e32 v2, s10
	s_xor_b64 exec, exec, s[6:7]
	s_cbranch_execz .LBB1_1874
.LBB1_3924:
	v_cmp_ne_u16_e32 vcc, 0, v3
	s_andn2_b64 s[4:5], s[4:5], exec
	s_and_b64 s[8:9], vcc, exec
	v_mov_b32_e32 v2, 0
	s_or_b64 s[4:5], s[4:5], s[8:9]
	s_or_b64 exec, exec, s[6:7]
	s_and_saveexec_b64 s[6:7], s[4:5]
	s_cbranch_execnz .LBB1_1875
	s_branch .LBB1_1876
.LBB1_3925:
	s_movk_i32 s4, 0x80
	v_cmp_eq_u16_e32 vcc, s4, v3
	s_mov_b64 s[4:5], -1
                                        ; implicit-def: $sgpr10
	s_and_saveexec_b64 s[8:9], vcc
; %bb.3926:
	s_mov_b32 s10, 0x7f800001
	s_xor_b64 s[4:5], exec, -1
; %bb.3927:
	s_or_b64 exec, exec, s[8:9]
	s_and_b64 s[4:5], s[4:5], exec
                                        ; implicit-def: $vgpr3
	s_or_saveexec_b64 s[6:7], s[6:7]
	v_mov_b32_e32 v6, s10
	s_xor_b64 exec, exec, s[6:7]
	s_cbranch_execz .LBB1_1878
.LBB1_3928:
	v_cmp_ne_u16_e32 vcc, 0, v3
	s_andn2_b64 s[4:5], s[4:5], exec
	s_and_b64 s[8:9], vcc, exec
	v_mov_b32_e32 v6, 0
	s_or_b64 s[4:5], s[4:5], s[8:9]
	s_or_b64 exec, exec, s[6:7]
	s_and_saveexec_b64 s[6:7], s[4:5]
	s_cbranch_execnz .LBB1_1879
	s_branch .LBB1_1880
.LBB1_3929:
	s_movk_i32 s4, 0x80
	v_cmp_eq_u16_sdwa s[12:13], v8, s4 src0_sel:BYTE_3 src1_sel:DWORD
	s_mov_b64 s[4:5], -1
                                        ; implicit-def: $sgpr10
	s_and_saveexec_b64 s[8:9], s[12:13]
; %bb.3930:
	s_mov_b32 s10, 0x7f800001
	s_xor_b64 s[4:5], exec, -1
; %bb.3931:
	s_or_b64 exec, exec, s[8:9]
	s_and_b64 s[4:5], s[4:5], exec
	s_or_saveexec_b64 s[6:7], s[6:7]
	v_mov_b32_e32 v2, s10
	s_xor_b64 exec, exec, s[6:7]
	s_cbranch_execz .LBB1_1882
.LBB1_3932:
	v_mov_b32_e32 v2, 0
	v_cmp_ne_u16_sdwa s[8:9], v8, v2 src0_sel:BYTE_3 src1_sel:DWORD
	s_andn2_b64 s[4:5], s[4:5], exec
	s_and_b64 s[8:9], s[8:9], exec
	s_or_b64 s[4:5], s[4:5], s[8:9]
	s_or_b64 exec, exec, s[6:7]
	s_and_saveexec_b64 s[6:7], s[4:5]
	s_cbranch_execnz .LBB1_1883
	s_branch .LBB1_1884
.LBB1_3933:
	s_movk_i32 s4, 0x80
	v_cmp_eq_u16_sdwa s[12:13], v4, s4 src0_sel:BYTE_3 src1_sel:DWORD
	s_mov_b64 s[4:5], -1
                                        ; implicit-def: $sgpr10
	s_and_saveexec_b64 s[8:9], s[12:13]
; %bb.3934:
	s_mov_b32 s10, 0x7f800001
	s_xor_b64 s[4:5], exec, -1
; %bb.3935:
	s_or_b64 exec, exec, s[8:9]
	s_and_b64 s[4:5], s[4:5], exec
	s_or_saveexec_b64 s[6:7], s[6:7]
	v_mov_b32_e32 v3, s10
	s_xor_b64 exec, exec, s[6:7]
	s_cbranch_execz .LBB1_1886
.LBB1_3936:
	v_mov_b32_e32 v3, 0
	v_cmp_ne_u16_sdwa s[8:9], v4, v3 src0_sel:BYTE_3 src1_sel:DWORD
	s_andn2_b64 s[4:5], s[4:5], exec
	s_and_b64 s[8:9], s[8:9], exec
	s_or_b64 s[4:5], s[4:5], s[8:9]
	s_or_b64 exec, exec, s[6:7]
	s_and_saveexec_b64 s[6:7], s[4:5]
	s_cbranch_execnz .LBB1_1887
	s_branch .LBB1_1888
.LBB1_3937:
	s_movk_i32 s4, 0x80
	v_cmp_eq_u16_sdwa s[12:13], v9, s4 src0_sel:BYTE_0 src1_sel:DWORD
	s_mov_b64 s[4:5], -1
                                        ; implicit-def: $sgpr10
	s_and_saveexec_b64 s[8:9], s[12:13]
; %bb.3938:
	s_mov_b32 s10, 0x7f800001
	s_xor_b64 s[4:5], exec, -1
; %bb.3939:
	s_or_b64 exec, exec, s[8:9]
	s_and_b64 s[4:5], s[4:5], exec
	s_or_saveexec_b64 s[6:7], s[6:7]
	v_mov_b32_e32 v2, s10
	s_xor_b64 exec, exec, s[6:7]
	s_cbranch_execz .LBB1_1890
.LBB1_3940:
	v_mov_b32_e32 v2, 0
	v_cmp_ne_u16_sdwa s[8:9], v9, v2 src0_sel:BYTE_0 src1_sel:DWORD
	s_andn2_b64 s[4:5], s[4:5], exec
	s_and_b64 s[8:9], s[8:9], exec
	s_or_b64 s[4:5], s[4:5], s[8:9]
	s_or_b64 exec, exec, s[6:7]
	s_and_saveexec_b64 s[6:7], s[4:5]
	s_cbranch_execnz .LBB1_1891
	s_branch .LBB1_1892
.LBB1_3941:
	s_movk_i32 s4, 0x80
	v_cmp_eq_u16_sdwa s[12:13], v5, s4 src0_sel:BYTE_0 src1_sel:DWORD
	s_mov_b64 s[4:5], -1
                                        ; implicit-def: $sgpr10
	s_and_saveexec_b64 s[8:9], s[12:13]
; %bb.3942:
	s_mov_b32 s10, 0x7f800001
	s_xor_b64 s[4:5], exec, -1
; %bb.3943:
	s_or_b64 exec, exec, s[8:9]
	s_and_b64 s[4:5], s[4:5], exec
	s_or_saveexec_b64 s[6:7], s[6:7]
	v_mov_b32_e32 v3, s10
	s_xor_b64 exec, exec, s[6:7]
	s_cbranch_execz .LBB1_1894
.LBB1_3944:
	v_mov_b32_e32 v3, 0
	v_cmp_ne_u16_sdwa s[8:9], v5, v3 src0_sel:BYTE_0 src1_sel:DWORD
	s_andn2_b64 s[4:5], s[4:5], exec
	s_and_b64 s[8:9], s[8:9], exec
	s_or_b64 s[4:5], s[4:5], s[8:9]
	s_or_b64 exec, exec, s[6:7]
	s_and_saveexec_b64 s[6:7], s[4:5]
	s_cbranch_execnz .LBB1_1895
	s_branch .LBB1_1896
.LBB1_3945:
	s_movk_i32 s4, 0x80
	v_cmp_eq_u16_sdwa s[12:13], v3, s4 src0_sel:BYTE_0 src1_sel:DWORD
	s_mov_b64 s[4:5], -1
                                        ; implicit-def: $sgpr10
	s_and_saveexec_b64 s[8:9], s[12:13]
; %bb.3946:
	s_mov_b32 s10, 0x7f800001
	s_xor_b64 s[4:5], exec, -1
; %bb.3947:
	s_or_b64 exec, exec, s[8:9]
	s_and_b64 s[4:5], s[4:5], exec
	s_or_saveexec_b64 s[6:7], s[6:7]
	v_mov_b32_e32 v2, s10
	s_xor_b64 exec, exec, s[6:7]
	s_cbranch_execz .LBB1_1898
.LBB1_3948:
	v_mov_b32_e32 v2, 0
	v_cmp_ne_u16_sdwa s[8:9], v3, v2 src0_sel:BYTE_0 src1_sel:DWORD
	s_andn2_b64 s[4:5], s[4:5], exec
	s_and_b64 s[8:9], s[8:9], exec
	s_or_b64 s[4:5], s[4:5], s[8:9]
	s_or_b64 exec, exec, s[6:7]
	s_and_saveexec_b64 s[6:7], s[4:5]
	s_cbranch_execnz .LBB1_1899
	s_branch .LBB1_1900
.LBB1_3949:
	s_movk_i32 s4, 0x80
	v_cmp_eq_u16_sdwa s[12:13], v3, s4 src0_sel:BYTE_0 src1_sel:DWORD
	s_mov_b64 s[4:5], -1
                                        ; implicit-def: $sgpr10
	s_and_saveexec_b64 s[8:9], s[12:13]
; %bb.3950:
	s_mov_b32 s10, 0x7f800001
	s_xor_b64 s[4:5], exec, -1
; %bb.3951:
	s_or_b64 exec, exec, s[8:9]
	s_and_b64 s[4:5], s[4:5], exec
	s_or_saveexec_b64 s[6:7], s[6:7]
	v_mov_b32_e32 v4, s10
	s_xor_b64 exec, exec, s[6:7]
	s_cbranch_execz .LBB1_1902
.LBB1_3952:
	v_mov_b32_e32 v4, 0
	v_cmp_ne_u16_sdwa s[8:9], v3, v4 src0_sel:BYTE_0 src1_sel:DWORD
	s_andn2_b64 s[4:5], s[4:5], exec
	s_and_b64 s[8:9], s[8:9], exec
	s_or_b64 s[4:5], s[4:5], s[8:9]
	s_or_b64 exec, exec, s[6:7]
	s_and_saveexec_b64 s[6:7], s[4:5]
	s_cbranch_execnz .LBB1_1903
	s_branch .LBB1_1904
.LBB1_3953:
	s_movk_i32 s4, 0x80
	v_cmp_eq_u16_e32 vcc, s4, v3
	s_mov_b64 s[4:5], -1
                                        ; implicit-def: $sgpr10
	s_and_saveexec_b64 s[8:9], vcc
; %bb.3954:
	s_mov_b32 s10, 0x7f800001
	s_xor_b64 s[4:5], exec, -1
; %bb.3955:
	s_or_b64 exec, exec, s[8:9]
	s_and_b64 s[4:5], s[4:5], exec
                                        ; implicit-def: $vgpr3
	s_or_saveexec_b64 s[6:7], s[6:7]
	v_mov_b32_e32 v2, s10
	s_xor_b64 exec, exec, s[6:7]
	s_cbranch_execz .LBB1_1906
.LBB1_3956:
	v_cmp_ne_u16_e32 vcc, 0, v3
	s_andn2_b64 s[4:5], s[4:5], exec
	s_and_b64 s[8:9], vcc, exec
	v_mov_b32_e32 v2, 0
	s_or_b64 s[4:5], s[4:5], s[8:9]
	s_or_b64 exec, exec, s[6:7]
	s_and_saveexec_b64 s[6:7], s[4:5]
	s_cbranch_execnz .LBB1_1907
	s_branch .LBB1_1908
.LBB1_3957:
	s_movk_i32 s4, 0x80
	v_cmp_eq_u16_e32 vcc, s4, v3
	s_mov_b64 s[4:5], -1
                                        ; implicit-def: $sgpr10
	s_and_saveexec_b64 s[8:9], vcc
; %bb.3958:
	s_mov_b32 s10, 0x7f800001
	s_xor_b64 s[4:5], exec, -1
; %bb.3959:
	s_or_b64 exec, exec, s[8:9]
	s_and_b64 s[4:5], s[4:5], exec
                                        ; implicit-def: $vgpr3
	s_or_saveexec_b64 s[6:7], s[6:7]
	v_mov_b32_e32 v4, s10
	s_xor_b64 exec, exec, s[6:7]
	s_cbranch_execz .LBB1_1910
.LBB1_3960:
	v_cmp_ne_u16_e32 vcc, 0, v3
	s_andn2_b64 s[4:5], s[4:5], exec
	s_and_b64 s[8:9], vcc, exec
	v_mov_b32_e32 v4, 0
	s_or_b64 s[4:5], s[4:5], s[8:9]
	s_or_b64 exec, exec, s[6:7]
	s_and_saveexec_b64 s[6:7], s[4:5]
	s_cbranch_execnz .LBB1_1911
	s_branch .LBB1_1912
.LBB1_3961:
	s_movk_i32 s4, 0x80
	v_cmp_eq_u16_sdwa s[12:13], v9, s4 src0_sel:BYTE_3 src1_sel:DWORD
	s_mov_b64 s[4:5], -1
                                        ; implicit-def: $sgpr10
	s_and_saveexec_b64 s[8:9], s[12:13]
; %bb.3962:
	s_mov_b32 s10, 0x7f800001
	s_xor_b64 s[4:5], exec, -1
; %bb.3963:
	s_or_b64 exec, exec, s[8:9]
	s_and_b64 s[4:5], s[4:5], exec
	s_or_saveexec_b64 s[6:7], s[6:7]
	v_mov_b32_e32 v2, s10
	s_xor_b64 exec, exec, s[6:7]
	s_cbranch_execz .LBB1_1914
.LBB1_3964:
	v_mov_b32_e32 v2, 0
	v_cmp_ne_u16_sdwa s[8:9], v9, v2 src0_sel:BYTE_3 src1_sel:DWORD
	s_andn2_b64 s[4:5], s[4:5], exec
	s_and_b64 s[8:9], s[8:9], exec
	s_or_b64 s[4:5], s[4:5], s[8:9]
	s_or_b64 exec, exec, s[6:7]
	s_and_saveexec_b64 s[6:7], s[4:5]
	s_cbranch_execnz .LBB1_1915
	s_branch .LBB1_1916
.LBB1_3965:
	s_movk_i32 s4, 0x80
	v_cmp_eq_u16_sdwa s[12:13], v5, s4 src0_sel:BYTE_3 src1_sel:DWORD
	s_mov_b64 s[4:5], -1
                                        ; implicit-def: $sgpr10
	s_and_saveexec_b64 s[8:9], s[12:13]
; %bb.3966:
	s_mov_b32 s10, 0x7f800001
	s_xor_b64 s[4:5], exec, -1
; %bb.3967:
	s_or_b64 exec, exec, s[8:9]
	s_and_b64 s[4:5], s[4:5], exec
	s_or_saveexec_b64 s[6:7], s[6:7]
	v_mov_b32_e32 v3, s10
	s_xor_b64 exec, exec, s[6:7]
	s_cbranch_execz .LBB1_1918
.LBB1_3968:
	v_mov_b32_e32 v3, 0
	v_cmp_ne_u16_sdwa s[8:9], v5, v3 src0_sel:BYTE_3 src1_sel:DWORD
	s_andn2_b64 s[4:5], s[4:5], exec
	s_and_b64 s[8:9], s[8:9], exec
	s_or_b64 s[4:5], s[4:5], s[8:9]
	s_or_b64 exec, exec, s[6:7]
	s_and_saveexec_b64 s[6:7], s[4:5]
	s_cbranch_execnz .LBB1_1919
	s_branch .LBB1_1920
.LBB1_3969:
	s_movk_i32 s4, 0x80
	v_cmp_eq_u16_sdwa s[12:13], v4, s4 src0_sel:BYTE_0 src1_sel:DWORD
	s_mov_b64 s[4:5], -1
                                        ; implicit-def: $sgpr10
	s_and_saveexec_b64 s[8:9], s[12:13]
; %bb.3970:
	s_mov_b32 s10, 0x7f800001
	s_xor_b64 s[4:5], exec, -1
; %bb.3971:
	s_or_b64 exec, exec, s[8:9]
	s_and_b64 s[4:5], s[4:5], exec
	s_or_saveexec_b64 s[6:7], s[6:7]
	v_mov_b32_e32 v10, s10
	s_xor_b64 exec, exec, s[6:7]
	s_cbranch_execz .LBB1_1922
.LBB1_3972:
	v_mov_b32_e32 v10, 0
	v_cmp_ne_u16_sdwa s[8:9], v4, v10 src0_sel:BYTE_0 src1_sel:DWORD
	s_andn2_b64 s[4:5], s[4:5], exec
	s_and_b64 s[8:9], s[8:9], exec
	s_or_b64 s[4:5], s[4:5], s[8:9]
	s_or_b64 exec, exec, s[6:7]
	s_and_saveexec_b64 s[6:7], s[4:5]
	s_cbranch_execnz .LBB1_1923
	s_branch .LBB1_1924
.LBB1_3973:
	s_movk_i32 s4, 0x80
	v_cmp_eq_u16_sdwa s[12:13], v0, s4 src0_sel:BYTE_0 src1_sel:DWORD
	s_mov_b64 s[4:5], -1
                                        ; implicit-def: $sgpr10
	s_and_saveexec_b64 s[8:9], s[12:13]
; %bb.3974:
	s_mov_b32 s10, 0x7f800001
	s_xor_b64 s[4:5], exec, -1
; %bb.3975:
	s_or_b64 exec, exec, s[8:9]
	s_and_b64 s[4:5], s[4:5], exec
	s_or_saveexec_b64 s[6:7], s[6:7]
	v_mov_b32_e32 v11, s10
	s_xor_b64 exec, exec, s[6:7]
	s_cbranch_execz .LBB1_1926
.LBB1_3976:
	v_mov_b32_e32 v11, 0
	v_cmp_ne_u16_sdwa s[8:9], v0, v11 src0_sel:BYTE_0 src1_sel:DWORD
	s_andn2_b64 s[4:5], s[4:5], exec
	s_and_b64 s[8:9], s[8:9], exec
	s_or_b64 s[4:5], s[4:5], s[8:9]
	s_or_b64 exec, exec, s[6:7]
	s_and_saveexec_b64 s[6:7], s[4:5]
	s_cbranch_execnz .LBB1_1927
	s_branch .LBB1_1928
.LBB1_3977:
	s_movk_i32 s4, 0x80
	v_cmp_eq_u16_sdwa s[12:13], v11, s4 src0_sel:BYTE_0 src1_sel:DWORD
	s_mov_b64 s[4:5], -1
                                        ; implicit-def: $sgpr10
	s_and_saveexec_b64 s[8:9], s[12:13]
; %bb.3978:
	s_mov_b32 s10, 0x7f800001
	s_xor_b64 s[4:5], exec, -1
; %bb.3979:
	s_or_b64 exec, exec, s[8:9]
	s_and_b64 s[4:5], s[4:5], exec
	s_or_saveexec_b64 s[6:7], s[6:7]
	v_mov_b32_e32 v10, s10
	s_xor_b64 exec, exec, s[6:7]
	s_cbranch_execz .LBB1_1930
.LBB1_3980:
	v_mov_b32_e32 v10, 0
	v_cmp_ne_u16_sdwa s[8:9], v11, v10 src0_sel:BYTE_0 src1_sel:DWORD
	s_andn2_b64 s[4:5], s[4:5], exec
	s_and_b64 s[8:9], s[8:9], exec
	s_or_b64 s[4:5], s[4:5], s[8:9]
	s_or_b64 exec, exec, s[6:7]
	s_and_saveexec_b64 s[6:7], s[4:5]
	s_cbranch_execnz .LBB1_1931
	s_branch .LBB1_1932
.LBB1_3981:
	s_movk_i32 s4, 0x80
	v_cmp_eq_u16_sdwa s[12:13], v11, s4 src0_sel:BYTE_0 src1_sel:DWORD
	s_mov_b64 s[4:5], -1
                                        ; implicit-def: $sgpr10
	s_and_saveexec_b64 s[8:9], s[12:13]
; %bb.3982:
	s_mov_b32 s10, 0x7f800001
	s_xor_b64 s[4:5], exec, -1
; %bb.3983:
	s_or_b64 exec, exec, s[8:9]
	s_and_b64 s[4:5], s[4:5], exec
	s_or_saveexec_b64 s[6:7], s[6:7]
	v_mov_b32_e32 v12, s10
	s_xor_b64 exec, exec, s[6:7]
	s_cbranch_execz .LBB1_1934
.LBB1_3984:
	v_mov_b32_e32 v12, 0
	v_cmp_ne_u16_sdwa s[8:9], v11, v12 src0_sel:BYTE_0 src1_sel:DWORD
	s_andn2_b64 s[4:5], s[4:5], exec
	s_and_b64 s[8:9], s[8:9], exec
	s_or_b64 s[4:5], s[4:5], s[8:9]
	s_or_b64 exec, exec, s[6:7]
	s_and_saveexec_b64 s[6:7], s[4:5]
	s_cbranch_execnz .LBB1_1935
	s_branch .LBB1_1936
.LBB1_3985:
	s_movk_i32 s4, 0x80
	v_cmp_eq_u16_e32 vcc, s4, v11
	s_mov_b64 s[4:5], -1
                                        ; implicit-def: $sgpr10
	s_and_saveexec_b64 s[8:9], vcc
; %bb.3986:
	s_mov_b32 s10, 0x7f800001
	s_xor_b64 s[4:5], exec, -1
; %bb.3987:
	s_or_b64 exec, exec, s[8:9]
	s_and_b64 s[4:5], s[4:5], exec
                                        ; implicit-def: $vgpr11
	s_or_saveexec_b64 s[6:7], s[6:7]
	v_mov_b32_e32 v10, s10
	s_xor_b64 exec, exec, s[6:7]
	s_cbranch_execz .LBB1_1938
.LBB1_3988:
	v_cmp_ne_u16_e32 vcc, 0, v11
	s_andn2_b64 s[4:5], s[4:5], exec
	s_and_b64 s[8:9], vcc, exec
	v_mov_b32_e32 v10, 0
	s_or_b64 s[4:5], s[4:5], s[8:9]
	s_or_b64 exec, exec, s[6:7]
	s_and_saveexec_b64 s[6:7], s[4:5]
	s_cbranch_execnz .LBB1_1939
	s_branch .LBB1_1940
.LBB1_3989:
	s_movk_i32 s4, 0x80
	v_cmp_eq_u16_e32 vcc, s4, v11
	s_mov_b64 s[4:5], -1
                                        ; implicit-def: $sgpr10
	s_and_saveexec_b64 s[8:9], vcc
; %bb.3990:
	s_mov_b32 s10, 0x7f800001
	s_xor_b64 s[4:5], exec, -1
; %bb.3991:
	s_or_b64 exec, exec, s[8:9]
	s_and_b64 s[4:5], s[4:5], exec
                                        ; implicit-def: $vgpr11
	s_or_saveexec_b64 s[6:7], s[6:7]
	v_mov_b32_e32 v12, s10
	s_xor_b64 exec, exec, s[6:7]
	s_cbranch_execz .LBB1_1942
.LBB1_3992:
	v_cmp_ne_u16_e32 vcc, 0, v11
	s_andn2_b64 s[4:5], s[4:5], exec
	s_and_b64 s[8:9], vcc, exec
	v_mov_b32_e32 v12, 0
	s_or_b64 s[4:5], s[4:5], s[8:9]
	s_or_b64 exec, exec, s[6:7]
	s_and_saveexec_b64 s[6:7], s[4:5]
	s_cbranch_execnz .LBB1_1943
	s_branch .LBB1_1944
.LBB1_3993:
	s_movk_i32 s4, 0x80
	v_cmp_eq_u16_sdwa s[12:13], v4, s4 src0_sel:BYTE_3 src1_sel:DWORD
	s_mov_b64 s[4:5], -1
                                        ; implicit-def: $sgpr10
	s_and_saveexec_b64 s[8:9], s[12:13]
; %bb.3994:
	s_mov_b32 s10, 0x7f800001
	s_xor_b64 s[4:5], exec, -1
; %bb.3995:
	s_or_b64 exec, exec, s[8:9]
	s_and_b64 s[4:5], s[4:5], exec
	s_or_saveexec_b64 s[6:7], s[6:7]
	v_mov_b32_e32 v10, s10
	s_xor_b64 exec, exec, s[6:7]
	s_cbranch_execz .LBB1_1946
.LBB1_3996:
	v_mov_b32_e32 v10, 0
	v_cmp_ne_u16_sdwa s[8:9], v4, v10 src0_sel:BYTE_3 src1_sel:DWORD
	s_andn2_b64 s[4:5], s[4:5], exec
	s_and_b64 s[8:9], s[8:9], exec
	s_or_b64 s[4:5], s[4:5], s[8:9]
	s_or_b64 exec, exec, s[6:7]
	s_and_saveexec_b64 s[6:7], s[4:5]
	s_cbranch_execnz .LBB1_1947
	s_branch .LBB1_1948
.LBB1_3997:
	s_movk_i32 s4, 0x80
	v_cmp_eq_u16_sdwa s[12:13], v0, s4 src0_sel:BYTE_3 src1_sel:DWORD
	s_mov_b64 s[4:5], -1
                                        ; implicit-def: $sgpr10
	s_and_saveexec_b64 s[8:9], s[12:13]
; %bb.3998:
	s_mov_b32 s10, 0x7f800001
	s_xor_b64 s[4:5], exec, -1
; %bb.3999:
	s_or_b64 exec, exec, s[8:9]
	s_and_b64 s[4:5], s[4:5], exec
	s_or_saveexec_b64 s[6:7], s[6:7]
	v_mov_b32_e32 v4, s10
	s_xor_b64 exec, exec, s[6:7]
	s_cbranch_execz .LBB1_1950
.LBB1_4000:
	v_mov_b32_e32 v4, 0
	v_cmp_ne_u16_sdwa s[8:9], v0, v4 src0_sel:BYTE_3 src1_sel:DWORD
	s_andn2_b64 s[4:5], s[4:5], exec
	s_and_b64 s[8:9], s[8:9], exec
	s_or_b64 s[4:5], s[4:5], s[8:9]
	s_or_b64 exec, exec, s[6:7]
	s_and_saveexec_b64 s[6:7], s[4:5]
	s_cbranch_execnz .LBB1_1951
	s_branch .LBB1_1952
.LBB1_4001:
	s_movk_i32 s4, 0x80
	v_cmp_eq_u16_sdwa s[12:13], v5, s4 src0_sel:BYTE_0 src1_sel:DWORD
	s_mov_b64 s[4:5], -1
                                        ; implicit-def: $sgpr10
	s_and_saveexec_b64 s[8:9], s[12:13]
; %bb.4002:
	s_mov_b32 s10, 0x7f800001
	s_xor_b64 s[4:5], exec, -1
; %bb.4003:
	s_or_b64 exec, exec, s[8:9]
	s_and_b64 s[4:5], s[4:5], exec
	s_or_saveexec_b64 s[6:7], s[6:7]
	v_mov_b32_e32 v0, s10
	s_xor_b64 exec, exec, s[6:7]
	s_cbranch_execz .LBB1_1954
.LBB1_4004:
	v_mov_b32_e32 v0, 0
	v_cmp_ne_u16_sdwa s[8:9], v5, v0 src0_sel:BYTE_0 src1_sel:DWORD
	s_andn2_b64 s[4:5], s[4:5], exec
	s_and_b64 s[8:9], s[8:9], exec
	s_or_b64 s[4:5], s[4:5], s[8:9]
	s_or_b64 exec, exec, s[6:7]
	s_and_saveexec_b64 s[6:7], s[4:5]
	s_cbranch_execnz .LBB1_1955
	s_branch .LBB1_1956
.LBB1_4005:
	s_movk_i32 s4, 0x80
	v_cmp_eq_u16_sdwa s[12:13], v1, s4 src0_sel:BYTE_0 src1_sel:DWORD
	s_mov_b64 s[4:5], -1
                                        ; implicit-def: $sgpr10
	s_and_saveexec_b64 s[8:9], s[12:13]
; %bb.4006:
	s_mov_b32 s10, 0x7f800001
	s_xor_b64 s[4:5], exec, -1
; %bb.4007:
	s_or_b64 exec, exec, s[8:9]
	s_and_b64 s[4:5], s[4:5], exec
	s_or_saveexec_b64 s[6:7], s[6:7]
	v_mov_b32_e32 v4, s10
	s_xor_b64 exec, exec, s[6:7]
	s_cbranch_execz .LBB1_1958
.LBB1_4008:
	v_mov_b32_e32 v4, 0
	v_cmp_ne_u16_sdwa s[8:9], v1, v4 src0_sel:BYTE_0 src1_sel:DWORD
	s_andn2_b64 s[4:5], s[4:5], exec
	s_and_b64 s[8:9], s[8:9], exec
	s_or_b64 s[4:5], s[4:5], s[8:9]
	s_or_b64 exec, exec, s[6:7]
	s_and_saveexec_b64 s[6:7], s[4:5]
	s_cbranch_execnz .LBB1_1959
	s_branch .LBB1_1960
.LBB1_4009:
	s_movk_i32 s4, 0x80
	v_cmp_eq_u16_sdwa s[12:13], v4, s4 src0_sel:BYTE_0 src1_sel:DWORD
	s_mov_b64 s[4:5], -1
                                        ; implicit-def: $sgpr10
	s_and_saveexec_b64 s[8:9], s[12:13]
; %bb.4010:
	s_mov_b32 s10, 0x7f800001
	s_xor_b64 s[4:5], exec, -1
; %bb.4011:
	s_or_b64 exec, exec, s[8:9]
	s_and_b64 s[4:5], s[4:5], exec
	s_or_saveexec_b64 s[6:7], s[6:7]
	v_mov_b32_e32 v0, s10
	s_xor_b64 exec, exec, s[6:7]
	s_cbranch_execz .LBB1_1962
.LBB1_4012:
	v_mov_b32_e32 v0, 0
	v_cmp_ne_u16_sdwa s[8:9], v4, v0 src0_sel:BYTE_0 src1_sel:DWORD
	s_andn2_b64 s[4:5], s[4:5], exec
	s_and_b64 s[8:9], s[8:9], exec
	s_or_b64 s[4:5], s[4:5], s[8:9]
	s_or_b64 exec, exec, s[6:7]
	s_and_saveexec_b64 s[6:7], s[4:5]
	s_cbranch_execnz .LBB1_1963
	s_branch .LBB1_1964
.LBB1_4013:
	s_movk_i32 s4, 0x80
	v_cmp_eq_u16_sdwa s[12:13], v4, s4 src0_sel:BYTE_0 src1_sel:DWORD
	s_mov_b64 s[4:5], -1
                                        ; implicit-def: $sgpr10
	s_and_saveexec_b64 s[8:9], s[12:13]
; %bb.4014:
	s_mov_b32 s10, 0x7f800001
	s_xor_b64 s[4:5], exec, -1
; %bb.4015:
	s_or_b64 exec, exec, s[8:9]
	s_and_b64 s[4:5], s[4:5], exec
	s_or_saveexec_b64 s[6:7], s[6:7]
	v_mov_b32_e32 v10, s10
	s_xor_b64 exec, exec, s[6:7]
	s_cbranch_execz .LBB1_1966
.LBB1_4016:
	v_mov_b32_e32 v10, 0
	v_cmp_ne_u16_sdwa s[8:9], v4, v10 src0_sel:BYTE_0 src1_sel:DWORD
	s_andn2_b64 s[4:5], s[4:5], exec
	s_and_b64 s[8:9], s[8:9], exec
	s_or_b64 s[4:5], s[4:5], s[8:9]
	s_or_b64 exec, exec, s[6:7]
	s_and_saveexec_b64 s[6:7], s[4:5]
	s_cbranch_execnz .LBB1_1967
	s_branch .LBB1_1968
.LBB1_4017:
	s_movk_i32 s4, 0x80
	v_cmp_eq_u16_e32 vcc, s4, v4
	s_mov_b64 s[4:5], -1
                                        ; implicit-def: $sgpr10
	s_and_saveexec_b64 s[8:9], vcc
; %bb.4018:
	s_mov_b32 s10, 0x7f800001
	s_xor_b64 s[4:5], exec, -1
; %bb.4019:
	s_or_b64 exec, exec, s[8:9]
	s_and_b64 s[4:5], s[4:5], exec
                                        ; implicit-def: $vgpr4
	s_or_saveexec_b64 s[6:7], s[6:7]
	v_mov_b32_e32 v0, s10
	s_xor_b64 exec, exec, s[6:7]
	s_cbranch_execz .LBB1_1970
.LBB1_4020:
	v_cmp_ne_u16_e32 vcc, 0, v4
	s_andn2_b64 s[4:5], s[4:5], exec
	s_and_b64 s[8:9], vcc, exec
	v_mov_b32_e32 v0, 0
	s_or_b64 s[4:5], s[4:5], s[8:9]
	s_or_b64 exec, exec, s[6:7]
	s_and_saveexec_b64 s[6:7], s[4:5]
	s_cbranch_execnz .LBB1_1971
	s_branch .LBB1_1972
.LBB1_4021:
	s_movk_i32 s4, 0x80
	v_cmp_eq_u16_e32 vcc, s4, v4
	s_mov_b64 s[4:5], -1
                                        ; implicit-def: $sgpr10
	s_and_saveexec_b64 s[8:9], vcc
; %bb.4022:
	s_mov_b32 s10, 0x7f800001
	s_xor_b64 s[4:5], exec, -1
; %bb.4023:
	s_or_b64 exec, exec, s[8:9]
	s_and_b64 s[4:5], s[4:5], exec
                                        ; implicit-def: $vgpr4
	s_or_saveexec_b64 s[6:7], s[6:7]
	v_mov_b32_e32 v10, s10
	s_xor_b64 exec, exec, s[6:7]
	s_cbranch_execz .LBB1_1974
.LBB1_4024:
	v_cmp_ne_u16_e32 vcc, 0, v4
	s_andn2_b64 s[4:5], s[4:5], exec
	s_and_b64 s[8:9], vcc, exec
	v_mov_b32_e32 v10, 0
	s_or_b64 s[4:5], s[4:5], s[8:9]
	s_or_b64 exec, exec, s[6:7]
	s_and_saveexec_b64 s[6:7], s[4:5]
	s_cbranch_execnz .LBB1_1975
	s_branch .LBB1_1976
.LBB1_4025:
	s_movk_i32 s4, 0x80
	v_cmp_eq_u16_sdwa s[12:13], v5, s4 src0_sel:BYTE_3 src1_sel:DWORD
	s_mov_b64 s[4:5], -1
                                        ; implicit-def: $sgpr10
	s_and_saveexec_b64 s[8:9], s[12:13]
; %bb.4026:
	s_mov_b32 s10, 0x7f800001
	s_xor_b64 s[4:5], exec, -1
; %bb.4027:
	s_or_b64 exec, exec, s[8:9]
	s_and_b64 s[4:5], s[4:5], exec
	s_or_saveexec_b64 s[6:7], s[6:7]
	v_mov_b32_e32 v0, s10
	s_xor_b64 exec, exec, s[6:7]
	s_cbranch_execz .LBB1_1978
.LBB1_4028:
	v_mov_b32_e32 v0, 0
	v_cmp_ne_u16_sdwa s[8:9], v5, v0 src0_sel:BYTE_3 src1_sel:DWORD
	s_andn2_b64 s[4:5], s[4:5], exec
	s_and_b64 s[8:9], s[8:9], exec
	s_or_b64 s[4:5], s[4:5], s[8:9]
	s_or_b64 exec, exec, s[6:7]
	s_and_saveexec_b64 s[6:7], s[4:5]
	s_cbranch_execnz .LBB1_1979
	s_branch .LBB1_1980
.LBB1_4029:
	s_movk_i32 s4, 0x80
	v_cmp_eq_u16_sdwa s[12:13], v1, s4 src0_sel:BYTE_3 src1_sel:DWORD
	s_mov_b64 s[4:5], -1
                                        ; implicit-def: $sgpr10
	s_and_saveexec_b64 s[8:9], s[12:13]
; %bb.4030:
	s_mov_b32 s10, 0x7f800001
	s_xor_b64 s[4:5], exec, -1
; %bb.4031:
	s_or_b64 exec, exec, s[8:9]
	s_and_b64 s[4:5], s[4:5], exec
	s_or_saveexec_b64 s[6:7], s[6:7]
	v_mov_b32_e32 v4, s10
	s_xor_b64 exec, exec, s[6:7]
	s_cbranch_execz .LBB1_1982
.LBB1_4032:
	v_mov_b32_e32 v4, 0
	v_cmp_ne_u16_sdwa s[8:9], v1, v4 src0_sel:BYTE_3 src1_sel:DWORD
	s_andn2_b64 s[4:5], s[4:5], exec
	s_and_b64 s[8:9], s[8:9], exec
	s_or_b64 s[4:5], s[4:5], s[8:9]
	s_or_b64 exec, exec, s[6:7]
	s_and_saveexec_b64 s[6:7], s[4:5]
	s_cbranch_execnz .LBB1_1983
	s_branch .LBB1_1984
.LBB1_4033:
	s_movk_i32 s4, 0x80
	v_cmp_eq_u16_sdwa s[12:13], v6, s4 src0_sel:BYTE_0 src1_sel:DWORD
	s_mov_b64 s[4:5], -1
                                        ; implicit-def: $sgpr10
	s_and_saveexec_b64 s[8:9], s[12:13]
; %bb.4034:
	s_mov_b32 s10, 0x7f800001
	s_xor_b64 s[4:5], exec, -1
; %bb.4035:
	s_or_b64 exec, exec, s[8:9]
	s_and_b64 s[4:5], s[4:5], exec
	s_or_saveexec_b64 s[6:7], s[6:7]
	v_mov_b32_e32 v0, s10
	s_xor_b64 exec, exec, s[6:7]
	s_cbranch_execz .LBB1_1986
.LBB1_4036:
	v_mov_b32_e32 v0, 0
	v_cmp_ne_u16_sdwa s[8:9], v6, v0 src0_sel:BYTE_0 src1_sel:DWORD
	s_andn2_b64 s[4:5], s[4:5], exec
	s_and_b64 s[8:9], s[8:9], exec
	s_or_b64 s[4:5], s[4:5], s[8:9]
	s_or_b64 exec, exec, s[6:7]
	s_and_saveexec_b64 s[6:7], s[4:5]
	s_cbranch_execnz .LBB1_1987
	s_branch .LBB1_1988
.LBB1_4037:
	s_movk_i32 s4, 0x80
	v_cmp_eq_u16_sdwa s[12:13], v2, s4 src0_sel:BYTE_0 src1_sel:DWORD
	s_mov_b64 s[4:5], -1
                                        ; implicit-def: $sgpr10
	s_and_saveexec_b64 s[8:9], s[12:13]
; %bb.4038:
	s_mov_b32 s10, 0x7f800001
	s_xor_b64 s[4:5], exec, -1
; %bb.4039:
	s_or_b64 exec, exec, s[8:9]
	s_and_b64 s[4:5], s[4:5], exec
	s_or_saveexec_b64 s[6:7], s[6:7]
	v_mov_b32_e32 v1, s10
	s_xor_b64 exec, exec, s[6:7]
	s_cbranch_execz .LBB1_1990
.LBB1_4040:
	v_mov_b32_e32 v1, 0
	v_cmp_ne_u16_sdwa s[8:9], v2, v1 src0_sel:BYTE_0 src1_sel:DWORD
	s_andn2_b64 s[4:5], s[4:5], exec
	s_and_b64 s[8:9], s[8:9], exec
	s_or_b64 s[4:5], s[4:5], s[8:9]
	s_or_b64 exec, exec, s[6:7]
	s_and_saveexec_b64 s[6:7], s[4:5]
	s_cbranch_execnz .LBB1_1991
	s_branch .LBB1_1992
.LBB1_4041:
	s_movk_i32 s4, 0x80
	v_cmp_eq_u16_sdwa s[12:13], v1, s4 src0_sel:BYTE_0 src1_sel:DWORD
	s_mov_b64 s[4:5], -1
                                        ; implicit-def: $sgpr10
	s_and_saveexec_b64 s[8:9], s[12:13]
; %bb.4042:
	s_mov_b32 s10, 0x7f800001
	s_xor_b64 s[4:5], exec, -1
; %bb.4043:
	s_or_b64 exec, exec, s[8:9]
	s_and_b64 s[4:5], s[4:5], exec
	s_or_saveexec_b64 s[6:7], s[6:7]
	v_mov_b32_e32 v0, s10
	s_xor_b64 exec, exec, s[6:7]
	s_cbranch_execz .LBB1_1994
.LBB1_4044:
	v_mov_b32_e32 v0, 0
	v_cmp_ne_u16_sdwa s[8:9], v1, v0 src0_sel:BYTE_0 src1_sel:DWORD
	s_andn2_b64 s[4:5], s[4:5], exec
	s_and_b64 s[8:9], s[8:9], exec
	s_or_b64 s[4:5], s[4:5], s[8:9]
	s_or_b64 exec, exec, s[6:7]
	s_and_saveexec_b64 s[6:7], s[4:5]
	s_cbranch_execnz .LBB1_1995
	s_branch .LBB1_1996
.LBB1_4045:
	s_movk_i32 s4, 0x80
	v_cmp_eq_u16_sdwa s[12:13], v1, s4 src0_sel:BYTE_0 src1_sel:DWORD
	s_mov_b64 s[4:5], -1
                                        ; implicit-def: $sgpr10
	s_and_saveexec_b64 s[8:9], s[12:13]
; %bb.4046:
	s_mov_b32 s10, 0x7f800001
	s_xor_b64 s[4:5], exec, -1
; %bb.4047:
	s_or_b64 exec, exec, s[8:9]
	s_and_b64 s[4:5], s[4:5], exec
	s_or_saveexec_b64 s[6:7], s[6:7]
	v_mov_b32_e32 v4, s10
	s_xor_b64 exec, exec, s[6:7]
	s_cbranch_execz .LBB1_1998
.LBB1_4048:
	v_mov_b32_e32 v4, 0
	v_cmp_ne_u16_sdwa s[8:9], v1, v4 src0_sel:BYTE_0 src1_sel:DWORD
	s_andn2_b64 s[4:5], s[4:5], exec
	s_and_b64 s[8:9], s[8:9], exec
	s_or_b64 s[4:5], s[4:5], s[8:9]
	s_or_b64 exec, exec, s[6:7]
	s_and_saveexec_b64 s[6:7], s[4:5]
	s_cbranch_execnz .LBB1_1999
	s_branch .LBB1_2000
.LBB1_4049:
	s_movk_i32 s4, 0x80
	v_cmp_eq_u16_e32 vcc, s4, v1
	s_mov_b64 s[4:5], -1
                                        ; implicit-def: $sgpr10
	s_and_saveexec_b64 s[8:9], vcc
; %bb.4050:
	s_mov_b32 s10, 0x7f800001
	s_xor_b64 s[4:5], exec, -1
; %bb.4051:
	s_or_b64 exec, exec, s[8:9]
	s_and_b64 s[4:5], s[4:5], exec
                                        ; implicit-def: $vgpr1
	s_or_saveexec_b64 s[6:7], s[6:7]
	v_mov_b32_e32 v0, s10
	s_xor_b64 exec, exec, s[6:7]
	s_cbranch_execz .LBB1_2002
.LBB1_4052:
	v_cmp_ne_u16_e32 vcc, 0, v1
	s_andn2_b64 s[4:5], s[4:5], exec
	s_and_b64 s[8:9], vcc, exec
	v_mov_b32_e32 v0, 0
	s_or_b64 s[4:5], s[4:5], s[8:9]
	s_or_b64 exec, exec, s[6:7]
	s_and_saveexec_b64 s[6:7], s[4:5]
	s_cbranch_execnz .LBB1_2003
	s_branch .LBB1_2004
.LBB1_4053:
	s_movk_i32 s4, 0x80
	v_cmp_eq_u16_e32 vcc, s4, v1
	s_mov_b64 s[4:5], -1
                                        ; implicit-def: $sgpr10
	s_and_saveexec_b64 s[8:9], vcc
; %bb.4054:
	s_mov_b32 s10, 0x7f800001
	s_xor_b64 s[4:5], exec, -1
; %bb.4055:
	s_or_b64 exec, exec, s[8:9]
	s_and_b64 s[4:5], s[4:5], exec
                                        ; implicit-def: $vgpr1
	s_or_saveexec_b64 s[6:7], s[6:7]
	v_mov_b32_e32 v4, s10
	s_xor_b64 exec, exec, s[6:7]
	s_cbranch_execz .LBB1_2006
.LBB1_4056:
	v_cmp_ne_u16_e32 vcc, 0, v1
	s_andn2_b64 s[4:5], s[4:5], exec
	s_and_b64 s[8:9], vcc, exec
	v_mov_b32_e32 v4, 0
	s_or_b64 s[4:5], s[4:5], s[8:9]
	s_or_b64 exec, exec, s[6:7]
	s_and_saveexec_b64 s[6:7], s[4:5]
	s_cbranch_execnz .LBB1_2007
	s_branch .LBB1_2008
.LBB1_4057:
	s_movk_i32 s4, 0x80
	v_cmp_eq_u16_sdwa s[12:13], v6, s4 src0_sel:BYTE_3 src1_sel:DWORD
	s_mov_b64 s[4:5], -1
                                        ; implicit-def: $sgpr10
	s_and_saveexec_b64 s[8:9], s[12:13]
; %bb.4058:
	s_mov_b32 s10, 0x7f800001
	s_xor_b64 s[4:5], exec, -1
; %bb.4059:
	s_or_b64 exec, exec, s[8:9]
	s_and_b64 s[4:5], s[4:5], exec
	s_or_saveexec_b64 s[6:7], s[6:7]
	v_mov_b32_e32 v0, s10
	s_xor_b64 exec, exec, s[6:7]
	s_cbranch_execz .LBB1_2010
.LBB1_4060:
	v_mov_b32_e32 v0, 0
	v_cmp_ne_u16_sdwa s[8:9], v6, v0 src0_sel:BYTE_3 src1_sel:DWORD
	s_andn2_b64 s[4:5], s[4:5], exec
	s_and_b64 s[8:9], s[8:9], exec
	s_or_b64 s[4:5], s[4:5], s[8:9]
	s_or_b64 exec, exec, s[6:7]
	s_and_saveexec_b64 s[6:7], s[4:5]
	s_cbranch_execnz .LBB1_2011
	s_branch .LBB1_2012
.LBB1_4061:
	s_movk_i32 s4, 0x80
	v_cmp_eq_u16_sdwa s[12:13], v2, s4 src0_sel:BYTE_3 src1_sel:DWORD
	s_mov_b64 s[4:5], -1
                                        ; implicit-def: $sgpr10
	s_and_saveexec_b64 s[8:9], s[12:13]
; %bb.4062:
	s_mov_b32 s10, 0x7f800001
	s_xor_b64 s[4:5], exec, -1
; %bb.4063:
	s_or_b64 exec, exec, s[8:9]
	s_and_b64 s[4:5], s[4:5], exec
	s_or_saveexec_b64 s[6:7], s[6:7]
	v_mov_b32_e32 v1, s10
	s_xor_b64 exec, exec, s[6:7]
	s_cbranch_execz .LBB1_2014
.LBB1_4064:
	v_mov_b32_e32 v1, 0
	v_cmp_ne_u16_sdwa s[8:9], v2, v1 src0_sel:BYTE_3 src1_sel:DWORD
	s_andn2_b64 s[4:5], s[4:5], exec
	s_and_b64 s[8:9], s[8:9], exec
	s_or_b64 s[4:5], s[4:5], s[8:9]
	s_or_b64 exec, exec, s[6:7]
	s_and_saveexec_b64 s[6:7], s[4:5]
	s_cbranch_execnz .LBB1_2015
	s_branch .LBB1_2016
.LBB1_4065:
	s_movk_i32 s4, 0x80
	v_cmp_eq_u16_sdwa s[12:13], v7, s4 src0_sel:BYTE_0 src1_sel:DWORD
	s_mov_b64 s[4:5], -1
                                        ; implicit-def: $sgpr10
	s_and_saveexec_b64 s[8:9], s[12:13]
; %bb.4066:
	s_mov_b32 s10, 0x7f800001
	s_xor_b64 s[4:5], exec, -1
; %bb.4067:
	s_or_b64 exec, exec, s[8:9]
	s_and_b64 s[4:5], s[4:5], exec
	s_or_saveexec_b64 s[6:7], s[6:7]
	v_mov_b32_e32 v0, s10
	s_xor_b64 exec, exec, s[6:7]
	s_cbranch_execz .LBB1_2018
.LBB1_4068:
	v_mov_b32_e32 v0, 0
	v_cmp_ne_u16_sdwa s[8:9], v7, v0 src0_sel:BYTE_0 src1_sel:DWORD
	s_andn2_b64 s[4:5], s[4:5], exec
	s_and_b64 s[8:9], s[8:9], exec
	s_or_b64 s[4:5], s[4:5], s[8:9]
	s_or_b64 exec, exec, s[6:7]
	s_and_saveexec_b64 s[6:7], s[4:5]
	s_cbranch_execnz .LBB1_2019
	s_branch .LBB1_2020
.LBB1_4069:
	s_movk_i32 s4, 0x80
	v_cmp_eq_u16_sdwa s[12:13], v3, s4 src0_sel:BYTE_0 src1_sel:DWORD
	s_mov_b64 s[4:5], -1
                                        ; implicit-def: $sgpr10
	s_and_saveexec_b64 s[8:9], s[12:13]
; %bb.4070:
	s_mov_b32 s10, 0x7f800001
	s_xor_b64 s[4:5], exec, -1
; %bb.4071:
	s_or_b64 exec, exec, s[8:9]
	s_and_b64 s[4:5], s[4:5], exec
	s_or_saveexec_b64 s[6:7], s[6:7]
	v_mov_b32_e32 v1, s10
	s_xor_b64 exec, exec, s[6:7]
	s_cbranch_execz .LBB1_2022
.LBB1_4072:
	v_mov_b32_e32 v1, 0
	v_cmp_ne_u16_sdwa s[8:9], v3, v1 src0_sel:BYTE_0 src1_sel:DWORD
	s_andn2_b64 s[4:5], s[4:5], exec
	s_and_b64 s[8:9], s[8:9], exec
	s_or_b64 s[4:5], s[4:5], s[8:9]
	s_or_b64 exec, exec, s[6:7]
	s_and_saveexec_b64 s[6:7], s[4:5]
	s_cbranch_execnz .LBB1_2023
	s_branch .LBB1_2024
.LBB1_4073:
	s_movk_i32 s4, 0x80
	v_cmp_eq_u16_sdwa s[12:13], v1, s4 src0_sel:BYTE_0 src1_sel:DWORD
	s_mov_b64 s[4:5], -1
                                        ; implicit-def: $sgpr10
	s_and_saveexec_b64 s[8:9], s[12:13]
; %bb.4074:
	s_mov_b32 s10, 0x7f800001
	s_xor_b64 s[4:5], exec, -1
; %bb.4075:
	s_or_b64 exec, exec, s[8:9]
	s_and_b64 s[4:5], s[4:5], exec
	s_or_saveexec_b64 s[6:7], s[6:7]
	v_mov_b32_e32 v0, s10
	s_xor_b64 exec, exec, s[6:7]
	s_cbranch_execz .LBB1_2026
.LBB1_4076:
	v_mov_b32_e32 v0, 0
	v_cmp_ne_u16_sdwa s[8:9], v1, v0 src0_sel:BYTE_0 src1_sel:DWORD
	s_andn2_b64 s[4:5], s[4:5], exec
	s_and_b64 s[8:9], s[8:9], exec
	s_or_b64 s[4:5], s[4:5], s[8:9]
	s_or_b64 exec, exec, s[6:7]
	s_and_saveexec_b64 s[6:7], s[4:5]
	s_cbranch_execnz .LBB1_2027
	s_branch .LBB1_2028
.LBB1_4077:
	s_movk_i32 s4, 0x80
	v_cmp_eq_u16_sdwa s[12:13], v1, s4 src0_sel:BYTE_0 src1_sel:DWORD
	s_mov_b64 s[4:5], -1
                                        ; implicit-def: $sgpr10
	s_and_saveexec_b64 s[8:9], s[12:13]
; %bb.4078:
	s_mov_b32 s10, 0x7f800001
	s_xor_b64 s[4:5], exec, -1
; %bb.4079:
	s_or_b64 exec, exec, s[8:9]
	s_and_b64 s[4:5], s[4:5], exec
	s_or_saveexec_b64 s[6:7], s[6:7]
	v_mov_b32_e32 v2, s10
	s_xor_b64 exec, exec, s[6:7]
	s_cbranch_execz .LBB1_2030
.LBB1_4080:
	v_mov_b32_e32 v2, 0
	v_cmp_ne_u16_sdwa s[8:9], v1, v2 src0_sel:BYTE_0 src1_sel:DWORD
	s_andn2_b64 s[4:5], s[4:5], exec
	s_and_b64 s[8:9], s[8:9], exec
	s_or_b64 s[4:5], s[4:5], s[8:9]
	s_or_b64 exec, exec, s[6:7]
	s_and_saveexec_b64 s[6:7], s[4:5]
	s_cbranch_execnz .LBB1_2031
	s_branch .LBB1_2032
.LBB1_4081:
	s_movk_i32 s4, 0x80
	v_cmp_eq_u16_e32 vcc, s4, v1
	s_mov_b64 s[4:5], -1
                                        ; implicit-def: $sgpr10
	s_and_saveexec_b64 s[8:9], vcc
; %bb.4082:
	s_mov_b32 s10, 0x7f800001
	s_xor_b64 s[4:5], exec, -1
; %bb.4083:
	s_or_b64 exec, exec, s[8:9]
	s_and_b64 s[4:5], s[4:5], exec
                                        ; implicit-def: $vgpr1
	s_or_saveexec_b64 s[6:7], s[6:7]
	v_mov_b32_e32 v0, s10
	s_xor_b64 exec, exec, s[6:7]
	s_cbranch_execz .LBB1_2034
.LBB1_4084:
	v_cmp_ne_u16_e32 vcc, 0, v1
	s_andn2_b64 s[4:5], s[4:5], exec
	s_and_b64 s[8:9], vcc, exec
	v_mov_b32_e32 v0, 0
	s_or_b64 s[4:5], s[4:5], s[8:9]
	s_or_b64 exec, exec, s[6:7]
	s_and_saveexec_b64 s[6:7], s[4:5]
	s_cbranch_execnz .LBB1_2035
	s_branch .LBB1_2036
.LBB1_4085:
	s_movk_i32 s4, 0x80
	v_cmp_eq_u16_e32 vcc, s4, v1
	s_mov_b64 s[4:5], -1
                                        ; implicit-def: $sgpr10
	s_and_saveexec_b64 s[8:9], vcc
; %bb.4086:
	s_mov_b32 s10, 0x7f800001
	s_xor_b64 s[4:5], exec, -1
; %bb.4087:
	s_or_b64 exec, exec, s[8:9]
	s_and_b64 s[4:5], s[4:5], exec
                                        ; implicit-def: $vgpr1
	s_or_saveexec_b64 s[6:7], s[6:7]
	v_mov_b32_e32 v2, s10
	s_xor_b64 exec, exec, s[6:7]
	s_cbranch_execz .LBB1_2038
.LBB1_4088:
	v_cmp_ne_u16_e32 vcc, 0, v1
	s_andn2_b64 s[4:5], s[4:5], exec
	s_and_b64 s[8:9], vcc, exec
	v_mov_b32_e32 v2, 0
	s_or_b64 s[4:5], s[4:5], s[8:9]
	s_or_b64 exec, exec, s[6:7]
	s_and_saveexec_b64 s[6:7], s[4:5]
	s_cbranch_execnz .LBB1_2039
	s_branch .LBB1_2040
.LBB1_4089:
	s_movk_i32 s4, 0x80
	v_cmp_eq_u16_sdwa s[12:13], v7, s4 src0_sel:BYTE_3 src1_sel:DWORD
	s_mov_b64 s[4:5], -1
                                        ; implicit-def: $sgpr10
	s_and_saveexec_b64 s[8:9], s[12:13]
; %bb.4090:
	s_mov_b32 s10, 0x7f800001
	s_xor_b64 s[4:5], exec, -1
; %bb.4091:
	s_or_b64 exec, exec, s[8:9]
	s_and_b64 s[4:5], s[4:5], exec
	s_or_saveexec_b64 s[6:7], s[6:7]
	v_mov_b32_e32 v0, s10
	s_xor_b64 exec, exec, s[6:7]
	s_cbranch_execz .LBB1_2042
.LBB1_4092:
	v_mov_b32_e32 v0, 0
	v_cmp_ne_u16_sdwa s[8:9], v7, v0 src0_sel:BYTE_3 src1_sel:DWORD
	s_andn2_b64 s[4:5], s[4:5], exec
	s_and_b64 s[8:9], s[8:9], exec
	s_or_b64 s[4:5], s[4:5], s[8:9]
	s_or_b64 exec, exec, s[6:7]
	s_and_saveexec_b64 s[6:7], s[4:5]
	s_cbranch_execnz .LBB1_2043
	s_branch .LBB1_2044
.LBB1_4093:
	s_movk_i32 s4, 0x80
	v_cmp_eq_u16_sdwa s[12:13], v3, s4 src0_sel:BYTE_3 src1_sel:DWORD
	s_mov_b64 s[4:5], -1
                                        ; implicit-def: $sgpr10
	s_and_saveexec_b64 s[8:9], s[12:13]
; %bb.4094:
	s_mov_b32 s10, 0x7f800001
	s_xor_b64 s[4:5], exec, -1
; %bb.4095:
	s_or_b64 exec, exec, s[8:9]
	s_and_b64 s[4:5], s[4:5], exec
	s_or_saveexec_b64 s[6:7], s[6:7]
	v_mov_b32_e32 v1, s10
	s_xor_b64 exec, exec, s[6:7]
	s_cbranch_execz .LBB1_2046
.LBB1_4096:
	v_mov_b32_e32 v1, 0
	v_cmp_ne_u16_sdwa s[8:9], v3, v1 src0_sel:BYTE_3 src1_sel:DWORD
	s_andn2_b64 s[4:5], s[4:5], exec
	s_and_b64 s[8:9], s[8:9], exec
	s_or_b64 s[4:5], s[4:5], s[8:9]
	s_or_b64 exec, exec, s[6:7]
	s_and_saveexec_b64 s[6:7], s[4:5]
	s_cbranch_execnz .LBB1_2047
	s_branch .LBB1_2048
.Lfunc_end1:
	.size	_ZNK2ck6detail7applierIiJLi0ELi1ELi2ELi3ELi4ELi5ELi6ELi7ELi8ELi9ELi10ELi11ELi12ELi13ELi14ELi15EEEclIZNKS_11static_fordINS_8SequenceIJLi4ELi4EEEENS5_IJLi0ELi1EEEEEclIZZZZNKS_31BlockwiseGemmXdlops_pipeline_v2ILNS_26BlockGemmPipelineSchedulerE1ELi256ENS_9f8_fnuz_tENS_7pk_i4_tESC_fNS_16TensorDescriptorINS_5TupleIJNS_5EmbedINSF_IJNS_17integral_constantIiLi8EEENSH_IiLi128EEENSH_IiLi16EEEEEENSF_IJSK_SJ_NSH_IiLi1EEEEEELb0EEENS_3XorINSF_IJSJ_SI_EEELb1EEENS_11PassThroughISK_EENS_7UnMergeINSF_IJSI_SM_EEELb0EEENSS_ISJ_EEST_NSS_ISI_EENS_21Merge_v3_division_modINSF_IJSJ_SM_EEEEEST_EEENSF_IJNS5_IJLi0EEEENS5_IJLi2ELi1EEEENS5_IJLi3EEEENS5_IJLi5EEEENS5_IJLi4EEEENS5_IJLi6EEEENS5_IJLi7EEEENS5_IJLi9ELi8EEEENS5_IJLi10EEEEEEENSF_IJNS5_IJLi1ELi2ELi3EEEENS5_IJLi4ELi5EEEES18_NS5_IJLi7ELi8EEEENS5_IJLi9EEEES1B_NS5_IJLi11EEEENS5_IJLi12EEEENS5_IJLi13EEEEEEENS5_IJLi11ELi12ELi13EEEENSH_IlLl16384EEEEENSE_INSF_IJNSG_INSF_IJSK_NSH_IiLi64EEESK_EEENSF_IJSK_NSH_IiLi256EEESM_EEELb0EEENSP_INSF_IJS1O_SK_EEELb1EEEST_NSU_INSF_IJSI_NSH_IiLi2EEEEEELb0EEENSS_IS1O_EEST_SY_NSZ_INSF_IJS1O_S1V_EEEEEST_EEES1C_S1K_S1L_S1M_EENSE_INSF_IJSO_SR_ST_SW_SX_ST_SY_S11_ST_NSZ_INSF_IJSI_SK_EEEEENSU_INSF_IJNSH_IiLi4EEES1V_SK_EEELb0EEEEEENSF_IJS13_S14_S15_S16_S17_S18_S19_S1A_S1B_NS5_IJLi11ELi13EEEES1I_EEENSF_IJS1D_S1E_S18_S1F_S1G_S1B_S1H_S1I_S1J_NS5_IJLi14EEEENS5_IJLi15ELi16ELi17EEEEEEENS5_IJLi15ELi16ELi17ELi14EEEES1M_EENSE_INSF_IJS1S_S1U_ST_S1X_S1Y_ST_SY_S20_ST_S24_S27_EEES2A_S2D_S2E_S1M_EELi16ELi16ELi128ELi128ELi128ELi16ELi16ELi4ELi4ELi16ELb0EE3RunILb1ELNS_10TailNumberE2ENSE_INSF_IJNSG_INSF_IJiiEEENSF_IJiSM_EEELb0EEENSU_IS2L_Lb0EEENSS_IiEEEEENSF_IJS13_NS5_IJLi2EEEENS5_IJLi1EEEEEEENSF_IJNS5_IJLi1ELi2EEEENS5_IJLi3ELi4EEEES16_EEENS5_IJLi3ELi5ELi4EEEElEES1N_NS_35ThreadGroupTensorSliceTransfer_v4r1INS_15ThisThreadBlockILi256EEENS_16tensor_operation12element_wise11PassThroughES34_LNS_25InMemoryDataOperationEnumE0ENS5_IJLi8ELi128ELi16EEEENS5_IJLi8ELi32ELi1EEEENS5_IJLi1ELi0ELi2EEEESC_SC_RKS2Y_KS1N_S38_NS5_IJLi0ELi1ELi2EEEELi2ELi2ELi16ELi16ELi1ELi1ELb0ELb1ELi2EiEENS_13DynamicBufferILNS_16AddressSpaceEnumE1EKSC_lLb1ELNS_22AmdBufferCoherenceEnumE0EiEENS3E_ILS3F_2ESC_S1M_Lb1ELS3H_0EiEENSF_IJiiiEEENSE_INSF_IJNSU_INSF_IJiiiiEEELb0EEENS_23Merge_v2_magic_divisionIS2L_EENSS_INSF_IJiEEEEES2P_EEENSF_IJS13_NS5_IJLi1ELi3EEEES2R_S17_EEENSF_IJNS5_IJLi1ELi2ELi3ELi4EEEES16_S18_S19_EEENS5_IJLi5ELi6ELi7EEEElEES22_NS2Z_IS31_S34_S34_LS35_0ES36_NS5_IJLi4ELi64ELi1EEEES38_SD_SD_RKS3X_KS22_S38_S3C_Li2ELi2ELi16ELi16ELi1ELi1ELb0ELb1ELi2EiEENS3E_ILS3F_1EKSD_lLb1ELS3H_0EiEENS3E_ILS3F_2ESD_S1M_Lb1ELS3H_0EiEES3K_NS_25StaticBufferTupleOfVectorILS3F_4EfLi16ELi4ELb1ELb0EEEEEvRKT1_RKT2_RT3_RKT4_RT5_RKT6_RKT7_RKT8_RT9_RKT10_RT11_RKT12_RT13_iENKUlT_E0_clINSH_IiLi0EEEEEDaS56_ENKUlS56_E_clIS59_EEDaS56_ENKUlS56_E1_clIS59_EEDaS56_EUlS56_E_EEvS56_EUlS56_E_EEvS56_, .Lfunc_end1-_ZNK2ck6detail7applierIiJLi0ELi1ELi2ELi3ELi4ELi5ELi6ELi7ELi8ELi9ELi10ELi11ELi12ELi13ELi14ELi15EEEclIZNKS_11static_fordINS_8SequenceIJLi4ELi4EEEENS5_IJLi0ELi1EEEEEclIZZZZNKS_31BlockwiseGemmXdlops_pipeline_v2ILNS_26BlockGemmPipelineSchedulerE1ELi256ENS_9f8_fnuz_tENS_7pk_i4_tESC_fNS_16TensorDescriptorINS_5TupleIJNS_5EmbedINSF_IJNS_17integral_constantIiLi8EEENSH_IiLi128EEENSH_IiLi16EEEEEENSF_IJSK_SJ_NSH_IiLi1EEEEEELb0EEENS_3XorINSF_IJSJ_SI_EEELb1EEENS_11PassThroughISK_EENS_7UnMergeINSF_IJSI_SM_EEELb0EEENSS_ISJ_EEST_NSS_ISI_EENS_21Merge_v3_division_modINSF_IJSJ_SM_EEEEEST_EEENSF_IJNS5_IJLi0EEEENS5_IJLi2ELi1EEEENS5_IJLi3EEEENS5_IJLi5EEEENS5_IJLi4EEEENS5_IJLi6EEEENS5_IJLi7EEEENS5_IJLi9ELi8EEEENS5_IJLi10EEEEEEENSF_IJNS5_IJLi1ELi2ELi3EEEENS5_IJLi4ELi5EEEES18_NS5_IJLi7ELi8EEEENS5_IJLi9EEEES1B_NS5_IJLi11EEEENS5_IJLi12EEEENS5_IJLi13EEEEEEENS5_IJLi11ELi12ELi13EEEENSH_IlLl16384EEEEENSE_INSF_IJNSG_INSF_IJSK_NSH_IiLi64EEESK_EEENSF_IJSK_NSH_IiLi256EEESM_EEELb0EEENSP_INSF_IJS1O_SK_EEELb1EEEST_NSU_INSF_IJSI_NSH_IiLi2EEEEEELb0EEENSS_IS1O_EEST_SY_NSZ_INSF_IJS1O_S1V_EEEEEST_EEES1C_S1K_S1L_S1M_EENSE_INSF_IJSO_SR_ST_SW_SX_ST_SY_S11_ST_NSZ_INSF_IJSI_SK_EEEEENSU_INSF_IJNSH_IiLi4EEES1V_SK_EEELb0EEEEEENSF_IJS13_S14_S15_S16_S17_S18_S19_S1A_S1B_NS5_IJLi11ELi13EEEES1I_EEENSF_IJS1D_S1E_S18_S1F_S1G_S1B_S1H_S1I_S1J_NS5_IJLi14EEEENS5_IJLi15ELi16ELi17EEEEEEENS5_IJLi15ELi16ELi17ELi14EEEES1M_EENSE_INSF_IJS1S_S1U_ST_S1X_S1Y_ST_SY_S20_ST_S24_S27_EEES2A_S2D_S2E_S1M_EELi16ELi16ELi128ELi128ELi128ELi16ELi16ELi4ELi4ELi16ELb0EE3RunILb1ELNS_10TailNumberE2ENSE_INSF_IJNSG_INSF_IJiiEEENSF_IJiSM_EEELb0EEENSU_IS2L_Lb0EEENSS_IiEEEEENSF_IJS13_NS5_IJLi2EEEENS5_IJLi1EEEEEEENSF_IJNS5_IJLi1ELi2EEEENS5_IJLi3ELi4EEEES16_EEENS5_IJLi3ELi5ELi4EEEElEES1N_NS_35ThreadGroupTensorSliceTransfer_v4r1INS_15ThisThreadBlockILi256EEENS_16tensor_operation12element_wise11PassThroughES34_LNS_25InMemoryDataOperationEnumE0ENS5_IJLi8ELi128ELi16EEEENS5_IJLi8ELi32ELi1EEEENS5_IJLi1ELi0ELi2EEEESC_SC_RKS2Y_KS1N_S38_NS5_IJLi0ELi1ELi2EEEELi2ELi2ELi16ELi16ELi1ELi1ELb0ELb1ELi2EiEENS_13DynamicBufferILNS_16AddressSpaceEnumE1EKSC_lLb1ELNS_22AmdBufferCoherenceEnumE0EiEENS3E_ILS3F_2ESC_S1M_Lb1ELS3H_0EiEENSF_IJiiiEEENSE_INSF_IJNSU_INSF_IJiiiiEEELb0EEENS_23Merge_v2_magic_divisionIS2L_EENSS_INSF_IJiEEEEES2P_EEENSF_IJS13_NS5_IJLi1ELi3EEEES2R_S17_EEENSF_IJNS5_IJLi1ELi2ELi3ELi4EEEES16_S18_S19_EEENS5_IJLi5ELi6ELi7EEEElEES22_NS2Z_IS31_S34_S34_LS35_0ES36_NS5_IJLi4ELi64ELi1EEEES38_SD_SD_RKS3X_KS22_S38_S3C_Li2ELi2ELi16ELi16ELi1ELi1ELb0ELb1ELi2EiEENS3E_ILS3F_1EKSD_lLb1ELS3H_0EiEENS3E_ILS3F_2ESD_S1M_Lb1ELS3H_0EiEES3K_NS_25StaticBufferTupleOfVectorILS3F_4EfLi16ELi4ELb1ELb0EEEEEvRKT1_RKT2_RT3_RKT4_RT5_RKT6_RKT7_RKT8_RT9_RKT10_RT11_RKT12_RT13_iENKUlT_E0_clINSH_IiLi0EEEEEDaS56_ENKUlS56_E_clIS59_EEDaS56_ENKUlS56_E1_clIS59_EEDaS56_EUlS56_E_EEvS56_EUlS56_E_EEvS56_
                                        ; -- End function
	.section	.AMDGPU.csdata,"",@progbits
; Function info:
; codeLenInByte = 134344
; NumSgprs: 36
; NumVgprs: 18
; NumAgprs: 4
; TotalNumVgprs: 24
; ScratchSize: 0
; MemoryBound: 1
	.text
	.p2align	2                               ; -- Begin function _ZNK2ck6detail7applierIiJLi0ELi1ELi2ELi3ELi4ELi5ELi6ELi7ELi8ELi9ELi10ELi11ELi12ELi13ELi14ELi15EEEclIZNKS_11static_fordINS_8SequenceIJLi4ELi4EEEENS5_IJLi0ELi1EEEEEclIZZZZNKS_31BlockwiseGemmXdlops_pipeline_v2ILNS_26BlockGemmPipelineSchedulerE1ELi256ENS_9f8_fnuz_tENS_7pk_i4_tESC_fNS_16TensorDescriptorINS_5TupleIJNS_5EmbedINSF_IJNS_17integral_constantIiLi8EEENSH_IiLi128EEENSH_IiLi16EEEEEENSF_IJSK_SJ_NSH_IiLi1EEEEEELb0EEENS_3XorINSF_IJSJ_SI_EEELb1EEENS_11PassThroughISK_EENS_7UnMergeINSF_IJSI_SM_EEELb0EEENSS_ISJ_EEST_NSS_ISI_EENS_21Merge_v3_division_modINSF_IJSJ_SM_EEEEEST_EEENSF_IJNS5_IJLi0EEEENS5_IJLi2ELi1EEEENS5_IJLi3EEEENS5_IJLi5EEEENS5_IJLi4EEEENS5_IJLi6EEEENS5_IJLi7EEEENS5_IJLi9ELi8EEEENS5_IJLi10EEEEEEENSF_IJNS5_IJLi1ELi2ELi3EEEENS5_IJLi4ELi5EEEES18_NS5_IJLi7ELi8EEEENS5_IJLi9EEEES1B_NS5_IJLi11EEEENS5_IJLi12EEEENS5_IJLi13EEEEEEENS5_IJLi11ELi12ELi13EEEENSH_IlLl16384EEEEENSE_INSF_IJNSG_INSF_IJSK_NSH_IiLi64EEESK_EEENSF_IJSK_NSH_IiLi256EEESM_EEELb0EEENSP_INSF_IJS1O_SK_EEELb1EEEST_NSU_INSF_IJSI_NSH_IiLi2EEEEEELb0EEENSS_IS1O_EEST_SY_NSZ_INSF_IJS1O_S1V_EEEEEST_EEES1C_S1K_S1L_S1M_EENSE_INSF_IJSO_SR_ST_SW_SX_ST_SY_S11_ST_NSZ_INSF_IJSI_SK_EEEEENSU_INSF_IJNSH_IiLi4EEES1V_SK_EEELb0EEEEEENSF_IJS13_S14_S15_S16_S17_S18_S19_S1A_S1B_NS5_IJLi11ELi13EEEES1I_EEENSF_IJS1D_S1E_S18_S1F_S1G_S1B_S1H_S1I_S1J_NS5_IJLi14EEEENS5_IJLi15ELi16ELi17EEEEEEENS5_IJLi15ELi16ELi17ELi14EEEES1M_EENSE_INSF_IJS1S_S1U_ST_S1X_S1Y_ST_SY_S20_ST_S24_S27_EEES2A_S2D_S2E_S1M_EELi16ELi16ELi128ELi128ELi128ELi16ELi16ELi4ELi4ELi16ELb0EE3RunILb1ELNS_10TailNumberE2ENSE_INSF_IJNSG_INSF_IJiiEEENSF_IJiSM_EEELb0EEENSU_IS2L_Lb0EEENSS_IiEEEEENSF_IJS13_NS5_IJLi2EEEENS5_IJLi1EEEEEEENSF_IJNS5_IJLi1ELi2EEEENS5_IJLi3ELi4EEEES16_EEENS5_IJLi3ELi5ELi4EEEElEES1N_NS_35ThreadGroupTensorSliceTransfer_v4r1INS_15ThisThreadBlockILi256EEENS_16tensor_operation12element_wise11PassThroughES34_LNS_25InMemoryDataOperationEnumE0ENS5_IJLi8ELi128ELi16EEEENS5_IJLi8ELi32ELi1EEEENS5_IJLi1ELi0ELi2EEEESC_SC_RKS2Y_KS1N_S38_NS5_IJLi0ELi1ELi2EEEELi2ELi2ELi16ELi16ELi1ELi1ELb0ELb1ELi2EiEENS_13DynamicBufferILNS_16AddressSpaceEnumE1EKSC_lLb1ELNS_22AmdBufferCoherenceEnumE0EiEENS3E_ILS3F_2ESC_S1M_Lb1ELS3H_0EiEENSF_IJiiiEEENSE_INSF_IJNSU_INSF_IJiiiiEEELb0EEENS_23Merge_v2_magic_divisionIS2L_EENSS_INSF_IJiEEEEES2P_EEENSF_IJS13_NS5_IJLi1ELi3EEEES2R_S17_EEENSF_IJNS5_IJLi1ELi2ELi3ELi4EEEES16_S18_S19_EEENS5_IJLi5ELi6ELi7EEEElEES22_NS2Z_IS31_S34_S34_LS35_0ES36_NS5_IJLi4ELi64ELi1EEEES38_SD_SD_RKS3X_KS22_S38_S3C_Li2ELi2ELi16ELi16ELi1ELi1ELb0ELb1ELi2EiEENS3E_ILS3F_1EKSD_lLb1ELS3H_0EiEENS3E_ILS3F_2ESD_S1M_Lb1ELS3H_0EiEES3K_NS_25StaticBufferTupleOfVectorILS3F_4EfLi16ELi4ELb1ELb0EEEEEvRKT1_RKT2_RT3_RKT4_RT5_RKT6_RKT7_RKT8_RT9_RKT10_RT11_RKT12_RT13_iENKUlT_E0_clINSH_IiLi0EEEEEDaS56_ENKUlS56_E_clIS59_EEDaS56_ENKUlS56_E1_clISK_EEDaS56_EUlS56_E_EEvS56_EUlS56_E_EEvS56_
	.type	_ZNK2ck6detail7applierIiJLi0ELi1ELi2ELi3ELi4ELi5ELi6ELi7ELi8ELi9ELi10ELi11ELi12ELi13ELi14ELi15EEEclIZNKS_11static_fordINS_8SequenceIJLi4ELi4EEEENS5_IJLi0ELi1EEEEEclIZZZZNKS_31BlockwiseGemmXdlops_pipeline_v2ILNS_26BlockGemmPipelineSchedulerE1ELi256ENS_9f8_fnuz_tENS_7pk_i4_tESC_fNS_16TensorDescriptorINS_5TupleIJNS_5EmbedINSF_IJNS_17integral_constantIiLi8EEENSH_IiLi128EEENSH_IiLi16EEEEEENSF_IJSK_SJ_NSH_IiLi1EEEEEELb0EEENS_3XorINSF_IJSJ_SI_EEELb1EEENS_11PassThroughISK_EENS_7UnMergeINSF_IJSI_SM_EEELb0EEENSS_ISJ_EEST_NSS_ISI_EENS_21Merge_v3_division_modINSF_IJSJ_SM_EEEEEST_EEENSF_IJNS5_IJLi0EEEENS5_IJLi2ELi1EEEENS5_IJLi3EEEENS5_IJLi5EEEENS5_IJLi4EEEENS5_IJLi6EEEENS5_IJLi7EEEENS5_IJLi9ELi8EEEENS5_IJLi10EEEEEEENSF_IJNS5_IJLi1ELi2ELi3EEEENS5_IJLi4ELi5EEEES18_NS5_IJLi7ELi8EEEENS5_IJLi9EEEES1B_NS5_IJLi11EEEENS5_IJLi12EEEENS5_IJLi13EEEEEEENS5_IJLi11ELi12ELi13EEEENSH_IlLl16384EEEEENSE_INSF_IJNSG_INSF_IJSK_NSH_IiLi64EEESK_EEENSF_IJSK_NSH_IiLi256EEESM_EEELb0EEENSP_INSF_IJS1O_SK_EEELb1EEEST_NSU_INSF_IJSI_NSH_IiLi2EEEEEELb0EEENSS_IS1O_EEST_SY_NSZ_INSF_IJS1O_S1V_EEEEEST_EEES1C_S1K_S1L_S1M_EENSE_INSF_IJSO_SR_ST_SW_SX_ST_SY_S11_ST_NSZ_INSF_IJSI_SK_EEEEENSU_INSF_IJNSH_IiLi4EEES1V_SK_EEELb0EEEEEENSF_IJS13_S14_S15_S16_S17_S18_S19_S1A_S1B_NS5_IJLi11ELi13EEEES1I_EEENSF_IJS1D_S1E_S18_S1F_S1G_S1B_S1H_S1I_S1J_NS5_IJLi14EEEENS5_IJLi15ELi16ELi17EEEEEEENS5_IJLi15ELi16ELi17ELi14EEEES1M_EENSE_INSF_IJS1S_S1U_ST_S1X_S1Y_ST_SY_S20_ST_S24_S27_EEES2A_S2D_S2E_S1M_EELi16ELi16ELi128ELi128ELi128ELi16ELi16ELi4ELi4ELi16ELb0EE3RunILb1ELNS_10TailNumberE2ENSE_INSF_IJNSG_INSF_IJiiEEENSF_IJiSM_EEELb0EEENSU_IS2L_Lb0EEENSS_IiEEEEENSF_IJS13_NS5_IJLi2EEEENS5_IJLi1EEEEEEENSF_IJNS5_IJLi1ELi2EEEENS5_IJLi3ELi4EEEES16_EEENS5_IJLi3ELi5ELi4EEEElEES1N_NS_35ThreadGroupTensorSliceTransfer_v4r1INS_15ThisThreadBlockILi256EEENS_16tensor_operation12element_wise11PassThroughES34_LNS_25InMemoryDataOperationEnumE0ENS5_IJLi8ELi128ELi16EEEENS5_IJLi8ELi32ELi1EEEENS5_IJLi1ELi0ELi2EEEESC_SC_RKS2Y_KS1N_S38_NS5_IJLi0ELi1ELi2EEEELi2ELi2ELi16ELi16ELi1ELi1ELb0ELb1ELi2EiEENS_13DynamicBufferILNS_16AddressSpaceEnumE1EKSC_lLb1ELNS_22AmdBufferCoherenceEnumE0EiEENS3E_ILS3F_2ESC_S1M_Lb1ELS3H_0EiEENSF_IJiiiEEENSE_INSF_IJNSU_INSF_IJiiiiEEELb0EEENS_23Merge_v2_magic_divisionIS2L_EENSS_INSF_IJiEEEEES2P_EEENSF_IJS13_NS5_IJLi1ELi3EEEES2R_S17_EEENSF_IJNS5_IJLi1ELi2ELi3ELi4EEEES16_S18_S19_EEENS5_IJLi5ELi6ELi7EEEElEES22_NS2Z_IS31_S34_S34_LS35_0ES36_NS5_IJLi4ELi64ELi1EEEES38_SD_SD_RKS3X_KS22_S38_S3C_Li2ELi2ELi16ELi16ELi1ELi1ELb0ELb1ELi2EiEENS3E_ILS3F_1EKSD_lLb1ELS3H_0EiEENS3E_ILS3F_2ESD_S1M_Lb1ELS3H_0EiEES3K_NS_25StaticBufferTupleOfVectorILS3F_4EfLi16ELi4ELb1ELb0EEEEEvRKT1_RKT2_RT3_RKT4_RT5_RKT6_RKT7_RKT8_RT9_RKT10_RT11_RKT12_RT13_iENKUlT_E0_clINSH_IiLi0EEEEEDaS56_ENKUlS56_E_clIS59_EEDaS56_ENKUlS56_E1_clISK_EEDaS56_EUlS56_E_EEvS56_EUlS56_E_EEvS56_,@function
_ZNK2ck6detail7applierIiJLi0ELi1ELi2ELi3ELi4ELi5ELi6ELi7ELi8ELi9ELi10ELi11ELi12ELi13ELi14ELi15EEEclIZNKS_11static_fordINS_8SequenceIJLi4ELi4EEEENS5_IJLi0ELi1EEEEEclIZZZZNKS_31BlockwiseGemmXdlops_pipeline_v2ILNS_26BlockGemmPipelineSchedulerE1ELi256ENS_9f8_fnuz_tENS_7pk_i4_tESC_fNS_16TensorDescriptorINS_5TupleIJNS_5EmbedINSF_IJNS_17integral_constantIiLi8EEENSH_IiLi128EEENSH_IiLi16EEEEEENSF_IJSK_SJ_NSH_IiLi1EEEEEELb0EEENS_3XorINSF_IJSJ_SI_EEELb1EEENS_11PassThroughISK_EENS_7UnMergeINSF_IJSI_SM_EEELb0EEENSS_ISJ_EEST_NSS_ISI_EENS_21Merge_v3_division_modINSF_IJSJ_SM_EEEEEST_EEENSF_IJNS5_IJLi0EEEENS5_IJLi2ELi1EEEENS5_IJLi3EEEENS5_IJLi5EEEENS5_IJLi4EEEENS5_IJLi6EEEENS5_IJLi7EEEENS5_IJLi9ELi8EEEENS5_IJLi10EEEEEEENSF_IJNS5_IJLi1ELi2ELi3EEEENS5_IJLi4ELi5EEEES18_NS5_IJLi7ELi8EEEENS5_IJLi9EEEES1B_NS5_IJLi11EEEENS5_IJLi12EEEENS5_IJLi13EEEEEEENS5_IJLi11ELi12ELi13EEEENSH_IlLl16384EEEEENSE_INSF_IJNSG_INSF_IJSK_NSH_IiLi64EEESK_EEENSF_IJSK_NSH_IiLi256EEESM_EEELb0EEENSP_INSF_IJS1O_SK_EEELb1EEEST_NSU_INSF_IJSI_NSH_IiLi2EEEEEELb0EEENSS_IS1O_EEST_SY_NSZ_INSF_IJS1O_S1V_EEEEEST_EEES1C_S1K_S1L_S1M_EENSE_INSF_IJSO_SR_ST_SW_SX_ST_SY_S11_ST_NSZ_INSF_IJSI_SK_EEEEENSU_INSF_IJNSH_IiLi4EEES1V_SK_EEELb0EEEEEENSF_IJS13_S14_S15_S16_S17_S18_S19_S1A_S1B_NS5_IJLi11ELi13EEEES1I_EEENSF_IJS1D_S1E_S18_S1F_S1G_S1B_S1H_S1I_S1J_NS5_IJLi14EEEENS5_IJLi15ELi16ELi17EEEEEEENS5_IJLi15ELi16ELi17ELi14EEEES1M_EENSE_INSF_IJS1S_S1U_ST_S1X_S1Y_ST_SY_S20_ST_S24_S27_EEES2A_S2D_S2E_S1M_EELi16ELi16ELi128ELi128ELi128ELi16ELi16ELi4ELi4ELi16ELb0EE3RunILb1ELNS_10TailNumberE2ENSE_INSF_IJNSG_INSF_IJiiEEENSF_IJiSM_EEELb0EEENSU_IS2L_Lb0EEENSS_IiEEEEENSF_IJS13_NS5_IJLi2EEEENS5_IJLi1EEEEEEENSF_IJNS5_IJLi1ELi2EEEENS5_IJLi3ELi4EEEES16_EEENS5_IJLi3ELi5ELi4EEEElEES1N_NS_35ThreadGroupTensorSliceTransfer_v4r1INS_15ThisThreadBlockILi256EEENS_16tensor_operation12element_wise11PassThroughES34_LNS_25InMemoryDataOperationEnumE0ENS5_IJLi8ELi128ELi16EEEENS5_IJLi8ELi32ELi1EEEENS5_IJLi1ELi0ELi2EEEESC_SC_RKS2Y_KS1N_S38_NS5_IJLi0ELi1ELi2EEEELi2ELi2ELi16ELi16ELi1ELi1ELb0ELb1ELi2EiEENS_13DynamicBufferILNS_16AddressSpaceEnumE1EKSC_lLb1ELNS_22AmdBufferCoherenceEnumE0EiEENS3E_ILS3F_2ESC_S1M_Lb1ELS3H_0EiEENSF_IJiiiEEENSE_INSF_IJNSU_INSF_IJiiiiEEELb0EEENS_23Merge_v2_magic_divisionIS2L_EENSS_INSF_IJiEEEEES2P_EEENSF_IJS13_NS5_IJLi1ELi3EEEES2R_S17_EEENSF_IJNS5_IJLi1ELi2ELi3ELi4EEEES16_S18_S19_EEENS5_IJLi5ELi6ELi7EEEElEES22_NS2Z_IS31_S34_S34_LS35_0ES36_NS5_IJLi4ELi64ELi1EEEES38_SD_SD_RKS3X_KS22_S38_S3C_Li2ELi2ELi16ELi16ELi1ELi1ELb0ELb1ELi2EiEENS3E_ILS3F_1EKSD_lLb1ELS3H_0EiEENS3E_ILS3F_2ESD_S1M_Lb1ELS3H_0EiEES3K_NS_25StaticBufferTupleOfVectorILS3F_4EfLi16ELi4ELb1ELb0EEEEEvRKT1_RKT2_RT3_RKT4_RT5_RKT6_RKT7_RKT8_RT9_RKT10_RT11_RKT12_RT13_iENKUlT_E0_clINSH_IiLi0EEEEEDaS56_ENKUlS56_E_clIS59_EEDaS56_ENKUlS56_E1_clISK_EEDaS56_EUlS56_E_EEvS56_EUlS56_E_EEvS56_: ; @_ZNK2ck6detail7applierIiJLi0ELi1ELi2ELi3ELi4ELi5ELi6ELi7ELi8ELi9ELi10ELi11ELi12ELi13ELi14ELi15EEEclIZNKS_11static_fordINS_8SequenceIJLi4ELi4EEEENS5_IJLi0ELi1EEEEEclIZZZZNKS_31BlockwiseGemmXdlops_pipeline_v2ILNS_26BlockGemmPipelineSchedulerE1ELi256ENS_9f8_fnuz_tENS_7pk_i4_tESC_fNS_16TensorDescriptorINS_5TupleIJNS_5EmbedINSF_IJNS_17integral_constantIiLi8EEENSH_IiLi128EEENSH_IiLi16EEEEEENSF_IJSK_SJ_NSH_IiLi1EEEEEELb0EEENS_3XorINSF_IJSJ_SI_EEELb1EEENS_11PassThroughISK_EENS_7UnMergeINSF_IJSI_SM_EEELb0EEENSS_ISJ_EEST_NSS_ISI_EENS_21Merge_v3_division_modINSF_IJSJ_SM_EEEEEST_EEENSF_IJNS5_IJLi0EEEENS5_IJLi2ELi1EEEENS5_IJLi3EEEENS5_IJLi5EEEENS5_IJLi4EEEENS5_IJLi6EEEENS5_IJLi7EEEENS5_IJLi9ELi8EEEENS5_IJLi10EEEEEEENSF_IJNS5_IJLi1ELi2ELi3EEEENS5_IJLi4ELi5EEEES18_NS5_IJLi7ELi8EEEENS5_IJLi9EEEES1B_NS5_IJLi11EEEENS5_IJLi12EEEENS5_IJLi13EEEEEEENS5_IJLi11ELi12ELi13EEEENSH_IlLl16384EEEEENSE_INSF_IJNSG_INSF_IJSK_NSH_IiLi64EEESK_EEENSF_IJSK_NSH_IiLi256EEESM_EEELb0EEENSP_INSF_IJS1O_SK_EEELb1EEEST_NSU_INSF_IJSI_NSH_IiLi2EEEEEELb0EEENSS_IS1O_EEST_SY_NSZ_INSF_IJS1O_S1V_EEEEEST_EEES1C_S1K_S1L_S1M_EENSE_INSF_IJSO_SR_ST_SW_SX_ST_SY_S11_ST_NSZ_INSF_IJSI_SK_EEEEENSU_INSF_IJNSH_IiLi4EEES1V_SK_EEELb0EEEEEENSF_IJS13_S14_S15_S16_S17_S18_S19_S1A_S1B_NS5_IJLi11ELi13EEEES1I_EEENSF_IJS1D_S1E_S18_S1F_S1G_S1B_S1H_S1I_S1J_NS5_IJLi14EEEENS5_IJLi15ELi16ELi17EEEEEEENS5_IJLi15ELi16ELi17ELi14EEEES1M_EENSE_INSF_IJS1S_S1U_ST_S1X_S1Y_ST_SY_S20_ST_S24_S27_EEES2A_S2D_S2E_S1M_EELi16ELi16ELi128ELi128ELi128ELi16ELi16ELi4ELi4ELi16ELb0EE3RunILb1ELNS_10TailNumberE2ENSE_INSF_IJNSG_INSF_IJiiEEENSF_IJiSM_EEELb0EEENSU_IS2L_Lb0EEENSS_IiEEEEENSF_IJS13_NS5_IJLi2EEEENS5_IJLi1EEEEEEENSF_IJNS5_IJLi1ELi2EEEENS5_IJLi3ELi4EEEES16_EEENS5_IJLi3ELi5ELi4EEEElEES1N_NS_35ThreadGroupTensorSliceTransfer_v4r1INS_15ThisThreadBlockILi256EEENS_16tensor_operation12element_wise11PassThroughES34_LNS_25InMemoryDataOperationEnumE0ENS5_IJLi8ELi128ELi16EEEENS5_IJLi8ELi32ELi1EEEENS5_IJLi1ELi0ELi2EEEESC_SC_RKS2Y_KS1N_S38_NS5_IJLi0ELi1ELi2EEEELi2ELi2ELi16ELi16ELi1ELi1ELb0ELb1ELi2EiEENS_13DynamicBufferILNS_16AddressSpaceEnumE1EKSC_lLb1ELNS_22AmdBufferCoherenceEnumE0EiEENS3E_ILS3F_2ESC_S1M_Lb1ELS3H_0EiEENSF_IJiiiEEENSE_INSF_IJNSU_INSF_IJiiiiEEELb0EEENS_23Merge_v2_magic_divisionIS2L_EENSS_INSF_IJiEEEEES2P_EEENSF_IJS13_NS5_IJLi1ELi3EEEES2R_S17_EEENSF_IJNS5_IJLi1ELi2ELi3ELi4EEEES16_S18_S19_EEENS5_IJLi5ELi6ELi7EEEElEES22_NS2Z_IS31_S34_S34_LS35_0ES36_NS5_IJLi4ELi64ELi1EEEES38_SD_SD_RKS3X_KS22_S38_S3C_Li2ELi2ELi16ELi16ELi1ELi1ELb0ELb1ELi2EiEENS3E_ILS3F_1EKSD_lLb1ELS3H_0EiEENS3E_ILS3F_2ESD_S1M_Lb1ELS3H_0EiEES3K_NS_25StaticBufferTupleOfVectorILS3F_4EfLi16ELi4ELb1ELb0EEEEEvRKT1_RKT2_RT3_RKT4_RT5_RKT6_RKT7_RKT8_RT9_RKT10_RT11_RKT12_RT13_iENKUlT_E0_clINSH_IiLi0EEEEEDaS56_ENKUlS56_E_clIS59_EEDaS56_ENKUlS56_E1_clISK_EEDaS56_EUlS56_E_EEvS56_EUlS56_E_EEvS56_
; %bb.0:
	s_waitcnt vmcnt(0) expcnt(0) lgkmcnt(0)
	flat_load_dwordx4 v[12:15], v[0:1] offset:8
	flat_load_dwordx2 v[10:11], v[0:1] offset:32
	s_movk_i32 s4, 0x7f
                                        ; implicit-def: $sgpr10
	s_waitcnt vmcnt(0) lgkmcnt(0)
	flat_load_dwordx4 v[6:9], v[12:13] offset:16
	flat_load_dwordx4 v[2:5], v[14:15] offset:16
	s_waitcnt vmcnt(0) lgkmcnt(0)
	v_cmp_gt_i16_sdwa s[6:7], v6, s4 src0_sel:BYTE_0 src1_sel:DWORD
	s_mov_b64 s[4:5], 0
	s_and_saveexec_b64 s[8:9], s[6:7]
	s_xor_b64 s[6:7], exec, s[8:9]
	s_cbranch_execnz .LBB2_2049
; %bb.1:
	s_or_saveexec_b64 s[6:7], s[6:7]
	v_mov_b32_e32 v12, s10
	s_xor_b64 exec, exec, s[6:7]
	s_cbranch_execnz .LBB2_2052
.LBB2_2:
	s_or_b64 exec, exec, s[6:7]
	s_and_saveexec_b64 s[6:7], s[4:5]
	s_cbranch_execz .LBB2_4
.LBB2_3:
	v_and_b32_e32 v12, 7, v6
	v_ffbh_u32_e32 v14, v12
	v_min_u32_e32 v14, 32, v14
	v_lshrrev_b16_e32 v13, 3, v6
	v_subrev_u32_e32 v15, 28, v14
	v_and_b32_e32 v13, 15, v13
	v_lshlrev_b32_e32 v15, v15, v6
	v_sub_u32_e32 v14, 29, v14
	v_and_b32_e32 v15, 7, v15
	v_cmp_eq_u16_e32 vcc, 0, v13
	v_cndmask_b32_e32 v12, v12, v15, vcc
	v_cndmask_b32_e32 v13, v13, v14, vcc
	v_lshlrev_b32_e32 v14, 24, v6
	v_mov_b32_e32 v15, 0x3b800000
	v_lshlrev_b32_e32 v12, 20, v12
	v_and_b32_e32 v14, 0x80000000, v14
	v_lshl_add_u32 v13, v13, 23, v15
	v_or3_b32 v12, v14, v13, v12
.LBB2_4:
	s_or_b64 exec, exec, s[6:7]
	s_movk_i32 s4, 0x7f
	v_cmp_gt_i16_sdwa s[6:7], v2, s4 src0_sel:BYTE_0 src1_sel:DWORD
	s_mov_b64 s[4:5], 0
                                        ; implicit-def: $sgpr10
	s_and_saveexec_b64 s[8:9], s[6:7]
	s_xor_b64 s[6:7], exec, s[8:9]
	s_cbranch_execnz .LBB2_2053
; %bb.5:
	s_or_saveexec_b64 s[6:7], s[6:7]
	v_mov_b32_e32 v13, s10
	s_xor_b64 exec, exec, s[6:7]
	s_cbranch_execnz .LBB2_2056
.LBB2_6:
	s_or_b64 exec, exec, s[6:7]
	s_and_saveexec_b64 s[6:7], s[4:5]
	s_cbranch_execz .LBB2_8
.LBB2_7:
	v_and_b32_e32 v13, 7, v2
	v_ffbh_u32_e32 v15, v13
	v_min_u32_e32 v15, 32, v15
	v_lshrrev_b16_e32 v14, 3, v2
	v_subrev_u32_e32 v16, 28, v15
	v_and_b32_e32 v14, 15, v14
	v_lshlrev_b32_e32 v16, v16, v2
	v_sub_u32_e32 v15, 29, v15
	v_and_b32_e32 v16, 7, v16
	v_cmp_eq_u16_e32 vcc, 0, v14
	v_cndmask_b32_e32 v13, v13, v16, vcc
	v_cndmask_b32_e32 v14, v14, v15, vcc
	v_lshlrev_b32_e32 v15, 24, v2
	v_mov_b32_e32 v16, 0x3b800000
	v_lshlrev_b32_e32 v13, 20, v13
	v_and_b32_e32 v15, 0x80000000, v15
	v_lshl_add_u32 v14, v14, 23, v16
	v_or3_b32 v13, v15, v14, v13
.LBB2_8:
	s_or_b64 exec, exec, s[6:7]
	flat_load_dwordx4 a[0:3], v[10:11]
	s_movk_i32 s4, 0x7f
                                        ; implicit-def: $sgpr10
	s_waitcnt vmcnt(0) lgkmcnt(0)
	v_mfma_f32_16x16x4f32 a[0:3], v12, v13, a[0:3]
	v_lshrrev_b32_e32 v13, 8, v6
	v_cmp_gt_i16_sdwa s[6:7], v13, s4 src0_sel:BYTE_0 src1_sel:DWORD
	s_mov_b64 s[4:5], 0
	s_and_saveexec_b64 s[8:9], s[6:7]
	s_xor_b64 s[6:7], exec, s[8:9]
	s_cbranch_execnz .LBB2_2057
; %bb.9:
	s_or_saveexec_b64 s[6:7], s[6:7]
	v_mov_b32_e32 v12, s10
	s_xor_b64 exec, exec, s[6:7]
	s_cbranch_execnz .LBB2_2060
.LBB2_10:
	s_or_b64 exec, exec, s[6:7]
	s_and_saveexec_b64 s[6:7], s[4:5]
	s_cbranch_execz .LBB2_12
.LBB2_11:
	v_bfe_u32 v12, v6, 8, 3
	v_ffbh_u32_e32 v15, v12
	v_min_u32_e32 v15, 32, v15
	v_lshrrev_b16_e32 v14, 3, v13
	v_subrev_u32_e32 v16, 28, v15
	v_and_b32_e32 v14, 15, v14
	v_lshlrev_b32_e32 v13, v16, v13
	v_sub_u32_e32 v15, 29, v15
	v_and_b32_e32 v13, 7, v13
	v_cmp_eq_u16_e32 vcc, 0, v14
	v_cndmask_b32_e32 v12, v12, v13, vcc
	v_cndmask_b32_e32 v13, v14, v15, vcc
	v_lshlrev_b32_e32 v14, 16, v6
	v_mov_b32_e32 v15, 0x3b800000
	v_lshlrev_b32_e32 v12, 20, v12
	v_and_b32_e32 v14, 0x80000000, v14
	v_lshl_add_u32 v13, v13, 23, v15
	v_or3_b32 v12, v14, v13, v12
.LBB2_12:
	s_or_b64 exec, exec, s[6:7]
	v_lshrrev_b32_e32 v13, 8, v2
	s_movk_i32 s4, 0x7f
	v_cmp_gt_i16_sdwa s[6:7], v13, s4 src0_sel:BYTE_0 src1_sel:DWORD
	s_mov_b64 s[4:5], 0
                                        ; implicit-def: $sgpr10
	s_and_saveexec_b64 s[8:9], s[6:7]
	s_xor_b64 s[6:7], exec, s[8:9]
	s_cbranch_execnz .LBB2_2061
; %bb.13:
	s_or_saveexec_b64 s[6:7], s[6:7]
	v_mov_b32_e32 v14, s10
	s_xor_b64 exec, exec, s[6:7]
	s_cbranch_execnz .LBB2_2064
.LBB2_14:
	s_or_b64 exec, exec, s[6:7]
	s_and_saveexec_b64 s[6:7], s[4:5]
	s_cbranch_execz .LBB2_16
.LBB2_15:
	v_bfe_u32 v14, v2, 8, 3
	v_ffbh_u32_e32 v16, v14
	v_min_u32_e32 v16, 32, v16
	v_lshrrev_b16_e32 v15, 3, v13
	v_subrev_u32_e32 v17, 28, v16
	v_and_b32_e32 v15, 15, v15
	v_lshlrev_b32_e32 v13, v17, v13
	v_sub_u32_e32 v16, 29, v16
	v_and_b32_e32 v13, 7, v13
	v_cmp_eq_u16_e32 vcc, 0, v15
	v_cndmask_b32_e32 v13, v14, v13, vcc
	v_cndmask_b32_e32 v14, v15, v16, vcc
	v_lshlrev_b32_e32 v15, 16, v2
	v_mov_b32_e32 v16, 0x3b800000
	v_lshlrev_b32_e32 v13, 20, v13
	v_and_b32_e32 v15, 0x80000000, v15
	v_lshl_add_u32 v14, v14, 23, v16
	v_or3_b32 v14, v15, v14, v13
.LBB2_16:
	s_or_b64 exec, exec, s[6:7]
	s_nop 0
	v_mfma_f32_16x16x4f32 a[0:3], v12, v14, a[0:3]
	s_movk_i32 s4, 0xff
	v_and_b32_sdwa v13, v6, s4 dst_sel:DWORD dst_unused:UNUSED_PAD src0_sel:WORD_1 src1_sel:DWORD
	s_movk_i32 s4, 0x7f
	v_cmp_lt_i16_e32 vcc, s4, v13
	s_mov_b64 s[4:5], 0
                                        ; implicit-def: $sgpr10
	s_and_saveexec_b64 s[6:7], vcc
	s_xor_b64 s[6:7], exec, s[6:7]
	s_cbranch_execnz .LBB2_2065
; %bb.17:
	s_or_saveexec_b64 s[6:7], s[6:7]
	v_mov_b32_e32 v12, s10
	s_xor_b64 exec, exec, s[6:7]
	s_cbranch_execnz .LBB2_2068
.LBB2_18:
	s_or_b64 exec, exec, s[6:7]
	s_and_saveexec_b64 s[6:7], s[4:5]
	s_cbranch_execz .LBB2_20
.LBB2_19:
	v_bfe_u32 v12, v6, 16, 3
	v_ffbh_u32_e32 v15, v12
	v_min_u32_e32 v15, 32, v15
	v_lshrrev_b32_e32 v13, 19, v6
	v_subrev_u32_e32 v16, 28, v15
	v_and_b32_e32 v13, 15, v13
	v_lshlrev_b32_sdwa v16, v16, v6 dst_sel:DWORD dst_unused:UNUSED_PAD src0_sel:DWORD src1_sel:WORD_1
	v_bfe_u32 v14, v6, 19, 4
	v_sub_u32_e32 v15, 29, v15
	v_and_b32_e32 v16, 7, v16
	v_cmp_eq_u16_e32 vcc, 0, v13
	v_cndmask_b32_e32 v12, v12, v16, vcc
	v_cndmask_b32_e32 v13, v14, v15, vcc
	v_lshlrev_b32_e32 v14, 8, v6
	v_mov_b32_e32 v15, 0x3b800000
	v_lshlrev_b32_e32 v12, 20, v12
	v_and_b32_e32 v14, 0x80000000, v14
	v_lshl_add_u32 v13, v13, 23, v15
	v_or3_b32 v12, v14, v13, v12
.LBB2_20:
	s_or_b64 exec, exec, s[6:7]
	s_movk_i32 s4, 0xff
	v_and_b32_sdwa v13, v2, s4 dst_sel:DWORD dst_unused:UNUSED_PAD src0_sel:WORD_1 src1_sel:DWORD
	s_movk_i32 s4, 0x7f
	v_cmp_lt_i16_e32 vcc, s4, v13
	s_mov_b64 s[4:5], 0
                                        ; implicit-def: $sgpr10
	s_and_saveexec_b64 s[6:7], vcc
	s_xor_b64 s[6:7], exec, s[6:7]
	s_cbranch_execnz .LBB2_2069
; %bb.21:
	s_or_saveexec_b64 s[6:7], s[6:7]
	v_mov_b32_e32 v14, s10
	s_xor_b64 exec, exec, s[6:7]
	s_cbranch_execnz .LBB2_2072
.LBB2_22:
	s_or_b64 exec, exec, s[6:7]
	s_and_saveexec_b64 s[6:7], s[4:5]
	s_cbranch_execz .LBB2_24
.LBB2_23:
	v_bfe_u32 v13, v2, 16, 3
	v_ffbh_u32_e32 v16, v13
	v_min_u32_e32 v16, 32, v16
	v_lshrrev_b32_e32 v14, 19, v2
	v_subrev_u32_e32 v17, 28, v16
	v_and_b32_e32 v14, 15, v14
	v_lshlrev_b32_sdwa v17, v17, v2 dst_sel:DWORD dst_unused:UNUSED_PAD src0_sel:DWORD src1_sel:WORD_1
	v_bfe_u32 v15, v2, 19, 4
	v_sub_u32_e32 v16, 29, v16
	v_and_b32_e32 v17, 7, v17
	v_cmp_eq_u16_e32 vcc, 0, v14
	v_cndmask_b32_e32 v13, v13, v17, vcc
	v_cndmask_b32_e32 v14, v15, v16, vcc
	v_lshlrev_b32_e32 v15, 8, v2
	v_mov_b32_e32 v16, 0x3b800000
	v_lshlrev_b32_e32 v13, 20, v13
	v_and_b32_e32 v15, 0x80000000, v15
	v_lshl_add_u32 v14, v14, 23, v16
	v_or3_b32 v14, v15, v14, v13
.LBB2_24:
	s_or_b64 exec, exec, s[6:7]
	s_nop 0
	v_mfma_f32_16x16x4f32 a[0:3], v12, v14, a[0:3]
	s_movk_i32 s4, 0x7f
	v_cmp_gt_i16_sdwa s[6:7], v6, s4 src0_sel:BYTE_3 src1_sel:DWORD
	s_mov_b64 s[4:5], 0
                                        ; implicit-def: $sgpr10
	s_and_saveexec_b64 s[8:9], s[6:7]
	s_xor_b64 s[6:7], exec, s[8:9]
	s_cbranch_execnz .LBB2_2073
; %bb.25:
	s_or_saveexec_b64 s[6:7], s[6:7]
	v_mov_b32_e32 v12, s10
	s_xor_b64 exec, exec, s[6:7]
	s_cbranch_execnz .LBB2_2076
.LBB2_26:
	s_or_b64 exec, exec, s[6:7]
	s_and_saveexec_b64 s[6:7], s[4:5]
	s_cbranch_execz .LBB2_28
.LBB2_27:
	v_bfe_u32 v12, v6, 24, 3
	v_ffbh_u32_e32 v16, v12
	v_min_u32_e32 v16, 32, v16
	v_lshrrev_b32_e32 v14, 27, v6
	v_subrev_u32_e32 v17, 28, v16
	v_and_b32_e32 v13, 0x80000000, v6
	v_and_b32_e32 v14, 15, v14
	v_bfe_u32 v15, v6, 27, 4
	v_lshlrev_b32_sdwa v6, v17, v6 dst_sel:DWORD dst_unused:UNUSED_PAD src0_sel:DWORD src1_sel:BYTE_3
	v_sub_u32_e32 v16, 29, v16
	v_and_b32_e32 v6, 7, v6
	v_cmp_eq_u16_e32 vcc, 0, v14
	v_cndmask_b32_e32 v6, v12, v6, vcc
	v_cndmask_b32_e32 v12, v15, v16, vcc
	v_mov_b32_e32 v14, 0x3b800000
	v_lshlrev_b32_e32 v6, 20, v6
	v_lshl_add_u32 v12, v12, 23, v14
	v_or3_b32 v12, v13, v12, v6
.LBB2_28:
	s_or_b64 exec, exec, s[6:7]
	s_movk_i32 s4, 0x7f
	v_cmp_gt_i16_sdwa s[6:7], v2, s4 src0_sel:BYTE_3 src1_sel:DWORD
	s_mov_b64 s[4:5], 0
                                        ; implicit-def: $sgpr10
	s_and_saveexec_b64 s[8:9], s[6:7]
	s_xor_b64 s[6:7], exec, s[8:9]
	s_cbranch_execnz .LBB2_2077
; %bb.29:
	s_or_saveexec_b64 s[6:7], s[6:7]
	v_mov_b32_e32 v6, s10
	s_xor_b64 exec, exec, s[6:7]
	s_cbranch_execnz .LBB2_2080
.LBB2_30:
	s_or_b64 exec, exec, s[6:7]
	s_and_saveexec_b64 s[6:7], s[4:5]
	s_cbranch_execz .LBB2_32
.LBB2_31:
	v_bfe_u32 v6, v2, 24, 3
	v_ffbh_u32_e32 v16, v6
	v_min_u32_e32 v16, 32, v16
	v_lshrrev_b32_e32 v14, 27, v2
	v_subrev_u32_e32 v17, 28, v16
	v_and_b32_e32 v13, 0x80000000, v2
	v_and_b32_e32 v14, 15, v14
	v_bfe_u32 v15, v2, 27, 4
	v_lshlrev_b32_sdwa v2, v17, v2 dst_sel:DWORD dst_unused:UNUSED_PAD src0_sel:DWORD src1_sel:BYTE_3
	v_sub_u32_e32 v16, 29, v16
	v_and_b32_e32 v2, 7, v2
	v_cmp_eq_u16_e32 vcc, 0, v14
	v_cndmask_b32_e32 v2, v6, v2, vcc
	v_cndmask_b32_e32 v6, v15, v16, vcc
	v_mov_b32_e32 v14, 0x3b800000
	v_lshlrev_b32_e32 v2, 20, v2
	v_lshl_add_u32 v6, v6, 23, v14
	v_or3_b32 v6, v13, v6, v2
.LBB2_32:
	s_or_b64 exec, exec, s[6:7]
	s_nop 0
	v_mfma_f32_16x16x4f32 a[0:3], v12, v6, a[0:3]
	s_movk_i32 s4, 0x7f
	v_cmp_gt_i16_sdwa s[6:7], v7, s4 src0_sel:BYTE_0 src1_sel:DWORD
	s_mov_b64 s[4:5], 0
                                        ; implicit-def: $sgpr10
	s_and_saveexec_b64 s[8:9], s[6:7]
	s_xor_b64 s[6:7], exec, s[8:9]
	s_cbranch_execnz .LBB2_2081
; %bb.33:
	s_or_saveexec_b64 s[6:7], s[6:7]
	v_mov_b32_e32 v2, s10
	s_xor_b64 exec, exec, s[6:7]
	s_cbranch_execnz .LBB2_2084
.LBB2_34:
	s_or_b64 exec, exec, s[6:7]
	s_and_saveexec_b64 s[6:7], s[4:5]
	s_cbranch_execz .LBB2_36
.LBB2_35:
	v_and_b32_e32 v2, 7, v7
	v_ffbh_u32_e32 v12, v2
	v_min_u32_e32 v12, 32, v12
	v_lshrrev_b16_e32 v6, 3, v7
	v_subrev_u32_e32 v13, 28, v12
	v_and_b32_e32 v6, 15, v6
	v_lshlrev_b32_e32 v13, v13, v7
	v_sub_u32_e32 v12, 29, v12
	v_and_b32_e32 v13, 7, v13
	v_cmp_eq_u16_e32 vcc, 0, v6
	v_cndmask_b32_e32 v2, v2, v13, vcc
	v_cndmask_b32_e32 v6, v6, v12, vcc
	v_lshlrev_b32_e32 v12, 24, v7
	v_mov_b32_e32 v13, 0x3b800000
	v_lshlrev_b32_e32 v2, 20, v2
	v_and_b32_e32 v12, 0x80000000, v12
	v_lshl_add_u32 v6, v6, 23, v13
	v_or3_b32 v2, v12, v6, v2
.LBB2_36:
	s_or_b64 exec, exec, s[6:7]
	s_movk_i32 s4, 0x7f
	v_cmp_gt_i16_sdwa s[6:7], v3, s4 src0_sel:BYTE_0 src1_sel:DWORD
	s_mov_b64 s[4:5], 0
                                        ; implicit-def: $sgpr10
	s_and_saveexec_b64 s[8:9], s[6:7]
	s_xor_b64 s[6:7], exec, s[8:9]
	s_cbranch_execnz .LBB2_2085
; %bb.37:
	s_or_saveexec_b64 s[6:7], s[6:7]
	v_mov_b32_e32 v6, s10
	s_xor_b64 exec, exec, s[6:7]
	s_cbranch_execnz .LBB2_2088
.LBB2_38:
	s_or_b64 exec, exec, s[6:7]
	s_and_saveexec_b64 s[6:7], s[4:5]
	s_cbranch_execz .LBB2_40
.LBB2_39:
	v_and_b32_e32 v6, 7, v3
	v_ffbh_u32_e32 v13, v6
	v_min_u32_e32 v13, 32, v13
	v_lshrrev_b16_e32 v12, 3, v3
	v_subrev_u32_e32 v14, 28, v13
	v_and_b32_e32 v12, 15, v12
	v_lshlrev_b32_e32 v14, v14, v3
	v_sub_u32_e32 v13, 29, v13
	v_and_b32_e32 v14, 7, v14
	v_cmp_eq_u16_e32 vcc, 0, v12
	v_cndmask_b32_e32 v6, v6, v14, vcc
	v_cndmask_b32_e32 v12, v12, v13, vcc
	v_lshlrev_b32_e32 v13, 24, v3
	v_mov_b32_e32 v14, 0x3b800000
	v_lshlrev_b32_e32 v6, 20, v6
	v_and_b32_e32 v13, 0x80000000, v13
	v_lshl_add_u32 v12, v12, 23, v14
	v_or3_b32 v6, v13, v12, v6
.LBB2_40:
	s_or_b64 exec, exec, s[6:7]
	s_nop 0
	v_mfma_f32_16x16x4f32 a[0:3], v2, v6, a[0:3]
	v_lshrrev_b32_e32 v6, 8, v7
	s_movk_i32 s4, 0x7f
	v_cmp_gt_i16_sdwa s[6:7], v6, s4 src0_sel:BYTE_0 src1_sel:DWORD
	s_mov_b64 s[4:5], 0
                                        ; implicit-def: $sgpr10
	s_and_saveexec_b64 s[8:9], s[6:7]
	s_xor_b64 s[6:7], exec, s[8:9]
	s_cbranch_execnz .LBB2_2089
; %bb.41:
	s_or_saveexec_b64 s[6:7], s[6:7]
	v_mov_b32_e32 v2, s10
	s_xor_b64 exec, exec, s[6:7]
	s_cbranch_execnz .LBB2_2092
.LBB2_42:
	s_or_b64 exec, exec, s[6:7]
	s_and_saveexec_b64 s[6:7], s[4:5]
	s_cbranch_execz .LBB2_44
.LBB2_43:
	v_bfe_u32 v2, v7, 8, 3
	v_ffbh_u32_e32 v13, v2
	v_min_u32_e32 v13, 32, v13
	v_lshrrev_b16_e32 v12, 3, v6
	v_subrev_u32_e32 v14, 28, v13
	v_and_b32_e32 v12, 15, v12
	v_lshlrev_b32_e32 v6, v14, v6
	v_sub_u32_e32 v13, 29, v13
	v_and_b32_e32 v6, 7, v6
	v_cmp_eq_u16_e32 vcc, 0, v12
	v_cndmask_b32_e32 v2, v2, v6, vcc
	v_cndmask_b32_e32 v6, v12, v13, vcc
	v_lshlrev_b32_e32 v12, 16, v7
	v_mov_b32_e32 v13, 0x3b800000
	v_lshlrev_b32_e32 v2, 20, v2
	v_and_b32_e32 v12, 0x80000000, v12
	v_lshl_add_u32 v6, v6, 23, v13
	v_or3_b32 v2, v12, v6, v2
.LBB2_44:
	s_or_b64 exec, exec, s[6:7]
	v_lshrrev_b32_e32 v6, 8, v3
	s_movk_i32 s4, 0x7f
	v_cmp_gt_i16_sdwa s[6:7], v6, s4 src0_sel:BYTE_0 src1_sel:DWORD
	s_mov_b64 s[4:5], 0
                                        ; implicit-def: $sgpr10
	s_and_saveexec_b64 s[8:9], s[6:7]
	s_xor_b64 s[6:7], exec, s[8:9]
	s_cbranch_execnz .LBB2_2093
; %bb.45:
	s_or_saveexec_b64 s[6:7], s[6:7]
	v_mov_b32_e32 v12, s10
	s_xor_b64 exec, exec, s[6:7]
	s_cbranch_execnz .LBB2_2096
.LBB2_46:
	s_or_b64 exec, exec, s[6:7]
	s_and_saveexec_b64 s[6:7], s[4:5]
	s_cbranch_execz .LBB2_48
.LBB2_47:
	v_bfe_u32 v12, v3, 8, 3
	v_ffbh_u32_e32 v14, v12
	v_min_u32_e32 v14, 32, v14
	v_lshrrev_b16_e32 v13, 3, v6
	v_subrev_u32_e32 v15, 28, v14
	v_and_b32_e32 v13, 15, v13
	v_lshlrev_b32_e32 v6, v15, v6
	v_sub_u32_e32 v14, 29, v14
	v_and_b32_e32 v6, 7, v6
	v_cmp_eq_u16_e32 vcc, 0, v13
	v_cndmask_b32_e32 v6, v12, v6, vcc
	v_cndmask_b32_e32 v12, v13, v14, vcc
	v_lshlrev_b32_e32 v13, 16, v3
	v_mov_b32_e32 v14, 0x3b800000
	v_lshlrev_b32_e32 v6, 20, v6
	v_and_b32_e32 v13, 0x80000000, v13
	v_lshl_add_u32 v12, v12, 23, v14
	v_or3_b32 v12, v13, v12, v6
.LBB2_48:
	s_or_b64 exec, exec, s[6:7]
	s_nop 0
	v_mfma_f32_16x16x4f32 a[0:3], v2, v12, a[0:3]
	s_movk_i32 s4, 0xff
	v_and_b32_sdwa v6, v7, s4 dst_sel:DWORD dst_unused:UNUSED_PAD src0_sel:WORD_1 src1_sel:DWORD
	s_movk_i32 s4, 0x7f
	v_cmp_lt_i16_e32 vcc, s4, v6
	s_mov_b64 s[4:5], 0
                                        ; implicit-def: $sgpr10
	s_and_saveexec_b64 s[6:7], vcc
	s_xor_b64 s[6:7], exec, s[6:7]
	s_cbranch_execnz .LBB2_2097
; %bb.49:
	s_or_saveexec_b64 s[6:7], s[6:7]
	v_mov_b32_e32 v2, s10
	s_xor_b64 exec, exec, s[6:7]
	s_cbranch_execnz .LBB2_2100
.LBB2_50:
	s_or_b64 exec, exec, s[6:7]
	s_and_saveexec_b64 s[6:7], s[4:5]
	s_cbranch_execz .LBB2_52
.LBB2_51:
	v_bfe_u32 v2, v7, 16, 3
	v_ffbh_u32_e32 v13, v2
	v_min_u32_e32 v13, 32, v13
	v_lshrrev_b32_e32 v6, 19, v7
	v_subrev_u32_e32 v14, 28, v13
	v_and_b32_e32 v6, 15, v6
	v_lshlrev_b32_sdwa v14, v14, v7 dst_sel:DWORD dst_unused:UNUSED_PAD src0_sel:DWORD src1_sel:WORD_1
	v_bfe_u32 v12, v7, 19, 4
	v_sub_u32_e32 v13, 29, v13
	v_and_b32_e32 v14, 7, v14
	v_cmp_eq_u16_e32 vcc, 0, v6
	v_cndmask_b32_e32 v2, v2, v14, vcc
	v_cndmask_b32_e32 v6, v12, v13, vcc
	v_lshlrev_b32_e32 v12, 8, v7
	v_mov_b32_e32 v13, 0x3b800000
	v_lshlrev_b32_e32 v2, 20, v2
	v_and_b32_e32 v12, 0x80000000, v12
	v_lshl_add_u32 v6, v6, 23, v13
	v_or3_b32 v2, v12, v6, v2
.LBB2_52:
	s_or_b64 exec, exec, s[6:7]
	s_movk_i32 s4, 0xff
	v_and_b32_sdwa v6, v3, s4 dst_sel:DWORD dst_unused:UNUSED_PAD src0_sel:WORD_1 src1_sel:DWORD
	s_movk_i32 s4, 0x7f
	v_cmp_lt_i16_e32 vcc, s4, v6
	s_mov_b64 s[4:5], 0
                                        ; implicit-def: $sgpr10
	s_and_saveexec_b64 s[6:7], vcc
	s_xor_b64 s[6:7], exec, s[6:7]
	s_cbranch_execnz .LBB2_2101
; %bb.53:
	s_or_saveexec_b64 s[6:7], s[6:7]
	v_mov_b32_e32 v12, s10
	s_xor_b64 exec, exec, s[6:7]
	s_cbranch_execnz .LBB2_2104
.LBB2_54:
	s_or_b64 exec, exec, s[6:7]
	s_and_saveexec_b64 s[6:7], s[4:5]
	s_cbranch_execz .LBB2_56
.LBB2_55:
	v_bfe_u32 v6, v3, 16, 3
	v_ffbh_u32_e32 v14, v6
	v_min_u32_e32 v14, 32, v14
	v_lshrrev_b32_e32 v12, 19, v3
	v_subrev_u32_e32 v15, 28, v14
	v_and_b32_e32 v12, 15, v12
	v_lshlrev_b32_sdwa v15, v15, v3 dst_sel:DWORD dst_unused:UNUSED_PAD src0_sel:DWORD src1_sel:WORD_1
	v_bfe_u32 v13, v3, 19, 4
	v_sub_u32_e32 v14, 29, v14
	v_and_b32_e32 v15, 7, v15
	v_cmp_eq_u16_e32 vcc, 0, v12
	v_cndmask_b32_e32 v6, v6, v15, vcc
	v_cndmask_b32_e32 v12, v13, v14, vcc
	v_lshlrev_b32_e32 v13, 8, v3
	v_mov_b32_e32 v14, 0x3b800000
	v_lshlrev_b32_e32 v6, 20, v6
	v_and_b32_e32 v13, 0x80000000, v13
	v_lshl_add_u32 v12, v12, 23, v14
	v_or3_b32 v12, v13, v12, v6
.LBB2_56:
	s_or_b64 exec, exec, s[6:7]
	s_nop 0
	v_mfma_f32_16x16x4f32 a[0:3], v2, v12, a[0:3]
	s_movk_i32 s4, 0x7f
	v_cmp_gt_i16_sdwa s[6:7], v7, s4 src0_sel:BYTE_3 src1_sel:DWORD
	s_mov_b64 s[4:5], 0
                                        ; implicit-def: $sgpr10
	s_and_saveexec_b64 s[8:9], s[6:7]
	s_xor_b64 s[6:7], exec, s[8:9]
	s_cbranch_execnz .LBB2_2105
; %bb.57:
	s_or_saveexec_b64 s[6:7], s[6:7]
	v_mov_b32_e32 v2, s10
	s_xor_b64 exec, exec, s[6:7]
	s_cbranch_execnz .LBB2_2108
.LBB2_58:
	s_or_b64 exec, exec, s[6:7]
	s_and_saveexec_b64 s[6:7], s[4:5]
	s_cbranch_execz .LBB2_60
.LBB2_59:
	v_bfe_u32 v2, v7, 24, 3
	v_ffbh_u32_e32 v14, v2
	v_min_u32_e32 v14, 32, v14
	v_lshrrev_b32_e32 v12, 27, v7
	v_subrev_u32_e32 v15, 28, v14
	v_and_b32_e32 v6, 0x80000000, v7
	v_and_b32_e32 v12, 15, v12
	v_bfe_u32 v13, v7, 27, 4
	v_lshlrev_b32_sdwa v7, v15, v7 dst_sel:DWORD dst_unused:UNUSED_PAD src0_sel:DWORD src1_sel:BYTE_3
	v_sub_u32_e32 v14, 29, v14
	v_and_b32_e32 v7, 7, v7
	v_cmp_eq_u16_e32 vcc, 0, v12
	v_cndmask_b32_e32 v2, v2, v7, vcc
	v_cndmask_b32_e32 v7, v13, v14, vcc
	v_mov_b32_e32 v12, 0x3b800000
	v_lshlrev_b32_e32 v2, 20, v2
	v_lshl_add_u32 v7, v7, 23, v12
	v_or3_b32 v2, v6, v7, v2
.LBB2_60:
	s_or_b64 exec, exec, s[6:7]
	s_movk_i32 s4, 0x7f
	v_cmp_gt_i16_sdwa s[6:7], v3, s4 src0_sel:BYTE_3 src1_sel:DWORD
	s_mov_b64 s[4:5], 0
                                        ; implicit-def: $sgpr10
	s_and_saveexec_b64 s[8:9], s[6:7]
	s_xor_b64 s[6:7], exec, s[8:9]
	s_cbranch_execnz .LBB2_2109
; %bb.61:
	s_or_saveexec_b64 s[6:7], s[6:7]
	v_mov_b32_e32 v6, s10
	s_xor_b64 exec, exec, s[6:7]
	s_cbranch_execnz .LBB2_2112
.LBB2_62:
	s_or_b64 exec, exec, s[6:7]
	s_and_saveexec_b64 s[6:7], s[4:5]
	s_cbranch_execz .LBB2_64
.LBB2_63:
	v_bfe_u32 v6, v3, 24, 3
	v_ffbh_u32_e32 v14, v6
	v_min_u32_e32 v14, 32, v14
	v_lshrrev_b32_e32 v12, 27, v3
	v_subrev_u32_e32 v15, 28, v14
	v_and_b32_e32 v7, 0x80000000, v3
	v_and_b32_e32 v12, 15, v12
	v_bfe_u32 v13, v3, 27, 4
	v_lshlrev_b32_sdwa v3, v15, v3 dst_sel:DWORD dst_unused:UNUSED_PAD src0_sel:DWORD src1_sel:BYTE_3
	v_sub_u32_e32 v14, 29, v14
	v_and_b32_e32 v3, 7, v3
	v_cmp_eq_u16_e32 vcc, 0, v12
	v_cndmask_b32_e32 v3, v6, v3, vcc
	v_cndmask_b32_e32 v6, v13, v14, vcc
	v_mov_b32_e32 v12, 0x3b800000
	v_lshlrev_b32_e32 v3, 20, v3
	v_lshl_add_u32 v6, v6, 23, v12
	v_or3_b32 v6, v7, v6, v3
.LBB2_64:
	s_or_b64 exec, exec, s[6:7]
	s_nop 0
	v_mfma_f32_16x16x4f32 a[0:3], v2, v6, a[0:3]
	s_movk_i32 s4, 0x7f
	v_cmp_gt_i16_sdwa s[6:7], v8, s4 src0_sel:BYTE_0 src1_sel:DWORD
	s_mov_b64 s[4:5], 0
                                        ; implicit-def: $sgpr10
	s_and_saveexec_b64 s[8:9], s[6:7]
	s_xor_b64 s[6:7], exec, s[8:9]
	s_cbranch_execnz .LBB2_2113
; %bb.65:
	s_or_saveexec_b64 s[6:7], s[6:7]
	v_mov_b32_e32 v2, s10
	s_xor_b64 exec, exec, s[6:7]
	s_cbranch_execnz .LBB2_2116
.LBB2_66:
	s_or_b64 exec, exec, s[6:7]
	s_and_saveexec_b64 s[6:7], s[4:5]
	s_cbranch_execz .LBB2_68
.LBB2_67:
	v_and_b32_e32 v2, 7, v8
	v_ffbh_u32_e32 v6, v2
	v_min_u32_e32 v6, 32, v6
	v_lshrrev_b16_e32 v3, 3, v8
	v_subrev_u32_e32 v7, 28, v6
	v_and_b32_e32 v3, 15, v3
	v_lshlrev_b32_e32 v7, v7, v8
	v_sub_u32_e32 v6, 29, v6
	v_and_b32_e32 v7, 7, v7
	v_cmp_eq_u16_e32 vcc, 0, v3
	v_cndmask_b32_e32 v2, v2, v7, vcc
	v_cndmask_b32_e32 v3, v3, v6, vcc
	v_lshlrev_b32_e32 v6, 24, v8
	v_mov_b32_e32 v7, 0x3b800000
	v_lshlrev_b32_e32 v2, 20, v2
	v_and_b32_e32 v6, 0x80000000, v6
	v_lshl_add_u32 v3, v3, 23, v7
	v_or3_b32 v2, v6, v3, v2
.LBB2_68:
	s_or_b64 exec, exec, s[6:7]
	s_movk_i32 s4, 0x7f
	v_cmp_gt_i16_sdwa s[6:7], v4, s4 src0_sel:BYTE_0 src1_sel:DWORD
	s_mov_b64 s[4:5], 0
                                        ; implicit-def: $sgpr10
	s_and_saveexec_b64 s[8:9], s[6:7]
	s_xor_b64 s[6:7], exec, s[8:9]
	s_cbranch_execnz .LBB2_2117
; %bb.69:
	s_or_saveexec_b64 s[6:7], s[6:7]
	v_mov_b32_e32 v3, s10
	s_xor_b64 exec, exec, s[6:7]
	s_cbranch_execnz .LBB2_2120
.LBB2_70:
	s_or_b64 exec, exec, s[6:7]
	s_and_saveexec_b64 s[6:7], s[4:5]
	s_cbranch_execz .LBB2_72
.LBB2_71:
	v_and_b32_e32 v3, 7, v4
	v_ffbh_u32_e32 v7, v3
	v_min_u32_e32 v7, 32, v7
	v_lshrrev_b16_e32 v6, 3, v4
	v_subrev_u32_e32 v12, 28, v7
	v_and_b32_e32 v6, 15, v6
	v_lshlrev_b32_e32 v12, v12, v4
	v_sub_u32_e32 v7, 29, v7
	v_and_b32_e32 v12, 7, v12
	v_cmp_eq_u16_e32 vcc, 0, v6
	v_cndmask_b32_e32 v3, v3, v12, vcc
	v_cndmask_b32_e32 v6, v6, v7, vcc
	v_lshlrev_b32_e32 v7, 24, v4
	v_mov_b32_e32 v12, 0x3b800000
	v_lshlrev_b32_e32 v3, 20, v3
	v_and_b32_e32 v7, 0x80000000, v7
	v_lshl_add_u32 v6, v6, 23, v12
	v_or3_b32 v3, v7, v6, v3
.LBB2_72:
	s_or_b64 exec, exec, s[6:7]
	s_nop 0
	v_mfma_f32_16x16x4f32 a[0:3], v2, v3, a[0:3]
	v_lshrrev_b32_e32 v3, 8, v8
	s_movk_i32 s4, 0x7f
	v_cmp_gt_i16_sdwa s[6:7], v3, s4 src0_sel:BYTE_0 src1_sel:DWORD
	s_mov_b64 s[4:5], 0
                                        ; implicit-def: $sgpr10
	s_and_saveexec_b64 s[8:9], s[6:7]
	s_xor_b64 s[6:7], exec, s[8:9]
	s_cbranch_execnz .LBB2_2121
; %bb.73:
	s_or_saveexec_b64 s[6:7], s[6:7]
	v_mov_b32_e32 v2, s10
	s_xor_b64 exec, exec, s[6:7]
	s_cbranch_execnz .LBB2_2124
.LBB2_74:
	s_or_b64 exec, exec, s[6:7]
	s_and_saveexec_b64 s[6:7], s[4:5]
	s_cbranch_execz .LBB2_76
.LBB2_75:
	v_bfe_u32 v2, v8, 8, 3
	v_ffbh_u32_e32 v7, v2
	v_min_u32_e32 v7, 32, v7
	v_lshrrev_b16_e32 v6, 3, v3
	v_subrev_u32_e32 v12, 28, v7
	v_and_b32_e32 v6, 15, v6
	v_lshlrev_b32_e32 v3, v12, v3
	v_sub_u32_e32 v7, 29, v7
	v_and_b32_e32 v3, 7, v3
	v_cmp_eq_u16_e32 vcc, 0, v6
	v_cndmask_b32_e32 v2, v2, v3, vcc
	v_cndmask_b32_e32 v3, v6, v7, vcc
	v_lshlrev_b32_e32 v6, 16, v8
	v_mov_b32_e32 v7, 0x3b800000
	v_lshlrev_b32_e32 v2, 20, v2
	v_and_b32_e32 v6, 0x80000000, v6
	v_lshl_add_u32 v3, v3, 23, v7
	v_or3_b32 v2, v6, v3, v2
.LBB2_76:
	s_or_b64 exec, exec, s[6:7]
	v_lshrrev_b32_e32 v3, 8, v4
	s_movk_i32 s4, 0x7f
	v_cmp_gt_i16_sdwa s[6:7], v3, s4 src0_sel:BYTE_0 src1_sel:DWORD
	s_mov_b64 s[4:5], 0
                                        ; implicit-def: $sgpr10
	s_and_saveexec_b64 s[8:9], s[6:7]
	s_xor_b64 s[6:7], exec, s[8:9]
	s_cbranch_execnz .LBB2_2125
; %bb.77:
	s_or_saveexec_b64 s[6:7], s[6:7]
	v_mov_b32_e32 v6, s10
	s_xor_b64 exec, exec, s[6:7]
	s_cbranch_execnz .LBB2_2128
.LBB2_78:
	s_or_b64 exec, exec, s[6:7]
	s_and_saveexec_b64 s[6:7], s[4:5]
	s_cbranch_execz .LBB2_80
.LBB2_79:
	v_bfe_u32 v6, v4, 8, 3
	v_ffbh_u32_e32 v12, v6
	v_min_u32_e32 v12, 32, v12
	v_lshrrev_b16_e32 v7, 3, v3
	v_subrev_u32_e32 v13, 28, v12
	v_and_b32_e32 v7, 15, v7
	v_lshlrev_b32_e32 v3, v13, v3
	v_sub_u32_e32 v12, 29, v12
	v_and_b32_e32 v3, 7, v3
	v_cmp_eq_u16_e32 vcc, 0, v7
	v_cndmask_b32_e32 v3, v6, v3, vcc
	v_cndmask_b32_e32 v6, v7, v12, vcc
	v_lshlrev_b32_e32 v7, 16, v4
	v_mov_b32_e32 v12, 0x3b800000
	v_lshlrev_b32_e32 v3, 20, v3
	v_and_b32_e32 v7, 0x80000000, v7
	v_lshl_add_u32 v6, v6, 23, v12
	v_or3_b32 v6, v7, v6, v3
.LBB2_80:
	s_or_b64 exec, exec, s[6:7]
	s_nop 0
	v_mfma_f32_16x16x4f32 a[0:3], v2, v6, a[0:3]
	s_movk_i32 s4, 0xff
	v_and_b32_sdwa v3, v8, s4 dst_sel:DWORD dst_unused:UNUSED_PAD src0_sel:WORD_1 src1_sel:DWORD
	s_movk_i32 s4, 0x7f
	v_cmp_lt_i16_e32 vcc, s4, v3
	s_mov_b64 s[4:5], 0
                                        ; implicit-def: $sgpr10
	s_and_saveexec_b64 s[6:7], vcc
	s_xor_b64 s[6:7], exec, s[6:7]
	s_cbranch_execnz .LBB2_2129
; %bb.81:
	s_or_saveexec_b64 s[6:7], s[6:7]
	v_mov_b32_e32 v2, s10
	s_xor_b64 exec, exec, s[6:7]
	s_cbranch_execnz .LBB2_2132
.LBB2_82:
	s_or_b64 exec, exec, s[6:7]
	s_and_saveexec_b64 s[6:7], s[4:5]
	s_cbranch_execz .LBB2_84
.LBB2_83:
	v_bfe_u32 v2, v8, 16, 3
	v_ffbh_u32_e32 v7, v2
	v_min_u32_e32 v7, 32, v7
	v_lshrrev_b32_e32 v3, 19, v8
	v_subrev_u32_e32 v12, 28, v7
	v_and_b32_e32 v3, 15, v3
	v_lshlrev_b32_sdwa v12, v12, v8 dst_sel:DWORD dst_unused:UNUSED_PAD src0_sel:DWORD src1_sel:WORD_1
	v_bfe_u32 v6, v8, 19, 4
	v_sub_u32_e32 v7, 29, v7
	v_and_b32_e32 v12, 7, v12
	v_cmp_eq_u16_e32 vcc, 0, v3
	v_cndmask_b32_e32 v2, v2, v12, vcc
	v_cndmask_b32_e32 v3, v6, v7, vcc
	v_lshlrev_b32_e32 v6, 8, v8
	v_mov_b32_e32 v7, 0x3b800000
	v_lshlrev_b32_e32 v2, 20, v2
	v_and_b32_e32 v6, 0x80000000, v6
	v_lshl_add_u32 v3, v3, 23, v7
	v_or3_b32 v2, v6, v3, v2
.LBB2_84:
	s_or_b64 exec, exec, s[6:7]
	s_movk_i32 s4, 0xff
	v_and_b32_sdwa v3, v4, s4 dst_sel:DWORD dst_unused:UNUSED_PAD src0_sel:WORD_1 src1_sel:DWORD
	s_movk_i32 s4, 0x7f
	v_cmp_lt_i16_e32 vcc, s4, v3
	s_mov_b64 s[4:5], 0
                                        ; implicit-def: $sgpr10
	s_and_saveexec_b64 s[6:7], vcc
	s_xor_b64 s[6:7], exec, s[6:7]
	s_cbranch_execnz .LBB2_2133
; %bb.85:
	s_or_saveexec_b64 s[6:7], s[6:7]
	v_mov_b32_e32 v6, s10
	s_xor_b64 exec, exec, s[6:7]
	s_cbranch_execnz .LBB2_2136
.LBB2_86:
	s_or_b64 exec, exec, s[6:7]
	s_and_saveexec_b64 s[6:7], s[4:5]
	s_cbranch_execz .LBB2_88
.LBB2_87:
	v_bfe_u32 v3, v4, 16, 3
	v_ffbh_u32_e32 v12, v3
	v_min_u32_e32 v12, 32, v12
	v_lshrrev_b32_e32 v6, 19, v4
	v_subrev_u32_e32 v13, 28, v12
	v_and_b32_e32 v6, 15, v6
	v_lshlrev_b32_sdwa v13, v13, v4 dst_sel:DWORD dst_unused:UNUSED_PAD src0_sel:DWORD src1_sel:WORD_1
	v_bfe_u32 v7, v4, 19, 4
	v_sub_u32_e32 v12, 29, v12
	v_and_b32_e32 v13, 7, v13
	v_cmp_eq_u16_e32 vcc, 0, v6
	v_cndmask_b32_e32 v3, v3, v13, vcc
	v_cndmask_b32_e32 v6, v7, v12, vcc
	v_lshlrev_b32_e32 v7, 8, v4
	v_mov_b32_e32 v12, 0x3b800000
	v_lshlrev_b32_e32 v3, 20, v3
	v_and_b32_e32 v7, 0x80000000, v7
	v_lshl_add_u32 v6, v6, 23, v12
	v_or3_b32 v6, v7, v6, v3
.LBB2_88:
	s_or_b64 exec, exec, s[6:7]
	s_nop 0
	v_mfma_f32_16x16x4f32 a[0:3], v2, v6, a[0:3]
	s_movk_i32 s4, 0x7f
	v_cmp_gt_i16_sdwa s[6:7], v8, s4 src0_sel:BYTE_3 src1_sel:DWORD
	s_mov_b64 s[4:5], 0
                                        ; implicit-def: $sgpr10
	s_and_saveexec_b64 s[8:9], s[6:7]
	s_xor_b64 s[6:7], exec, s[8:9]
	s_cbranch_execnz .LBB2_2137
; %bb.89:
	s_or_saveexec_b64 s[6:7], s[6:7]
	v_mov_b32_e32 v2, s10
	s_xor_b64 exec, exec, s[6:7]
	s_cbranch_execnz .LBB2_2140
.LBB2_90:
	s_or_b64 exec, exec, s[6:7]
	s_and_saveexec_b64 s[6:7], s[4:5]
	s_cbranch_execz .LBB2_92
.LBB2_91:
	v_bfe_u32 v2, v8, 24, 3
	v_ffbh_u32_e32 v12, v2
	v_min_u32_e32 v12, 32, v12
	v_lshrrev_b32_e32 v6, 27, v8
	v_subrev_u32_e32 v13, 28, v12
	v_and_b32_e32 v3, 0x80000000, v8
	v_and_b32_e32 v6, 15, v6
	v_bfe_u32 v7, v8, 27, 4
	v_lshlrev_b32_sdwa v8, v13, v8 dst_sel:DWORD dst_unused:UNUSED_PAD src0_sel:DWORD src1_sel:BYTE_3
	v_sub_u32_e32 v12, 29, v12
	v_and_b32_e32 v8, 7, v8
	v_cmp_eq_u16_e32 vcc, 0, v6
	v_cndmask_b32_e32 v2, v2, v8, vcc
	v_cndmask_b32_e32 v6, v7, v12, vcc
	v_mov_b32_e32 v7, 0x3b800000
	v_lshlrev_b32_e32 v2, 20, v2
	v_lshl_add_u32 v6, v6, 23, v7
	v_or3_b32 v2, v3, v6, v2
.LBB2_92:
	s_or_b64 exec, exec, s[6:7]
	s_movk_i32 s4, 0x7f
	v_cmp_gt_i16_sdwa s[6:7], v4, s4 src0_sel:BYTE_3 src1_sel:DWORD
	s_mov_b64 s[4:5], 0
                                        ; implicit-def: $sgpr10
	s_and_saveexec_b64 s[8:9], s[6:7]
	s_xor_b64 s[6:7], exec, s[8:9]
	s_cbranch_execnz .LBB2_2141
; %bb.93:
	s_or_saveexec_b64 s[6:7], s[6:7]
	v_mov_b32_e32 v3, s10
	s_xor_b64 exec, exec, s[6:7]
	s_cbranch_execnz .LBB2_2144
.LBB2_94:
	s_or_b64 exec, exec, s[6:7]
	s_and_saveexec_b64 s[6:7], s[4:5]
	s_cbranch_execz .LBB2_96
.LBB2_95:
	v_bfe_u32 v3, v4, 24, 3
	v_ffbh_u32_e32 v12, v3
	v_min_u32_e32 v12, 32, v12
	v_lshrrev_b32_e32 v7, 27, v4
	v_subrev_u32_e32 v13, 28, v12
	v_and_b32_e32 v6, 0x80000000, v4
	v_and_b32_e32 v7, 15, v7
	v_bfe_u32 v8, v4, 27, 4
	v_lshlrev_b32_sdwa v4, v13, v4 dst_sel:DWORD dst_unused:UNUSED_PAD src0_sel:DWORD src1_sel:BYTE_3
	v_sub_u32_e32 v12, 29, v12
	v_and_b32_e32 v4, 7, v4
	v_cmp_eq_u16_e32 vcc, 0, v7
	v_cndmask_b32_e32 v3, v3, v4, vcc
	v_cndmask_b32_e32 v4, v8, v12, vcc
	v_mov_b32_e32 v7, 0x3b800000
	v_lshlrev_b32_e32 v3, 20, v3
	v_lshl_add_u32 v4, v4, 23, v7
	v_or3_b32 v3, v6, v4, v3
.LBB2_96:
	s_or_b64 exec, exec, s[6:7]
	s_nop 0
	v_mfma_f32_16x16x4f32 a[0:3], v2, v3, a[0:3]
	s_movk_i32 s4, 0x7f
	v_cmp_gt_i16_sdwa s[6:7], v9, s4 src0_sel:BYTE_0 src1_sel:DWORD
	s_mov_b64 s[4:5], 0
                                        ; implicit-def: $sgpr10
	s_and_saveexec_b64 s[8:9], s[6:7]
	s_xor_b64 s[6:7], exec, s[8:9]
	s_cbranch_execnz .LBB2_2145
; %bb.97:
	s_or_saveexec_b64 s[6:7], s[6:7]
	v_mov_b32_e32 v2, s10
	s_xor_b64 exec, exec, s[6:7]
	s_cbranch_execnz .LBB2_2148
.LBB2_98:
	s_or_b64 exec, exec, s[6:7]
	s_and_saveexec_b64 s[6:7], s[4:5]
	s_cbranch_execz .LBB2_100
.LBB2_99:
	v_mov_b32_e32 v2, 8
	v_and_b32_e32 v3, 7, v9
	v_lshrrev_b32_sdwa v2, v2, v9 dst_sel:BYTE_1 dst_unused:UNUSED_PAD src0_sel:DWORD src1_sel:DWORD
	v_ffbh_u32_e32 v4, v3
	v_or_b32_sdwa v2, v9, v2 dst_sel:DWORD dst_unused:UNUSED_PAD src0_sel:BYTE_0 src1_sel:DWORD
	v_min_u32_e32 v4, 32, v4
	v_lshrrev_b16_e32 v2, 3, v2
	v_subrev_u32_e32 v6, 28, v4
	v_and_b32_e32 v2, 15, v2
	v_lshlrev_b32_e32 v6, v6, v9
	v_sub_u32_e32 v4, 29, v4
	v_and_b32_e32 v6, 7, v6
	v_cmp_eq_u16_e32 vcc, 0, v2
	v_cndmask_b32_e32 v3, v3, v6, vcc
	v_cndmask_b32_e32 v2, v2, v4, vcc
	v_lshlrev_b32_e32 v4, 24, v9
	v_mov_b32_e32 v6, 0x3b800000
	v_lshlrev_b32_e32 v3, 20, v3
	v_and_b32_e32 v4, 0x80000000, v4
	v_lshl_add_u32 v2, v2, 23, v6
	v_or3_b32 v2, v4, v2, v3
.LBB2_100:
	s_or_b64 exec, exec, s[6:7]
	s_movk_i32 s4, 0x7f
	v_cmp_gt_i16_sdwa s[6:7], v5, s4 src0_sel:BYTE_0 src1_sel:DWORD
	s_mov_b64 s[4:5], 0
                                        ; implicit-def: $sgpr10
	s_and_saveexec_b64 s[8:9], s[6:7]
	s_xor_b64 s[6:7], exec, s[8:9]
	s_cbranch_execnz .LBB2_2149
; %bb.101:
	s_or_saveexec_b64 s[6:7], s[6:7]
	v_mov_b32_e32 v3, s10
	s_xor_b64 exec, exec, s[6:7]
	s_cbranch_execnz .LBB2_2152
.LBB2_102:
	s_or_b64 exec, exec, s[6:7]
	s_and_saveexec_b64 s[6:7], s[4:5]
	s_cbranch_execz .LBB2_104
.LBB2_103:
	v_mov_b32_e32 v3, 8
	v_and_b32_e32 v4, 7, v5
	v_lshrrev_b32_sdwa v3, v3, v5 dst_sel:BYTE_1 dst_unused:UNUSED_PAD src0_sel:DWORD src1_sel:DWORD
	v_ffbh_u32_e32 v6, v4
	v_or_b32_sdwa v3, v5, v3 dst_sel:DWORD dst_unused:UNUSED_PAD src0_sel:BYTE_0 src1_sel:DWORD
	v_min_u32_e32 v6, 32, v6
	v_lshrrev_b16_e32 v3, 3, v3
	v_subrev_u32_e32 v7, 28, v6
	v_and_b32_e32 v3, 15, v3
	v_lshlrev_b32_e32 v7, v7, v5
	v_sub_u32_e32 v6, 29, v6
	v_and_b32_e32 v7, 7, v7
	v_cmp_eq_u16_e32 vcc, 0, v3
	v_cndmask_b32_e32 v4, v4, v7, vcc
	v_cndmask_b32_e32 v3, v3, v6, vcc
	v_lshlrev_b32_e32 v6, 24, v5
	v_mov_b32_e32 v7, 0x3b800000
	v_lshlrev_b32_e32 v4, 20, v4
	v_and_b32_e32 v6, 0x80000000, v6
	v_lshl_add_u32 v3, v3, 23, v7
	v_or3_b32 v3, v6, v3, v4
.LBB2_104:
	s_or_b64 exec, exec, s[6:7]
	s_nop 0
	v_mfma_f32_16x16x4f32 a[0:3], v2, v3, a[0:3]
	v_lshrrev_b32_e32 v3, 8, v9
	s_movk_i32 s4, 0x7f
	v_cmp_gt_i16_sdwa s[6:7], v3, s4 src0_sel:BYTE_0 src1_sel:DWORD
	s_mov_b64 s[4:5], 0
                                        ; implicit-def: $sgpr10
	s_and_saveexec_b64 s[8:9], s[6:7]
	s_xor_b64 s[6:7], exec, s[8:9]
	s_cbranch_execnz .LBB2_2153
; %bb.105:
	s_or_saveexec_b64 s[6:7], s[6:7]
	v_mov_b32_e32 v2, s10
	s_xor_b64 exec, exec, s[6:7]
	s_cbranch_execnz .LBB2_2156
.LBB2_106:
	s_or_b64 exec, exec, s[6:7]
	s_and_saveexec_b64 s[6:7], s[4:5]
	s_cbranch_execz .LBB2_108
.LBB2_107:
	v_bfe_u32 v2, v9, 8, 3
	v_ffbh_u32_e32 v6, v2
	v_min_u32_e32 v6, 32, v6
	v_lshrrev_b16_e32 v4, 3, v3
	v_subrev_u32_e32 v7, 28, v6
	v_and_b32_e32 v4, 15, v4
	v_lshlrev_b32_e32 v3, v7, v3
	v_sub_u32_e32 v6, 29, v6
	v_and_b32_e32 v3, 7, v3
	v_cmp_eq_u16_e32 vcc, 0, v4
	v_cndmask_b32_e32 v2, v2, v3, vcc
	v_cndmask_b32_e32 v3, v4, v6, vcc
	v_lshlrev_b32_e32 v4, 16, v9
	v_mov_b32_e32 v6, 0x3b800000
	v_lshlrev_b32_e32 v2, 20, v2
	v_and_b32_e32 v4, 0x80000000, v4
	v_lshl_add_u32 v3, v3, 23, v6
	v_or3_b32 v2, v4, v3, v2
.LBB2_108:
	s_or_b64 exec, exec, s[6:7]
	v_lshrrev_b32_e32 v3, 8, v5
	s_movk_i32 s4, 0x7f
	v_cmp_gt_i16_sdwa s[6:7], v3, s4 src0_sel:BYTE_0 src1_sel:DWORD
	s_mov_b64 s[4:5], 0
                                        ; implicit-def: $sgpr10
	s_and_saveexec_b64 s[8:9], s[6:7]
	s_xor_b64 s[6:7], exec, s[8:9]
	s_cbranch_execnz .LBB2_2157
; %bb.109:
	s_or_saveexec_b64 s[6:7], s[6:7]
	v_mov_b32_e32 v4, s10
	s_xor_b64 exec, exec, s[6:7]
	s_cbranch_execnz .LBB2_2160
.LBB2_110:
	s_or_b64 exec, exec, s[6:7]
	s_and_saveexec_b64 s[6:7], s[4:5]
	s_cbranch_execz .LBB2_112
.LBB2_111:
	v_bfe_u32 v4, v5, 8, 3
	v_ffbh_u32_e32 v7, v4
	v_min_u32_e32 v7, 32, v7
	v_lshrrev_b16_e32 v6, 3, v3
	v_subrev_u32_e32 v8, 28, v7
	v_and_b32_e32 v6, 15, v6
	v_lshlrev_b32_e32 v3, v8, v3
	v_sub_u32_e32 v7, 29, v7
	v_and_b32_e32 v3, 7, v3
	v_cmp_eq_u16_e32 vcc, 0, v6
	v_cndmask_b32_e32 v3, v4, v3, vcc
	v_cndmask_b32_e32 v4, v6, v7, vcc
	v_lshlrev_b32_e32 v6, 16, v5
	v_mov_b32_e32 v7, 0x3b800000
	v_lshlrev_b32_e32 v3, 20, v3
	v_and_b32_e32 v6, 0x80000000, v6
	v_lshl_add_u32 v4, v4, 23, v7
	v_or3_b32 v4, v6, v4, v3
.LBB2_112:
	s_or_b64 exec, exec, s[6:7]
	s_nop 0
	v_mfma_f32_16x16x4f32 a[0:3], v2, v4, a[0:3]
	s_movk_i32 s4, 0xff
	v_and_b32_sdwa v3, v9, s4 dst_sel:DWORD dst_unused:UNUSED_PAD src0_sel:WORD_1 src1_sel:DWORD
	s_movk_i32 s4, 0x7f
	v_cmp_lt_i16_e32 vcc, s4, v3
	s_mov_b64 s[4:5], 0
                                        ; implicit-def: $sgpr10
	s_and_saveexec_b64 s[6:7], vcc
	s_xor_b64 s[6:7], exec, s[6:7]
	s_cbranch_execnz .LBB2_2161
; %bb.113:
	s_or_saveexec_b64 s[6:7], s[6:7]
	v_mov_b32_e32 v2, s10
	s_xor_b64 exec, exec, s[6:7]
	s_cbranch_execnz .LBB2_2164
.LBB2_114:
	s_or_b64 exec, exec, s[6:7]
	s_and_saveexec_b64 s[6:7], s[4:5]
	s_cbranch_execz .LBB2_116
.LBB2_115:
	v_bfe_u32 v2, v9, 16, 3
	v_ffbh_u32_e32 v6, v2
	v_min_u32_e32 v6, 32, v6
	v_lshrrev_b32_e32 v3, 19, v9
	v_subrev_u32_e32 v7, 28, v6
	v_and_b32_e32 v3, 15, v3
	v_lshlrev_b32_sdwa v7, v7, v9 dst_sel:DWORD dst_unused:UNUSED_PAD src0_sel:DWORD src1_sel:WORD_1
	v_bfe_u32 v4, v9, 19, 4
	v_sub_u32_e32 v6, 29, v6
	v_and_b32_e32 v7, 7, v7
	v_cmp_eq_u16_e32 vcc, 0, v3
	v_cndmask_b32_e32 v2, v2, v7, vcc
	v_cndmask_b32_e32 v3, v4, v6, vcc
	v_lshlrev_b32_e32 v4, 8, v9
	v_mov_b32_e32 v6, 0x3b800000
	v_lshlrev_b32_e32 v2, 20, v2
	v_and_b32_e32 v4, 0x80000000, v4
	v_lshl_add_u32 v3, v3, 23, v6
	v_or3_b32 v2, v4, v3, v2
.LBB2_116:
	s_or_b64 exec, exec, s[6:7]
	s_movk_i32 s4, 0xff
	v_and_b32_sdwa v3, v5, s4 dst_sel:DWORD dst_unused:UNUSED_PAD src0_sel:WORD_1 src1_sel:DWORD
	s_movk_i32 s4, 0x7f
	v_cmp_lt_i16_e32 vcc, s4, v3
	s_mov_b64 s[4:5], 0
                                        ; implicit-def: $sgpr10
	s_and_saveexec_b64 s[6:7], vcc
	s_xor_b64 s[6:7], exec, s[6:7]
	s_cbranch_execnz .LBB2_2165
; %bb.117:
	s_or_saveexec_b64 s[6:7], s[6:7]
	v_mov_b32_e32 v4, s10
	s_xor_b64 exec, exec, s[6:7]
	s_cbranch_execnz .LBB2_2168
.LBB2_118:
	s_or_b64 exec, exec, s[6:7]
	s_and_saveexec_b64 s[6:7], s[4:5]
	s_cbranch_execz .LBB2_120
.LBB2_119:
	v_bfe_u32 v3, v5, 16, 3
	v_ffbh_u32_e32 v7, v3
	v_min_u32_e32 v7, 32, v7
	v_lshrrev_b32_e32 v4, 19, v5
	v_subrev_u32_e32 v8, 28, v7
	v_and_b32_e32 v4, 15, v4
	v_lshlrev_b32_sdwa v8, v8, v5 dst_sel:DWORD dst_unused:UNUSED_PAD src0_sel:DWORD src1_sel:WORD_1
	v_bfe_u32 v6, v5, 19, 4
	v_sub_u32_e32 v7, 29, v7
	v_and_b32_e32 v8, 7, v8
	v_cmp_eq_u16_e32 vcc, 0, v4
	v_cndmask_b32_e32 v3, v3, v8, vcc
	v_cndmask_b32_e32 v4, v6, v7, vcc
	v_lshlrev_b32_e32 v6, 8, v5
	v_mov_b32_e32 v7, 0x3b800000
	v_lshlrev_b32_e32 v3, 20, v3
	v_and_b32_e32 v6, 0x80000000, v6
	v_lshl_add_u32 v4, v4, 23, v7
	v_or3_b32 v4, v6, v4, v3
.LBB2_120:
	s_or_b64 exec, exec, s[6:7]
	s_nop 0
	v_mfma_f32_16x16x4f32 a[0:3], v2, v4, a[0:3]
	s_movk_i32 s4, 0x7f
	v_cmp_gt_i16_sdwa s[6:7], v9, s4 src0_sel:BYTE_3 src1_sel:DWORD
	s_mov_b64 s[4:5], 0
                                        ; implicit-def: $sgpr10
	s_and_saveexec_b64 s[8:9], s[6:7]
	s_xor_b64 s[6:7], exec, s[8:9]
	s_cbranch_execnz .LBB2_2169
; %bb.121:
	s_or_saveexec_b64 s[6:7], s[6:7]
	v_mov_b32_e32 v2, s10
	s_xor_b64 exec, exec, s[6:7]
	s_cbranch_execnz .LBB2_2172
.LBB2_122:
	s_or_b64 exec, exec, s[6:7]
	s_and_saveexec_b64 s[6:7], s[4:5]
	s_cbranch_execz .LBB2_124
.LBB2_123:
	v_bfe_u32 v2, v9, 24, 3
	v_ffbh_u32_e32 v7, v2
	v_min_u32_e32 v7, 32, v7
	v_lshrrev_b32_e32 v4, 27, v9
	v_subrev_u32_e32 v8, 28, v7
	v_and_b32_e32 v4, 15, v4
	v_lshlrev_b32_sdwa v8, v8, v9 dst_sel:DWORD dst_unused:UNUSED_PAD src0_sel:DWORD src1_sel:BYTE_3
	v_bfe_u32 v6, v9, 27, 4
	v_sub_u32_e32 v7, 29, v7
	v_and_b32_e32 v8, 7, v8
	v_cmp_eq_u16_e32 vcc, 0, v4
	v_cndmask_b32_e32 v2, v2, v8, vcc
	v_cndmask_b32_e32 v4, v6, v7, vcc
	v_mov_b32_e32 v6, 0x3b800000
	v_and_b32_e32 v3, 0x80000000, v9
	v_lshlrev_b32_e32 v2, 20, v2
	v_lshl_add_u32 v4, v4, 23, v6
	v_or3_b32 v2, v3, v4, v2
.LBB2_124:
	s_or_b64 exec, exec, s[6:7]
	s_movk_i32 s4, 0x7f
	v_cmp_gt_i16_sdwa s[6:7], v5, s4 src0_sel:BYTE_3 src1_sel:DWORD
	s_mov_b64 s[4:5], 0
                                        ; implicit-def: $sgpr10
	s_and_saveexec_b64 s[8:9], s[6:7]
	s_xor_b64 s[6:7], exec, s[8:9]
	s_cbranch_execnz .LBB2_2173
; %bb.125:
	s_or_saveexec_b64 s[6:7], s[6:7]
	v_mov_b32_e32 v3, s10
	s_xor_b64 exec, exec, s[6:7]
	s_cbranch_execnz .LBB2_2176
.LBB2_126:
	s_or_b64 exec, exec, s[6:7]
	s_and_saveexec_b64 s[6:7], s[4:5]
	s_cbranch_execz .LBB2_128
.LBB2_127:
	v_bfe_u32 v3, v5, 24, 3
	v_ffbh_u32_e32 v8, v3
	v_min_u32_e32 v8, 32, v8
	v_lshrrev_b32_e32 v6, 27, v5
	v_subrev_u32_e32 v9, 28, v8
	v_and_b32_e32 v4, 0x80000000, v5
	v_and_b32_e32 v6, 15, v6
	v_bfe_u32 v7, v5, 27, 4
	v_lshlrev_b32_sdwa v5, v9, v5 dst_sel:DWORD dst_unused:UNUSED_PAD src0_sel:DWORD src1_sel:BYTE_3
	v_sub_u32_e32 v8, 29, v8
	v_and_b32_e32 v5, 7, v5
	v_cmp_eq_u16_e32 vcc, 0, v6
	v_cndmask_b32_e32 v3, v3, v5, vcc
	v_cndmask_b32_e32 v5, v7, v8, vcc
	v_mov_b32_e32 v6, 0x3b800000
	v_lshlrev_b32_e32 v3, 20, v3
	v_lshl_add_u32 v5, v5, 23, v6
	v_or3_b32 v3, v4, v5, v3
.LBB2_128:
	s_or_b64 exec, exec, s[6:7]
	s_nop 0
	v_mfma_f32_16x16x4f32 a[0:3], v2, v3, a[0:3]
	s_movk_i32 s4, 0x7f
                                        ; implicit-def: $sgpr10
	s_nop 7
	s_nop 1
	flat_store_dwordx4 v[10:11], a[0:3]
	flat_load_dwordx4 v[12:15], v[0:1] offset:8
	s_nop 0
	flat_load_dwordx2 v[10:11], v[0:1] offset:32
	s_waitcnt vmcnt(0) lgkmcnt(0)
	flat_load_dwordx4 v[6:9], v[12:13] offset:16
	flat_load_dwordx4 v[2:5], v[14:15] offset:48
	s_waitcnt vmcnt(0) lgkmcnt(0)
	v_cmp_gt_i16_sdwa s[6:7], v6, s4 src0_sel:BYTE_0 src1_sel:DWORD
	s_mov_b64 s[4:5], 0
	s_and_saveexec_b64 s[8:9], s[6:7]
	s_xor_b64 s[6:7], exec, s[8:9]
	s_cbranch_execnz .LBB2_2177
; %bb.129:
	s_or_saveexec_b64 s[6:7], s[6:7]
	v_mov_b32_e32 v12, s10
	s_xor_b64 exec, exec, s[6:7]
	s_cbranch_execnz .LBB2_2180
.LBB2_130:
	s_or_b64 exec, exec, s[6:7]
	s_and_saveexec_b64 s[6:7], s[4:5]
	s_cbranch_execz .LBB2_132
.LBB2_131:
	v_and_b32_e32 v12, 7, v6
	v_ffbh_u32_e32 v14, v12
	v_min_u32_e32 v14, 32, v14
	v_lshrrev_b16_e32 v13, 3, v6
	v_subrev_u32_e32 v15, 28, v14
	v_and_b32_e32 v13, 15, v13
	v_lshlrev_b32_e32 v15, v15, v6
	v_sub_u32_e32 v14, 29, v14
	v_and_b32_e32 v15, 7, v15
	v_cmp_eq_u16_e32 vcc, 0, v13
	v_cndmask_b32_e32 v12, v12, v15, vcc
	v_cndmask_b32_e32 v13, v13, v14, vcc
	v_lshlrev_b32_e32 v14, 24, v6
	v_mov_b32_e32 v15, 0x3b800000
	v_lshlrev_b32_e32 v12, 20, v12
	v_and_b32_e32 v14, 0x80000000, v14
	v_lshl_add_u32 v13, v13, 23, v15
	v_or3_b32 v12, v14, v13, v12
.LBB2_132:
	s_or_b64 exec, exec, s[6:7]
	s_movk_i32 s4, 0x7f
	v_cmp_gt_i16_sdwa s[6:7], v2, s4 src0_sel:BYTE_0 src1_sel:DWORD
	s_mov_b64 s[4:5], 0
                                        ; implicit-def: $sgpr10
	s_and_saveexec_b64 s[8:9], s[6:7]
	s_xor_b64 s[6:7], exec, s[8:9]
	s_cbranch_execnz .LBB2_2181
; %bb.133:
	s_or_saveexec_b64 s[6:7], s[6:7]
	v_mov_b32_e32 v13, s10
	s_xor_b64 exec, exec, s[6:7]
	s_cbranch_execnz .LBB2_2184
.LBB2_134:
	s_or_b64 exec, exec, s[6:7]
	s_and_saveexec_b64 s[6:7], s[4:5]
	s_cbranch_execz .LBB2_136
.LBB2_135:
	v_and_b32_e32 v13, 7, v2
	v_ffbh_u32_e32 v15, v13
	v_min_u32_e32 v15, 32, v15
	v_lshrrev_b16_e32 v14, 3, v2
	v_subrev_u32_e32 v16, 28, v15
	v_and_b32_e32 v14, 15, v14
	v_lshlrev_b32_e32 v16, v16, v2
	v_sub_u32_e32 v15, 29, v15
	v_and_b32_e32 v16, 7, v16
	v_cmp_eq_u16_e32 vcc, 0, v14
	v_cndmask_b32_e32 v13, v13, v16, vcc
	v_cndmask_b32_e32 v14, v14, v15, vcc
	v_lshlrev_b32_e32 v15, 24, v2
	v_mov_b32_e32 v16, 0x3b800000
	v_lshlrev_b32_e32 v13, 20, v13
	v_and_b32_e32 v15, 0x80000000, v15
	v_lshl_add_u32 v14, v14, 23, v16
	v_or3_b32 v13, v15, v14, v13
.LBB2_136:
	s_or_b64 exec, exec, s[6:7]
	flat_load_dwordx4 a[0:3], v[10:11] offset:16
	s_movk_i32 s4, 0x7f
                                        ; implicit-def: $sgpr10
	s_waitcnt vmcnt(0) lgkmcnt(0)
	v_mfma_f32_16x16x4f32 a[0:3], v12, v13, a[0:3]
	v_lshrrev_b32_e32 v13, 8, v6
	v_cmp_gt_i16_sdwa s[6:7], v13, s4 src0_sel:BYTE_0 src1_sel:DWORD
	s_mov_b64 s[4:5], 0
	s_and_saveexec_b64 s[8:9], s[6:7]
	s_xor_b64 s[6:7], exec, s[8:9]
	s_cbranch_execnz .LBB2_2185
; %bb.137:
	s_or_saveexec_b64 s[6:7], s[6:7]
	v_mov_b32_e32 v12, s10
	s_xor_b64 exec, exec, s[6:7]
	s_cbranch_execnz .LBB2_2188
.LBB2_138:
	s_or_b64 exec, exec, s[6:7]
	s_and_saveexec_b64 s[6:7], s[4:5]
	s_cbranch_execz .LBB2_140
.LBB2_139:
	v_bfe_u32 v12, v6, 8, 3
	v_ffbh_u32_e32 v15, v12
	v_min_u32_e32 v15, 32, v15
	v_lshrrev_b16_e32 v14, 3, v13
	v_subrev_u32_e32 v16, 28, v15
	v_and_b32_e32 v14, 15, v14
	v_lshlrev_b32_e32 v13, v16, v13
	v_sub_u32_e32 v15, 29, v15
	v_and_b32_e32 v13, 7, v13
	v_cmp_eq_u16_e32 vcc, 0, v14
	v_cndmask_b32_e32 v12, v12, v13, vcc
	v_cndmask_b32_e32 v13, v14, v15, vcc
	v_lshlrev_b32_e32 v14, 16, v6
	v_mov_b32_e32 v15, 0x3b800000
	v_lshlrev_b32_e32 v12, 20, v12
	v_and_b32_e32 v14, 0x80000000, v14
	v_lshl_add_u32 v13, v13, 23, v15
	v_or3_b32 v12, v14, v13, v12
.LBB2_140:
	s_or_b64 exec, exec, s[6:7]
	v_lshrrev_b32_e32 v13, 8, v2
	s_movk_i32 s4, 0x7f
	v_cmp_gt_i16_sdwa s[6:7], v13, s4 src0_sel:BYTE_0 src1_sel:DWORD
	s_mov_b64 s[4:5], 0
                                        ; implicit-def: $sgpr10
	s_and_saveexec_b64 s[8:9], s[6:7]
	s_xor_b64 s[6:7], exec, s[8:9]
	s_cbranch_execnz .LBB2_2189
; %bb.141:
	s_or_saveexec_b64 s[6:7], s[6:7]
	v_mov_b32_e32 v14, s10
	s_xor_b64 exec, exec, s[6:7]
	s_cbranch_execnz .LBB2_2192
.LBB2_142:
	s_or_b64 exec, exec, s[6:7]
	s_and_saveexec_b64 s[6:7], s[4:5]
	s_cbranch_execz .LBB2_144
.LBB2_143:
	v_bfe_u32 v14, v2, 8, 3
	v_ffbh_u32_e32 v16, v14
	v_min_u32_e32 v16, 32, v16
	v_lshrrev_b16_e32 v15, 3, v13
	v_subrev_u32_e32 v17, 28, v16
	v_and_b32_e32 v15, 15, v15
	v_lshlrev_b32_e32 v13, v17, v13
	v_sub_u32_e32 v16, 29, v16
	v_and_b32_e32 v13, 7, v13
	v_cmp_eq_u16_e32 vcc, 0, v15
	v_cndmask_b32_e32 v13, v14, v13, vcc
	v_cndmask_b32_e32 v14, v15, v16, vcc
	v_lshlrev_b32_e32 v15, 16, v2
	v_mov_b32_e32 v16, 0x3b800000
	v_lshlrev_b32_e32 v13, 20, v13
	v_and_b32_e32 v15, 0x80000000, v15
	v_lshl_add_u32 v14, v14, 23, v16
	v_or3_b32 v14, v15, v14, v13
.LBB2_144:
	s_or_b64 exec, exec, s[6:7]
	s_nop 0
	v_mfma_f32_16x16x4f32 a[0:3], v12, v14, a[0:3]
	s_movk_i32 s4, 0xff
	v_and_b32_sdwa v13, v6, s4 dst_sel:DWORD dst_unused:UNUSED_PAD src0_sel:WORD_1 src1_sel:DWORD
	s_movk_i32 s4, 0x7f
	v_cmp_lt_i16_e32 vcc, s4, v13
	s_mov_b64 s[4:5], 0
                                        ; implicit-def: $sgpr10
	s_and_saveexec_b64 s[6:7], vcc
	s_xor_b64 s[6:7], exec, s[6:7]
	s_cbranch_execnz .LBB2_2193
; %bb.145:
	s_or_saveexec_b64 s[6:7], s[6:7]
	v_mov_b32_e32 v12, s10
	s_xor_b64 exec, exec, s[6:7]
	s_cbranch_execnz .LBB2_2196
.LBB2_146:
	s_or_b64 exec, exec, s[6:7]
	s_and_saveexec_b64 s[6:7], s[4:5]
	s_cbranch_execz .LBB2_148
.LBB2_147:
	v_bfe_u32 v12, v6, 16, 3
	v_ffbh_u32_e32 v15, v12
	v_min_u32_e32 v15, 32, v15
	v_lshrrev_b32_e32 v13, 19, v6
	v_subrev_u32_e32 v16, 28, v15
	v_and_b32_e32 v13, 15, v13
	v_lshlrev_b32_sdwa v16, v16, v6 dst_sel:DWORD dst_unused:UNUSED_PAD src0_sel:DWORD src1_sel:WORD_1
	v_bfe_u32 v14, v6, 19, 4
	v_sub_u32_e32 v15, 29, v15
	v_and_b32_e32 v16, 7, v16
	v_cmp_eq_u16_e32 vcc, 0, v13
	v_cndmask_b32_e32 v12, v12, v16, vcc
	v_cndmask_b32_e32 v13, v14, v15, vcc
	v_lshlrev_b32_e32 v14, 8, v6
	v_mov_b32_e32 v15, 0x3b800000
	v_lshlrev_b32_e32 v12, 20, v12
	v_and_b32_e32 v14, 0x80000000, v14
	v_lshl_add_u32 v13, v13, 23, v15
	v_or3_b32 v12, v14, v13, v12
.LBB2_148:
	s_or_b64 exec, exec, s[6:7]
	s_movk_i32 s4, 0xff
	v_and_b32_sdwa v13, v2, s4 dst_sel:DWORD dst_unused:UNUSED_PAD src0_sel:WORD_1 src1_sel:DWORD
	s_movk_i32 s4, 0x7f
	v_cmp_lt_i16_e32 vcc, s4, v13
	s_mov_b64 s[4:5], 0
                                        ; implicit-def: $sgpr10
	s_and_saveexec_b64 s[6:7], vcc
	s_xor_b64 s[6:7], exec, s[6:7]
	s_cbranch_execnz .LBB2_2197
; %bb.149:
	s_or_saveexec_b64 s[6:7], s[6:7]
	v_mov_b32_e32 v14, s10
	s_xor_b64 exec, exec, s[6:7]
	s_cbranch_execnz .LBB2_2200
.LBB2_150:
	s_or_b64 exec, exec, s[6:7]
	s_and_saveexec_b64 s[6:7], s[4:5]
	s_cbranch_execz .LBB2_152
.LBB2_151:
	v_bfe_u32 v13, v2, 16, 3
	v_ffbh_u32_e32 v16, v13
	v_min_u32_e32 v16, 32, v16
	v_lshrrev_b32_e32 v14, 19, v2
	v_subrev_u32_e32 v17, 28, v16
	v_and_b32_e32 v14, 15, v14
	v_lshlrev_b32_sdwa v17, v17, v2 dst_sel:DWORD dst_unused:UNUSED_PAD src0_sel:DWORD src1_sel:WORD_1
	v_bfe_u32 v15, v2, 19, 4
	v_sub_u32_e32 v16, 29, v16
	v_and_b32_e32 v17, 7, v17
	v_cmp_eq_u16_e32 vcc, 0, v14
	v_cndmask_b32_e32 v13, v13, v17, vcc
	v_cndmask_b32_e32 v14, v15, v16, vcc
	v_lshlrev_b32_e32 v15, 8, v2
	v_mov_b32_e32 v16, 0x3b800000
	v_lshlrev_b32_e32 v13, 20, v13
	v_and_b32_e32 v15, 0x80000000, v15
	v_lshl_add_u32 v14, v14, 23, v16
	v_or3_b32 v14, v15, v14, v13
.LBB2_152:
	s_or_b64 exec, exec, s[6:7]
	s_nop 0
	v_mfma_f32_16x16x4f32 a[0:3], v12, v14, a[0:3]
	s_movk_i32 s4, 0x7f
	v_cmp_gt_i16_sdwa s[6:7], v6, s4 src0_sel:BYTE_3 src1_sel:DWORD
	s_mov_b64 s[4:5], 0
                                        ; implicit-def: $sgpr10
	s_and_saveexec_b64 s[8:9], s[6:7]
	s_xor_b64 s[6:7], exec, s[8:9]
	s_cbranch_execnz .LBB2_2201
; %bb.153:
	s_or_saveexec_b64 s[6:7], s[6:7]
	v_mov_b32_e32 v12, s10
	s_xor_b64 exec, exec, s[6:7]
	s_cbranch_execnz .LBB2_2204
.LBB2_154:
	s_or_b64 exec, exec, s[6:7]
	s_and_saveexec_b64 s[6:7], s[4:5]
	s_cbranch_execz .LBB2_156
.LBB2_155:
	v_bfe_u32 v12, v6, 24, 3
	v_ffbh_u32_e32 v16, v12
	v_min_u32_e32 v16, 32, v16
	v_lshrrev_b32_e32 v14, 27, v6
	v_subrev_u32_e32 v17, 28, v16
	v_and_b32_e32 v13, 0x80000000, v6
	v_and_b32_e32 v14, 15, v14
	v_bfe_u32 v15, v6, 27, 4
	v_lshlrev_b32_sdwa v6, v17, v6 dst_sel:DWORD dst_unused:UNUSED_PAD src0_sel:DWORD src1_sel:BYTE_3
	v_sub_u32_e32 v16, 29, v16
	v_and_b32_e32 v6, 7, v6
	v_cmp_eq_u16_e32 vcc, 0, v14
	v_cndmask_b32_e32 v6, v12, v6, vcc
	v_cndmask_b32_e32 v12, v15, v16, vcc
	v_mov_b32_e32 v14, 0x3b800000
	v_lshlrev_b32_e32 v6, 20, v6
	v_lshl_add_u32 v12, v12, 23, v14
	v_or3_b32 v12, v13, v12, v6
.LBB2_156:
	s_or_b64 exec, exec, s[6:7]
	s_movk_i32 s4, 0x7f
	v_cmp_gt_i16_sdwa s[6:7], v2, s4 src0_sel:BYTE_3 src1_sel:DWORD
	s_mov_b64 s[4:5], 0
                                        ; implicit-def: $sgpr10
	s_and_saveexec_b64 s[8:9], s[6:7]
	s_xor_b64 s[6:7], exec, s[8:9]
	s_cbranch_execnz .LBB2_2205
; %bb.157:
	s_or_saveexec_b64 s[6:7], s[6:7]
	v_mov_b32_e32 v6, s10
	s_xor_b64 exec, exec, s[6:7]
	s_cbranch_execnz .LBB2_2208
.LBB2_158:
	s_or_b64 exec, exec, s[6:7]
	s_and_saveexec_b64 s[6:7], s[4:5]
	s_cbranch_execz .LBB2_160
.LBB2_159:
	v_bfe_u32 v6, v2, 24, 3
	v_ffbh_u32_e32 v16, v6
	v_min_u32_e32 v16, 32, v16
	v_lshrrev_b32_e32 v14, 27, v2
	v_subrev_u32_e32 v17, 28, v16
	v_and_b32_e32 v13, 0x80000000, v2
	v_and_b32_e32 v14, 15, v14
	v_bfe_u32 v15, v2, 27, 4
	v_lshlrev_b32_sdwa v2, v17, v2 dst_sel:DWORD dst_unused:UNUSED_PAD src0_sel:DWORD src1_sel:BYTE_3
	v_sub_u32_e32 v16, 29, v16
	v_and_b32_e32 v2, 7, v2
	v_cmp_eq_u16_e32 vcc, 0, v14
	v_cndmask_b32_e32 v2, v6, v2, vcc
	v_cndmask_b32_e32 v6, v15, v16, vcc
	v_mov_b32_e32 v14, 0x3b800000
	v_lshlrev_b32_e32 v2, 20, v2
	v_lshl_add_u32 v6, v6, 23, v14
	v_or3_b32 v6, v13, v6, v2
.LBB2_160:
	s_or_b64 exec, exec, s[6:7]
	s_nop 0
	v_mfma_f32_16x16x4f32 a[0:3], v12, v6, a[0:3]
	s_movk_i32 s4, 0x7f
	v_cmp_gt_i16_sdwa s[6:7], v7, s4 src0_sel:BYTE_0 src1_sel:DWORD
	s_mov_b64 s[4:5], 0
                                        ; implicit-def: $sgpr10
	s_and_saveexec_b64 s[8:9], s[6:7]
	s_xor_b64 s[6:7], exec, s[8:9]
	s_cbranch_execnz .LBB2_2209
; %bb.161:
	s_or_saveexec_b64 s[6:7], s[6:7]
	v_mov_b32_e32 v2, s10
	s_xor_b64 exec, exec, s[6:7]
	s_cbranch_execnz .LBB2_2212
.LBB2_162:
	s_or_b64 exec, exec, s[6:7]
	s_and_saveexec_b64 s[6:7], s[4:5]
	s_cbranch_execz .LBB2_164
.LBB2_163:
	v_and_b32_e32 v2, 7, v7
	v_ffbh_u32_e32 v12, v2
	v_min_u32_e32 v12, 32, v12
	v_lshrrev_b16_e32 v6, 3, v7
	v_subrev_u32_e32 v13, 28, v12
	v_and_b32_e32 v6, 15, v6
	v_lshlrev_b32_e32 v13, v13, v7
	v_sub_u32_e32 v12, 29, v12
	v_and_b32_e32 v13, 7, v13
	v_cmp_eq_u16_e32 vcc, 0, v6
	v_cndmask_b32_e32 v2, v2, v13, vcc
	v_cndmask_b32_e32 v6, v6, v12, vcc
	v_lshlrev_b32_e32 v12, 24, v7
	v_mov_b32_e32 v13, 0x3b800000
	v_lshlrev_b32_e32 v2, 20, v2
	v_and_b32_e32 v12, 0x80000000, v12
	v_lshl_add_u32 v6, v6, 23, v13
	v_or3_b32 v2, v12, v6, v2
.LBB2_164:
	s_or_b64 exec, exec, s[6:7]
	s_movk_i32 s4, 0x7f
	v_cmp_gt_i16_sdwa s[6:7], v3, s4 src0_sel:BYTE_0 src1_sel:DWORD
	s_mov_b64 s[4:5], 0
                                        ; implicit-def: $sgpr10
	s_and_saveexec_b64 s[8:9], s[6:7]
	s_xor_b64 s[6:7], exec, s[8:9]
	s_cbranch_execnz .LBB2_2213
; %bb.165:
	s_or_saveexec_b64 s[6:7], s[6:7]
	v_mov_b32_e32 v6, s10
	s_xor_b64 exec, exec, s[6:7]
	s_cbranch_execnz .LBB2_2216
.LBB2_166:
	s_or_b64 exec, exec, s[6:7]
	s_and_saveexec_b64 s[6:7], s[4:5]
	s_cbranch_execz .LBB2_168
.LBB2_167:
	v_and_b32_e32 v6, 7, v3
	v_ffbh_u32_e32 v13, v6
	v_min_u32_e32 v13, 32, v13
	v_lshrrev_b16_e32 v12, 3, v3
	v_subrev_u32_e32 v14, 28, v13
	v_and_b32_e32 v12, 15, v12
	v_lshlrev_b32_e32 v14, v14, v3
	v_sub_u32_e32 v13, 29, v13
	v_and_b32_e32 v14, 7, v14
	v_cmp_eq_u16_e32 vcc, 0, v12
	v_cndmask_b32_e32 v6, v6, v14, vcc
	v_cndmask_b32_e32 v12, v12, v13, vcc
	v_lshlrev_b32_e32 v13, 24, v3
	v_mov_b32_e32 v14, 0x3b800000
	v_lshlrev_b32_e32 v6, 20, v6
	v_and_b32_e32 v13, 0x80000000, v13
	v_lshl_add_u32 v12, v12, 23, v14
	v_or3_b32 v6, v13, v12, v6
.LBB2_168:
	s_or_b64 exec, exec, s[6:7]
	s_nop 0
	v_mfma_f32_16x16x4f32 a[0:3], v2, v6, a[0:3]
	v_lshrrev_b32_e32 v6, 8, v7
	s_movk_i32 s4, 0x7f
	v_cmp_gt_i16_sdwa s[6:7], v6, s4 src0_sel:BYTE_0 src1_sel:DWORD
	s_mov_b64 s[4:5], 0
                                        ; implicit-def: $sgpr10
	s_and_saveexec_b64 s[8:9], s[6:7]
	s_xor_b64 s[6:7], exec, s[8:9]
	s_cbranch_execnz .LBB2_2217
; %bb.169:
	s_or_saveexec_b64 s[6:7], s[6:7]
	v_mov_b32_e32 v2, s10
	s_xor_b64 exec, exec, s[6:7]
	s_cbranch_execnz .LBB2_2220
.LBB2_170:
	s_or_b64 exec, exec, s[6:7]
	s_and_saveexec_b64 s[6:7], s[4:5]
	s_cbranch_execz .LBB2_172
.LBB2_171:
	v_bfe_u32 v2, v7, 8, 3
	v_ffbh_u32_e32 v13, v2
	v_min_u32_e32 v13, 32, v13
	v_lshrrev_b16_e32 v12, 3, v6
	v_subrev_u32_e32 v14, 28, v13
	v_and_b32_e32 v12, 15, v12
	v_lshlrev_b32_e32 v6, v14, v6
	v_sub_u32_e32 v13, 29, v13
	v_and_b32_e32 v6, 7, v6
	v_cmp_eq_u16_e32 vcc, 0, v12
	v_cndmask_b32_e32 v2, v2, v6, vcc
	v_cndmask_b32_e32 v6, v12, v13, vcc
	v_lshlrev_b32_e32 v12, 16, v7
	v_mov_b32_e32 v13, 0x3b800000
	v_lshlrev_b32_e32 v2, 20, v2
	v_and_b32_e32 v12, 0x80000000, v12
	v_lshl_add_u32 v6, v6, 23, v13
	v_or3_b32 v2, v12, v6, v2
.LBB2_172:
	s_or_b64 exec, exec, s[6:7]
	v_lshrrev_b32_e32 v6, 8, v3
	s_movk_i32 s4, 0x7f
	v_cmp_gt_i16_sdwa s[6:7], v6, s4 src0_sel:BYTE_0 src1_sel:DWORD
	s_mov_b64 s[4:5], 0
                                        ; implicit-def: $sgpr10
	s_and_saveexec_b64 s[8:9], s[6:7]
	s_xor_b64 s[6:7], exec, s[8:9]
	s_cbranch_execnz .LBB2_2221
; %bb.173:
	s_or_saveexec_b64 s[6:7], s[6:7]
	v_mov_b32_e32 v12, s10
	s_xor_b64 exec, exec, s[6:7]
	s_cbranch_execnz .LBB2_2224
.LBB2_174:
	s_or_b64 exec, exec, s[6:7]
	s_and_saveexec_b64 s[6:7], s[4:5]
	s_cbranch_execz .LBB2_176
.LBB2_175:
	v_bfe_u32 v12, v3, 8, 3
	v_ffbh_u32_e32 v14, v12
	v_min_u32_e32 v14, 32, v14
	v_lshrrev_b16_e32 v13, 3, v6
	v_subrev_u32_e32 v15, 28, v14
	v_and_b32_e32 v13, 15, v13
	v_lshlrev_b32_e32 v6, v15, v6
	v_sub_u32_e32 v14, 29, v14
	v_and_b32_e32 v6, 7, v6
	v_cmp_eq_u16_e32 vcc, 0, v13
	v_cndmask_b32_e32 v6, v12, v6, vcc
	v_cndmask_b32_e32 v12, v13, v14, vcc
	v_lshlrev_b32_e32 v13, 16, v3
	v_mov_b32_e32 v14, 0x3b800000
	v_lshlrev_b32_e32 v6, 20, v6
	v_and_b32_e32 v13, 0x80000000, v13
	v_lshl_add_u32 v12, v12, 23, v14
	v_or3_b32 v12, v13, v12, v6
.LBB2_176:
	s_or_b64 exec, exec, s[6:7]
	s_nop 0
	v_mfma_f32_16x16x4f32 a[0:3], v2, v12, a[0:3]
	s_movk_i32 s4, 0xff
	v_and_b32_sdwa v6, v7, s4 dst_sel:DWORD dst_unused:UNUSED_PAD src0_sel:WORD_1 src1_sel:DWORD
	s_movk_i32 s4, 0x7f
	v_cmp_lt_i16_e32 vcc, s4, v6
	s_mov_b64 s[4:5], 0
                                        ; implicit-def: $sgpr10
	s_and_saveexec_b64 s[6:7], vcc
	s_xor_b64 s[6:7], exec, s[6:7]
	s_cbranch_execnz .LBB2_2225
; %bb.177:
	s_or_saveexec_b64 s[6:7], s[6:7]
	v_mov_b32_e32 v2, s10
	s_xor_b64 exec, exec, s[6:7]
	s_cbranch_execnz .LBB2_2228
.LBB2_178:
	s_or_b64 exec, exec, s[6:7]
	s_and_saveexec_b64 s[6:7], s[4:5]
	s_cbranch_execz .LBB2_180
.LBB2_179:
	v_bfe_u32 v2, v7, 16, 3
	v_ffbh_u32_e32 v13, v2
	v_min_u32_e32 v13, 32, v13
	v_lshrrev_b32_e32 v6, 19, v7
	v_subrev_u32_e32 v14, 28, v13
	v_and_b32_e32 v6, 15, v6
	v_lshlrev_b32_sdwa v14, v14, v7 dst_sel:DWORD dst_unused:UNUSED_PAD src0_sel:DWORD src1_sel:WORD_1
	v_bfe_u32 v12, v7, 19, 4
	v_sub_u32_e32 v13, 29, v13
	v_and_b32_e32 v14, 7, v14
	v_cmp_eq_u16_e32 vcc, 0, v6
	v_cndmask_b32_e32 v2, v2, v14, vcc
	v_cndmask_b32_e32 v6, v12, v13, vcc
	v_lshlrev_b32_e32 v12, 8, v7
	v_mov_b32_e32 v13, 0x3b800000
	v_lshlrev_b32_e32 v2, 20, v2
	v_and_b32_e32 v12, 0x80000000, v12
	v_lshl_add_u32 v6, v6, 23, v13
	v_or3_b32 v2, v12, v6, v2
.LBB2_180:
	s_or_b64 exec, exec, s[6:7]
	s_movk_i32 s4, 0xff
	v_and_b32_sdwa v6, v3, s4 dst_sel:DWORD dst_unused:UNUSED_PAD src0_sel:WORD_1 src1_sel:DWORD
	s_movk_i32 s4, 0x7f
	v_cmp_lt_i16_e32 vcc, s4, v6
	s_mov_b64 s[4:5], 0
                                        ; implicit-def: $sgpr10
	s_and_saveexec_b64 s[6:7], vcc
	s_xor_b64 s[6:7], exec, s[6:7]
	s_cbranch_execnz .LBB2_2229
; %bb.181:
	s_or_saveexec_b64 s[6:7], s[6:7]
	v_mov_b32_e32 v12, s10
	s_xor_b64 exec, exec, s[6:7]
	s_cbranch_execnz .LBB2_2232
.LBB2_182:
	s_or_b64 exec, exec, s[6:7]
	s_and_saveexec_b64 s[6:7], s[4:5]
	s_cbranch_execz .LBB2_184
.LBB2_183:
	v_bfe_u32 v6, v3, 16, 3
	v_ffbh_u32_e32 v14, v6
	v_min_u32_e32 v14, 32, v14
	v_lshrrev_b32_e32 v12, 19, v3
	v_subrev_u32_e32 v15, 28, v14
	v_and_b32_e32 v12, 15, v12
	v_lshlrev_b32_sdwa v15, v15, v3 dst_sel:DWORD dst_unused:UNUSED_PAD src0_sel:DWORD src1_sel:WORD_1
	v_bfe_u32 v13, v3, 19, 4
	v_sub_u32_e32 v14, 29, v14
	v_and_b32_e32 v15, 7, v15
	v_cmp_eq_u16_e32 vcc, 0, v12
	v_cndmask_b32_e32 v6, v6, v15, vcc
	v_cndmask_b32_e32 v12, v13, v14, vcc
	v_lshlrev_b32_e32 v13, 8, v3
	v_mov_b32_e32 v14, 0x3b800000
	v_lshlrev_b32_e32 v6, 20, v6
	v_and_b32_e32 v13, 0x80000000, v13
	v_lshl_add_u32 v12, v12, 23, v14
	v_or3_b32 v12, v13, v12, v6
.LBB2_184:
	s_or_b64 exec, exec, s[6:7]
	s_nop 0
	v_mfma_f32_16x16x4f32 a[0:3], v2, v12, a[0:3]
	s_movk_i32 s4, 0x7f
	v_cmp_gt_i16_sdwa s[6:7], v7, s4 src0_sel:BYTE_3 src1_sel:DWORD
	s_mov_b64 s[4:5], 0
                                        ; implicit-def: $sgpr10
	s_and_saveexec_b64 s[8:9], s[6:7]
	s_xor_b64 s[6:7], exec, s[8:9]
	s_cbranch_execnz .LBB2_2233
; %bb.185:
	s_or_saveexec_b64 s[6:7], s[6:7]
	v_mov_b32_e32 v2, s10
	s_xor_b64 exec, exec, s[6:7]
	s_cbranch_execnz .LBB2_2236
.LBB2_186:
	s_or_b64 exec, exec, s[6:7]
	s_and_saveexec_b64 s[6:7], s[4:5]
	s_cbranch_execz .LBB2_188
.LBB2_187:
	v_bfe_u32 v2, v7, 24, 3
	v_ffbh_u32_e32 v14, v2
	v_min_u32_e32 v14, 32, v14
	v_lshrrev_b32_e32 v12, 27, v7
	v_subrev_u32_e32 v15, 28, v14
	v_and_b32_e32 v6, 0x80000000, v7
	v_and_b32_e32 v12, 15, v12
	v_bfe_u32 v13, v7, 27, 4
	v_lshlrev_b32_sdwa v7, v15, v7 dst_sel:DWORD dst_unused:UNUSED_PAD src0_sel:DWORD src1_sel:BYTE_3
	v_sub_u32_e32 v14, 29, v14
	v_and_b32_e32 v7, 7, v7
	v_cmp_eq_u16_e32 vcc, 0, v12
	v_cndmask_b32_e32 v2, v2, v7, vcc
	v_cndmask_b32_e32 v7, v13, v14, vcc
	v_mov_b32_e32 v12, 0x3b800000
	v_lshlrev_b32_e32 v2, 20, v2
	v_lshl_add_u32 v7, v7, 23, v12
	v_or3_b32 v2, v6, v7, v2
.LBB2_188:
	s_or_b64 exec, exec, s[6:7]
	s_movk_i32 s4, 0x7f
	v_cmp_gt_i16_sdwa s[6:7], v3, s4 src0_sel:BYTE_3 src1_sel:DWORD
	s_mov_b64 s[4:5], 0
                                        ; implicit-def: $sgpr10
	s_and_saveexec_b64 s[8:9], s[6:7]
	s_xor_b64 s[6:7], exec, s[8:9]
	s_cbranch_execnz .LBB2_2237
; %bb.189:
	s_or_saveexec_b64 s[6:7], s[6:7]
	v_mov_b32_e32 v6, s10
	s_xor_b64 exec, exec, s[6:7]
	s_cbranch_execnz .LBB2_2240
.LBB2_190:
	s_or_b64 exec, exec, s[6:7]
	s_and_saveexec_b64 s[6:7], s[4:5]
	s_cbranch_execz .LBB2_192
.LBB2_191:
	v_bfe_u32 v6, v3, 24, 3
	v_ffbh_u32_e32 v14, v6
	v_min_u32_e32 v14, 32, v14
	v_lshrrev_b32_e32 v12, 27, v3
	v_subrev_u32_e32 v15, 28, v14
	v_and_b32_e32 v7, 0x80000000, v3
	v_and_b32_e32 v12, 15, v12
	v_bfe_u32 v13, v3, 27, 4
	v_lshlrev_b32_sdwa v3, v15, v3 dst_sel:DWORD dst_unused:UNUSED_PAD src0_sel:DWORD src1_sel:BYTE_3
	v_sub_u32_e32 v14, 29, v14
	v_and_b32_e32 v3, 7, v3
	v_cmp_eq_u16_e32 vcc, 0, v12
	v_cndmask_b32_e32 v3, v6, v3, vcc
	v_cndmask_b32_e32 v6, v13, v14, vcc
	v_mov_b32_e32 v12, 0x3b800000
	v_lshlrev_b32_e32 v3, 20, v3
	v_lshl_add_u32 v6, v6, 23, v12
	v_or3_b32 v6, v7, v6, v3
.LBB2_192:
	s_or_b64 exec, exec, s[6:7]
	s_nop 0
	v_mfma_f32_16x16x4f32 a[0:3], v2, v6, a[0:3]
	s_movk_i32 s4, 0x7f
	v_cmp_gt_i16_sdwa s[6:7], v8, s4 src0_sel:BYTE_0 src1_sel:DWORD
	s_mov_b64 s[4:5], 0
                                        ; implicit-def: $sgpr10
	s_and_saveexec_b64 s[8:9], s[6:7]
	s_xor_b64 s[6:7], exec, s[8:9]
	s_cbranch_execnz .LBB2_2241
; %bb.193:
	s_or_saveexec_b64 s[6:7], s[6:7]
	v_mov_b32_e32 v2, s10
	s_xor_b64 exec, exec, s[6:7]
	s_cbranch_execnz .LBB2_2244
.LBB2_194:
	s_or_b64 exec, exec, s[6:7]
	s_and_saveexec_b64 s[6:7], s[4:5]
	s_cbranch_execz .LBB2_196
.LBB2_195:
	v_and_b32_e32 v2, 7, v8
	v_ffbh_u32_e32 v6, v2
	v_min_u32_e32 v6, 32, v6
	v_lshrrev_b16_e32 v3, 3, v8
	v_subrev_u32_e32 v7, 28, v6
	v_and_b32_e32 v3, 15, v3
	v_lshlrev_b32_e32 v7, v7, v8
	v_sub_u32_e32 v6, 29, v6
	v_and_b32_e32 v7, 7, v7
	v_cmp_eq_u16_e32 vcc, 0, v3
	v_cndmask_b32_e32 v2, v2, v7, vcc
	v_cndmask_b32_e32 v3, v3, v6, vcc
	v_lshlrev_b32_e32 v6, 24, v8
	v_mov_b32_e32 v7, 0x3b800000
	v_lshlrev_b32_e32 v2, 20, v2
	v_and_b32_e32 v6, 0x80000000, v6
	v_lshl_add_u32 v3, v3, 23, v7
	v_or3_b32 v2, v6, v3, v2
.LBB2_196:
	s_or_b64 exec, exec, s[6:7]
	s_movk_i32 s4, 0x7f
	v_cmp_gt_i16_sdwa s[6:7], v4, s4 src0_sel:BYTE_0 src1_sel:DWORD
	s_mov_b64 s[4:5], 0
                                        ; implicit-def: $sgpr10
	s_and_saveexec_b64 s[8:9], s[6:7]
	s_xor_b64 s[6:7], exec, s[8:9]
	s_cbranch_execnz .LBB2_2245
; %bb.197:
	s_or_saveexec_b64 s[6:7], s[6:7]
	v_mov_b32_e32 v3, s10
	s_xor_b64 exec, exec, s[6:7]
	s_cbranch_execnz .LBB2_2248
.LBB2_198:
	s_or_b64 exec, exec, s[6:7]
	s_and_saveexec_b64 s[6:7], s[4:5]
	s_cbranch_execz .LBB2_200
.LBB2_199:
	v_and_b32_e32 v3, 7, v4
	v_ffbh_u32_e32 v7, v3
	v_min_u32_e32 v7, 32, v7
	v_lshrrev_b16_e32 v6, 3, v4
	v_subrev_u32_e32 v12, 28, v7
	v_and_b32_e32 v6, 15, v6
	v_lshlrev_b32_e32 v12, v12, v4
	v_sub_u32_e32 v7, 29, v7
	v_and_b32_e32 v12, 7, v12
	v_cmp_eq_u16_e32 vcc, 0, v6
	v_cndmask_b32_e32 v3, v3, v12, vcc
	v_cndmask_b32_e32 v6, v6, v7, vcc
	v_lshlrev_b32_e32 v7, 24, v4
	v_mov_b32_e32 v12, 0x3b800000
	v_lshlrev_b32_e32 v3, 20, v3
	v_and_b32_e32 v7, 0x80000000, v7
	v_lshl_add_u32 v6, v6, 23, v12
	v_or3_b32 v3, v7, v6, v3
.LBB2_200:
	s_or_b64 exec, exec, s[6:7]
	s_nop 0
	v_mfma_f32_16x16x4f32 a[0:3], v2, v3, a[0:3]
	v_lshrrev_b32_e32 v3, 8, v8
	s_movk_i32 s4, 0x7f
	v_cmp_gt_i16_sdwa s[6:7], v3, s4 src0_sel:BYTE_0 src1_sel:DWORD
	s_mov_b64 s[4:5], 0
                                        ; implicit-def: $sgpr10
	s_and_saveexec_b64 s[8:9], s[6:7]
	s_xor_b64 s[6:7], exec, s[8:9]
	s_cbranch_execnz .LBB2_2249
; %bb.201:
	s_or_saveexec_b64 s[6:7], s[6:7]
	v_mov_b32_e32 v2, s10
	s_xor_b64 exec, exec, s[6:7]
	s_cbranch_execnz .LBB2_2252
.LBB2_202:
	s_or_b64 exec, exec, s[6:7]
	s_and_saveexec_b64 s[6:7], s[4:5]
	s_cbranch_execz .LBB2_204
.LBB2_203:
	v_bfe_u32 v2, v8, 8, 3
	v_ffbh_u32_e32 v7, v2
	v_min_u32_e32 v7, 32, v7
	v_lshrrev_b16_e32 v6, 3, v3
	v_subrev_u32_e32 v12, 28, v7
	v_and_b32_e32 v6, 15, v6
	v_lshlrev_b32_e32 v3, v12, v3
	v_sub_u32_e32 v7, 29, v7
	v_and_b32_e32 v3, 7, v3
	v_cmp_eq_u16_e32 vcc, 0, v6
	v_cndmask_b32_e32 v2, v2, v3, vcc
	v_cndmask_b32_e32 v3, v6, v7, vcc
	v_lshlrev_b32_e32 v6, 16, v8
	v_mov_b32_e32 v7, 0x3b800000
	v_lshlrev_b32_e32 v2, 20, v2
	v_and_b32_e32 v6, 0x80000000, v6
	v_lshl_add_u32 v3, v3, 23, v7
	v_or3_b32 v2, v6, v3, v2
.LBB2_204:
	s_or_b64 exec, exec, s[6:7]
	v_lshrrev_b32_e32 v3, 8, v4
	s_movk_i32 s4, 0x7f
	v_cmp_gt_i16_sdwa s[6:7], v3, s4 src0_sel:BYTE_0 src1_sel:DWORD
	s_mov_b64 s[4:5], 0
                                        ; implicit-def: $sgpr10
	s_and_saveexec_b64 s[8:9], s[6:7]
	s_xor_b64 s[6:7], exec, s[8:9]
	s_cbranch_execnz .LBB2_2253
; %bb.205:
	s_or_saveexec_b64 s[6:7], s[6:7]
	v_mov_b32_e32 v6, s10
	s_xor_b64 exec, exec, s[6:7]
	s_cbranch_execnz .LBB2_2256
.LBB2_206:
	s_or_b64 exec, exec, s[6:7]
	s_and_saveexec_b64 s[6:7], s[4:5]
	s_cbranch_execz .LBB2_208
.LBB2_207:
	v_bfe_u32 v6, v4, 8, 3
	v_ffbh_u32_e32 v12, v6
	v_min_u32_e32 v12, 32, v12
	v_lshrrev_b16_e32 v7, 3, v3
	v_subrev_u32_e32 v13, 28, v12
	v_and_b32_e32 v7, 15, v7
	v_lshlrev_b32_e32 v3, v13, v3
	v_sub_u32_e32 v12, 29, v12
	v_and_b32_e32 v3, 7, v3
	v_cmp_eq_u16_e32 vcc, 0, v7
	v_cndmask_b32_e32 v3, v6, v3, vcc
	v_cndmask_b32_e32 v6, v7, v12, vcc
	v_lshlrev_b32_e32 v7, 16, v4
	v_mov_b32_e32 v12, 0x3b800000
	v_lshlrev_b32_e32 v3, 20, v3
	v_and_b32_e32 v7, 0x80000000, v7
	v_lshl_add_u32 v6, v6, 23, v12
	v_or3_b32 v6, v7, v6, v3
.LBB2_208:
	s_or_b64 exec, exec, s[6:7]
	s_nop 0
	v_mfma_f32_16x16x4f32 a[0:3], v2, v6, a[0:3]
	s_movk_i32 s4, 0xff
	v_and_b32_sdwa v3, v8, s4 dst_sel:DWORD dst_unused:UNUSED_PAD src0_sel:WORD_1 src1_sel:DWORD
	s_movk_i32 s4, 0x7f
	v_cmp_lt_i16_e32 vcc, s4, v3
	s_mov_b64 s[4:5], 0
                                        ; implicit-def: $sgpr10
	s_and_saveexec_b64 s[6:7], vcc
	s_xor_b64 s[6:7], exec, s[6:7]
	s_cbranch_execnz .LBB2_2257
; %bb.209:
	s_or_saveexec_b64 s[6:7], s[6:7]
	v_mov_b32_e32 v2, s10
	s_xor_b64 exec, exec, s[6:7]
	s_cbranch_execnz .LBB2_2260
.LBB2_210:
	s_or_b64 exec, exec, s[6:7]
	s_and_saveexec_b64 s[6:7], s[4:5]
	s_cbranch_execz .LBB2_212
.LBB2_211:
	v_bfe_u32 v2, v8, 16, 3
	v_ffbh_u32_e32 v7, v2
	v_min_u32_e32 v7, 32, v7
	v_lshrrev_b32_e32 v3, 19, v8
	v_subrev_u32_e32 v12, 28, v7
	v_and_b32_e32 v3, 15, v3
	v_lshlrev_b32_sdwa v12, v12, v8 dst_sel:DWORD dst_unused:UNUSED_PAD src0_sel:DWORD src1_sel:WORD_1
	v_bfe_u32 v6, v8, 19, 4
	v_sub_u32_e32 v7, 29, v7
	v_and_b32_e32 v12, 7, v12
	v_cmp_eq_u16_e32 vcc, 0, v3
	v_cndmask_b32_e32 v2, v2, v12, vcc
	v_cndmask_b32_e32 v3, v6, v7, vcc
	v_lshlrev_b32_e32 v6, 8, v8
	v_mov_b32_e32 v7, 0x3b800000
	v_lshlrev_b32_e32 v2, 20, v2
	v_and_b32_e32 v6, 0x80000000, v6
	v_lshl_add_u32 v3, v3, 23, v7
	v_or3_b32 v2, v6, v3, v2
.LBB2_212:
	s_or_b64 exec, exec, s[6:7]
	s_movk_i32 s4, 0xff
	v_and_b32_sdwa v3, v4, s4 dst_sel:DWORD dst_unused:UNUSED_PAD src0_sel:WORD_1 src1_sel:DWORD
	s_movk_i32 s4, 0x7f
	v_cmp_lt_i16_e32 vcc, s4, v3
	s_mov_b64 s[4:5], 0
                                        ; implicit-def: $sgpr10
	s_and_saveexec_b64 s[6:7], vcc
	s_xor_b64 s[6:7], exec, s[6:7]
	s_cbranch_execnz .LBB2_2261
; %bb.213:
	s_or_saveexec_b64 s[6:7], s[6:7]
	v_mov_b32_e32 v6, s10
	s_xor_b64 exec, exec, s[6:7]
	s_cbranch_execnz .LBB2_2264
.LBB2_214:
	s_or_b64 exec, exec, s[6:7]
	s_and_saveexec_b64 s[6:7], s[4:5]
	s_cbranch_execz .LBB2_216
.LBB2_215:
	v_bfe_u32 v3, v4, 16, 3
	v_ffbh_u32_e32 v12, v3
	v_min_u32_e32 v12, 32, v12
	v_lshrrev_b32_e32 v6, 19, v4
	v_subrev_u32_e32 v13, 28, v12
	v_and_b32_e32 v6, 15, v6
	v_lshlrev_b32_sdwa v13, v13, v4 dst_sel:DWORD dst_unused:UNUSED_PAD src0_sel:DWORD src1_sel:WORD_1
	v_bfe_u32 v7, v4, 19, 4
	v_sub_u32_e32 v12, 29, v12
	v_and_b32_e32 v13, 7, v13
	v_cmp_eq_u16_e32 vcc, 0, v6
	v_cndmask_b32_e32 v3, v3, v13, vcc
	v_cndmask_b32_e32 v6, v7, v12, vcc
	v_lshlrev_b32_e32 v7, 8, v4
	v_mov_b32_e32 v12, 0x3b800000
	v_lshlrev_b32_e32 v3, 20, v3
	v_and_b32_e32 v7, 0x80000000, v7
	v_lshl_add_u32 v6, v6, 23, v12
	v_or3_b32 v6, v7, v6, v3
.LBB2_216:
	s_or_b64 exec, exec, s[6:7]
	s_nop 0
	v_mfma_f32_16x16x4f32 a[0:3], v2, v6, a[0:3]
	s_movk_i32 s4, 0x7f
	v_cmp_gt_i16_sdwa s[6:7], v8, s4 src0_sel:BYTE_3 src1_sel:DWORD
	s_mov_b64 s[4:5], 0
                                        ; implicit-def: $sgpr10
	s_and_saveexec_b64 s[8:9], s[6:7]
	s_xor_b64 s[6:7], exec, s[8:9]
	s_cbranch_execnz .LBB2_2265
; %bb.217:
	s_or_saveexec_b64 s[6:7], s[6:7]
	v_mov_b32_e32 v2, s10
	s_xor_b64 exec, exec, s[6:7]
	s_cbranch_execnz .LBB2_2268
.LBB2_218:
	s_or_b64 exec, exec, s[6:7]
	s_and_saveexec_b64 s[6:7], s[4:5]
	s_cbranch_execz .LBB2_220
.LBB2_219:
	v_bfe_u32 v2, v8, 24, 3
	v_ffbh_u32_e32 v12, v2
	v_min_u32_e32 v12, 32, v12
	v_lshrrev_b32_e32 v6, 27, v8
	v_subrev_u32_e32 v13, 28, v12
	v_and_b32_e32 v3, 0x80000000, v8
	v_and_b32_e32 v6, 15, v6
	v_bfe_u32 v7, v8, 27, 4
	v_lshlrev_b32_sdwa v8, v13, v8 dst_sel:DWORD dst_unused:UNUSED_PAD src0_sel:DWORD src1_sel:BYTE_3
	v_sub_u32_e32 v12, 29, v12
	v_and_b32_e32 v8, 7, v8
	v_cmp_eq_u16_e32 vcc, 0, v6
	v_cndmask_b32_e32 v2, v2, v8, vcc
	v_cndmask_b32_e32 v6, v7, v12, vcc
	v_mov_b32_e32 v7, 0x3b800000
	v_lshlrev_b32_e32 v2, 20, v2
	v_lshl_add_u32 v6, v6, 23, v7
	v_or3_b32 v2, v3, v6, v2
.LBB2_220:
	s_or_b64 exec, exec, s[6:7]
	s_movk_i32 s4, 0x7f
	v_cmp_gt_i16_sdwa s[6:7], v4, s4 src0_sel:BYTE_3 src1_sel:DWORD
	s_mov_b64 s[4:5], 0
                                        ; implicit-def: $sgpr10
	s_and_saveexec_b64 s[8:9], s[6:7]
	s_xor_b64 s[6:7], exec, s[8:9]
	s_cbranch_execnz .LBB2_2269
; %bb.221:
	s_or_saveexec_b64 s[6:7], s[6:7]
	v_mov_b32_e32 v3, s10
	s_xor_b64 exec, exec, s[6:7]
	s_cbranch_execnz .LBB2_2272
.LBB2_222:
	s_or_b64 exec, exec, s[6:7]
	s_and_saveexec_b64 s[6:7], s[4:5]
	s_cbranch_execz .LBB2_224
.LBB2_223:
	v_bfe_u32 v3, v4, 24, 3
	v_ffbh_u32_e32 v12, v3
	v_min_u32_e32 v12, 32, v12
	v_lshrrev_b32_e32 v7, 27, v4
	v_subrev_u32_e32 v13, 28, v12
	v_and_b32_e32 v6, 0x80000000, v4
	v_and_b32_e32 v7, 15, v7
	v_bfe_u32 v8, v4, 27, 4
	v_lshlrev_b32_sdwa v4, v13, v4 dst_sel:DWORD dst_unused:UNUSED_PAD src0_sel:DWORD src1_sel:BYTE_3
	v_sub_u32_e32 v12, 29, v12
	v_and_b32_e32 v4, 7, v4
	v_cmp_eq_u16_e32 vcc, 0, v7
	v_cndmask_b32_e32 v3, v3, v4, vcc
	v_cndmask_b32_e32 v4, v8, v12, vcc
	v_mov_b32_e32 v7, 0x3b800000
	v_lshlrev_b32_e32 v3, 20, v3
	v_lshl_add_u32 v4, v4, 23, v7
	v_or3_b32 v3, v6, v4, v3
.LBB2_224:
	s_or_b64 exec, exec, s[6:7]
	s_nop 0
	v_mfma_f32_16x16x4f32 a[0:3], v2, v3, a[0:3]
	s_movk_i32 s4, 0x7f
	v_cmp_gt_i16_sdwa s[6:7], v9, s4 src0_sel:BYTE_0 src1_sel:DWORD
	s_mov_b64 s[4:5], 0
                                        ; implicit-def: $sgpr10
	s_and_saveexec_b64 s[8:9], s[6:7]
	s_xor_b64 s[6:7], exec, s[8:9]
	s_cbranch_execnz .LBB2_2273
; %bb.225:
	s_or_saveexec_b64 s[6:7], s[6:7]
	v_mov_b32_e32 v2, s10
	s_xor_b64 exec, exec, s[6:7]
	s_cbranch_execnz .LBB2_2276
.LBB2_226:
	s_or_b64 exec, exec, s[6:7]
	s_and_saveexec_b64 s[6:7], s[4:5]
	s_cbranch_execz .LBB2_228
.LBB2_227:
	v_mov_b32_e32 v2, 8
	v_and_b32_e32 v3, 7, v9
	v_lshrrev_b32_sdwa v2, v2, v9 dst_sel:BYTE_1 dst_unused:UNUSED_PAD src0_sel:DWORD src1_sel:DWORD
	v_ffbh_u32_e32 v4, v3
	v_or_b32_sdwa v2, v9, v2 dst_sel:DWORD dst_unused:UNUSED_PAD src0_sel:BYTE_0 src1_sel:DWORD
	v_min_u32_e32 v4, 32, v4
	v_lshrrev_b16_e32 v2, 3, v2
	v_subrev_u32_e32 v6, 28, v4
	v_and_b32_e32 v2, 15, v2
	v_lshlrev_b32_e32 v6, v6, v9
	v_sub_u32_e32 v4, 29, v4
	v_and_b32_e32 v6, 7, v6
	v_cmp_eq_u16_e32 vcc, 0, v2
	v_cndmask_b32_e32 v3, v3, v6, vcc
	v_cndmask_b32_e32 v2, v2, v4, vcc
	v_lshlrev_b32_e32 v4, 24, v9
	v_mov_b32_e32 v6, 0x3b800000
	v_lshlrev_b32_e32 v3, 20, v3
	v_and_b32_e32 v4, 0x80000000, v4
	v_lshl_add_u32 v2, v2, 23, v6
	v_or3_b32 v2, v4, v2, v3
.LBB2_228:
	s_or_b64 exec, exec, s[6:7]
	s_movk_i32 s4, 0x7f
	v_cmp_gt_i16_sdwa s[6:7], v5, s4 src0_sel:BYTE_0 src1_sel:DWORD
	s_mov_b64 s[4:5], 0
                                        ; implicit-def: $sgpr10
	s_and_saveexec_b64 s[8:9], s[6:7]
	s_xor_b64 s[6:7], exec, s[8:9]
	s_cbranch_execnz .LBB2_2277
; %bb.229:
	s_or_saveexec_b64 s[6:7], s[6:7]
	v_mov_b32_e32 v3, s10
	s_xor_b64 exec, exec, s[6:7]
	s_cbranch_execnz .LBB2_2280
.LBB2_230:
	s_or_b64 exec, exec, s[6:7]
	s_and_saveexec_b64 s[6:7], s[4:5]
	s_cbranch_execz .LBB2_232
.LBB2_231:
	v_mov_b32_e32 v3, 8
	v_and_b32_e32 v4, 7, v5
	v_lshrrev_b32_sdwa v3, v3, v5 dst_sel:BYTE_1 dst_unused:UNUSED_PAD src0_sel:DWORD src1_sel:DWORD
	v_ffbh_u32_e32 v6, v4
	v_or_b32_sdwa v3, v5, v3 dst_sel:DWORD dst_unused:UNUSED_PAD src0_sel:BYTE_0 src1_sel:DWORD
	v_min_u32_e32 v6, 32, v6
	v_lshrrev_b16_e32 v3, 3, v3
	v_subrev_u32_e32 v7, 28, v6
	v_and_b32_e32 v3, 15, v3
	v_lshlrev_b32_e32 v7, v7, v5
	v_sub_u32_e32 v6, 29, v6
	v_and_b32_e32 v7, 7, v7
	v_cmp_eq_u16_e32 vcc, 0, v3
	v_cndmask_b32_e32 v4, v4, v7, vcc
	v_cndmask_b32_e32 v3, v3, v6, vcc
	v_lshlrev_b32_e32 v6, 24, v5
	v_mov_b32_e32 v7, 0x3b800000
	v_lshlrev_b32_e32 v4, 20, v4
	v_and_b32_e32 v6, 0x80000000, v6
	v_lshl_add_u32 v3, v3, 23, v7
	v_or3_b32 v3, v6, v3, v4
.LBB2_232:
	s_or_b64 exec, exec, s[6:7]
	s_nop 0
	v_mfma_f32_16x16x4f32 a[0:3], v2, v3, a[0:3]
	v_lshrrev_b32_e32 v3, 8, v9
	s_movk_i32 s4, 0x7f
	v_cmp_gt_i16_sdwa s[6:7], v3, s4 src0_sel:BYTE_0 src1_sel:DWORD
	s_mov_b64 s[4:5], 0
                                        ; implicit-def: $sgpr10
	s_and_saveexec_b64 s[8:9], s[6:7]
	s_xor_b64 s[6:7], exec, s[8:9]
	s_cbranch_execnz .LBB2_2281
; %bb.233:
	s_or_saveexec_b64 s[6:7], s[6:7]
	v_mov_b32_e32 v2, s10
	s_xor_b64 exec, exec, s[6:7]
	s_cbranch_execnz .LBB2_2284
.LBB2_234:
	s_or_b64 exec, exec, s[6:7]
	s_and_saveexec_b64 s[6:7], s[4:5]
	s_cbranch_execz .LBB2_236
.LBB2_235:
	v_bfe_u32 v2, v9, 8, 3
	v_ffbh_u32_e32 v6, v2
	v_min_u32_e32 v6, 32, v6
	v_lshrrev_b16_e32 v4, 3, v3
	v_subrev_u32_e32 v7, 28, v6
	v_and_b32_e32 v4, 15, v4
	v_lshlrev_b32_e32 v3, v7, v3
	v_sub_u32_e32 v6, 29, v6
	v_and_b32_e32 v3, 7, v3
	v_cmp_eq_u16_e32 vcc, 0, v4
	v_cndmask_b32_e32 v2, v2, v3, vcc
	v_cndmask_b32_e32 v3, v4, v6, vcc
	v_lshlrev_b32_e32 v4, 16, v9
	v_mov_b32_e32 v6, 0x3b800000
	v_lshlrev_b32_e32 v2, 20, v2
	v_and_b32_e32 v4, 0x80000000, v4
	v_lshl_add_u32 v3, v3, 23, v6
	v_or3_b32 v2, v4, v3, v2
.LBB2_236:
	s_or_b64 exec, exec, s[6:7]
	v_lshrrev_b32_e32 v3, 8, v5
	s_movk_i32 s4, 0x7f
	v_cmp_gt_i16_sdwa s[6:7], v3, s4 src0_sel:BYTE_0 src1_sel:DWORD
	s_mov_b64 s[4:5], 0
                                        ; implicit-def: $sgpr10
	s_and_saveexec_b64 s[8:9], s[6:7]
	s_xor_b64 s[6:7], exec, s[8:9]
	s_cbranch_execnz .LBB2_2285
; %bb.237:
	s_or_saveexec_b64 s[6:7], s[6:7]
	v_mov_b32_e32 v4, s10
	s_xor_b64 exec, exec, s[6:7]
	s_cbranch_execnz .LBB2_2288
.LBB2_238:
	s_or_b64 exec, exec, s[6:7]
	s_and_saveexec_b64 s[6:7], s[4:5]
	s_cbranch_execz .LBB2_240
.LBB2_239:
	v_bfe_u32 v4, v5, 8, 3
	v_ffbh_u32_e32 v7, v4
	v_min_u32_e32 v7, 32, v7
	v_lshrrev_b16_e32 v6, 3, v3
	v_subrev_u32_e32 v8, 28, v7
	v_and_b32_e32 v6, 15, v6
	v_lshlrev_b32_e32 v3, v8, v3
	v_sub_u32_e32 v7, 29, v7
	v_and_b32_e32 v3, 7, v3
	v_cmp_eq_u16_e32 vcc, 0, v6
	v_cndmask_b32_e32 v3, v4, v3, vcc
	v_cndmask_b32_e32 v4, v6, v7, vcc
	v_lshlrev_b32_e32 v6, 16, v5
	v_mov_b32_e32 v7, 0x3b800000
	v_lshlrev_b32_e32 v3, 20, v3
	v_and_b32_e32 v6, 0x80000000, v6
	v_lshl_add_u32 v4, v4, 23, v7
	v_or3_b32 v4, v6, v4, v3
.LBB2_240:
	s_or_b64 exec, exec, s[6:7]
	s_nop 0
	v_mfma_f32_16x16x4f32 a[0:3], v2, v4, a[0:3]
	s_movk_i32 s4, 0xff
	v_and_b32_sdwa v3, v9, s4 dst_sel:DWORD dst_unused:UNUSED_PAD src0_sel:WORD_1 src1_sel:DWORD
	s_movk_i32 s4, 0x7f
	v_cmp_lt_i16_e32 vcc, s4, v3
	s_mov_b64 s[4:5], 0
                                        ; implicit-def: $sgpr10
	s_and_saveexec_b64 s[6:7], vcc
	s_xor_b64 s[6:7], exec, s[6:7]
	s_cbranch_execnz .LBB2_2289
; %bb.241:
	s_or_saveexec_b64 s[6:7], s[6:7]
	v_mov_b32_e32 v2, s10
	s_xor_b64 exec, exec, s[6:7]
	s_cbranch_execnz .LBB2_2292
.LBB2_242:
	s_or_b64 exec, exec, s[6:7]
	s_and_saveexec_b64 s[6:7], s[4:5]
	s_cbranch_execz .LBB2_244
.LBB2_243:
	v_bfe_u32 v2, v9, 16, 3
	v_ffbh_u32_e32 v6, v2
	v_min_u32_e32 v6, 32, v6
	v_lshrrev_b32_e32 v3, 19, v9
	v_subrev_u32_e32 v7, 28, v6
	v_and_b32_e32 v3, 15, v3
	v_lshlrev_b32_sdwa v7, v7, v9 dst_sel:DWORD dst_unused:UNUSED_PAD src0_sel:DWORD src1_sel:WORD_1
	v_bfe_u32 v4, v9, 19, 4
	v_sub_u32_e32 v6, 29, v6
	v_and_b32_e32 v7, 7, v7
	v_cmp_eq_u16_e32 vcc, 0, v3
	v_cndmask_b32_e32 v2, v2, v7, vcc
	v_cndmask_b32_e32 v3, v4, v6, vcc
	v_lshlrev_b32_e32 v4, 8, v9
	v_mov_b32_e32 v6, 0x3b800000
	v_lshlrev_b32_e32 v2, 20, v2
	v_and_b32_e32 v4, 0x80000000, v4
	v_lshl_add_u32 v3, v3, 23, v6
	v_or3_b32 v2, v4, v3, v2
.LBB2_244:
	s_or_b64 exec, exec, s[6:7]
	s_movk_i32 s4, 0xff
	v_and_b32_sdwa v3, v5, s4 dst_sel:DWORD dst_unused:UNUSED_PAD src0_sel:WORD_1 src1_sel:DWORD
	s_movk_i32 s4, 0x7f
	v_cmp_lt_i16_e32 vcc, s4, v3
	s_mov_b64 s[4:5], 0
                                        ; implicit-def: $sgpr10
	s_and_saveexec_b64 s[6:7], vcc
	s_xor_b64 s[6:7], exec, s[6:7]
	s_cbranch_execnz .LBB2_2293
; %bb.245:
	s_or_saveexec_b64 s[6:7], s[6:7]
	v_mov_b32_e32 v4, s10
	s_xor_b64 exec, exec, s[6:7]
	s_cbranch_execnz .LBB2_2296
.LBB2_246:
	s_or_b64 exec, exec, s[6:7]
	s_and_saveexec_b64 s[6:7], s[4:5]
	s_cbranch_execz .LBB2_248
.LBB2_247:
	v_bfe_u32 v3, v5, 16, 3
	v_ffbh_u32_e32 v7, v3
	v_min_u32_e32 v7, 32, v7
	v_lshrrev_b32_e32 v4, 19, v5
	v_subrev_u32_e32 v8, 28, v7
	v_and_b32_e32 v4, 15, v4
	v_lshlrev_b32_sdwa v8, v8, v5 dst_sel:DWORD dst_unused:UNUSED_PAD src0_sel:DWORD src1_sel:WORD_1
	v_bfe_u32 v6, v5, 19, 4
	v_sub_u32_e32 v7, 29, v7
	v_and_b32_e32 v8, 7, v8
	v_cmp_eq_u16_e32 vcc, 0, v4
	v_cndmask_b32_e32 v3, v3, v8, vcc
	v_cndmask_b32_e32 v4, v6, v7, vcc
	v_lshlrev_b32_e32 v6, 8, v5
	v_mov_b32_e32 v7, 0x3b800000
	v_lshlrev_b32_e32 v3, 20, v3
	v_and_b32_e32 v6, 0x80000000, v6
	v_lshl_add_u32 v4, v4, 23, v7
	v_or3_b32 v4, v6, v4, v3
.LBB2_248:
	s_or_b64 exec, exec, s[6:7]
	s_nop 0
	v_mfma_f32_16x16x4f32 a[0:3], v2, v4, a[0:3]
	s_movk_i32 s4, 0x7f
	v_cmp_gt_i16_sdwa s[6:7], v9, s4 src0_sel:BYTE_3 src1_sel:DWORD
	s_mov_b64 s[4:5], 0
                                        ; implicit-def: $sgpr10
	s_and_saveexec_b64 s[8:9], s[6:7]
	s_xor_b64 s[6:7], exec, s[8:9]
	s_cbranch_execnz .LBB2_2297
; %bb.249:
	s_or_saveexec_b64 s[6:7], s[6:7]
	v_mov_b32_e32 v2, s10
	s_xor_b64 exec, exec, s[6:7]
	s_cbranch_execnz .LBB2_2300
.LBB2_250:
	s_or_b64 exec, exec, s[6:7]
	s_and_saveexec_b64 s[6:7], s[4:5]
	s_cbranch_execz .LBB2_252
.LBB2_251:
	v_bfe_u32 v2, v9, 24, 3
	v_ffbh_u32_e32 v7, v2
	v_min_u32_e32 v7, 32, v7
	v_lshrrev_b32_e32 v4, 27, v9
	v_subrev_u32_e32 v8, 28, v7
	v_and_b32_e32 v4, 15, v4
	v_lshlrev_b32_sdwa v8, v8, v9 dst_sel:DWORD dst_unused:UNUSED_PAD src0_sel:DWORD src1_sel:BYTE_3
	v_bfe_u32 v6, v9, 27, 4
	v_sub_u32_e32 v7, 29, v7
	v_and_b32_e32 v8, 7, v8
	v_cmp_eq_u16_e32 vcc, 0, v4
	v_cndmask_b32_e32 v2, v2, v8, vcc
	v_cndmask_b32_e32 v4, v6, v7, vcc
	v_mov_b32_e32 v6, 0x3b800000
	v_and_b32_e32 v3, 0x80000000, v9
	v_lshlrev_b32_e32 v2, 20, v2
	v_lshl_add_u32 v4, v4, 23, v6
	v_or3_b32 v2, v3, v4, v2
.LBB2_252:
	s_or_b64 exec, exec, s[6:7]
	s_movk_i32 s4, 0x7f
	v_cmp_gt_i16_sdwa s[6:7], v5, s4 src0_sel:BYTE_3 src1_sel:DWORD
	s_mov_b64 s[4:5], 0
                                        ; implicit-def: $sgpr10
	s_and_saveexec_b64 s[8:9], s[6:7]
	s_xor_b64 s[6:7], exec, s[8:9]
	s_cbranch_execnz .LBB2_2301
; %bb.253:
	s_or_saveexec_b64 s[6:7], s[6:7]
	v_mov_b32_e32 v3, s10
	s_xor_b64 exec, exec, s[6:7]
	s_cbranch_execnz .LBB2_2304
.LBB2_254:
	s_or_b64 exec, exec, s[6:7]
	s_and_saveexec_b64 s[6:7], s[4:5]
	s_cbranch_execz .LBB2_256
.LBB2_255:
	v_bfe_u32 v3, v5, 24, 3
	v_ffbh_u32_e32 v8, v3
	v_min_u32_e32 v8, 32, v8
	v_lshrrev_b32_e32 v6, 27, v5
	v_subrev_u32_e32 v9, 28, v8
	v_and_b32_e32 v4, 0x80000000, v5
	v_and_b32_e32 v6, 15, v6
	v_bfe_u32 v7, v5, 27, 4
	v_lshlrev_b32_sdwa v5, v9, v5 dst_sel:DWORD dst_unused:UNUSED_PAD src0_sel:DWORD src1_sel:BYTE_3
	v_sub_u32_e32 v8, 29, v8
	v_and_b32_e32 v5, 7, v5
	v_cmp_eq_u16_e32 vcc, 0, v6
	v_cndmask_b32_e32 v3, v3, v5, vcc
	v_cndmask_b32_e32 v5, v7, v8, vcc
	v_mov_b32_e32 v6, 0x3b800000
	v_lshlrev_b32_e32 v3, 20, v3
	v_lshl_add_u32 v5, v5, 23, v6
	v_or3_b32 v3, v4, v5, v3
.LBB2_256:
	s_or_b64 exec, exec, s[6:7]
	s_nop 0
	v_mfma_f32_16x16x4f32 a[0:3], v2, v3, a[0:3]
	s_movk_i32 s4, 0x7f
                                        ; implicit-def: $sgpr10
	s_nop 7
	s_nop 1
	flat_store_dwordx4 v[10:11], a[0:3] offset:16
	flat_load_dwordx4 v[12:15], v[0:1] offset:8
	s_nop 0
	flat_load_dwordx2 v[10:11], v[0:1] offset:32
	s_waitcnt vmcnt(0) lgkmcnt(0)
	flat_load_dwordx4 v[6:9], v[12:13] offset:16
	flat_load_dwordx4 v[2:5], v[14:15] offset:80
	s_waitcnt vmcnt(0) lgkmcnt(0)
	v_cmp_gt_i16_sdwa s[6:7], v6, s4 src0_sel:BYTE_0 src1_sel:DWORD
	s_mov_b64 s[4:5], 0
	s_and_saveexec_b64 s[8:9], s[6:7]
	s_xor_b64 s[6:7], exec, s[8:9]
	s_cbranch_execnz .LBB2_2305
; %bb.257:
	s_or_saveexec_b64 s[6:7], s[6:7]
	v_mov_b32_e32 v12, s10
	s_xor_b64 exec, exec, s[6:7]
	s_cbranch_execnz .LBB2_2308
.LBB2_258:
	s_or_b64 exec, exec, s[6:7]
	s_and_saveexec_b64 s[6:7], s[4:5]
	s_cbranch_execz .LBB2_260
.LBB2_259:
	v_and_b32_e32 v12, 7, v6
	v_ffbh_u32_e32 v14, v12
	v_min_u32_e32 v14, 32, v14
	v_lshrrev_b16_e32 v13, 3, v6
	v_subrev_u32_e32 v15, 28, v14
	v_and_b32_e32 v13, 15, v13
	v_lshlrev_b32_e32 v15, v15, v6
	v_sub_u32_e32 v14, 29, v14
	v_and_b32_e32 v15, 7, v15
	v_cmp_eq_u16_e32 vcc, 0, v13
	v_cndmask_b32_e32 v12, v12, v15, vcc
	v_cndmask_b32_e32 v13, v13, v14, vcc
	v_lshlrev_b32_e32 v14, 24, v6
	v_mov_b32_e32 v15, 0x3b800000
	v_lshlrev_b32_e32 v12, 20, v12
	v_and_b32_e32 v14, 0x80000000, v14
	v_lshl_add_u32 v13, v13, 23, v15
	v_or3_b32 v12, v14, v13, v12
.LBB2_260:
	s_or_b64 exec, exec, s[6:7]
	s_movk_i32 s4, 0x7f
	v_cmp_gt_i16_sdwa s[6:7], v2, s4 src0_sel:BYTE_0 src1_sel:DWORD
	s_mov_b64 s[4:5], 0
                                        ; implicit-def: $sgpr10
	s_and_saveexec_b64 s[8:9], s[6:7]
	s_xor_b64 s[6:7], exec, s[8:9]
	s_cbranch_execnz .LBB2_2309
; %bb.261:
	s_or_saveexec_b64 s[6:7], s[6:7]
	v_mov_b32_e32 v13, s10
	s_xor_b64 exec, exec, s[6:7]
	s_cbranch_execnz .LBB2_2312
.LBB2_262:
	s_or_b64 exec, exec, s[6:7]
	s_and_saveexec_b64 s[6:7], s[4:5]
	s_cbranch_execz .LBB2_264
.LBB2_263:
	v_and_b32_e32 v13, 7, v2
	v_ffbh_u32_e32 v15, v13
	v_min_u32_e32 v15, 32, v15
	v_lshrrev_b16_e32 v14, 3, v2
	v_subrev_u32_e32 v16, 28, v15
	v_and_b32_e32 v14, 15, v14
	v_lshlrev_b32_e32 v16, v16, v2
	v_sub_u32_e32 v15, 29, v15
	v_and_b32_e32 v16, 7, v16
	v_cmp_eq_u16_e32 vcc, 0, v14
	v_cndmask_b32_e32 v13, v13, v16, vcc
	v_cndmask_b32_e32 v14, v14, v15, vcc
	v_lshlrev_b32_e32 v15, 24, v2
	v_mov_b32_e32 v16, 0x3b800000
	v_lshlrev_b32_e32 v13, 20, v13
	v_and_b32_e32 v15, 0x80000000, v15
	v_lshl_add_u32 v14, v14, 23, v16
	v_or3_b32 v13, v15, v14, v13
.LBB2_264:
	s_or_b64 exec, exec, s[6:7]
	flat_load_dwordx4 a[0:3], v[10:11] offset:32
	s_movk_i32 s4, 0x7f
                                        ; implicit-def: $sgpr10
	s_waitcnt vmcnt(0) lgkmcnt(0)
	v_mfma_f32_16x16x4f32 a[0:3], v12, v13, a[0:3]
	v_lshrrev_b32_e32 v13, 8, v6
	v_cmp_gt_i16_sdwa s[6:7], v13, s4 src0_sel:BYTE_0 src1_sel:DWORD
	s_mov_b64 s[4:5], 0
	s_and_saveexec_b64 s[8:9], s[6:7]
	s_xor_b64 s[6:7], exec, s[8:9]
	s_cbranch_execnz .LBB2_2313
; %bb.265:
	s_or_saveexec_b64 s[6:7], s[6:7]
	v_mov_b32_e32 v12, s10
	s_xor_b64 exec, exec, s[6:7]
	s_cbranch_execnz .LBB2_2316
.LBB2_266:
	s_or_b64 exec, exec, s[6:7]
	s_and_saveexec_b64 s[6:7], s[4:5]
	s_cbranch_execz .LBB2_268
.LBB2_267:
	v_bfe_u32 v12, v6, 8, 3
	v_ffbh_u32_e32 v15, v12
	v_min_u32_e32 v15, 32, v15
	v_lshrrev_b16_e32 v14, 3, v13
	v_subrev_u32_e32 v16, 28, v15
	v_and_b32_e32 v14, 15, v14
	v_lshlrev_b32_e32 v13, v16, v13
	v_sub_u32_e32 v15, 29, v15
	v_and_b32_e32 v13, 7, v13
	v_cmp_eq_u16_e32 vcc, 0, v14
	v_cndmask_b32_e32 v12, v12, v13, vcc
	v_cndmask_b32_e32 v13, v14, v15, vcc
	v_lshlrev_b32_e32 v14, 16, v6
	v_mov_b32_e32 v15, 0x3b800000
	v_lshlrev_b32_e32 v12, 20, v12
	v_and_b32_e32 v14, 0x80000000, v14
	v_lshl_add_u32 v13, v13, 23, v15
	v_or3_b32 v12, v14, v13, v12
.LBB2_268:
	s_or_b64 exec, exec, s[6:7]
	v_lshrrev_b32_e32 v13, 8, v2
	s_movk_i32 s4, 0x7f
	v_cmp_gt_i16_sdwa s[6:7], v13, s4 src0_sel:BYTE_0 src1_sel:DWORD
	s_mov_b64 s[4:5], 0
                                        ; implicit-def: $sgpr10
	s_and_saveexec_b64 s[8:9], s[6:7]
	s_xor_b64 s[6:7], exec, s[8:9]
	s_cbranch_execnz .LBB2_2317
; %bb.269:
	s_or_saveexec_b64 s[6:7], s[6:7]
	v_mov_b32_e32 v14, s10
	s_xor_b64 exec, exec, s[6:7]
	s_cbranch_execnz .LBB2_2320
.LBB2_270:
	s_or_b64 exec, exec, s[6:7]
	s_and_saveexec_b64 s[6:7], s[4:5]
	s_cbranch_execz .LBB2_272
.LBB2_271:
	v_bfe_u32 v14, v2, 8, 3
	v_ffbh_u32_e32 v16, v14
	v_min_u32_e32 v16, 32, v16
	v_lshrrev_b16_e32 v15, 3, v13
	v_subrev_u32_e32 v17, 28, v16
	v_and_b32_e32 v15, 15, v15
	v_lshlrev_b32_e32 v13, v17, v13
	v_sub_u32_e32 v16, 29, v16
	v_and_b32_e32 v13, 7, v13
	v_cmp_eq_u16_e32 vcc, 0, v15
	v_cndmask_b32_e32 v13, v14, v13, vcc
	v_cndmask_b32_e32 v14, v15, v16, vcc
	v_lshlrev_b32_e32 v15, 16, v2
	v_mov_b32_e32 v16, 0x3b800000
	v_lshlrev_b32_e32 v13, 20, v13
	v_and_b32_e32 v15, 0x80000000, v15
	v_lshl_add_u32 v14, v14, 23, v16
	v_or3_b32 v14, v15, v14, v13
.LBB2_272:
	s_or_b64 exec, exec, s[6:7]
	s_nop 0
	v_mfma_f32_16x16x4f32 a[0:3], v12, v14, a[0:3]
	s_movk_i32 s4, 0xff
	v_and_b32_sdwa v13, v6, s4 dst_sel:DWORD dst_unused:UNUSED_PAD src0_sel:WORD_1 src1_sel:DWORD
	s_movk_i32 s4, 0x7f
	v_cmp_lt_i16_e32 vcc, s4, v13
	s_mov_b64 s[4:5], 0
                                        ; implicit-def: $sgpr10
	s_and_saveexec_b64 s[6:7], vcc
	s_xor_b64 s[6:7], exec, s[6:7]
	s_cbranch_execnz .LBB2_2321
; %bb.273:
	s_or_saveexec_b64 s[6:7], s[6:7]
	v_mov_b32_e32 v12, s10
	s_xor_b64 exec, exec, s[6:7]
	s_cbranch_execnz .LBB2_2324
.LBB2_274:
	s_or_b64 exec, exec, s[6:7]
	s_and_saveexec_b64 s[6:7], s[4:5]
	s_cbranch_execz .LBB2_276
.LBB2_275:
	v_bfe_u32 v12, v6, 16, 3
	v_ffbh_u32_e32 v15, v12
	v_min_u32_e32 v15, 32, v15
	v_lshrrev_b32_e32 v13, 19, v6
	v_subrev_u32_e32 v16, 28, v15
	v_and_b32_e32 v13, 15, v13
	v_lshlrev_b32_sdwa v16, v16, v6 dst_sel:DWORD dst_unused:UNUSED_PAD src0_sel:DWORD src1_sel:WORD_1
	v_bfe_u32 v14, v6, 19, 4
	v_sub_u32_e32 v15, 29, v15
	v_and_b32_e32 v16, 7, v16
	v_cmp_eq_u16_e32 vcc, 0, v13
	v_cndmask_b32_e32 v12, v12, v16, vcc
	v_cndmask_b32_e32 v13, v14, v15, vcc
	v_lshlrev_b32_e32 v14, 8, v6
	v_mov_b32_e32 v15, 0x3b800000
	v_lshlrev_b32_e32 v12, 20, v12
	v_and_b32_e32 v14, 0x80000000, v14
	v_lshl_add_u32 v13, v13, 23, v15
	v_or3_b32 v12, v14, v13, v12
.LBB2_276:
	s_or_b64 exec, exec, s[6:7]
	s_movk_i32 s4, 0xff
	v_and_b32_sdwa v13, v2, s4 dst_sel:DWORD dst_unused:UNUSED_PAD src0_sel:WORD_1 src1_sel:DWORD
	s_movk_i32 s4, 0x7f
	v_cmp_lt_i16_e32 vcc, s4, v13
	s_mov_b64 s[4:5], 0
                                        ; implicit-def: $sgpr10
	s_and_saveexec_b64 s[6:7], vcc
	s_xor_b64 s[6:7], exec, s[6:7]
	s_cbranch_execnz .LBB2_2325
; %bb.277:
	s_or_saveexec_b64 s[6:7], s[6:7]
	v_mov_b32_e32 v14, s10
	s_xor_b64 exec, exec, s[6:7]
	s_cbranch_execnz .LBB2_2328
.LBB2_278:
	s_or_b64 exec, exec, s[6:7]
	s_and_saveexec_b64 s[6:7], s[4:5]
	s_cbranch_execz .LBB2_280
.LBB2_279:
	v_bfe_u32 v13, v2, 16, 3
	v_ffbh_u32_e32 v16, v13
	v_min_u32_e32 v16, 32, v16
	v_lshrrev_b32_e32 v14, 19, v2
	v_subrev_u32_e32 v17, 28, v16
	v_and_b32_e32 v14, 15, v14
	v_lshlrev_b32_sdwa v17, v17, v2 dst_sel:DWORD dst_unused:UNUSED_PAD src0_sel:DWORD src1_sel:WORD_1
	v_bfe_u32 v15, v2, 19, 4
	v_sub_u32_e32 v16, 29, v16
	v_and_b32_e32 v17, 7, v17
	v_cmp_eq_u16_e32 vcc, 0, v14
	v_cndmask_b32_e32 v13, v13, v17, vcc
	v_cndmask_b32_e32 v14, v15, v16, vcc
	v_lshlrev_b32_e32 v15, 8, v2
	v_mov_b32_e32 v16, 0x3b800000
	v_lshlrev_b32_e32 v13, 20, v13
	v_and_b32_e32 v15, 0x80000000, v15
	v_lshl_add_u32 v14, v14, 23, v16
	v_or3_b32 v14, v15, v14, v13
.LBB2_280:
	s_or_b64 exec, exec, s[6:7]
	s_nop 0
	v_mfma_f32_16x16x4f32 a[0:3], v12, v14, a[0:3]
	s_movk_i32 s4, 0x7f
	v_cmp_gt_i16_sdwa s[6:7], v6, s4 src0_sel:BYTE_3 src1_sel:DWORD
	s_mov_b64 s[4:5], 0
                                        ; implicit-def: $sgpr10
	s_and_saveexec_b64 s[8:9], s[6:7]
	s_xor_b64 s[6:7], exec, s[8:9]
	s_cbranch_execnz .LBB2_2329
; %bb.281:
	s_or_saveexec_b64 s[6:7], s[6:7]
	v_mov_b32_e32 v12, s10
	s_xor_b64 exec, exec, s[6:7]
	s_cbranch_execnz .LBB2_2332
.LBB2_282:
	s_or_b64 exec, exec, s[6:7]
	s_and_saveexec_b64 s[6:7], s[4:5]
	s_cbranch_execz .LBB2_284
.LBB2_283:
	v_bfe_u32 v12, v6, 24, 3
	v_ffbh_u32_e32 v16, v12
	v_min_u32_e32 v16, 32, v16
	v_lshrrev_b32_e32 v14, 27, v6
	v_subrev_u32_e32 v17, 28, v16
	v_and_b32_e32 v13, 0x80000000, v6
	v_and_b32_e32 v14, 15, v14
	v_bfe_u32 v15, v6, 27, 4
	v_lshlrev_b32_sdwa v6, v17, v6 dst_sel:DWORD dst_unused:UNUSED_PAD src0_sel:DWORD src1_sel:BYTE_3
	v_sub_u32_e32 v16, 29, v16
	v_and_b32_e32 v6, 7, v6
	v_cmp_eq_u16_e32 vcc, 0, v14
	v_cndmask_b32_e32 v6, v12, v6, vcc
	v_cndmask_b32_e32 v12, v15, v16, vcc
	v_mov_b32_e32 v14, 0x3b800000
	v_lshlrev_b32_e32 v6, 20, v6
	v_lshl_add_u32 v12, v12, 23, v14
	v_or3_b32 v12, v13, v12, v6
.LBB2_284:
	s_or_b64 exec, exec, s[6:7]
	s_movk_i32 s4, 0x7f
	v_cmp_gt_i16_sdwa s[6:7], v2, s4 src0_sel:BYTE_3 src1_sel:DWORD
	s_mov_b64 s[4:5], 0
                                        ; implicit-def: $sgpr10
	s_and_saveexec_b64 s[8:9], s[6:7]
	s_xor_b64 s[6:7], exec, s[8:9]
	s_cbranch_execnz .LBB2_2333
; %bb.285:
	s_or_saveexec_b64 s[6:7], s[6:7]
	v_mov_b32_e32 v6, s10
	s_xor_b64 exec, exec, s[6:7]
	s_cbranch_execnz .LBB2_2336
.LBB2_286:
	s_or_b64 exec, exec, s[6:7]
	s_and_saveexec_b64 s[6:7], s[4:5]
	s_cbranch_execz .LBB2_288
.LBB2_287:
	v_bfe_u32 v6, v2, 24, 3
	v_ffbh_u32_e32 v16, v6
	v_min_u32_e32 v16, 32, v16
	v_lshrrev_b32_e32 v14, 27, v2
	v_subrev_u32_e32 v17, 28, v16
	v_and_b32_e32 v13, 0x80000000, v2
	v_and_b32_e32 v14, 15, v14
	v_bfe_u32 v15, v2, 27, 4
	v_lshlrev_b32_sdwa v2, v17, v2 dst_sel:DWORD dst_unused:UNUSED_PAD src0_sel:DWORD src1_sel:BYTE_3
	v_sub_u32_e32 v16, 29, v16
	v_and_b32_e32 v2, 7, v2
	v_cmp_eq_u16_e32 vcc, 0, v14
	v_cndmask_b32_e32 v2, v6, v2, vcc
	v_cndmask_b32_e32 v6, v15, v16, vcc
	v_mov_b32_e32 v14, 0x3b800000
	v_lshlrev_b32_e32 v2, 20, v2
	v_lshl_add_u32 v6, v6, 23, v14
	v_or3_b32 v6, v13, v6, v2
.LBB2_288:
	s_or_b64 exec, exec, s[6:7]
	s_nop 0
	v_mfma_f32_16x16x4f32 a[0:3], v12, v6, a[0:3]
	s_movk_i32 s4, 0x7f
	v_cmp_gt_i16_sdwa s[6:7], v7, s4 src0_sel:BYTE_0 src1_sel:DWORD
	s_mov_b64 s[4:5], 0
                                        ; implicit-def: $sgpr10
	s_and_saveexec_b64 s[8:9], s[6:7]
	s_xor_b64 s[6:7], exec, s[8:9]
	s_cbranch_execnz .LBB2_2337
; %bb.289:
	s_or_saveexec_b64 s[6:7], s[6:7]
	v_mov_b32_e32 v2, s10
	s_xor_b64 exec, exec, s[6:7]
	s_cbranch_execnz .LBB2_2340
.LBB2_290:
	s_or_b64 exec, exec, s[6:7]
	s_and_saveexec_b64 s[6:7], s[4:5]
	s_cbranch_execz .LBB2_292
.LBB2_291:
	v_and_b32_e32 v2, 7, v7
	v_ffbh_u32_e32 v12, v2
	v_min_u32_e32 v12, 32, v12
	v_lshrrev_b16_e32 v6, 3, v7
	v_subrev_u32_e32 v13, 28, v12
	v_and_b32_e32 v6, 15, v6
	v_lshlrev_b32_e32 v13, v13, v7
	v_sub_u32_e32 v12, 29, v12
	v_and_b32_e32 v13, 7, v13
	v_cmp_eq_u16_e32 vcc, 0, v6
	v_cndmask_b32_e32 v2, v2, v13, vcc
	v_cndmask_b32_e32 v6, v6, v12, vcc
	v_lshlrev_b32_e32 v12, 24, v7
	v_mov_b32_e32 v13, 0x3b800000
	v_lshlrev_b32_e32 v2, 20, v2
	v_and_b32_e32 v12, 0x80000000, v12
	v_lshl_add_u32 v6, v6, 23, v13
	v_or3_b32 v2, v12, v6, v2
.LBB2_292:
	s_or_b64 exec, exec, s[6:7]
	s_movk_i32 s4, 0x7f
	v_cmp_gt_i16_sdwa s[6:7], v3, s4 src0_sel:BYTE_0 src1_sel:DWORD
	s_mov_b64 s[4:5], 0
                                        ; implicit-def: $sgpr10
	s_and_saveexec_b64 s[8:9], s[6:7]
	s_xor_b64 s[6:7], exec, s[8:9]
	s_cbranch_execnz .LBB2_2341
; %bb.293:
	s_or_saveexec_b64 s[6:7], s[6:7]
	v_mov_b32_e32 v6, s10
	s_xor_b64 exec, exec, s[6:7]
	s_cbranch_execnz .LBB2_2344
.LBB2_294:
	s_or_b64 exec, exec, s[6:7]
	s_and_saveexec_b64 s[6:7], s[4:5]
	s_cbranch_execz .LBB2_296
.LBB2_295:
	v_and_b32_e32 v6, 7, v3
	v_ffbh_u32_e32 v13, v6
	v_min_u32_e32 v13, 32, v13
	v_lshrrev_b16_e32 v12, 3, v3
	v_subrev_u32_e32 v14, 28, v13
	v_and_b32_e32 v12, 15, v12
	v_lshlrev_b32_e32 v14, v14, v3
	v_sub_u32_e32 v13, 29, v13
	v_and_b32_e32 v14, 7, v14
	v_cmp_eq_u16_e32 vcc, 0, v12
	v_cndmask_b32_e32 v6, v6, v14, vcc
	v_cndmask_b32_e32 v12, v12, v13, vcc
	v_lshlrev_b32_e32 v13, 24, v3
	v_mov_b32_e32 v14, 0x3b800000
	v_lshlrev_b32_e32 v6, 20, v6
	v_and_b32_e32 v13, 0x80000000, v13
	v_lshl_add_u32 v12, v12, 23, v14
	v_or3_b32 v6, v13, v12, v6
.LBB2_296:
	s_or_b64 exec, exec, s[6:7]
	s_nop 0
	v_mfma_f32_16x16x4f32 a[0:3], v2, v6, a[0:3]
	v_lshrrev_b32_e32 v6, 8, v7
	s_movk_i32 s4, 0x7f
	v_cmp_gt_i16_sdwa s[6:7], v6, s4 src0_sel:BYTE_0 src1_sel:DWORD
	s_mov_b64 s[4:5], 0
                                        ; implicit-def: $sgpr10
	s_and_saveexec_b64 s[8:9], s[6:7]
	s_xor_b64 s[6:7], exec, s[8:9]
	s_cbranch_execnz .LBB2_2345
; %bb.297:
	s_or_saveexec_b64 s[6:7], s[6:7]
	v_mov_b32_e32 v2, s10
	s_xor_b64 exec, exec, s[6:7]
	s_cbranch_execnz .LBB2_2348
.LBB2_298:
	s_or_b64 exec, exec, s[6:7]
	s_and_saveexec_b64 s[6:7], s[4:5]
	s_cbranch_execz .LBB2_300
.LBB2_299:
	v_bfe_u32 v2, v7, 8, 3
	v_ffbh_u32_e32 v13, v2
	v_min_u32_e32 v13, 32, v13
	v_lshrrev_b16_e32 v12, 3, v6
	v_subrev_u32_e32 v14, 28, v13
	v_and_b32_e32 v12, 15, v12
	v_lshlrev_b32_e32 v6, v14, v6
	v_sub_u32_e32 v13, 29, v13
	v_and_b32_e32 v6, 7, v6
	v_cmp_eq_u16_e32 vcc, 0, v12
	v_cndmask_b32_e32 v2, v2, v6, vcc
	v_cndmask_b32_e32 v6, v12, v13, vcc
	v_lshlrev_b32_e32 v12, 16, v7
	v_mov_b32_e32 v13, 0x3b800000
	v_lshlrev_b32_e32 v2, 20, v2
	v_and_b32_e32 v12, 0x80000000, v12
	v_lshl_add_u32 v6, v6, 23, v13
	v_or3_b32 v2, v12, v6, v2
.LBB2_300:
	s_or_b64 exec, exec, s[6:7]
	v_lshrrev_b32_e32 v6, 8, v3
	s_movk_i32 s4, 0x7f
	v_cmp_gt_i16_sdwa s[6:7], v6, s4 src0_sel:BYTE_0 src1_sel:DWORD
	s_mov_b64 s[4:5], 0
                                        ; implicit-def: $sgpr10
	s_and_saveexec_b64 s[8:9], s[6:7]
	s_xor_b64 s[6:7], exec, s[8:9]
	s_cbranch_execnz .LBB2_2349
; %bb.301:
	s_or_saveexec_b64 s[6:7], s[6:7]
	v_mov_b32_e32 v12, s10
	s_xor_b64 exec, exec, s[6:7]
	s_cbranch_execnz .LBB2_2352
.LBB2_302:
	s_or_b64 exec, exec, s[6:7]
	s_and_saveexec_b64 s[6:7], s[4:5]
	s_cbranch_execz .LBB2_304
.LBB2_303:
	v_bfe_u32 v12, v3, 8, 3
	v_ffbh_u32_e32 v14, v12
	v_min_u32_e32 v14, 32, v14
	v_lshrrev_b16_e32 v13, 3, v6
	v_subrev_u32_e32 v15, 28, v14
	v_and_b32_e32 v13, 15, v13
	v_lshlrev_b32_e32 v6, v15, v6
	v_sub_u32_e32 v14, 29, v14
	v_and_b32_e32 v6, 7, v6
	v_cmp_eq_u16_e32 vcc, 0, v13
	v_cndmask_b32_e32 v6, v12, v6, vcc
	v_cndmask_b32_e32 v12, v13, v14, vcc
	v_lshlrev_b32_e32 v13, 16, v3
	v_mov_b32_e32 v14, 0x3b800000
	v_lshlrev_b32_e32 v6, 20, v6
	v_and_b32_e32 v13, 0x80000000, v13
	v_lshl_add_u32 v12, v12, 23, v14
	v_or3_b32 v12, v13, v12, v6
.LBB2_304:
	s_or_b64 exec, exec, s[6:7]
	s_nop 0
	v_mfma_f32_16x16x4f32 a[0:3], v2, v12, a[0:3]
	s_movk_i32 s4, 0xff
	v_and_b32_sdwa v6, v7, s4 dst_sel:DWORD dst_unused:UNUSED_PAD src0_sel:WORD_1 src1_sel:DWORD
	s_movk_i32 s4, 0x7f
	v_cmp_lt_i16_e32 vcc, s4, v6
	s_mov_b64 s[4:5], 0
                                        ; implicit-def: $sgpr10
	s_and_saveexec_b64 s[6:7], vcc
	s_xor_b64 s[6:7], exec, s[6:7]
	s_cbranch_execnz .LBB2_2353
; %bb.305:
	s_or_saveexec_b64 s[6:7], s[6:7]
	v_mov_b32_e32 v2, s10
	s_xor_b64 exec, exec, s[6:7]
	s_cbranch_execnz .LBB2_2356
.LBB2_306:
	s_or_b64 exec, exec, s[6:7]
	s_and_saveexec_b64 s[6:7], s[4:5]
	s_cbranch_execz .LBB2_308
.LBB2_307:
	v_bfe_u32 v2, v7, 16, 3
	v_ffbh_u32_e32 v13, v2
	v_min_u32_e32 v13, 32, v13
	v_lshrrev_b32_e32 v6, 19, v7
	v_subrev_u32_e32 v14, 28, v13
	v_and_b32_e32 v6, 15, v6
	v_lshlrev_b32_sdwa v14, v14, v7 dst_sel:DWORD dst_unused:UNUSED_PAD src0_sel:DWORD src1_sel:WORD_1
	v_bfe_u32 v12, v7, 19, 4
	v_sub_u32_e32 v13, 29, v13
	v_and_b32_e32 v14, 7, v14
	v_cmp_eq_u16_e32 vcc, 0, v6
	v_cndmask_b32_e32 v2, v2, v14, vcc
	v_cndmask_b32_e32 v6, v12, v13, vcc
	v_lshlrev_b32_e32 v12, 8, v7
	v_mov_b32_e32 v13, 0x3b800000
	v_lshlrev_b32_e32 v2, 20, v2
	v_and_b32_e32 v12, 0x80000000, v12
	v_lshl_add_u32 v6, v6, 23, v13
	v_or3_b32 v2, v12, v6, v2
.LBB2_308:
	s_or_b64 exec, exec, s[6:7]
	s_movk_i32 s4, 0xff
	v_and_b32_sdwa v6, v3, s4 dst_sel:DWORD dst_unused:UNUSED_PAD src0_sel:WORD_1 src1_sel:DWORD
	s_movk_i32 s4, 0x7f
	v_cmp_lt_i16_e32 vcc, s4, v6
	s_mov_b64 s[4:5], 0
                                        ; implicit-def: $sgpr10
	s_and_saveexec_b64 s[6:7], vcc
	s_xor_b64 s[6:7], exec, s[6:7]
	s_cbranch_execnz .LBB2_2357
; %bb.309:
	s_or_saveexec_b64 s[6:7], s[6:7]
	v_mov_b32_e32 v12, s10
	s_xor_b64 exec, exec, s[6:7]
	s_cbranch_execnz .LBB2_2360
.LBB2_310:
	s_or_b64 exec, exec, s[6:7]
	s_and_saveexec_b64 s[6:7], s[4:5]
	s_cbranch_execz .LBB2_312
.LBB2_311:
	v_bfe_u32 v6, v3, 16, 3
	v_ffbh_u32_e32 v14, v6
	v_min_u32_e32 v14, 32, v14
	v_lshrrev_b32_e32 v12, 19, v3
	v_subrev_u32_e32 v15, 28, v14
	v_and_b32_e32 v12, 15, v12
	v_lshlrev_b32_sdwa v15, v15, v3 dst_sel:DWORD dst_unused:UNUSED_PAD src0_sel:DWORD src1_sel:WORD_1
	v_bfe_u32 v13, v3, 19, 4
	v_sub_u32_e32 v14, 29, v14
	v_and_b32_e32 v15, 7, v15
	v_cmp_eq_u16_e32 vcc, 0, v12
	v_cndmask_b32_e32 v6, v6, v15, vcc
	v_cndmask_b32_e32 v12, v13, v14, vcc
	v_lshlrev_b32_e32 v13, 8, v3
	v_mov_b32_e32 v14, 0x3b800000
	v_lshlrev_b32_e32 v6, 20, v6
	v_and_b32_e32 v13, 0x80000000, v13
	v_lshl_add_u32 v12, v12, 23, v14
	v_or3_b32 v12, v13, v12, v6
.LBB2_312:
	s_or_b64 exec, exec, s[6:7]
	s_nop 0
	v_mfma_f32_16x16x4f32 a[0:3], v2, v12, a[0:3]
	s_movk_i32 s4, 0x7f
	v_cmp_gt_i16_sdwa s[6:7], v7, s4 src0_sel:BYTE_3 src1_sel:DWORD
	s_mov_b64 s[4:5], 0
                                        ; implicit-def: $sgpr10
	s_and_saveexec_b64 s[8:9], s[6:7]
	s_xor_b64 s[6:7], exec, s[8:9]
	s_cbranch_execnz .LBB2_2361
; %bb.313:
	s_or_saveexec_b64 s[6:7], s[6:7]
	v_mov_b32_e32 v2, s10
	s_xor_b64 exec, exec, s[6:7]
	s_cbranch_execnz .LBB2_2364
.LBB2_314:
	s_or_b64 exec, exec, s[6:7]
	s_and_saveexec_b64 s[6:7], s[4:5]
	s_cbranch_execz .LBB2_316
.LBB2_315:
	v_bfe_u32 v2, v7, 24, 3
	v_ffbh_u32_e32 v14, v2
	v_min_u32_e32 v14, 32, v14
	v_lshrrev_b32_e32 v12, 27, v7
	v_subrev_u32_e32 v15, 28, v14
	v_and_b32_e32 v6, 0x80000000, v7
	v_and_b32_e32 v12, 15, v12
	v_bfe_u32 v13, v7, 27, 4
	v_lshlrev_b32_sdwa v7, v15, v7 dst_sel:DWORD dst_unused:UNUSED_PAD src0_sel:DWORD src1_sel:BYTE_3
	v_sub_u32_e32 v14, 29, v14
	v_and_b32_e32 v7, 7, v7
	v_cmp_eq_u16_e32 vcc, 0, v12
	v_cndmask_b32_e32 v2, v2, v7, vcc
	v_cndmask_b32_e32 v7, v13, v14, vcc
	v_mov_b32_e32 v12, 0x3b800000
	v_lshlrev_b32_e32 v2, 20, v2
	v_lshl_add_u32 v7, v7, 23, v12
	v_or3_b32 v2, v6, v7, v2
.LBB2_316:
	s_or_b64 exec, exec, s[6:7]
	s_movk_i32 s4, 0x7f
	v_cmp_gt_i16_sdwa s[6:7], v3, s4 src0_sel:BYTE_3 src1_sel:DWORD
	s_mov_b64 s[4:5], 0
                                        ; implicit-def: $sgpr10
	s_and_saveexec_b64 s[8:9], s[6:7]
	s_xor_b64 s[6:7], exec, s[8:9]
	s_cbranch_execnz .LBB2_2365
; %bb.317:
	s_or_saveexec_b64 s[6:7], s[6:7]
	v_mov_b32_e32 v6, s10
	s_xor_b64 exec, exec, s[6:7]
	s_cbranch_execnz .LBB2_2368
.LBB2_318:
	s_or_b64 exec, exec, s[6:7]
	s_and_saveexec_b64 s[6:7], s[4:5]
	s_cbranch_execz .LBB2_320
.LBB2_319:
	v_bfe_u32 v6, v3, 24, 3
	v_ffbh_u32_e32 v14, v6
	v_min_u32_e32 v14, 32, v14
	v_lshrrev_b32_e32 v12, 27, v3
	v_subrev_u32_e32 v15, 28, v14
	v_and_b32_e32 v7, 0x80000000, v3
	v_and_b32_e32 v12, 15, v12
	v_bfe_u32 v13, v3, 27, 4
	v_lshlrev_b32_sdwa v3, v15, v3 dst_sel:DWORD dst_unused:UNUSED_PAD src0_sel:DWORD src1_sel:BYTE_3
	v_sub_u32_e32 v14, 29, v14
	v_and_b32_e32 v3, 7, v3
	v_cmp_eq_u16_e32 vcc, 0, v12
	v_cndmask_b32_e32 v3, v6, v3, vcc
	v_cndmask_b32_e32 v6, v13, v14, vcc
	v_mov_b32_e32 v12, 0x3b800000
	v_lshlrev_b32_e32 v3, 20, v3
	v_lshl_add_u32 v6, v6, 23, v12
	v_or3_b32 v6, v7, v6, v3
.LBB2_320:
	s_or_b64 exec, exec, s[6:7]
	s_nop 0
	v_mfma_f32_16x16x4f32 a[0:3], v2, v6, a[0:3]
	s_movk_i32 s4, 0x7f
	v_cmp_gt_i16_sdwa s[6:7], v8, s4 src0_sel:BYTE_0 src1_sel:DWORD
	s_mov_b64 s[4:5], 0
                                        ; implicit-def: $sgpr10
	s_and_saveexec_b64 s[8:9], s[6:7]
	s_xor_b64 s[6:7], exec, s[8:9]
	s_cbranch_execnz .LBB2_2369
; %bb.321:
	s_or_saveexec_b64 s[6:7], s[6:7]
	v_mov_b32_e32 v2, s10
	s_xor_b64 exec, exec, s[6:7]
	s_cbranch_execnz .LBB2_2372
.LBB2_322:
	s_or_b64 exec, exec, s[6:7]
	s_and_saveexec_b64 s[6:7], s[4:5]
	s_cbranch_execz .LBB2_324
.LBB2_323:
	v_and_b32_e32 v2, 7, v8
	v_ffbh_u32_e32 v6, v2
	v_min_u32_e32 v6, 32, v6
	v_lshrrev_b16_e32 v3, 3, v8
	v_subrev_u32_e32 v7, 28, v6
	v_and_b32_e32 v3, 15, v3
	v_lshlrev_b32_e32 v7, v7, v8
	v_sub_u32_e32 v6, 29, v6
	v_and_b32_e32 v7, 7, v7
	v_cmp_eq_u16_e32 vcc, 0, v3
	v_cndmask_b32_e32 v2, v2, v7, vcc
	v_cndmask_b32_e32 v3, v3, v6, vcc
	v_lshlrev_b32_e32 v6, 24, v8
	v_mov_b32_e32 v7, 0x3b800000
	v_lshlrev_b32_e32 v2, 20, v2
	v_and_b32_e32 v6, 0x80000000, v6
	v_lshl_add_u32 v3, v3, 23, v7
	v_or3_b32 v2, v6, v3, v2
.LBB2_324:
	s_or_b64 exec, exec, s[6:7]
	s_movk_i32 s4, 0x7f
	v_cmp_gt_i16_sdwa s[6:7], v4, s4 src0_sel:BYTE_0 src1_sel:DWORD
	s_mov_b64 s[4:5], 0
                                        ; implicit-def: $sgpr10
	s_and_saveexec_b64 s[8:9], s[6:7]
	s_xor_b64 s[6:7], exec, s[8:9]
	s_cbranch_execnz .LBB2_2373
; %bb.325:
	s_or_saveexec_b64 s[6:7], s[6:7]
	v_mov_b32_e32 v3, s10
	s_xor_b64 exec, exec, s[6:7]
	s_cbranch_execnz .LBB2_2376
.LBB2_326:
	s_or_b64 exec, exec, s[6:7]
	s_and_saveexec_b64 s[6:7], s[4:5]
	s_cbranch_execz .LBB2_328
.LBB2_327:
	v_and_b32_e32 v3, 7, v4
	v_ffbh_u32_e32 v7, v3
	v_min_u32_e32 v7, 32, v7
	v_lshrrev_b16_e32 v6, 3, v4
	v_subrev_u32_e32 v12, 28, v7
	v_and_b32_e32 v6, 15, v6
	v_lshlrev_b32_e32 v12, v12, v4
	v_sub_u32_e32 v7, 29, v7
	v_and_b32_e32 v12, 7, v12
	v_cmp_eq_u16_e32 vcc, 0, v6
	v_cndmask_b32_e32 v3, v3, v12, vcc
	v_cndmask_b32_e32 v6, v6, v7, vcc
	v_lshlrev_b32_e32 v7, 24, v4
	v_mov_b32_e32 v12, 0x3b800000
	v_lshlrev_b32_e32 v3, 20, v3
	v_and_b32_e32 v7, 0x80000000, v7
	v_lshl_add_u32 v6, v6, 23, v12
	v_or3_b32 v3, v7, v6, v3
.LBB2_328:
	s_or_b64 exec, exec, s[6:7]
	s_nop 0
	v_mfma_f32_16x16x4f32 a[0:3], v2, v3, a[0:3]
	v_lshrrev_b32_e32 v3, 8, v8
	s_movk_i32 s4, 0x7f
	v_cmp_gt_i16_sdwa s[6:7], v3, s4 src0_sel:BYTE_0 src1_sel:DWORD
	s_mov_b64 s[4:5], 0
                                        ; implicit-def: $sgpr10
	s_and_saveexec_b64 s[8:9], s[6:7]
	s_xor_b64 s[6:7], exec, s[8:9]
	s_cbranch_execnz .LBB2_2377
; %bb.329:
	s_or_saveexec_b64 s[6:7], s[6:7]
	v_mov_b32_e32 v2, s10
	s_xor_b64 exec, exec, s[6:7]
	s_cbranch_execnz .LBB2_2380
.LBB2_330:
	s_or_b64 exec, exec, s[6:7]
	s_and_saveexec_b64 s[6:7], s[4:5]
	s_cbranch_execz .LBB2_332
.LBB2_331:
	v_bfe_u32 v2, v8, 8, 3
	v_ffbh_u32_e32 v7, v2
	v_min_u32_e32 v7, 32, v7
	v_lshrrev_b16_e32 v6, 3, v3
	v_subrev_u32_e32 v12, 28, v7
	v_and_b32_e32 v6, 15, v6
	v_lshlrev_b32_e32 v3, v12, v3
	v_sub_u32_e32 v7, 29, v7
	v_and_b32_e32 v3, 7, v3
	v_cmp_eq_u16_e32 vcc, 0, v6
	v_cndmask_b32_e32 v2, v2, v3, vcc
	v_cndmask_b32_e32 v3, v6, v7, vcc
	v_lshlrev_b32_e32 v6, 16, v8
	v_mov_b32_e32 v7, 0x3b800000
	v_lshlrev_b32_e32 v2, 20, v2
	v_and_b32_e32 v6, 0x80000000, v6
	v_lshl_add_u32 v3, v3, 23, v7
	v_or3_b32 v2, v6, v3, v2
.LBB2_332:
	s_or_b64 exec, exec, s[6:7]
	v_lshrrev_b32_e32 v3, 8, v4
	s_movk_i32 s4, 0x7f
	v_cmp_gt_i16_sdwa s[6:7], v3, s4 src0_sel:BYTE_0 src1_sel:DWORD
	s_mov_b64 s[4:5], 0
                                        ; implicit-def: $sgpr10
	s_and_saveexec_b64 s[8:9], s[6:7]
	s_xor_b64 s[6:7], exec, s[8:9]
	s_cbranch_execnz .LBB2_2381
; %bb.333:
	s_or_saveexec_b64 s[6:7], s[6:7]
	v_mov_b32_e32 v6, s10
	s_xor_b64 exec, exec, s[6:7]
	s_cbranch_execnz .LBB2_2384
.LBB2_334:
	s_or_b64 exec, exec, s[6:7]
	s_and_saveexec_b64 s[6:7], s[4:5]
	s_cbranch_execz .LBB2_336
.LBB2_335:
	v_bfe_u32 v6, v4, 8, 3
	v_ffbh_u32_e32 v12, v6
	v_min_u32_e32 v12, 32, v12
	v_lshrrev_b16_e32 v7, 3, v3
	v_subrev_u32_e32 v13, 28, v12
	v_and_b32_e32 v7, 15, v7
	v_lshlrev_b32_e32 v3, v13, v3
	v_sub_u32_e32 v12, 29, v12
	v_and_b32_e32 v3, 7, v3
	v_cmp_eq_u16_e32 vcc, 0, v7
	v_cndmask_b32_e32 v3, v6, v3, vcc
	v_cndmask_b32_e32 v6, v7, v12, vcc
	v_lshlrev_b32_e32 v7, 16, v4
	v_mov_b32_e32 v12, 0x3b800000
	v_lshlrev_b32_e32 v3, 20, v3
	v_and_b32_e32 v7, 0x80000000, v7
	v_lshl_add_u32 v6, v6, 23, v12
	v_or3_b32 v6, v7, v6, v3
.LBB2_336:
	s_or_b64 exec, exec, s[6:7]
	s_nop 0
	v_mfma_f32_16x16x4f32 a[0:3], v2, v6, a[0:3]
	s_movk_i32 s4, 0xff
	v_and_b32_sdwa v3, v8, s4 dst_sel:DWORD dst_unused:UNUSED_PAD src0_sel:WORD_1 src1_sel:DWORD
	s_movk_i32 s4, 0x7f
	v_cmp_lt_i16_e32 vcc, s4, v3
	s_mov_b64 s[4:5], 0
                                        ; implicit-def: $sgpr10
	s_and_saveexec_b64 s[6:7], vcc
	s_xor_b64 s[6:7], exec, s[6:7]
	s_cbranch_execnz .LBB2_2385
; %bb.337:
	s_or_saveexec_b64 s[6:7], s[6:7]
	v_mov_b32_e32 v2, s10
	s_xor_b64 exec, exec, s[6:7]
	s_cbranch_execnz .LBB2_2388
.LBB2_338:
	s_or_b64 exec, exec, s[6:7]
	s_and_saveexec_b64 s[6:7], s[4:5]
	s_cbranch_execz .LBB2_340
.LBB2_339:
	v_bfe_u32 v2, v8, 16, 3
	v_ffbh_u32_e32 v7, v2
	v_min_u32_e32 v7, 32, v7
	v_lshrrev_b32_e32 v3, 19, v8
	v_subrev_u32_e32 v12, 28, v7
	v_and_b32_e32 v3, 15, v3
	v_lshlrev_b32_sdwa v12, v12, v8 dst_sel:DWORD dst_unused:UNUSED_PAD src0_sel:DWORD src1_sel:WORD_1
	v_bfe_u32 v6, v8, 19, 4
	v_sub_u32_e32 v7, 29, v7
	v_and_b32_e32 v12, 7, v12
	v_cmp_eq_u16_e32 vcc, 0, v3
	v_cndmask_b32_e32 v2, v2, v12, vcc
	v_cndmask_b32_e32 v3, v6, v7, vcc
	v_lshlrev_b32_e32 v6, 8, v8
	v_mov_b32_e32 v7, 0x3b800000
	v_lshlrev_b32_e32 v2, 20, v2
	v_and_b32_e32 v6, 0x80000000, v6
	v_lshl_add_u32 v3, v3, 23, v7
	v_or3_b32 v2, v6, v3, v2
.LBB2_340:
	s_or_b64 exec, exec, s[6:7]
	s_movk_i32 s4, 0xff
	v_and_b32_sdwa v3, v4, s4 dst_sel:DWORD dst_unused:UNUSED_PAD src0_sel:WORD_1 src1_sel:DWORD
	s_movk_i32 s4, 0x7f
	v_cmp_lt_i16_e32 vcc, s4, v3
	s_mov_b64 s[4:5], 0
                                        ; implicit-def: $sgpr10
	s_and_saveexec_b64 s[6:7], vcc
	s_xor_b64 s[6:7], exec, s[6:7]
	s_cbranch_execnz .LBB2_2389
; %bb.341:
	s_or_saveexec_b64 s[6:7], s[6:7]
	v_mov_b32_e32 v6, s10
	s_xor_b64 exec, exec, s[6:7]
	s_cbranch_execnz .LBB2_2392
.LBB2_342:
	s_or_b64 exec, exec, s[6:7]
	s_and_saveexec_b64 s[6:7], s[4:5]
	s_cbranch_execz .LBB2_344
.LBB2_343:
	v_bfe_u32 v3, v4, 16, 3
	v_ffbh_u32_e32 v12, v3
	v_min_u32_e32 v12, 32, v12
	v_lshrrev_b32_e32 v6, 19, v4
	v_subrev_u32_e32 v13, 28, v12
	v_and_b32_e32 v6, 15, v6
	v_lshlrev_b32_sdwa v13, v13, v4 dst_sel:DWORD dst_unused:UNUSED_PAD src0_sel:DWORD src1_sel:WORD_1
	v_bfe_u32 v7, v4, 19, 4
	v_sub_u32_e32 v12, 29, v12
	v_and_b32_e32 v13, 7, v13
	v_cmp_eq_u16_e32 vcc, 0, v6
	v_cndmask_b32_e32 v3, v3, v13, vcc
	v_cndmask_b32_e32 v6, v7, v12, vcc
	v_lshlrev_b32_e32 v7, 8, v4
	v_mov_b32_e32 v12, 0x3b800000
	v_lshlrev_b32_e32 v3, 20, v3
	v_and_b32_e32 v7, 0x80000000, v7
	v_lshl_add_u32 v6, v6, 23, v12
	v_or3_b32 v6, v7, v6, v3
.LBB2_344:
	s_or_b64 exec, exec, s[6:7]
	s_nop 0
	v_mfma_f32_16x16x4f32 a[0:3], v2, v6, a[0:3]
	s_movk_i32 s4, 0x7f
	v_cmp_gt_i16_sdwa s[6:7], v8, s4 src0_sel:BYTE_3 src1_sel:DWORD
	s_mov_b64 s[4:5], 0
                                        ; implicit-def: $sgpr10
	s_and_saveexec_b64 s[8:9], s[6:7]
	s_xor_b64 s[6:7], exec, s[8:9]
	s_cbranch_execnz .LBB2_2393
; %bb.345:
	s_or_saveexec_b64 s[6:7], s[6:7]
	v_mov_b32_e32 v2, s10
	s_xor_b64 exec, exec, s[6:7]
	s_cbranch_execnz .LBB2_2396
.LBB2_346:
	s_or_b64 exec, exec, s[6:7]
	s_and_saveexec_b64 s[6:7], s[4:5]
	s_cbranch_execz .LBB2_348
.LBB2_347:
	v_bfe_u32 v2, v8, 24, 3
	v_ffbh_u32_e32 v12, v2
	v_min_u32_e32 v12, 32, v12
	v_lshrrev_b32_e32 v6, 27, v8
	v_subrev_u32_e32 v13, 28, v12
	v_and_b32_e32 v3, 0x80000000, v8
	v_and_b32_e32 v6, 15, v6
	v_bfe_u32 v7, v8, 27, 4
	v_lshlrev_b32_sdwa v8, v13, v8 dst_sel:DWORD dst_unused:UNUSED_PAD src0_sel:DWORD src1_sel:BYTE_3
	v_sub_u32_e32 v12, 29, v12
	v_and_b32_e32 v8, 7, v8
	v_cmp_eq_u16_e32 vcc, 0, v6
	v_cndmask_b32_e32 v2, v2, v8, vcc
	v_cndmask_b32_e32 v6, v7, v12, vcc
	v_mov_b32_e32 v7, 0x3b800000
	v_lshlrev_b32_e32 v2, 20, v2
	v_lshl_add_u32 v6, v6, 23, v7
	v_or3_b32 v2, v3, v6, v2
.LBB2_348:
	s_or_b64 exec, exec, s[6:7]
	s_movk_i32 s4, 0x7f
	v_cmp_gt_i16_sdwa s[6:7], v4, s4 src0_sel:BYTE_3 src1_sel:DWORD
	s_mov_b64 s[4:5], 0
                                        ; implicit-def: $sgpr10
	s_and_saveexec_b64 s[8:9], s[6:7]
	s_xor_b64 s[6:7], exec, s[8:9]
	s_cbranch_execnz .LBB2_2397
; %bb.349:
	s_or_saveexec_b64 s[6:7], s[6:7]
	v_mov_b32_e32 v3, s10
	s_xor_b64 exec, exec, s[6:7]
	s_cbranch_execnz .LBB2_2400
.LBB2_350:
	s_or_b64 exec, exec, s[6:7]
	s_and_saveexec_b64 s[6:7], s[4:5]
	s_cbranch_execz .LBB2_352
.LBB2_351:
	v_bfe_u32 v3, v4, 24, 3
	v_ffbh_u32_e32 v12, v3
	v_min_u32_e32 v12, 32, v12
	v_lshrrev_b32_e32 v7, 27, v4
	v_subrev_u32_e32 v13, 28, v12
	v_and_b32_e32 v6, 0x80000000, v4
	v_and_b32_e32 v7, 15, v7
	v_bfe_u32 v8, v4, 27, 4
	v_lshlrev_b32_sdwa v4, v13, v4 dst_sel:DWORD dst_unused:UNUSED_PAD src0_sel:DWORD src1_sel:BYTE_3
	v_sub_u32_e32 v12, 29, v12
	v_and_b32_e32 v4, 7, v4
	v_cmp_eq_u16_e32 vcc, 0, v7
	v_cndmask_b32_e32 v3, v3, v4, vcc
	v_cndmask_b32_e32 v4, v8, v12, vcc
	v_mov_b32_e32 v7, 0x3b800000
	v_lshlrev_b32_e32 v3, 20, v3
	v_lshl_add_u32 v4, v4, 23, v7
	v_or3_b32 v3, v6, v4, v3
.LBB2_352:
	s_or_b64 exec, exec, s[6:7]
	s_nop 0
	v_mfma_f32_16x16x4f32 a[0:3], v2, v3, a[0:3]
	s_movk_i32 s4, 0x7f
	v_cmp_gt_i16_sdwa s[6:7], v9, s4 src0_sel:BYTE_0 src1_sel:DWORD
	s_mov_b64 s[4:5], 0
                                        ; implicit-def: $sgpr10
	s_and_saveexec_b64 s[8:9], s[6:7]
	s_xor_b64 s[6:7], exec, s[8:9]
	s_cbranch_execnz .LBB2_2401
; %bb.353:
	s_or_saveexec_b64 s[6:7], s[6:7]
	v_mov_b32_e32 v2, s10
	s_xor_b64 exec, exec, s[6:7]
	s_cbranch_execnz .LBB2_2404
.LBB2_354:
	s_or_b64 exec, exec, s[6:7]
	s_and_saveexec_b64 s[6:7], s[4:5]
	s_cbranch_execz .LBB2_356
.LBB2_355:
	v_mov_b32_e32 v2, 8
	v_and_b32_e32 v3, 7, v9
	v_lshrrev_b32_sdwa v2, v2, v9 dst_sel:BYTE_1 dst_unused:UNUSED_PAD src0_sel:DWORD src1_sel:DWORD
	v_ffbh_u32_e32 v4, v3
	v_or_b32_sdwa v2, v9, v2 dst_sel:DWORD dst_unused:UNUSED_PAD src0_sel:BYTE_0 src1_sel:DWORD
	v_min_u32_e32 v4, 32, v4
	v_lshrrev_b16_e32 v2, 3, v2
	v_subrev_u32_e32 v6, 28, v4
	v_and_b32_e32 v2, 15, v2
	v_lshlrev_b32_e32 v6, v6, v9
	v_sub_u32_e32 v4, 29, v4
	v_and_b32_e32 v6, 7, v6
	v_cmp_eq_u16_e32 vcc, 0, v2
	v_cndmask_b32_e32 v3, v3, v6, vcc
	v_cndmask_b32_e32 v2, v2, v4, vcc
	v_lshlrev_b32_e32 v4, 24, v9
	v_mov_b32_e32 v6, 0x3b800000
	v_lshlrev_b32_e32 v3, 20, v3
	v_and_b32_e32 v4, 0x80000000, v4
	v_lshl_add_u32 v2, v2, 23, v6
	v_or3_b32 v2, v4, v2, v3
.LBB2_356:
	s_or_b64 exec, exec, s[6:7]
	s_movk_i32 s4, 0x7f
	v_cmp_gt_i16_sdwa s[6:7], v5, s4 src0_sel:BYTE_0 src1_sel:DWORD
	s_mov_b64 s[4:5], 0
                                        ; implicit-def: $sgpr10
	s_and_saveexec_b64 s[8:9], s[6:7]
	s_xor_b64 s[6:7], exec, s[8:9]
	s_cbranch_execnz .LBB2_2405
; %bb.357:
	s_or_saveexec_b64 s[6:7], s[6:7]
	v_mov_b32_e32 v3, s10
	s_xor_b64 exec, exec, s[6:7]
	s_cbranch_execnz .LBB2_2408
.LBB2_358:
	s_or_b64 exec, exec, s[6:7]
	s_and_saveexec_b64 s[6:7], s[4:5]
	s_cbranch_execz .LBB2_360
.LBB2_359:
	v_mov_b32_e32 v3, 8
	v_and_b32_e32 v4, 7, v5
	v_lshrrev_b32_sdwa v3, v3, v5 dst_sel:BYTE_1 dst_unused:UNUSED_PAD src0_sel:DWORD src1_sel:DWORD
	v_ffbh_u32_e32 v6, v4
	v_or_b32_sdwa v3, v5, v3 dst_sel:DWORD dst_unused:UNUSED_PAD src0_sel:BYTE_0 src1_sel:DWORD
	v_min_u32_e32 v6, 32, v6
	v_lshrrev_b16_e32 v3, 3, v3
	v_subrev_u32_e32 v7, 28, v6
	v_and_b32_e32 v3, 15, v3
	v_lshlrev_b32_e32 v7, v7, v5
	v_sub_u32_e32 v6, 29, v6
	v_and_b32_e32 v7, 7, v7
	v_cmp_eq_u16_e32 vcc, 0, v3
	v_cndmask_b32_e32 v4, v4, v7, vcc
	v_cndmask_b32_e32 v3, v3, v6, vcc
	v_lshlrev_b32_e32 v6, 24, v5
	v_mov_b32_e32 v7, 0x3b800000
	v_lshlrev_b32_e32 v4, 20, v4
	v_and_b32_e32 v6, 0x80000000, v6
	v_lshl_add_u32 v3, v3, 23, v7
	v_or3_b32 v3, v6, v3, v4
.LBB2_360:
	s_or_b64 exec, exec, s[6:7]
	s_nop 0
	v_mfma_f32_16x16x4f32 a[0:3], v2, v3, a[0:3]
	v_lshrrev_b32_e32 v3, 8, v9
	s_movk_i32 s4, 0x7f
	v_cmp_gt_i16_sdwa s[6:7], v3, s4 src0_sel:BYTE_0 src1_sel:DWORD
	s_mov_b64 s[4:5], 0
                                        ; implicit-def: $sgpr10
	s_and_saveexec_b64 s[8:9], s[6:7]
	s_xor_b64 s[6:7], exec, s[8:9]
	s_cbranch_execnz .LBB2_2409
; %bb.361:
	s_or_saveexec_b64 s[6:7], s[6:7]
	v_mov_b32_e32 v2, s10
	s_xor_b64 exec, exec, s[6:7]
	s_cbranch_execnz .LBB2_2412
.LBB2_362:
	s_or_b64 exec, exec, s[6:7]
	s_and_saveexec_b64 s[6:7], s[4:5]
	s_cbranch_execz .LBB2_364
.LBB2_363:
	v_bfe_u32 v2, v9, 8, 3
	v_ffbh_u32_e32 v6, v2
	v_min_u32_e32 v6, 32, v6
	v_lshrrev_b16_e32 v4, 3, v3
	v_subrev_u32_e32 v7, 28, v6
	v_and_b32_e32 v4, 15, v4
	v_lshlrev_b32_e32 v3, v7, v3
	v_sub_u32_e32 v6, 29, v6
	v_and_b32_e32 v3, 7, v3
	v_cmp_eq_u16_e32 vcc, 0, v4
	v_cndmask_b32_e32 v2, v2, v3, vcc
	v_cndmask_b32_e32 v3, v4, v6, vcc
	v_lshlrev_b32_e32 v4, 16, v9
	v_mov_b32_e32 v6, 0x3b800000
	v_lshlrev_b32_e32 v2, 20, v2
	v_and_b32_e32 v4, 0x80000000, v4
	v_lshl_add_u32 v3, v3, 23, v6
	v_or3_b32 v2, v4, v3, v2
.LBB2_364:
	s_or_b64 exec, exec, s[6:7]
	v_lshrrev_b32_e32 v3, 8, v5
	s_movk_i32 s4, 0x7f
	v_cmp_gt_i16_sdwa s[6:7], v3, s4 src0_sel:BYTE_0 src1_sel:DWORD
	s_mov_b64 s[4:5], 0
                                        ; implicit-def: $sgpr10
	s_and_saveexec_b64 s[8:9], s[6:7]
	s_xor_b64 s[6:7], exec, s[8:9]
	s_cbranch_execnz .LBB2_2413
; %bb.365:
	s_or_saveexec_b64 s[6:7], s[6:7]
	v_mov_b32_e32 v4, s10
	s_xor_b64 exec, exec, s[6:7]
	s_cbranch_execnz .LBB2_2416
.LBB2_366:
	s_or_b64 exec, exec, s[6:7]
	s_and_saveexec_b64 s[6:7], s[4:5]
	s_cbranch_execz .LBB2_368
.LBB2_367:
	v_bfe_u32 v4, v5, 8, 3
	v_ffbh_u32_e32 v7, v4
	v_min_u32_e32 v7, 32, v7
	v_lshrrev_b16_e32 v6, 3, v3
	v_subrev_u32_e32 v8, 28, v7
	v_and_b32_e32 v6, 15, v6
	v_lshlrev_b32_e32 v3, v8, v3
	v_sub_u32_e32 v7, 29, v7
	v_and_b32_e32 v3, 7, v3
	v_cmp_eq_u16_e32 vcc, 0, v6
	v_cndmask_b32_e32 v3, v4, v3, vcc
	v_cndmask_b32_e32 v4, v6, v7, vcc
	v_lshlrev_b32_e32 v6, 16, v5
	v_mov_b32_e32 v7, 0x3b800000
	v_lshlrev_b32_e32 v3, 20, v3
	v_and_b32_e32 v6, 0x80000000, v6
	v_lshl_add_u32 v4, v4, 23, v7
	v_or3_b32 v4, v6, v4, v3
.LBB2_368:
	s_or_b64 exec, exec, s[6:7]
	s_nop 0
	v_mfma_f32_16x16x4f32 a[0:3], v2, v4, a[0:3]
	s_movk_i32 s4, 0xff
	v_and_b32_sdwa v3, v9, s4 dst_sel:DWORD dst_unused:UNUSED_PAD src0_sel:WORD_1 src1_sel:DWORD
	s_movk_i32 s4, 0x7f
	v_cmp_lt_i16_e32 vcc, s4, v3
	s_mov_b64 s[4:5], 0
                                        ; implicit-def: $sgpr10
	s_and_saveexec_b64 s[6:7], vcc
	s_xor_b64 s[6:7], exec, s[6:7]
	s_cbranch_execnz .LBB2_2417
; %bb.369:
	s_or_saveexec_b64 s[6:7], s[6:7]
	v_mov_b32_e32 v2, s10
	s_xor_b64 exec, exec, s[6:7]
	s_cbranch_execnz .LBB2_2420
.LBB2_370:
	s_or_b64 exec, exec, s[6:7]
	s_and_saveexec_b64 s[6:7], s[4:5]
	s_cbranch_execz .LBB2_372
.LBB2_371:
	v_bfe_u32 v2, v9, 16, 3
	v_ffbh_u32_e32 v6, v2
	v_min_u32_e32 v6, 32, v6
	v_lshrrev_b32_e32 v3, 19, v9
	v_subrev_u32_e32 v7, 28, v6
	v_and_b32_e32 v3, 15, v3
	v_lshlrev_b32_sdwa v7, v7, v9 dst_sel:DWORD dst_unused:UNUSED_PAD src0_sel:DWORD src1_sel:WORD_1
	v_bfe_u32 v4, v9, 19, 4
	v_sub_u32_e32 v6, 29, v6
	v_and_b32_e32 v7, 7, v7
	v_cmp_eq_u16_e32 vcc, 0, v3
	v_cndmask_b32_e32 v2, v2, v7, vcc
	v_cndmask_b32_e32 v3, v4, v6, vcc
	v_lshlrev_b32_e32 v4, 8, v9
	v_mov_b32_e32 v6, 0x3b800000
	v_lshlrev_b32_e32 v2, 20, v2
	v_and_b32_e32 v4, 0x80000000, v4
	v_lshl_add_u32 v3, v3, 23, v6
	v_or3_b32 v2, v4, v3, v2
.LBB2_372:
	s_or_b64 exec, exec, s[6:7]
	s_movk_i32 s4, 0xff
	v_and_b32_sdwa v3, v5, s4 dst_sel:DWORD dst_unused:UNUSED_PAD src0_sel:WORD_1 src1_sel:DWORD
	s_movk_i32 s4, 0x7f
	v_cmp_lt_i16_e32 vcc, s4, v3
	s_mov_b64 s[4:5], 0
                                        ; implicit-def: $sgpr10
	s_and_saveexec_b64 s[6:7], vcc
	s_xor_b64 s[6:7], exec, s[6:7]
	s_cbranch_execnz .LBB2_2421
; %bb.373:
	s_or_saveexec_b64 s[6:7], s[6:7]
	v_mov_b32_e32 v4, s10
	s_xor_b64 exec, exec, s[6:7]
	s_cbranch_execnz .LBB2_2424
.LBB2_374:
	s_or_b64 exec, exec, s[6:7]
	s_and_saveexec_b64 s[6:7], s[4:5]
	s_cbranch_execz .LBB2_376
.LBB2_375:
	v_bfe_u32 v3, v5, 16, 3
	v_ffbh_u32_e32 v7, v3
	v_min_u32_e32 v7, 32, v7
	v_lshrrev_b32_e32 v4, 19, v5
	v_subrev_u32_e32 v8, 28, v7
	v_and_b32_e32 v4, 15, v4
	v_lshlrev_b32_sdwa v8, v8, v5 dst_sel:DWORD dst_unused:UNUSED_PAD src0_sel:DWORD src1_sel:WORD_1
	v_bfe_u32 v6, v5, 19, 4
	v_sub_u32_e32 v7, 29, v7
	v_and_b32_e32 v8, 7, v8
	v_cmp_eq_u16_e32 vcc, 0, v4
	v_cndmask_b32_e32 v3, v3, v8, vcc
	v_cndmask_b32_e32 v4, v6, v7, vcc
	v_lshlrev_b32_e32 v6, 8, v5
	v_mov_b32_e32 v7, 0x3b800000
	v_lshlrev_b32_e32 v3, 20, v3
	v_and_b32_e32 v6, 0x80000000, v6
	v_lshl_add_u32 v4, v4, 23, v7
	v_or3_b32 v4, v6, v4, v3
.LBB2_376:
	s_or_b64 exec, exec, s[6:7]
	s_nop 0
	v_mfma_f32_16x16x4f32 a[0:3], v2, v4, a[0:3]
	s_movk_i32 s4, 0x7f
	v_cmp_gt_i16_sdwa s[6:7], v9, s4 src0_sel:BYTE_3 src1_sel:DWORD
	s_mov_b64 s[4:5], 0
                                        ; implicit-def: $sgpr10
	s_and_saveexec_b64 s[8:9], s[6:7]
	s_xor_b64 s[6:7], exec, s[8:9]
	s_cbranch_execnz .LBB2_2425
; %bb.377:
	s_or_saveexec_b64 s[6:7], s[6:7]
	v_mov_b32_e32 v2, s10
	s_xor_b64 exec, exec, s[6:7]
	s_cbranch_execnz .LBB2_2428
.LBB2_378:
	s_or_b64 exec, exec, s[6:7]
	s_and_saveexec_b64 s[6:7], s[4:5]
	s_cbranch_execz .LBB2_380
.LBB2_379:
	v_bfe_u32 v2, v9, 24, 3
	v_ffbh_u32_e32 v7, v2
	v_min_u32_e32 v7, 32, v7
	v_lshrrev_b32_e32 v4, 27, v9
	v_subrev_u32_e32 v8, 28, v7
	v_and_b32_e32 v4, 15, v4
	v_lshlrev_b32_sdwa v8, v8, v9 dst_sel:DWORD dst_unused:UNUSED_PAD src0_sel:DWORD src1_sel:BYTE_3
	v_bfe_u32 v6, v9, 27, 4
	v_sub_u32_e32 v7, 29, v7
	v_and_b32_e32 v8, 7, v8
	v_cmp_eq_u16_e32 vcc, 0, v4
	v_cndmask_b32_e32 v2, v2, v8, vcc
	v_cndmask_b32_e32 v4, v6, v7, vcc
	v_mov_b32_e32 v6, 0x3b800000
	v_and_b32_e32 v3, 0x80000000, v9
	v_lshlrev_b32_e32 v2, 20, v2
	v_lshl_add_u32 v4, v4, 23, v6
	v_or3_b32 v2, v3, v4, v2
.LBB2_380:
	s_or_b64 exec, exec, s[6:7]
	s_movk_i32 s4, 0x7f
	v_cmp_gt_i16_sdwa s[6:7], v5, s4 src0_sel:BYTE_3 src1_sel:DWORD
	s_mov_b64 s[4:5], 0
                                        ; implicit-def: $sgpr10
	s_and_saveexec_b64 s[8:9], s[6:7]
	s_xor_b64 s[6:7], exec, s[8:9]
	s_cbranch_execnz .LBB2_2429
; %bb.381:
	s_or_saveexec_b64 s[6:7], s[6:7]
	v_mov_b32_e32 v3, s10
	s_xor_b64 exec, exec, s[6:7]
	s_cbranch_execnz .LBB2_2432
.LBB2_382:
	s_or_b64 exec, exec, s[6:7]
	s_and_saveexec_b64 s[6:7], s[4:5]
	s_cbranch_execz .LBB2_384
.LBB2_383:
	v_bfe_u32 v3, v5, 24, 3
	v_ffbh_u32_e32 v8, v3
	v_min_u32_e32 v8, 32, v8
	v_lshrrev_b32_e32 v6, 27, v5
	v_subrev_u32_e32 v9, 28, v8
	v_and_b32_e32 v4, 0x80000000, v5
	v_and_b32_e32 v6, 15, v6
	v_bfe_u32 v7, v5, 27, 4
	v_lshlrev_b32_sdwa v5, v9, v5 dst_sel:DWORD dst_unused:UNUSED_PAD src0_sel:DWORD src1_sel:BYTE_3
	v_sub_u32_e32 v8, 29, v8
	v_and_b32_e32 v5, 7, v5
	v_cmp_eq_u16_e32 vcc, 0, v6
	v_cndmask_b32_e32 v3, v3, v5, vcc
	v_cndmask_b32_e32 v5, v7, v8, vcc
	v_mov_b32_e32 v6, 0x3b800000
	v_lshlrev_b32_e32 v3, 20, v3
	v_lshl_add_u32 v5, v5, 23, v6
	v_or3_b32 v3, v4, v5, v3
.LBB2_384:
	s_or_b64 exec, exec, s[6:7]
	s_nop 0
	v_mfma_f32_16x16x4f32 a[0:3], v2, v3, a[0:3]
	s_movk_i32 s4, 0x7f
                                        ; implicit-def: $sgpr10
	s_nop 7
	s_nop 1
	flat_store_dwordx4 v[10:11], a[0:3] offset:32
	flat_load_dwordx4 v[12:15], v[0:1] offset:8
	s_nop 0
	flat_load_dwordx2 v[10:11], v[0:1] offset:32
	s_waitcnt vmcnt(0) lgkmcnt(0)
	flat_load_dwordx4 v[6:9], v[12:13] offset:16
	flat_load_dwordx4 v[2:5], v[14:15] offset:112
	s_waitcnt vmcnt(0) lgkmcnt(0)
	v_cmp_gt_i16_sdwa s[6:7], v6, s4 src0_sel:BYTE_0 src1_sel:DWORD
	s_mov_b64 s[4:5], 0
	s_and_saveexec_b64 s[8:9], s[6:7]
	s_xor_b64 s[6:7], exec, s[8:9]
	s_cbranch_execnz .LBB2_2433
; %bb.385:
	s_or_saveexec_b64 s[6:7], s[6:7]
	v_mov_b32_e32 v12, s10
	s_xor_b64 exec, exec, s[6:7]
	s_cbranch_execnz .LBB2_2436
.LBB2_386:
	s_or_b64 exec, exec, s[6:7]
	s_and_saveexec_b64 s[6:7], s[4:5]
	s_cbranch_execz .LBB2_388
.LBB2_387:
	v_and_b32_e32 v12, 7, v6
	v_ffbh_u32_e32 v14, v12
	v_min_u32_e32 v14, 32, v14
	v_lshrrev_b16_e32 v13, 3, v6
	v_subrev_u32_e32 v15, 28, v14
	v_and_b32_e32 v13, 15, v13
	v_lshlrev_b32_e32 v15, v15, v6
	v_sub_u32_e32 v14, 29, v14
	v_and_b32_e32 v15, 7, v15
	v_cmp_eq_u16_e32 vcc, 0, v13
	v_cndmask_b32_e32 v12, v12, v15, vcc
	v_cndmask_b32_e32 v13, v13, v14, vcc
	v_lshlrev_b32_e32 v14, 24, v6
	v_mov_b32_e32 v15, 0x3b800000
	v_lshlrev_b32_e32 v12, 20, v12
	v_and_b32_e32 v14, 0x80000000, v14
	v_lshl_add_u32 v13, v13, 23, v15
	v_or3_b32 v12, v14, v13, v12
.LBB2_388:
	s_or_b64 exec, exec, s[6:7]
	s_movk_i32 s4, 0x7f
	v_cmp_gt_i16_sdwa s[6:7], v2, s4 src0_sel:BYTE_0 src1_sel:DWORD
	s_mov_b64 s[4:5], 0
                                        ; implicit-def: $sgpr10
	s_and_saveexec_b64 s[8:9], s[6:7]
	s_xor_b64 s[6:7], exec, s[8:9]
	s_cbranch_execnz .LBB2_2437
; %bb.389:
	s_or_saveexec_b64 s[6:7], s[6:7]
	v_mov_b32_e32 v13, s10
	s_xor_b64 exec, exec, s[6:7]
	s_cbranch_execnz .LBB2_2440
.LBB2_390:
	s_or_b64 exec, exec, s[6:7]
	s_and_saveexec_b64 s[6:7], s[4:5]
	s_cbranch_execz .LBB2_392
.LBB2_391:
	v_and_b32_e32 v13, 7, v2
	v_ffbh_u32_e32 v15, v13
	v_min_u32_e32 v15, 32, v15
	v_lshrrev_b16_e32 v14, 3, v2
	v_subrev_u32_e32 v16, 28, v15
	v_and_b32_e32 v14, 15, v14
	v_lshlrev_b32_e32 v16, v16, v2
	v_sub_u32_e32 v15, 29, v15
	v_and_b32_e32 v16, 7, v16
	v_cmp_eq_u16_e32 vcc, 0, v14
	v_cndmask_b32_e32 v13, v13, v16, vcc
	v_cndmask_b32_e32 v14, v14, v15, vcc
	v_lshlrev_b32_e32 v15, 24, v2
	v_mov_b32_e32 v16, 0x3b800000
	v_lshlrev_b32_e32 v13, 20, v13
	v_and_b32_e32 v15, 0x80000000, v15
	v_lshl_add_u32 v14, v14, 23, v16
	v_or3_b32 v13, v15, v14, v13
.LBB2_392:
	s_or_b64 exec, exec, s[6:7]
	flat_load_dwordx4 a[0:3], v[10:11] offset:48
	s_movk_i32 s4, 0x7f
                                        ; implicit-def: $sgpr10
	s_waitcnt vmcnt(0) lgkmcnt(0)
	v_mfma_f32_16x16x4f32 a[0:3], v12, v13, a[0:3]
	v_lshrrev_b32_e32 v13, 8, v6
	v_cmp_gt_i16_sdwa s[6:7], v13, s4 src0_sel:BYTE_0 src1_sel:DWORD
	s_mov_b64 s[4:5], 0
	s_and_saveexec_b64 s[8:9], s[6:7]
	s_xor_b64 s[6:7], exec, s[8:9]
	s_cbranch_execnz .LBB2_2441
; %bb.393:
	s_or_saveexec_b64 s[6:7], s[6:7]
	v_mov_b32_e32 v12, s10
	s_xor_b64 exec, exec, s[6:7]
	s_cbranch_execnz .LBB2_2444
.LBB2_394:
	s_or_b64 exec, exec, s[6:7]
	s_and_saveexec_b64 s[6:7], s[4:5]
	s_cbranch_execz .LBB2_396
.LBB2_395:
	v_bfe_u32 v12, v6, 8, 3
	v_ffbh_u32_e32 v15, v12
	v_min_u32_e32 v15, 32, v15
	v_lshrrev_b16_e32 v14, 3, v13
	v_subrev_u32_e32 v16, 28, v15
	v_and_b32_e32 v14, 15, v14
	v_lshlrev_b32_e32 v13, v16, v13
	v_sub_u32_e32 v15, 29, v15
	v_and_b32_e32 v13, 7, v13
	v_cmp_eq_u16_e32 vcc, 0, v14
	v_cndmask_b32_e32 v12, v12, v13, vcc
	v_cndmask_b32_e32 v13, v14, v15, vcc
	v_lshlrev_b32_e32 v14, 16, v6
	v_mov_b32_e32 v15, 0x3b800000
	v_lshlrev_b32_e32 v12, 20, v12
	v_and_b32_e32 v14, 0x80000000, v14
	v_lshl_add_u32 v13, v13, 23, v15
	v_or3_b32 v12, v14, v13, v12
.LBB2_396:
	s_or_b64 exec, exec, s[6:7]
	v_lshrrev_b32_e32 v13, 8, v2
	s_movk_i32 s4, 0x7f
	v_cmp_gt_i16_sdwa s[6:7], v13, s4 src0_sel:BYTE_0 src1_sel:DWORD
	s_mov_b64 s[4:5], 0
                                        ; implicit-def: $sgpr10
	s_and_saveexec_b64 s[8:9], s[6:7]
	s_xor_b64 s[6:7], exec, s[8:9]
	s_cbranch_execnz .LBB2_2445
; %bb.397:
	s_or_saveexec_b64 s[6:7], s[6:7]
	v_mov_b32_e32 v14, s10
	s_xor_b64 exec, exec, s[6:7]
	s_cbranch_execnz .LBB2_2448
.LBB2_398:
	s_or_b64 exec, exec, s[6:7]
	s_and_saveexec_b64 s[6:7], s[4:5]
	s_cbranch_execz .LBB2_400
.LBB2_399:
	v_bfe_u32 v14, v2, 8, 3
	v_ffbh_u32_e32 v16, v14
	v_min_u32_e32 v16, 32, v16
	v_lshrrev_b16_e32 v15, 3, v13
	v_subrev_u32_e32 v17, 28, v16
	v_and_b32_e32 v15, 15, v15
	v_lshlrev_b32_e32 v13, v17, v13
	v_sub_u32_e32 v16, 29, v16
	v_and_b32_e32 v13, 7, v13
	v_cmp_eq_u16_e32 vcc, 0, v15
	v_cndmask_b32_e32 v13, v14, v13, vcc
	v_cndmask_b32_e32 v14, v15, v16, vcc
	v_lshlrev_b32_e32 v15, 16, v2
	v_mov_b32_e32 v16, 0x3b800000
	v_lshlrev_b32_e32 v13, 20, v13
	v_and_b32_e32 v15, 0x80000000, v15
	v_lshl_add_u32 v14, v14, 23, v16
	v_or3_b32 v14, v15, v14, v13
.LBB2_400:
	s_or_b64 exec, exec, s[6:7]
	s_nop 0
	v_mfma_f32_16x16x4f32 a[0:3], v12, v14, a[0:3]
	s_movk_i32 s4, 0xff
	v_and_b32_sdwa v13, v6, s4 dst_sel:DWORD dst_unused:UNUSED_PAD src0_sel:WORD_1 src1_sel:DWORD
	s_movk_i32 s4, 0x7f
	v_cmp_lt_i16_e32 vcc, s4, v13
	s_mov_b64 s[4:5], 0
                                        ; implicit-def: $sgpr10
	s_and_saveexec_b64 s[6:7], vcc
	s_xor_b64 s[6:7], exec, s[6:7]
	s_cbranch_execnz .LBB2_2449
; %bb.401:
	s_or_saveexec_b64 s[6:7], s[6:7]
	v_mov_b32_e32 v12, s10
	s_xor_b64 exec, exec, s[6:7]
	s_cbranch_execnz .LBB2_2452
.LBB2_402:
	s_or_b64 exec, exec, s[6:7]
	s_and_saveexec_b64 s[6:7], s[4:5]
	s_cbranch_execz .LBB2_404
.LBB2_403:
	v_bfe_u32 v12, v6, 16, 3
	v_ffbh_u32_e32 v15, v12
	v_min_u32_e32 v15, 32, v15
	v_lshrrev_b32_e32 v13, 19, v6
	v_subrev_u32_e32 v16, 28, v15
	v_and_b32_e32 v13, 15, v13
	v_lshlrev_b32_sdwa v16, v16, v6 dst_sel:DWORD dst_unused:UNUSED_PAD src0_sel:DWORD src1_sel:WORD_1
	v_bfe_u32 v14, v6, 19, 4
	v_sub_u32_e32 v15, 29, v15
	v_and_b32_e32 v16, 7, v16
	v_cmp_eq_u16_e32 vcc, 0, v13
	v_cndmask_b32_e32 v12, v12, v16, vcc
	v_cndmask_b32_e32 v13, v14, v15, vcc
	v_lshlrev_b32_e32 v14, 8, v6
	v_mov_b32_e32 v15, 0x3b800000
	v_lshlrev_b32_e32 v12, 20, v12
	v_and_b32_e32 v14, 0x80000000, v14
	v_lshl_add_u32 v13, v13, 23, v15
	v_or3_b32 v12, v14, v13, v12
.LBB2_404:
	s_or_b64 exec, exec, s[6:7]
	s_movk_i32 s4, 0xff
	v_and_b32_sdwa v13, v2, s4 dst_sel:DWORD dst_unused:UNUSED_PAD src0_sel:WORD_1 src1_sel:DWORD
	s_movk_i32 s4, 0x7f
	v_cmp_lt_i16_e32 vcc, s4, v13
	s_mov_b64 s[4:5], 0
                                        ; implicit-def: $sgpr10
	s_and_saveexec_b64 s[6:7], vcc
	s_xor_b64 s[6:7], exec, s[6:7]
	s_cbranch_execnz .LBB2_2453
; %bb.405:
	s_or_saveexec_b64 s[6:7], s[6:7]
	v_mov_b32_e32 v14, s10
	s_xor_b64 exec, exec, s[6:7]
	s_cbranch_execnz .LBB2_2456
.LBB2_406:
	s_or_b64 exec, exec, s[6:7]
	s_and_saveexec_b64 s[6:7], s[4:5]
	s_cbranch_execz .LBB2_408
.LBB2_407:
	v_bfe_u32 v13, v2, 16, 3
	v_ffbh_u32_e32 v16, v13
	v_min_u32_e32 v16, 32, v16
	v_lshrrev_b32_e32 v14, 19, v2
	v_subrev_u32_e32 v17, 28, v16
	v_and_b32_e32 v14, 15, v14
	v_lshlrev_b32_sdwa v17, v17, v2 dst_sel:DWORD dst_unused:UNUSED_PAD src0_sel:DWORD src1_sel:WORD_1
	v_bfe_u32 v15, v2, 19, 4
	v_sub_u32_e32 v16, 29, v16
	v_and_b32_e32 v17, 7, v17
	v_cmp_eq_u16_e32 vcc, 0, v14
	v_cndmask_b32_e32 v13, v13, v17, vcc
	v_cndmask_b32_e32 v14, v15, v16, vcc
	v_lshlrev_b32_e32 v15, 8, v2
	v_mov_b32_e32 v16, 0x3b800000
	v_lshlrev_b32_e32 v13, 20, v13
	v_and_b32_e32 v15, 0x80000000, v15
	v_lshl_add_u32 v14, v14, 23, v16
	v_or3_b32 v14, v15, v14, v13
.LBB2_408:
	s_or_b64 exec, exec, s[6:7]
	s_nop 0
	v_mfma_f32_16x16x4f32 a[0:3], v12, v14, a[0:3]
	s_movk_i32 s4, 0x7f
	v_cmp_gt_i16_sdwa s[6:7], v6, s4 src0_sel:BYTE_3 src1_sel:DWORD
	s_mov_b64 s[4:5], 0
                                        ; implicit-def: $sgpr10
	s_and_saveexec_b64 s[8:9], s[6:7]
	s_xor_b64 s[6:7], exec, s[8:9]
	s_cbranch_execnz .LBB2_2457
; %bb.409:
	s_or_saveexec_b64 s[6:7], s[6:7]
	v_mov_b32_e32 v12, s10
	s_xor_b64 exec, exec, s[6:7]
	s_cbranch_execnz .LBB2_2460
.LBB2_410:
	s_or_b64 exec, exec, s[6:7]
	s_and_saveexec_b64 s[6:7], s[4:5]
	s_cbranch_execz .LBB2_412
.LBB2_411:
	v_bfe_u32 v12, v6, 24, 3
	v_ffbh_u32_e32 v16, v12
	v_min_u32_e32 v16, 32, v16
	v_lshrrev_b32_e32 v14, 27, v6
	v_subrev_u32_e32 v17, 28, v16
	v_and_b32_e32 v13, 0x80000000, v6
	v_and_b32_e32 v14, 15, v14
	v_bfe_u32 v15, v6, 27, 4
	v_lshlrev_b32_sdwa v6, v17, v6 dst_sel:DWORD dst_unused:UNUSED_PAD src0_sel:DWORD src1_sel:BYTE_3
	v_sub_u32_e32 v16, 29, v16
	v_and_b32_e32 v6, 7, v6
	v_cmp_eq_u16_e32 vcc, 0, v14
	v_cndmask_b32_e32 v6, v12, v6, vcc
	v_cndmask_b32_e32 v12, v15, v16, vcc
	v_mov_b32_e32 v14, 0x3b800000
	v_lshlrev_b32_e32 v6, 20, v6
	v_lshl_add_u32 v12, v12, 23, v14
	v_or3_b32 v12, v13, v12, v6
.LBB2_412:
	s_or_b64 exec, exec, s[6:7]
	s_movk_i32 s4, 0x7f
	v_cmp_gt_i16_sdwa s[6:7], v2, s4 src0_sel:BYTE_3 src1_sel:DWORD
	s_mov_b64 s[4:5], 0
                                        ; implicit-def: $sgpr10
	s_and_saveexec_b64 s[8:9], s[6:7]
	s_xor_b64 s[6:7], exec, s[8:9]
	s_cbranch_execnz .LBB2_2461
; %bb.413:
	s_or_saveexec_b64 s[6:7], s[6:7]
	v_mov_b32_e32 v6, s10
	s_xor_b64 exec, exec, s[6:7]
	s_cbranch_execnz .LBB2_2464
.LBB2_414:
	s_or_b64 exec, exec, s[6:7]
	s_and_saveexec_b64 s[6:7], s[4:5]
	s_cbranch_execz .LBB2_416
.LBB2_415:
	v_bfe_u32 v6, v2, 24, 3
	v_ffbh_u32_e32 v16, v6
	v_min_u32_e32 v16, 32, v16
	v_lshrrev_b32_e32 v14, 27, v2
	v_subrev_u32_e32 v17, 28, v16
	v_and_b32_e32 v13, 0x80000000, v2
	v_and_b32_e32 v14, 15, v14
	v_bfe_u32 v15, v2, 27, 4
	v_lshlrev_b32_sdwa v2, v17, v2 dst_sel:DWORD dst_unused:UNUSED_PAD src0_sel:DWORD src1_sel:BYTE_3
	v_sub_u32_e32 v16, 29, v16
	v_and_b32_e32 v2, 7, v2
	v_cmp_eq_u16_e32 vcc, 0, v14
	v_cndmask_b32_e32 v2, v6, v2, vcc
	v_cndmask_b32_e32 v6, v15, v16, vcc
	v_mov_b32_e32 v14, 0x3b800000
	v_lshlrev_b32_e32 v2, 20, v2
	v_lshl_add_u32 v6, v6, 23, v14
	v_or3_b32 v6, v13, v6, v2
.LBB2_416:
	s_or_b64 exec, exec, s[6:7]
	s_nop 0
	v_mfma_f32_16x16x4f32 a[0:3], v12, v6, a[0:3]
	s_movk_i32 s4, 0x7f
	v_cmp_gt_i16_sdwa s[6:7], v7, s4 src0_sel:BYTE_0 src1_sel:DWORD
	s_mov_b64 s[4:5], 0
                                        ; implicit-def: $sgpr10
	s_and_saveexec_b64 s[8:9], s[6:7]
	s_xor_b64 s[6:7], exec, s[8:9]
	s_cbranch_execnz .LBB2_2465
; %bb.417:
	s_or_saveexec_b64 s[6:7], s[6:7]
	v_mov_b32_e32 v2, s10
	s_xor_b64 exec, exec, s[6:7]
	s_cbranch_execnz .LBB2_2468
.LBB2_418:
	s_or_b64 exec, exec, s[6:7]
	s_and_saveexec_b64 s[6:7], s[4:5]
	s_cbranch_execz .LBB2_420
.LBB2_419:
	v_and_b32_e32 v2, 7, v7
	v_ffbh_u32_e32 v12, v2
	v_min_u32_e32 v12, 32, v12
	v_lshrrev_b16_e32 v6, 3, v7
	v_subrev_u32_e32 v13, 28, v12
	v_and_b32_e32 v6, 15, v6
	v_lshlrev_b32_e32 v13, v13, v7
	v_sub_u32_e32 v12, 29, v12
	v_and_b32_e32 v13, 7, v13
	v_cmp_eq_u16_e32 vcc, 0, v6
	v_cndmask_b32_e32 v2, v2, v13, vcc
	v_cndmask_b32_e32 v6, v6, v12, vcc
	v_lshlrev_b32_e32 v12, 24, v7
	v_mov_b32_e32 v13, 0x3b800000
	v_lshlrev_b32_e32 v2, 20, v2
	v_and_b32_e32 v12, 0x80000000, v12
	v_lshl_add_u32 v6, v6, 23, v13
	v_or3_b32 v2, v12, v6, v2
.LBB2_420:
	s_or_b64 exec, exec, s[6:7]
	s_movk_i32 s4, 0x7f
	v_cmp_gt_i16_sdwa s[6:7], v3, s4 src0_sel:BYTE_0 src1_sel:DWORD
	s_mov_b64 s[4:5], 0
                                        ; implicit-def: $sgpr10
	s_and_saveexec_b64 s[8:9], s[6:7]
	s_xor_b64 s[6:7], exec, s[8:9]
	s_cbranch_execnz .LBB2_2469
; %bb.421:
	s_or_saveexec_b64 s[6:7], s[6:7]
	v_mov_b32_e32 v6, s10
	s_xor_b64 exec, exec, s[6:7]
	s_cbranch_execnz .LBB2_2472
.LBB2_422:
	s_or_b64 exec, exec, s[6:7]
	s_and_saveexec_b64 s[6:7], s[4:5]
	s_cbranch_execz .LBB2_424
.LBB2_423:
	v_and_b32_e32 v6, 7, v3
	v_ffbh_u32_e32 v13, v6
	v_min_u32_e32 v13, 32, v13
	v_lshrrev_b16_e32 v12, 3, v3
	v_subrev_u32_e32 v14, 28, v13
	v_and_b32_e32 v12, 15, v12
	v_lshlrev_b32_e32 v14, v14, v3
	v_sub_u32_e32 v13, 29, v13
	v_and_b32_e32 v14, 7, v14
	v_cmp_eq_u16_e32 vcc, 0, v12
	v_cndmask_b32_e32 v6, v6, v14, vcc
	v_cndmask_b32_e32 v12, v12, v13, vcc
	v_lshlrev_b32_e32 v13, 24, v3
	v_mov_b32_e32 v14, 0x3b800000
	v_lshlrev_b32_e32 v6, 20, v6
	v_and_b32_e32 v13, 0x80000000, v13
	v_lshl_add_u32 v12, v12, 23, v14
	v_or3_b32 v6, v13, v12, v6
.LBB2_424:
	s_or_b64 exec, exec, s[6:7]
	s_nop 0
	v_mfma_f32_16x16x4f32 a[0:3], v2, v6, a[0:3]
	v_lshrrev_b32_e32 v6, 8, v7
	s_movk_i32 s4, 0x7f
	v_cmp_gt_i16_sdwa s[6:7], v6, s4 src0_sel:BYTE_0 src1_sel:DWORD
	s_mov_b64 s[4:5], 0
                                        ; implicit-def: $sgpr10
	s_and_saveexec_b64 s[8:9], s[6:7]
	s_xor_b64 s[6:7], exec, s[8:9]
	s_cbranch_execnz .LBB2_2473
; %bb.425:
	s_or_saveexec_b64 s[6:7], s[6:7]
	v_mov_b32_e32 v2, s10
	s_xor_b64 exec, exec, s[6:7]
	s_cbranch_execnz .LBB2_2476
.LBB2_426:
	s_or_b64 exec, exec, s[6:7]
	s_and_saveexec_b64 s[6:7], s[4:5]
	s_cbranch_execz .LBB2_428
.LBB2_427:
	v_bfe_u32 v2, v7, 8, 3
	v_ffbh_u32_e32 v13, v2
	v_min_u32_e32 v13, 32, v13
	v_lshrrev_b16_e32 v12, 3, v6
	v_subrev_u32_e32 v14, 28, v13
	v_and_b32_e32 v12, 15, v12
	v_lshlrev_b32_e32 v6, v14, v6
	v_sub_u32_e32 v13, 29, v13
	v_and_b32_e32 v6, 7, v6
	v_cmp_eq_u16_e32 vcc, 0, v12
	v_cndmask_b32_e32 v2, v2, v6, vcc
	v_cndmask_b32_e32 v6, v12, v13, vcc
	v_lshlrev_b32_e32 v12, 16, v7
	v_mov_b32_e32 v13, 0x3b800000
	v_lshlrev_b32_e32 v2, 20, v2
	v_and_b32_e32 v12, 0x80000000, v12
	v_lshl_add_u32 v6, v6, 23, v13
	v_or3_b32 v2, v12, v6, v2
.LBB2_428:
	s_or_b64 exec, exec, s[6:7]
	v_lshrrev_b32_e32 v6, 8, v3
	s_movk_i32 s4, 0x7f
	v_cmp_gt_i16_sdwa s[6:7], v6, s4 src0_sel:BYTE_0 src1_sel:DWORD
	s_mov_b64 s[4:5], 0
                                        ; implicit-def: $sgpr10
	s_and_saveexec_b64 s[8:9], s[6:7]
	s_xor_b64 s[6:7], exec, s[8:9]
	s_cbranch_execnz .LBB2_2477
; %bb.429:
	s_or_saveexec_b64 s[6:7], s[6:7]
	v_mov_b32_e32 v12, s10
	s_xor_b64 exec, exec, s[6:7]
	s_cbranch_execnz .LBB2_2480
.LBB2_430:
	s_or_b64 exec, exec, s[6:7]
	s_and_saveexec_b64 s[6:7], s[4:5]
	s_cbranch_execz .LBB2_432
.LBB2_431:
	v_bfe_u32 v12, v3, 8, 3
	v_ffbh_u32_e32 v14, v12
	v_min_u32_e32 v14, 32, v14
	v_lshrrev_b16_e32 v13, 3, v6
	v_subrev_u32_e32 v15, 28, v14
	v_and_b32_e32 v13, 15, v13
	v_lshlrev_b32_e32 v6, v15, v6
	v_sub_u32_e32 v14, 29, v14
	v_and_b32_e32 v6, 7, v6
	v_cmp_eq_u16_e32 vcc, 0, v13
	v_cndmask_b32_e32 v6, v12, v6, vcc
	v_cndmask_b32_e32 v12, v13, v14, vcc
	v_lshlrev_b32_e32 v13, 16, v3
	v_mov_b32_e32 v14, 0x3b800000
	v_lshlrev_b32_e32 v6, 20, v6
	v_and_b32_e32 v13, 0x80000000, v13
	v_lshl_add_u32 v12, v12, 23, v14
	v_or3_b32 v12, v13, v12, v6
.LBB2_432:
	s_or_b64 exec, exec, s[6:7]
	s_nop 0
	v_mfma_f32_16x16x4f32 a[0:3], v2, v12, a[0:3]
	s_movk_i32 s4, 0xff
	v_and_b32_sdwa v6, v7, s4 dst_sel:DWORD dst_unused:UNUSED_PAD src0_sel:WORD_1 src1_sel:DWORD
	s_movk_i32 s4, 0x7f
	v_cmp_lt_i16_e32 vcc, s4, v6
	s_mov_b64 s[4:5], 0
                                        ; implicit-def: $sgpr10
	s_and_saveexec_b64 s[6:7], vcc
	s_xor_b64 s[6:7], exec, s[6:7]
	s_cbranch_execnz .LBB2_2481
; %bb.433:
	s_or_saveexec_b64 s[6:7], s[6:7]
	v_mov_b32_e32 v2, s10
	s_xor_b64 exec, exec, s[6:7]
	s_cbranch_execnz .LBB2_2484
.LBB2_434:
	s_or_b64 exec, exec, s[6:7]
	s_and_saveexec_b64 s[6:7], s[4:5]
	s_cbranch_execz .LBB2_436
.LBB2_435:
	v_bfe_u32 v2, v7, 16, 3
	v_ffbh_u32_e32 v13, v2
	v_min_u32_e32 v13, 32, v13
	v_lshrrev_b32_e32 v6, 19, v7
	v_subrev_u32_e32 v14, 28, v13
	v_and_b32_e32 v6, 15, v6
	v_lshlrev_b32_sdwa v14, v14, v7 dst_sel:DWORD dst_unused:UNUSED_PAD src0_sel:DWORD src1_sel:WORD_1
	v_bfe_u32 v12, v7, 19, 4
	v_sub_u32_e32 v13, 29, v13
	v_and_b32_e32 v14, 7, v14
	v_cmp_eq_u16_e32 vcc, 0, v6
	v_cndmask_b32_e32 v2, v2, v14, vcc
	v_cndmask_b32_e32 v6, v12, v13, vcc
	v_lshlrev_b32_e32 v12, 8, v7
	v_mov_b32_e32 v13, 0x3b800000
	v_lshlrev_b32_e32 v2, 20, v2
	v_and_b32_e32 v12, 0x80000000, v12
	v_lshl_add_u32 v6, v6, 23, v13
	v_or3_b32 v2, v12, v6, v2
.LBB2_436:
	s_or_b64 exec, exec, s[6:7]
	s_movk_i32 s4, 0xff
	v_and_b32_sdwa v6, v3, s4 dst_sel:DWORD dst_unused:UNUSED_PAD src0_sel:WORD_1 src1_sel:DWORD
	s_movk_i32 s4, 0x7f
	v_cmp_lt_i16_e32 vcc, s4, v6
	s_mov_b64 s[4:5], 0
                                        ; implicit-def: $sgpr10
	s_and_saveexec_b64 s[6:7], vcc
	s_xor_b64 s[6:7], exec, s[6:7]
	s_cbranch_execnz .LBB2_2485
; %bb.437:
	s_or_saveexec_b64 s[6:7], s[6:7]
	v_mov_b32_e32 v12, s10
	s_xor_b64 exec, exec, s[6:7]
	s_cbranch_execnz .LBB2_2488
.LBB2_438:
	s_or_b64 exec, exec, s[6:7]
	s_and_saveexec_b64 s[6:7], s[4:5]
	s_cbranch_execz .LBB2_440
.LBB2_439:
	v_bfe_u32 v6, v3, 16, 3
	v_ffbh_u32_e32 v14, v6
	v_min_u32_e32 v14, 32, v14
	v_lshrrev_b32_e32 v12, 19, v3
	v_subrev_u32_e32 v15, 28, v14
	v_and_b32_e32 v12, 15, v12
	v_lshlrev_b32_sdwa v15, v15, v3 dst_sel:DWORD dst_unused:UNUSED_PAD src0_sel:DWORD src1_sel:WORD_1
	v_bfe_u32 v13, v3, 19, 4
	v_sub_u32_e32 v14, 29, v14
	v_and_b32_e32 v15, 7, v15
	v_cmp_eq_u16_e32 vcc, 0, v12
	v_cndmask_b32_e32 v6, v6, v15, vcc
	v_cndmask_b32_e32 v12, v13, v14, vcc
	v_lshlrev_b32_e32 v13, 8, v3
	v_mov_b32_e32 v14, 0x3b800000
	v_lshlrev_b32_e32 v6, 20, v6
	v_and_b32_e32 v13, 0x80000000, v13
	v_lshl_add_u32 v12, v12, 23, v14
	v_or3_b32 v12, v13, v12, v6
.LBB2_440:
	s_or_b64 exec, exec, s[6:7]
	s_nop 0
	v_mfma_f32_16x16x4f32 a[0:3], v2, v12, a[0:3]
	s_movk_i32 s4, 0x7f
	v_cmp_gt_i16_sdwa s[6:7], v7, s4 src0_sel:BYTE_3 src1_sel:DWORD
	s_mov_b64 s[4:5], 0
                                        ; implicit-def: $sgpr10
	s_and_saveexec_b64 s[8:9], s[6:7]
	s_xor_b64 s[6:7], exec, s[8:9]
	s_cbranch_execnz .LBB2_2489
; %bb.441:
	s_or_saveexec_b64 s[6:7], s[6:7]
	v_mov_b32_e32 v2, s10
	s_xor_b64 exec, exec, s[6:7]
	s_cbranch_execnz .LBB2_2492
.LBB2_442:
	s_or_b64 exec, exec, s[6:7]
	s_and_saveexec_b64 s[6:7], s[4:5]
	s_cbranch_execz .LBB2_444
.LBB2_443:
	v_bfe_u32 v2, v7, 24, 3
	v_ffbh_u32_e32 v14, v2
	v_min_u32_e32 v14, 32, v14
	v_lshrrev_b32_e32 v12, 27, v7
	v_subrev_u32_e32 v15, 28, v14
	v_and_b32_e32 v6, 0x80000000, v7
	v_and_b32_e32 v12, 15, v12
	v_bfe_u32 v13, v7, 27, 4
	v_lshlrev_b32_sdwa v7, v15, v7 dst_sel:DWORD dst_unused:UNUSED_PAD src0_sel:DWORD src1_sel:BYTE_3
	v_sub_u32_e32 v14, 29, v14
	v_and_b32_e32 v7, 7, v7
	v_cmp_eq_u16_e32 vcc, 0, v12
	v_cndmask_b32_e32 v2, v2, v7, vcc
	v_cndmask_b32_e32 v7, v13, v14, vcc
	v_mov_b32_e32 v12, 0x3b800000
	v_lshlrev_b32_e32 v2, 20, v2
	v_lshl_add_u32 v7, v7, 23, v12
	v_or3_b32 v2, v6, v7, v2
.LBB2_444:
	s_or_b64 exec, exec, s[6:7]
	s_movk_i32 s4, 0x7f
	v_cmp_gt_i16_sdwa s[6:7], v3, s4 src0_sel:BYTE_3 src1_sel:DWORD
	s_mov_b64 s[4:5], 0
                                        ; implicit-def: $sgpr10
	s_and_saveexec_b64 s[8:9], s[6:7]
	s_xor_b64 s[6:7], exec, s[8:9]
	s_cbranch_execnz .LBB2_2493
; %bb.445:
	s_or_saveexec_b64 s[6:7], s[6:7]
	v_mov_b32_e32 v6, s10
	s_xor_b64 exec, exec, s[6:7]
	s_cbranch_execnz .LBB2_2496
.LBB2_446:
	s_or_b64 exec, exec, s[6:7]
	s_and_saveexec_b64 s[6:7], s[4:5]
	s_cbranch_execz .LBB2_448
.LBB2_447:
	v_bfe_u32 v6, v3, 24, 3
	v_ffbh_u32_e32 v14, v6
	v_min_u32_e32 v14, 32, v14
	v_lshrrev_b32_e32 v12, 27, v3
	v_subrev_u32_e32 v15, 28, v14
	v_and_b32_e32 v7, 0x80000000, v3
	v_and_b32_e32 v12, 15, v12
	v_bfe_u32 v13, v3, 27, 4
	v_lshlrev_b32_sdwa v3, v15, v3 dst_sel:DWORD dst_unused:UNUSED_PAD src0_sel:DWORD src1_sel:BYTE_3
	v_sub_u32_e32 v14, 29, v14
	v_and_b32_e32 v3, 7, v3
	v_cmp_eq_u16_e32 vcc, 0, v12
	v_cndmask_b32_e32 v3, v6, v3, vcc
	v_cndmask_b32_e32 v6, v13, v14, vcc
	v_mov_b32_e32 v12, 0x3b800000
	v_lshlrev_b32_e32 v3, 20, v3
	v_lshl_add_u32 v6, v6, 23, v12
	v_or3_b32 v6, v7, v6, v3
.LBB2_448:
	s_or_b64 exec, exec, s[6:7]
	s_nop 0
	v_mfma_f32_16x16x4f32 a[0:3], v2, v6, a[0:3]
	s_movk_i32 s4, 0x7f
	v_cmp_gt_i16_sdwa s[6:7], v8, s4 src0_sel:BYTE_0 src1_sel:DWORD
	s_mov_b64 s[4:5], 0
                                        ; implicit-def: $sgpr10
	s_and_saveexec_b64 s[8:9], s[6:7]
	s_xor_b64 s[6:7], exec, s[8:9]
	s_cbranch_execnz .LBB2_2497
; %bb.449:
	s_or_saveexec_b64 s[6:7], s[6:7]
	v_mov_b32_e32 v2, s10
	s_xor_b64 exec, exec, s[6:7]
	s_cbranch_execnz .LBB2_2500
.LBB2_450:
	s_or_b64 exec, exec, s[6:7]
	s_and_saveexec_b64 s[6:7], s[4:5]
	s_cbranch_execz .LBB2_452
.LBB2_451:
	v_and_b32_e32 v2, 7, v8
	v_ffbh_u32_e32 v6, v2
	v_min_u32_e32 v6, 32, v6
	v_lshrrev_b16_e32 v3, 3, v8
	v_subrev_u32_e32 v7, 28, v6
	v_and_b32_e32 v3, 15, v3
	v_lshlrev_b32_e32 v7, v7, v8
	v_sub_u32_e32 v6, 29, v6
	v_and_b32_e32 v7, 7, v7
	v_cmp_eq_u16_e32 vcc, 0, v3
	v_cndmask_b32_e32 v2, v2, v7, vcc
	v_cndmask_b32_e32 v3, v3, v6, vcc
	v_lshlrev_b32_e32 v6, 24, v8
	v_mov_b32_e32 v7, 0x3b800000
	v_lshlrev_b32_e32 v2, 20, v2
	v_and_b32_e32 v6, 0x80000000, v6
	v_lshl_add_u32 v3, v3, 23, v7
	v_or3_b32 v2, v6, v3, v2
.LBB2_452:
	s_or_b64 exec, exec, s[6:7]
	s_movk_i32 s4, 0x7f
	v_cmp_gt_i16_sdwa s[6:7], v4, s4 src0_sel:BYTE_0 src1_sel:DWORD
	s_mov_b64 s[4:5], 0
                                        ; implicit-def: $sgpr10
	s_and_saveexec_b64 s[8:9], s[6:7]
	s_xor_b64 s[6:7], exec, s[8:9]
	s_cbranch_execnz .LBB2_2501
; %bb.453:
	s_or_saveexec_b64 s[6:7], s[6:7]
	v_mov_b32_e32 v3, s10
	s_xor_b64 exec, exec, s[6:7]
	s_cbranch_execnz .LBB2_2504
.LBB2_454:
	s_or_b64 exec, exec, s[6:7]
	s_and_saveexec_b64 s[6:7], s[4:5]
	s_cbranch_execz .LBB2_456
.LBB2_455:
	v_and_b32_e32 v3, 7, v4
	v_ffbh_u32_e32 v7, v3
	v_min_u32_e32 v7, 32, v7
	v_lshrrev_b16_e32 v6, 3, v4
	v_subrev_u32_e32 v12, 28, v7
	v_and_b32_e32 v6, 15, v6
	v_lshlrev_b32_e32 v12, v12, v4
	v_sub_u32_e32 v7, 29, v7
	v_and_b32_e32 v12, 7, v12
	v_cmp_eq_u16_e32 vcc, 0, v6
	v_cndmask_b32_e32 v3, v3, v12, vcc
	v_cndmask_b32_e32 v6, v6, v7, vcc
	v_lshlrev_b32_e32 v7, 24, v4
	v_mov_b32_e32 v12, 0x3b800000
	v_lshlrev_b32_e32 v3, 20, v3
	v_and_b32_e32 v7, 0x80000000, v7
	v_lshl_add_u32 v6, v6, 23, v12
	v_or3_b32 v3, v7, v6, v3
.LBB2_456:
	s_or_b64 exec, exec, s[6:7]
	s_nop 0
	v_mfma_f32_16x16x4f32 a[0:3], v2, v3, a[0:3]
	v_lshrrev_b32_e32 v3, 8, v8
	s_movk_i32 s4, 0x7f
	v_cmp_gt_i16_sdwa s[6:7], v3, s4 src0_sel:BYTE_0 src1_sel:DWORD
	s_mov_b64 s[4:5], 0
                                        ; implicit-def: $sgpr10
	s_and_saveexec_b64 s[8:9], s[6:7]
	s_xor_b64 s[6:7], exec, s[8:9]
	s_cbranch_execnz .LBB2_2505
; %bb.457:
	s_or_saveexec_b64 s[6:7], s[6:7]
	v_mov_b32_e32 v2, s10
	s_xor_b64 exec, exec, s[6:7]
	s_cbranch_execnz .LBB2_2508
.LBB2_458:
	s_or_b64 exec, exec, s[6:7]
	s_and_saveexec_b64 s[6:7], s[4:5]
	s_cbranch_execz .LBB2_460
.LBB2_459:
	v_bfe_u32 v2, v8, 8, 3
	v_ffbh_u32_e32 v7, v2
	v_min_u32_e32 v7, 32, v7
	v_lshrrev_b16_e32 v6, 3, v3
	v_subrev_u32_e32 v12, 28, v7
	v_and_b32_e32 v6, 15, v6
	v_lshlrev_b32_e32 v3, v12, v3
	v_sub_u32_e32 v7, 29, v7
	v_and_b32_e32 v3, 7, v3
	v_cmp_eq_u16_e32 vcc, 0, v6
	v_cndmask_b32_e32 v2, v2, v3, vcc
	v_cndmask_b32_e32 v3, v6, v7, vcc
	v_lshlrev_b32_e32 v6, 16, v8
	v_mov_b32_e32 v7, 0x3b800000
	v_lshlrev_b32_e32 v2, 20, v2
	v_and_b32_e32 v6, 0x80000000, v6
	v_lshl_add_u32 v3, v3, 23, v7
	v_or3_b32 v2, v6, v3, v2
.LBB2_460:
	s_or_b64 exec, exec, s[6:7]
	v_lshrrev_b32_e32 v3, 8, v4
	s_movk_i32 s4, 0x7f
	v_cmp_gt_i16_sdwa s[6:7], v3, s4 src0_sel:BYTE_0 src1_sel:DWORD
	s_mov_b64 s[4:5], 0
                                        ; implicit-def: $sgpr10
	s_and_saveexec_b64 s[8:9], s[6:7]
	s_xor_b64 s[6:7], exec, s[8:9]
	s_cbranch_execnz .LBB2_2509
; %bb.461:
	s_or_saveexec_b64 s[6:7], s[6:7]
	v_mov_b32_e32 v6, s10
	s_xor_b64 exec, exec, s[6:7]
	s_cbranch_execnz .LBB2_2512
.LBB2_462:
	s_or_b64 exec, exec, s[6:7]
	s_and_saveexec_b64 s[6:7], s[4:5]
	s_cbranch_execz .LBB2_464
.LBB2_463:
	v_bfe_u32 v6, v4, 8, 3
	v_ffbh_u32_e32 v12, v6
	v_min_u32_e32 v12, 32, v12
	v_lshrrev_b16_e32 v7, 3, v3
	v_subrev_u32_e32 v13, 28, v12
	v_and_b32_e32 v7, 15, v7
	v_lshlrev_b32_e32 v3, v13, v3
	v_sub_u32_e32 v12, 29, v12
	v_and_b32_e32 v3, 7, v3
	v_cmp_eq_u16_e32 vcc, 0, v7
	v_cndmask_b32_e32 v3, v6, v3, vcc
	v_cndmask_b32_e32 v6, v7, v12, vcc
	v_lshlrev_b32_e32 v7, 16, v4
	v_mov_b32_e32 v12, 0x3b800000
	v_lshlrev_b32_e32 v3, 20, v3
	v_and_b32_e32 v7, 0x80000000, v7
	v_lshl_add_u32 v6, v6, 23, v12
	v_or3_b32 v6, v7, v6, v3
.LBB2_464:
	s_or_b64 exec, exec, s[6:7]
	s_nop 0
	v_mfma_f32_16x16x4f32 a[0:3], v2, v6, a[0:3]
	s_movk_i32 s4, 0xff
	v_and_b32_sdwa v3, v8, s4 dst_sel:DWORD dst_unused:UNUSED_PAD src0_sel:WORD_1 src1_sel:DWORD
	s_movk_i32 s4, 0x7f
	v_cmp_lt_i16_e32 vcc, s4, v3
	s_mov_b64 s[4:5], 0
                                        ; implicit-def: $sgpr10
	s_and_saveexec_b64 s[6:7], vcc
	s_xor_b64 s[6:7], exec, s[6:7]
	s_cbranch_execnz .LBB2_2513
; %bb.465:
	s_or_saveexec_b64 s[6:7], s[6:7]
	v_mov_b32_e32 v2, s10
	s_xor_b64 exec, exec, s[6:7]
	s_cbranch_execnz .LBB2_2516
.LBB2_466:
	s_or_b64 exec, exec, s[6:7]
	s_and_saveexec_b64 s[6:7], s[4:5]
	s_cbranch_execz .LBB2_468
.LBB2_467:
	v_bfe_u32 v2, v8, 16, 3
	v_ffbh_u32_e32 v7, v2
	v_min_u32_e32 v7, 32, v7
	v_lshrrev_b32_e32 v3, 19, v8
	v_subrev_u32_e32 v12, 28, v7
	v_and_b32_e32 v3, 15, v3
	v_lshlrev_b32_sdwa v12, v12, v8 dst_sel:DWORD dst_unused:UNUSED_PAD src0_sel:DWORD src1_sel:WORD_1
	v_bfe_u32 v6, v8, 19, 4
	v_sub_u32_e32 v7, 29, v7
	v_and_b32_e32 v12, 7, v12
	v_cmp_eq_u16_e32 vcc, 0, v3
	v_cndmask_b32_e32 v2, v2, v12, vcc
	v_cndmask_b32_e32 v3, v6, v7, vcc
	v_lshlrev_b32_e32 v6, 8, v8
	v_mov_b32_e32 v7, 0x3b800000
	v_lshlrev_b32_e32 v2, 20, v2
	v_and_b32_e32 v6, 0x80000000, v6
	v_lshl_add_u32 v3, v3, 23, v7
	v_or3_b32 v2, v6, v3, v2
.LBB2_468:
	s_or_b64 exec, exec, s[6:7]
	s_movk_i32 s4, 0xff
	v_and_b32_sdwa v3, v4, s4 dst_sel:DWORD dst_unused:UNUSED_PAD src0_sel:WORD_1 src1_sel:DWORD
	s_movk_i32 s4, 0x7f
	v_cmp_lt_i16_e32 vcc, s4, v3
	s_mov_b64 s[4:5], 0
                                        ; implicit-def: $sgpr10
	s_and_saveexec_b64 s[6:7], vcc
	s_xor_b64 s[6:7], exec, s[6:7]
	s_cbranch_execnz .LBB2_2517
; %bb.469:
	s_or_saveexec_b64 s[6:7], s[6:7]
	v_mov_b32_e32 v6, s10
	s_xor_b64 exec, exec, s[6:7]
	s_cbranch_execnz .LBB2_2520
.LBB2_470:
	s_or_b64 exec, exec, s[6:7]
	s_and_saveexec_b64 s[6:7], s[4:5]
	s_cbranch_execz .LBB2_472
.LBB2_471:
	v_bfe_u32 v3, v4, 16, 3
	v_ffbh_u32_e32 v12, v3
	v_min_u32_e32 v12, 32, v12
	v_lshrrev_b32_e32 v6, 19, v4
	v_subrev_u32_e32 v13, 28, v12
	v_and_b32_e32 v6, 15, v6
	v_lshlrev_b32_sdwa v13, v13, v4 dst_sel:DWORD dst_unused:UNUSED_PAD src0_sel:DWORD src1_sel:WORD_1
	v_bfe_u32 v7, v4, 19, 4
	v_sub_u32_e32 v12, 29, v12
	v_and_b32_e32 v13, 7, v13
	v_cmp_eq_u16_e32 vcc, 0, v6
	v_cndmask_b32_e32 v3, v3, v13, vcc
	v_cndmask_b32_e32 v6, v7, v12, vcc
	v_lshlrev_b32_e32 v7, 8, v4
	v_mov_b32_e32 v12, 0x3b800000
	v_lshlrev_b32_e32 v3, 20, v3
	v_and_b32_e32 v7, 0x80000000, v7
	v_lshl_add_u32 v6, v6, 23, v12
	v_or3_b32 v6, v7, v6, v3
.LBB2_472:
	s_or_b64 exec, exec, s[6:7]
	s_nop 0
	v_mfma_f32_16x16x4f32 a[0:3], v2, v6, a[0:3]
	s_movk_i32 s4, 0x7f
	v_cmp_gt_i16_sdwa s[6:7], v8, s4 src0_sel:BYTE_3 src1_sel:DWORD
	s_mov_b64 s[4:5], 0
                                        ; implicit-def: $sgpr10
	s_and_saveexec_b64 s[8:9], s[6:7]
	s_xor_b64 s[6:7], exec, s[8:9]
	s_cbranch_execnz .LBB2_2521
; %bb.473:
	s_or_saveexec_b64 s[6:7], s[6:7]
	v_mov_b32_e32 v2, s10
	s_xor_b64 exec, exec, s[6:7]
	s_cbranch_execnz .LBB2_2524
.LBB2_474:
	s_or_b64 exec, exec, s[6:7]
	s_and_saveexec_b64 s[6:7], s[4:5]
	s_cbranch_execz .LBB2_476
.LBB2_475:
	v_bfe_u32 v2, v8, 24, 3
	v_ffbh_u32_e32 v12, v2
	v_min_u32_e32 v12, 32, v12
	v_lshrrev_b32_e32 v6, 27, v8
	v_subrev_u32_e32 v13, 28, v12
	v_and_b32_e32 v3, 0x80000000, v8
	v_and_b32_e32 v6, 15, v6
	v_bfe_u32 v7, v8, 27, 4
	v_lshlrev_b32_sdwa v8, v13, v8 dst_sel:DWORD dst_unused:UNUSED_PAD src0_sel:DWORD src1_sel:BYTE_3
	v_sub_u32_e32 v12, 29, v12
	v_and_b32_e32 v8, 7, v8
	v_cmp_eq_u16_e32 vcc, 0, v6
	v_cndmask_b32_e32 v2, v2, v8, vcc
	v_cndmask_b32_e32 v6, v7, v12, vcc
	v_mov_b32_e32 v7, 0x3b800000
	v_lshlrev_b32_e32 v2, 20, v2
	v_lshl_add_u32 v6, v6, 23, v7
	v_or3_b32 v2, v3, v6, v2
.LBB2_476:
	s_or_b64 exec, exec, s[6:7]
	s_movk_i32 s4, 0x7f
	v_cmp_gt_i16_sdwa s[6:7], v4, s4 src0_sel:BYTE_3 src1_sel:DWORD
	s_mov_b64 s[4:5], 0
                                        ; implicit-def: $sgpr10
	s_and_saveexec_b64 s[8:9], s[6:7]
	s_xor_b64 s[6:7], exec, s[8:9]
	s_cbranch_execnz .LBB2_2525
; %bb.477:
	s_or_saveexec_b64 s[6:7], s[6:7]
	v_mov_b32_e32 v3, s10
	s_xor_b64 exec, exec, s[6:7]
	s_cbranch_execnz .LBB2_2528
.LBB2_478:
	s_or_b64 exec, exec, s[6:7]
	s_and_saveexec_b64 s[6:7], s[4:5]
	s_cbranch_execz .LBB2_480
.LBB2_479:
	v_bfe_u32 v3, v4, 24, 3
	v_ffbh_u32_e32 v12, v3
	v_min_u32_e32 v12, 32, v12
	v_lshrrev_b32_e32 v7, 27, v4
	v_subrev_u32_e32 v13, 28, v12
	v_and_b32_e32 v6, 0x80000000, v4
	v_and_b32_e32 v7, 15, v7
	v_bfe_u32 v8, v4, 27, 4
	v_lshlrev_b32_sdwa v4, v13, v4 dst_sel:DWORD dst_unused:UNUSED_PAD src0_sel:DWORD src1_sel:BYTE_3
	v_sub_u32_e32 v12, 29, v12
	v_and_b32_e32 v4, 7, v4
	v_cmp_eq_u16_e32 vcc, 0, v7
	v_cndmask_b32_e32 v3, v3, v4, vcc
	v_cndmask_b32_e32 v4, v8, v12, vcc
	v_mov_b32_e32 v7, 0x3b800000
	v_lshlrev_b32_e32 v3, 20, v3
	v_lshl_add_u32 v4, v4, 23, v7
	v_or3_b32 v3, v6, v4, v3
.LBB2_480:
	s_or_b64 exec, exec, s[6:7]
	s_nop 0
	v_mfma_f32_16x16x4f32 a[0:3], v2, v3, a[0:3]
	s_movk_i32 s4, 0x7f
	v_cmp_gt_i16_sdwa s[6:7], v9, s4 src0_sel:BYTE_0 src1_sel:DWORD
	s_mov_b64 s[4:5], 0
                                        ; implicit-def: $sgpr10
	s_and_saveexec_b64 s[8:9], s[6:7]
	s_xor_b64 s[6:7], exec, s[8:9]
	s_cbranch_execnz .LBB2_2529
; %bb.481:
	s_or_saveexec_b64 s[6:7], s[6:7]
	v_mov_b32_e32 v2, s10
	s_xor_b64 exec, exec, s[6:7]
	s_cbranch_execnz .LBB2_2532
.LBB2_482:
	s_or_b64 exec, exec, s[6:7]
	s_and_saveexec_b64 s[6:7], s[4:5]
	s_cbranch_execz .LBB2_484
.LBB2_483:
	v_mov_b32_e32 v2, 8
	v_and_b32_e32 v3, 7, v9
	v_lshrrev_b32_sdwa v2, v2, v9 dst_sel:BYTE_1 dst_unused:UNUSED_PAD src0_sel:DWORD src1_sel:DWORD
	v_ffbh_u32_e32 v4, v3
	v_or_b32_sdwa v2, v9, v2 dst_sel:DWORD dst_unused:UNUSED_PAD src0_sel:BYTE_0 src1_sel:DWORD
	v_min_u32_e32 v4, 32, v4
	v_lshrrev_b16_e32 v2, 3, v2
	v_subrev_u32_e32 v6, 28, v4
	v_and_b32_e32 v2, 15, v2
	v_lshlrev_b32_e32 v6, v6, v9
	v_sub_u32_e32 v4, 29, v4
	v_and_b32_e32 v6, 7, v6
	v_cmp_eq_u16_e32 vcc, 0, v2
	v_cndmask_b32_e32 v3, v3, v6, vcc
	v_cndmask_b32_e32 v2, v2, v4, vcc
	v_lshlrev_b32_e32 v4, 24, v9
	v_mov_b32_e32 v6, 0x3b800000
	v_lshlrev_b32_e32 v3, 20, v3
	v_and_b32_e32 v4, 0x80000000, v4
	v_lshl_add_u32 v2, v2, 23, v6
	v_or3_b32 v2, v4, v2, v3
.LBB2_484:
	s_or_b64 exec, exec, s[6:7]
	s_movk_i32 s4, 0x7f
	v_cmp_gt_i16_sdwa s[6:7], v5, s4 src0_sel:BYTE_0 src1_sel:DWORD
	s_mov_b64 s[4:5], 0
                                        ; implicit-def: $sgpr10
	s_and_saveexec_b64 s[8:9], s[6:7]
	s_xor_b64 s[6:7], exec, s[8:9]
	s_cbranch_execnz .LBB2_2533
; %bb.485:
	s_or_saveexec_b64 s[6:7], s[6:7]
	v_mov_b32_e32 v3, s10
	s_xor_b64 exec, exec, s[6:7]
	s_cbranch_execnz .LBB2_2536
.LBB2_486:
	s_or_b64 exec, exec, s[6:7]
	s_and_saveexec_b64 s[6:7], s[4:5]
	s_cbranch_execz .LBB2_488
.LBB2_487:
	v_mov_b32_e32 v3, 8
	v_and_b32_e32 v4, 7, v5
	v_lshrrev_b32_sdwa v3, v3, v5 dst_sel:BYTE_1 dst_unused:UNUSED_PAD src0_sel:DWORD src1_sel:DWORD
	v_ffbh_u32_e32 v6, v4
	v_or_b32_sdwa v3, v5, v3 dst_sel:DWORD dst_unused:UNUSED_PAD src0_sel:BYTE_0 src1_sel:DWORD
	v_min_u32_e32 v6, 32, v6
	v_lshrrev_b16_e32 v3, 3, v3
	v_subrev_u32_e32 v7, 28, v6
	v_and_b32_e32 v3, 15, v3
	v_lshlrev_b32_e32 v7, v7, v5
	v_sub_u32_e32 v6, 29, v6
	v_and_b32_e32 v7, 7, v7
	v_cmp_eq_u16_e32 vcc, 0, v3
	v_cndmask_b32_e32 v4, v4, v7, vcc
	v_cndmask_b32_e32 v3, v3, v6, vcc
	v_lshlrev_b32_e32 v6, 24, v5
	v_mov_b32_e32 v7, 0x3b800000
	v_lshlrev_b32_e32 v4, 20, v4
	v_and_b32_e32 v6, 0x80000000, v6
	v_lshl_add_u32 v3, v3, 23, v7
	v_or3_b32 v3, v6, v3, v4
.LBB2_488:
	s_or_b64 exec, exec, s[6:7]
	s_nop 0
	v_mfma_f32_16x16x4f32 a[0:3], v2, v3, a[0:3]
	v_lshrrev_b32_e32 v3, 8, v9
	s_movk_i32 s4, 0x7f
	v_cmp_gt_i16_sdwa s[6:7], v3, s4 src0_sel:BYTE_0 src1_sel:DWORD
	s_mov_b64 s[4:5], 0
                                        ; implicit-def: $sgpr10
	s_and_saveexec_b64 s[8:9], s[6:7]
	s_xor_b64 s[6:7], exec, s[8:9]
	s_cbranch_execnz .LBB2_2537
; %bb.489:
	s_or_saveexec_b64 s[6:7], s[6:7]
	v_mov_b32_e32 v2, s10
	s_xor_b64 exec, exec, s[6:7]
	s_cbranch_execnz .LBB2_2540
.LBB2_490:
	s_or_b64 exec, exec, s[6:7]
	s_and_saveexec_b64 s[6:7], s[4:5]
	s_cbranch_execz .LBB2_492
.LBB2_491:
	v_bfe_u32 v2, v9, 8, 3
	v_ffbh_u32_e32 v6, v2
	v_min_u32_e32 v6, 32, v6
	v_lshrrev_b16_e32 v4, 3, v3
	v_subrev_u32_e32 v7, 28, v6
	v_and_b32_e32 v4, 15, v4
	v_lshlrev_b32_e32 v3, v7, v3
	v_sub_u32_e32 v6, 29, v6
	v_and_b32_e32 v3, 7, v3
	v_cmp_eq_u16_e32 vcc, 0, v4
	v_cndmask_b32_e32 v2, v2, v3, vcc
	v_cndmask_b32_e32 v3, v4, v6, vcc
	v_lshlrev_b32_e32 v4, 16, v9
	v_mov_b32_e32 v6, 0x3b800000
	v_lshlrev_b32_e32 v2, 20, v2
	v_and_b32_e32 v4, 0x80000000, v4
	v_lshl_add_u32 v3, v3, 23, v6
	v_or3_b32 v2, v4, v3, v2
.LBB2_492:
	s_or_b64 exec, exec, s[6:7]
	v_lshrrev_b32_e32 v3, 8, v5
	s_movk_i32 s4, 0x7f
	v_cmp_gt_i16_sdwa s[6:7], v3, s4 src0_sel:BYTE_0 src1_sel:DWORD
	s_mov_b64 s[4:5], 0
                                        ; implicit-def: $sgpr10
	s_and_saveexec_b64 s[8:9], s[6:7]
	s_xor_b64 s[6:7], exec, s[8:9]
	s_cbranch_execnz .LBB2_2541
; %bb.493:
	s_or_saveexec_b64 s[6:7], s[6:7]
	v_mov_b32_e32 v4, s10
	s_xor_b64 exec, exec, s[6:7]
	s_cbranch_execnz .LBB2_2544
.LBB2_494:
	s_or_b64 exec, exec, s[6:7]
	s_and_saveexec_b64 s[6:7], s[4:5]
	s_cbranch_execz .LBB2_496
.LBB2_495:
	v_bfe_u32 v4, v5, 8, 3
	v_ffbh_u32_e32 v7, v4
	v_min_u32_e32 v7, 32, v7
	v_lshrrev_b16_e32 v6, 3, v3
	v_subrev_u32_e32 v8, 28, v7
	v_and_b32_e32 v6, 15, v6
	v_lshlrev_b32_e32 v3, v8, v3
	v_sub_u32_e32 v7, 29, v7
	v_and_b32_e32 v3, 7, v3
	v_cmp_eq_u16_e32 vcc, 0, v6
	v_cndmask_b32_e32 v3, v4, v3, vcc
	v_cndmask_b32_e32 v4, v6, v7, vcc
	v_lshlrev_b32_e32 v6, 16, v5
	v_mov_b32_e32 v7, 0x3b800000
	v_lshlrev_b32_e32 v3, 20, v3
	v_and_b32_e32 v6, 0x80000000, v6
	v_lshl_add_u32 v4, v4, 23, v7
	v_or3_b32 v4, v6, v4, v3
.LBB2_496:
	s_or_b64 exec, exec, s[6:7]
	s_nop 0
	v_mfma_f32_16x16x4f32 a[0:3], v2, v4, a[0:3]
	s_movk_i32 s4, 0xff
	v_and_b32_sdwa v3, v9, s4 dst_sel:DWORD dst_unused:UNUSED_PAD src0_sel:WORD_1 src1_sel:DWORD
	s_movk_i32 s4, 0x7f
	v_cmp_lt_i16_e32 vcc, s4, v3
	s_mov_b64 s[4:5], 0
                                        ; implicit-def: $sgpr10
	s_and_saveexec_b64 s[6:7], vcc
	s_xor_b64 s[6:7], exec, s[6:7]
	s_cbranch_execnz .LBB2_2545
; %bb.497:
	s_or_saveexec_b64 s[6:7], s[6:7]
	v_mov_b32_e32 v2, s10
	s_xor_b64 exec, exec, s[6:7]
	s_cbranch_execnz .LBB2_2548
.LBB2_498:
	s_or_b64 exec, exec, s[6:7]
	s_and_saveexec_b64 s[6:7], s[4:5]
	s_cbranch_execz .LBB2_500
.LBB2_499:
	v_bfe_u32 v2, v9, 16, 3
	v_ffbh_u32_e32 v6, v2
	v_min_u32_e32 v6, 32, v6
	v_lshrrev_b32_e32 v3, 19, v9
	v_subrev_u32_e32 v7, 28, v6
	v_and_b32_e32 v3, 15, v3
	v_lshlrev_b32_sdwa v7, v7, v9 dst_sel:DWORD dst_unused:UNUSED_PAD src0_sel:DWORD src1_sel:WORD_1
	v_bfe_u32 v4, v9, 19, 4
	v_sub_u32_e32 v6, 29, v6
	v_and_b32_e32 v7, 7, v7
	v_cmp_eq_u16_e32 vcc, 0, v3
	v_cndmask_b32_e32 v2, v2, v7, vcc
	v_cndmask_b32_e32 v3, v4, v6, vcc
	v_lshlrev_b32_e32 v4, 8, v9
	v_mov_b32_e32 v6, 0x3b800000
	v_lshlrev_b32_e32 v2, 20, v2
	v_and_b32_e32 v4, 0x80000000, v4
	v_lshl_add_u32 v3, v3, 23, v6
	v_or3_b32 v2, v4, v3, v2
.LBB2_500:
	s_or_b64 exec, exec, s[6:7]
	s_movk_i32 s4, 0xff
	v_and_b32_sdwa v3, v5, s4 dst_sel:DWORD dst_unused:UNUSED_PAD src0_sel:WORD_1 src1_sel:DWORD
	s_movk_i32 s4, 0x7f
	v_cmp_lt_i16_e32 vcc, s4, v3
	s_mov_b64 s[4:5], 0
                                        ; implicit-def: $sgpr10
	s_and_saveexec_b64 s[6:7], vcc
	s_xor_b64 s[6:7], exec, s[6:7]
	s_cbranch_execnz .LBB2_2549
; %bb.501:
	s_or_saveexec_b64 s[6:7], s[6:7]
	v_mov_b32_e32 v4, s10
	s_xor_b64 exec, exec, s[6:7]
	s_cbranch_execnz .LBB2_2552
.LBB2_502:
	s_or_b64 exec, exec, s[6:7]
	s_and_saveexec_b64 s[6:7], s[4:5]
	s_cbranch_execz .LBB2_504
.LBB2_503:
	v_bfe_u32 v3, v5, 16, 3
	v_ffbh_u32_e32 v7, v3
	v_min_u32_e32 v7, 32, v7
	v_lshrrev_b32_e32 v4, 19, v5
	v_subrev_u32_e32 v8, 28, v7
	v_and_b32_e32 v4, 15, v4
	v_lshlrev_b32_sdwa v8, v8, v5 dst_sel:DWORD dst_unused:UNUSED_PAD src0_sel:DWORD src1_sel:WORD_1
	v_bfe_u32 v6, v5, 19, 4
	v_sub_u32_e32 v7, 29, v7
	v_and_b32_e32 v8, 7, v8
	v_cmp_eq_u16_e32 vcc, 0, v4
	v_cndmask_b32_e32 v3, v3, v8, vcc
	v_cndmask_b32_e32 v4, v6, v7, vcc
	v_lshlrev_b32_e32 v6, 8, v5
	v_mov_b32_e32 v7, 0x3b800000
	v_lshlrev_b32_e32 v3, 20, v3
	v_and_b32_e32 v6, 0x80000000, v6
	v_lshl_add_u32 v4, v4, 23, v7
	v_or3_b32 v4, v6, v4, v3
.LBB2_504:
	s_or_b64 exec, exec, s[6:7]
	s_nop 0
	v_mfma_f32_16x16x4f32 a[0:3], v2, v4, a[0:3]
	s_movk_i32 s4, 0x7f
	v_cmp_gt_i16_sdwa s[6:7], v9, s4 src0_sel:BYTE_3 src1_sel:DWORD
	s_mov_b64 s[4:5], 0
                                        ; implicit-def: $sgpr10
	s_and_saveexec_b64 s[8:9], s[6:7]
	s_xor_b64 s[6:7], exec, s[8:9]
	s_cbranch_execnz .LBB2_2553
; %bb.505:
	s_or_saveexec_b64 s[6:7], s[6:7]
	v_mov_b32_e32 v2, s10
	s_xor_b64 exec, exec, s[6:7]
	s_cbranch_execnz .LBB2_2556
.LBB2_506:
	s_or_b64 exec, exec, s[6:7]
	s_and_saveexec_b64 s[6:7], s[4:5]
	s_cbranch_execz .LBB2_508
.LBB2_507:
	v_bfe_u32 v2, v9, 24, 3
	v_ffbh_u32_e32 v7, v2
	v_min_u32_e32 v7, 32, v7
	v_lshrrev_b32_e32 v4, 27, v9
	v_subrev_u32_e32 v8, 28, v7
	v_and_b32_e32 v4, 15, v4
	v_lshlrev_b32_sdwa v8, v8, v9 dst_sel:DWORD dst_unused:UNUSED_PAD src0_sel:DWORD src1_sel:BYTE_3
	v_bfe_u32 v6, v9, 27, 4
	v_sub_u32_e32 v7, 29, v7
	v_and_b32_e32 v8, 7, v8
	v_cmp_eq_u16_e32 vcc, 0, v4
	v_cndmask_b32_e32 v2, v2, v8, vcc
	v_cndmask_b32_e32 v4, v6, v7, vcc
	v_mov_b32_e32 v6, 0x3b800000
	v_and_b32_e32 v3, 0x80000000, v9
	v_lshlrev_b32_e32 v2, 20, v2
	v_lshl_add_u32 v4, v4, 23, v6
	v_or3_b32 v2, v3, v4, v2
.LBB2_508:
	s_or_b64 exec, exec, s[6:7]
	s_movk_i32 s4, 0x7f
	v_cmp_gt_i16_sdwa s[6:7], v5, s4 src0_sel:BYTE_3 src1_sel:DWORD
	s_mov_b64 s[4:5], 0
                                        ; implicit-def: $sgpr10
	s_and_saveexec_b64 s[8:9], s[6:7]
	s_xor_b64 s[6:7], exec, s[8:9]
	s_cbranch_execnz .LBB2_2557
; %bb.509:
	s_or_saveexec_b64 s[6:7], s[6:7]
	v_mov_b32_e32 v3, s10
	s_xor_b64 exec, exec, s[6:7]
	s_cbranch_execnz .LBB2_2560
.LBB2_510:
	s_or_b64 exec, exec, s[6:7]
	s_and_saveexec_b64 s[6:7], s[4:5]
	s_cbranch_execz .LBB2_512
.LBB2_511:
	v_bfe_u32 v3, v5, 24, 3
	v_ffbh_u32_e32 v8, v3
	v_min_u32_e32 v8, 32, v8
	v_lshrrev_b32_e32 v6, 27, v5
	v_subrev_u32_e32 v9, 28, v8
	v_and_b32_e32 v4, 0x80000000, v5
	v_and_b32_e32 v6, 15, v6
	v_bfe_u32 v7, v5, 27, 4
	v_lshlrev_b32_sdwa v5, v9, v5 dst_sel:DWORD dst_unused:UNUSED_PAD src0_sel:DWORD src1_sel:BYTE_3
	v_sub_u32_e32 v8, 29, v8
	v_and_b32_e32 v5, 7, v5
	v_cmp_eq_u16_e32 vcc, 0, v6
	v_cndmask_b32_e32 v3, v3, v5, vcc
	v_cndmask_b32_e32 v5, v7, v8, vcc
	v_mov_b32_e32 v6, 0x3b800000
	v_lshlrev_b32_e32 v3, 20, v3
	v_lshl_add_u32 v5, v5, 23, v6
	v_or3_b32 v3, v4, v5, v3
.LBB2_512:
	s_or_b64 exec, exec, s[6:7]
	s_nop 0
	v_mfma_f32_16x16x4f32 a[0:3], v2, v3, a[0:3]
	s_movk_i32 s4, 0x7f
                                        ; implicit-def: $sgpr10
	s_nop 7
	s_nop 1
	flat_store_dwordx4 v[10:11], a[0:3] offset:48
	flat_load_dwordx4 v[12:15], v[0:1] offset:8
	s_nop 0
	flat_load_dwordx2 v[10:11], v[0:1] offset:32
	s_waitcnt vmcnt(0) lgkmcnt(0)
	flat_load_dwordx4 v[6:9], v[12:13] offset:48
	flat_load_dwordx4 v[2:5], v[14:15] offset:16
	s_waitcnt vmcnt(0) lgkmcnt(0)
	v_cmp_gt_i16_sdwa s[6:7], v6, s4 src0_sel:BYTE_0 src1_sel:DWORD
	s_mov_b64 s[4:5], 0
	s_and_saveexec_b64 s[8:9], s[6:7]
	s_xor_b64 s[6:7], exec, s[8:9]
	s_cbranch_execnz .LBB2_2561
; %bb.513:
	s_or_saveexec_b64 s[6:7], s[6:7]
	v_mov_b32_e32 v12, s10
	s_xor_b64 exec, exec, s[6:7]
	s_cbranch_execnz .LBB2_2564
.LBB2_514:
	s_or_b64 exec, exec, s[6:7]
	s_and_saveexec_b64 s[6:7], s[4:5]
	s_cbranch_execz .LBB2_516
.LBB2_515:
	v_and_b32_e32 v12, 7, v6
	v_ffbh_u32_e32 v14, v12
	v_min_u32_e32 v14, 32, v14
	v_lshrrev_b16_e32 v13, 3, v6
	v_subrev_u32_e32 v15, 28, v14
	v_and_b32_e32 v13, 15, v13
	v_lshlrev_b32_e32 v15, v15, v6
	v_sub_u32_e32 v14, 29, v14
	v_and_b32_e32 v15, 7, v15
	v_cmp_eq_u16_e32 vcc, 0, v13
	v_cndmask_b32_e32 v12, v12, v15, vcc
	v_cndmask_b32_e32 v13, v13, v14, vcc
	v_lshlrev_b32_e32 v14, 24, v6
	v_mov_b32_e32 v15, 0x3b800000
	v_lshlrev_b32_e32 v12, 20, v12
	v_and_b32_e32 v14, 0x80000000, v14
	v_lshl_add_u32 v13, v13, 23, v15
	v_or3_b32 v12, v14, v13, v12
.LBB2_516:
	s_or_b64 exec, exec, s[6:7]
	s_movk_i32 s4, 0x7f
	v_cmp_gt_i16_sdwa s[6:7], v2, s4 src0_sel:BYTE_0 src1_sel:DWORD
	s_mov_b64 s[4:5], 0
                                        ; implicit-def: $sgpr10
	s_and_saveexec_b64 s[8:9], s[6:7]
	s_xor_b64 s[6:7], exec, s[8:9]
	s_cbranch_execnz .LBB2_2565
; %bb.517:
	s_or_saveexec_b64 s[6:7], s[6:7]
	v_mov_b32_e32 v13, s10
	s_xor_b64 exec, exec, s[6:7]
	s_cbranch_execnz .LBB2_2568
.LBB2_518:
	s_or_b64 exec, exec, s[6:7]
	s_and_saveexec_b64 s[6:7], s[4:5]
	s_cbranch_execz .LBB2_520
.LBB2_519:
	v_and_b32_e32 v13, 7, v2
	v_ffbh_u32_e32 v15, v13
	v_min_u32_e32 v15, 32, v15
	v_lshrrev_b16_e32 v14, 3, v2
	v_subrev_u32_e32 v16, 28, v15
	v_and_b32_e32 v14, 15, v14
	v_lshlrev_b32_e32 v16, v16, v2
	v_sub_u32_e32 v15, 29, v15
	v_and_b32_e32 v16, 7, v16
	v_cmp_eq_u16_e32 vcc, 0, v14
	v_cndmask_b32_e32 v13, v13, v16, vcc
	v_cndmask_b32_e32 v14, v14, v15, vcc
	v_lshlrev_b32_e32 v15, 24, v2
	v_mov_b32_e32 v16, 0x3b800000
	v_lshlrev_b32_e32 v13, 20, v13
	v_and_b32_e32 v15, 0x80000000, v15
	v_lshl_add_u32 v14, v14, 23, v16
	v_or3_b32 v13, v15, v14, v13
.LBB2_520:
	s_or_b64 exec, exec, s[6:7]
	flat_load_dwordx4 a[0:3], v[10:11] offset:64
	s_movk_i32 s4, 0x7f
                                        ; implicit-def: $sgpr10
	s_waitcnt vmcnt(0) lgkmcnt(0)
	v_mfma_f32_16x16x4f32 a[0:3], v12, v13, a[0:3]
	v_lshrrev_b32_e32 v13, 8, v6
	v_cmp_gt_i16_sdwa s[6:7], v13, s4 src0_sel:BYTE_0 src1_sel:DWORD
	s_mov_b64 s[4:5], 0
	s_and_saveexec_b64 s[8:9], s[6:7]
	s_xor_b64 s[6:7], exec, s[8:9]
	s_cbranch_execnz .LBB2_2569
; %bb.521:
	s_or_saveexec_b64 s[6:7], s[6:7]
	v_mov_b32_e32 v12, s10
	s_xor_b64 exec, exec, s[6:7]
	s_cbranch_execnz .LBB2_2572
.LBB2_522:
	s_or_b64 exec, exec, s[6:7]
	s_and_saveexec_b64 s[6:7], s[4:5]
	s_cbranch_execz .LBB2_524
.LBB2_523:
	v_bfe_u32 v12, v6, 8, 3
	v_ffbh_u32_e32 v15, v12
	v_min_u32_e32 v15, 32, v15
	v_lshrrev_b16_e32 v14, 3, v13
	v_subrev_u32_e32 v16, 28, v15
	v_and_b32_e32 v14, 15, v14
	v_lshlrev_b32_e32 v13, v16, v13
	v_sub_u32_e32 v15, 29, v15
	v_and_b32_e32 v13, 7, v13
	v_cmp_eq_u16_e32 vcc, 0, v14
	v_cndmask_b32_e32 v12, v12, v13, vcc
	v_cndmask_b32_e32 v13, v14, v15, vcc
	v_lshlrev_b32_e32 v14, 16, v6
	v_mov_b32_e32 v15, 0x3b800000
	v_lshlrev_b32_e32 v12, 20, v12
	v_and_b32_e32 v14, 0x80000000, v14
	v_lshl_add_u32 v13, v13, 23, v15
	v_or3_b32 v12, v14, v13, v12
.LBB2_524:
	s_or_b64 exec, exec, s[6:7]
	v_lshrrev_b32_e32 v13, 8, v2
	s_movk_i32 s4, 0x7f
	v_cmp_gt_i16_sdwa s[6:7], v13, s4 src0_sel:BYTE_0 src1_sel:DWORD
	s_mov_b64 s[4:5], 0
                                        ; implicit-def: $sgpr10
	s_and_saveexec_b64 s[8:9], s[6:7]
	s_xor_b64 s[6:7], exec, s[8:9]
	s_cbranch_execnz .LBB2_2573
; %bb.525:
	s_or_saveexec_b64 s[6:7], s[6:7]
	v_mov_b32_e32 v14, s10
	s_xor_b64 exec, exec, s[6:7]
	s_cbranch_execnz .LBB2_2576
.LBB2_526:
	s_or_b64 exec, exec, s[6:7]
	s_and_saveexec_b64 s[6:7], s[4:5]
	s_cbranch_execz .LBB2_528
.LBB2_527:
	v_bfe_u32 v14, v2, 8, 3
	v_ffbh_u32_e32 v16, v14
	v_min_u32_e32 v16, 32, v16
	v_lshrrev_b16_e32 v15, 3, v13
	v_subrev_u32_e32 v17, 28, v16
	v_and_b32_e32 v15, 15, v15
	v_lshlrev_b32_e32 v13, v17, v13
	v_sub_u32_e32 v16, 29, v16
	v_and_b32_e32 v13, 7, v13
	v_cmp_eq_u16_e32 vcc, 0, v15
	v_cndmask_b32_e32 v13, v14, v13, vcc
	v_cndmask_b32_e32 v14, v15, v16, vcc
	v_lshlrev_b32_e32 v15, 16, v2
	v_mov_b32_e32 v16, 0x3b800000
	v_lshlrev_b32_e32 v13, 20, v13
	v_and_b32_e32 v15, 0x80000000, v15
	v_lshl_add_u32 v14, v14, 23, v16
	v_or3_b32 v14, v15, v14, v13
.LBB2_528:
	s_or_b64 exec, exec, s[6:7]
	s_nop 0
	v_mfma_f32_16x16x4f32 a[0:3], v12, v14, a[0:3]
	s_movk_i32 s4, 0xff
	v_and_b32_sdwa v13, v6, s4 dst_sel:DWORD dst_unused:UNUSED_PAD src0_sel:WORD_1 src1_sel:DWORD
	s_movk_i32 s4, 0x7f
	v_cmp_lt_i16_e32 vcc, s4, v13
	s_mov_b64 s[4:5], 0
                                        ; implicit-def: $sgpr10
	s_and_saveexec_b64 s[6:7], vcc
	s_xor_b64 s[6:7], exec, s[6:7]
	s_cbranch_execnz .LBB2_2577
; %bb.529:
	s_or_saveexec_b64 s[6:7], s[6:7]
	v_mov_b32_e32 v12, s10
	s_xor_b64 exec, exec, s[6:7]
	s_cbranch_execnz .LBB2_2580
.LBB2_530:
	s_or_b64 exec, exec, s[6:7]
	s_and_saveexec_b64 s[6:7], s[4:5]
	s_cbranch_execz .LBB2_532
.LBB2_531:
	v_bfe_u32 v12, v6, 16, 3
	v_ffbh_u32_e32 v15, v12
	v_min_u32_e32 v15, 32, v15
	v_lshrrev_b32_e32 v13, 19, v6
	v_subrev_u32_e32 v16, 28, v15
	v_and_b32_e32 v13, 15, v13
	v_lshlrev_b32_sdwa v16, v16, v6 dst_sel:DWORD dst_unused:UNUSED_PAD src0_sel:DWORD src1_sel:WORD_1
	v_bfe_u32 v14, v6, 19, 4
	v_sub_u32_e32 v15, 29, v15
	v_and_b32_e32 v16, 7, v16
	v_cmp_eq_u16_e32 vcc, 0, v13
	v_cndmask_b32_e32 v12, v12, v16, vcc
	v_cndmask_b32_e32 v13, v14, v15, vcc
	v_lshlrev_b32_e32 v14, 8, v6
	v_mov_b32_e32 v15, 0x3b800000
	v_lshlrev_b32_e32 v12, 20, v12
	v_and_b32_e32 v14, 0x80000000, v14
	v_lshl_add_u32 v13, v13, 23, v15
	v_or3_b32 v12, v14, v13, v12
.LBB2_532:
	s_or_b64 exec, exec, s[6:7]
	s_movk_i32 s4, 0xff
	v_and_b32_sdwa v13, v2, s4 dst_sel:DWORD dst_unused:UNUSED_PAD src0_sel:WORD_1 src1_sel:DWORD
	s_movk_i32 s4, 0x7f
	v_cmp_lt_i16_e32 vcc, s4, v13
	s_mov_b64 s[4:5], 0
                                        ; implicit-def: $sgpr10
	s_and_saveexec_b64 s[6:7], vcc
	s_xor_b64 s[6:7], exec, s[6:7]
	s_cbranch_execnz .LBB2_2581
; %bb.533:
	s_or_saveexec_b64 s[6:7], s[6:7]
	v_mov_b32_e32 v14, s10
	s_xor_b64 exec, exec, s[6:7]
	s_cbranch_execnz .LBB2_2584
.LBB2_534:
	s_or_b64 exec, exec, s[6:7]
	s_and_saveexec_b64 s[6:7], s[4:5]
	s_cbranch_execz .LBB2_536
.LBB2_535:
	v_bfe_u32 v13, v2, 16, 3
	v_ffbh_u32_e32 v16, v13
	v_min_u32_e32 v16, 32, v16
	v_lshrrev_b32_e32 v14, 19, v2
	v_subrev_u32_e32 v17, 28, v16
	v_and_b32_e32 v14, 15, v14
	v_lshlrev_b32_sdwa v17, v17, v2 dst_sel:DWORD dst_unused:UNUSED_PAD src0_sel:DWORD src1_sel:WORD_1
	v_bfe_u32 v15, v2, 19, 4
	v_sub_u32_e32 v16, 29, v16
	v_and_b32_e32 v17, 7, v17
	v_cmp_eq_u16_e32 vcc, 0, v14
	v_cndmask_b32_e32 v13, v13, v17, vcc
	v_cndmask_b32_e32 v14, v15, v16, vcc
	v_lshlrev_b32_e32 v15, 8, v2
	v_mov_b32_e32 v16, 0x3b800000
	v_lshlrev_b32_e32 v13, 20, v13
	v_and_b32_e32 v15, 0x80000000, v15
	v_lshl_add_u32 v14, v14, 23, v16
	v_or3_b32 v14, v15, v14, v13
.LBB2_536:
	s_or_b64 exec, exec, s[6:7]
	s_nop 0
	v_mfma_f32_16x16x4f32 a[0:3], v12, v14, a[0:3]
	s_movk_i32 s4, 0x7f
	v_cmp_gt_i16_sdwa s[6:7], v6, s4 src0_sel:BYTE_3 src1_sel:DWORD
	s_mov_b64 s[4:5], 0
                                        ; implicit-def: $sgpr10
	s_and_saveexec_b64 s[8:9], s[6:7]
	s_xor_b64 s[6:7], exec, s[8:9]
	s_cbranch_execnz .LBB2_2585
; %bb.537:
	s_or_saveexec_b64 s[6:7], s[6:7]
	v_mov_b32_e32 v12, s10
	s_xor_b64 exec, exec, s[6:7]
	s_cbranch_execnz .LBB2_2588
.LBB2_538:
	s_or_b64 exec, exec, s[6:7]
	s_and_saveexec_b64 s[6:7], s[4:5]
	s_cbranch_execz .LBB2_540
.LBB2_539:
	v_bfe_u32 v12, v6, 24, 3
	v_ffbh_u32_e32 v16, v12
	v_min_u32_e32 v16, 32, v16
	v_lshrrev_b32_e32 v14, 27, v6
	v_subrev_u32_e32 v17, 28, v16
	v_and_b32_e32 v13, 0x80000000, v6
	v_and_b32_e32 v14, 15, v14
	v_bfe_u32 v15, v6, 27, 4
	v_lshlrev_b32_sdwa v6, v17, v6 dst_sel:DWORD dst_unused:UNUSED_PAD src0_sel:DWORD src1_sel:BYTE_3
	v_sub_u32_e32 v16, 29, v16
	v_and_b32_e32 v6, 7, v6
	v_cmp_eq_u16_e32 vcc, 0, v14
	v_cndmask_b32_e32 v6, v12, v6, vcc
	v_cndmask_b32_e32 v12, v15, v16, vcc
	v_mov_b32_e32 v14, 0x3b800000
	v_lshlrev_b32_e32 v6, 20, v6
	v_lshl_add_u32 v12, v12, 23, v14
	v_or3_b32 v12, v13, v12, v6
.LBB2_540:
	s_or_b64 exec, exec, s[6:7]
	s_movk_i32 s4, 0x7f
	v_cmp_gt_i16_sdwa s[6:7], v2, s4 src0_sel:BYTE_3 src1_sel:DWORD
	s_mov_b64 s[4:5], 0
                                        ; implicit-def: $sgpr10
	s_and_saveexec_b64 s[8:9], s[6:7]
	s_xor_b64 s[6:7], exec, s[8:9]
	s_cbranch_execnz .LBB2_2589
; %bb.541:
	s_or_saveexec_b64 s[6:7], s[6:7]
	v_mov_b32_e32 v6, s10
	s_xor_b64 exec, exec, s[6:7]
	s_cbranch_execnz .LBB2_2592
.LBB2_542:
	s_or_b64 exec, exec, s[6:7]
	s_and_saveexec_b64 s[6:7], s[4:5]
	s_cbranch_execz .LBB2_544
.LBB2_543:
	v_bfe_u32 v6, v2, 24, 3
	v_ffbh_u32_e32 v16, v6
	v_min_u32_e32 v16, 32, v16
	v_lshrrev_b32_e32 v14, 27, v2
	v_subrev_u32_e32 v17, 28, v16
	v_and_b32_e32 v13, 0x80000000, v2
	v_and_b32_e32 v14, 15, v14
	v_bfe_u32 v15, v2, 27, 4
	v_lshlrev_b32_sdwa v2, v17, v2 dst_sel:DWORD dst_unused:UNUSED_PAD src0_sel:DWORD src1_sel:BYTE_3
	v_sub_u32_e32 v16, 29, v16
	v_and_b32_e32 v2, 7, v2
	v_cmp_eq_u16_e32 vcc, 0, v14
	v_cndmask_b32_e32 v2, v6, v2, vcc
	v_cndmask_b32_e32 v6, v15, v16, vcc
	v_mov_b32_e32 v14, 0x3b800000
	v_lshlrev_b32_e32 v2, 20, v2
	v_lshl_add_u32 v6, v6, 23, v14
	v_or3_b32 v6, v13, v6, v2
.LBB2_544:
	s_or_b64 exec, exec, s[6:7]
	s_nop 0
	v_mfma_f32_16x16x4f32 a[0:3], v12, v6, a[0:3]
	s_movk_i32 s4, 0x7f
	v_cmp_gt_i16_sdwa s[6:7], v7, s4 src0_sel:BYTE_0 src1_sel:DWORD
	s_mov_b64 s[4:5], 0
                                        ; implicit-def: $sgpr10
	s_and_saveexec_b64 s[8:9], s[6:7]
	s_xor_b64 s[6:7], exec, s[8:9]
	s_cbranch_execnz .LBB2_2593
; %bb.545:
	s_or_saveexec_b64 s[6:7], s[6:7]
	v_mov_b32_e32 v2, s10
	s_xor_b64 exec, exec, s[6:7]
	s_cbranch_execnz .LBB2_2596
.LBB2_546:
	s_or_b64 exec, exec, s[6:7]
	s_and_saveexec_b64 s[6:7], s[4:5]
	s_cbranch_execz .LBB2_548
.LBB2_547:
	v_and_b32_e32 v2, 7, v7
	v_ffbh_u32_e32 v12, v2
	v_min_u32_e32 v12, 32, v12
	v_lshrrev_b16_e32 v6, 3, v7
	v_subrev_u32_e32 v13, 28, v12
	v_and_b32_e32 v6, 15, v6
	v_lshlrev_b32_e32 v13, v13, v7
	v_sub_u32_e32 v12, 29, v12
	v_and_b32_e32 v13, 7, v13
	v_cmp_eq_u16_e32 vcc, 0, v6
	v_cndmask_b32_e32 v2, v2, v13, vcc
	v_cndmask_b32_e32 v6, v6, v12, vcc
	v_lshlrev_b32_e32 v12, 24, v7
	v_mov_b32_e32 v13, 0x3b800000
	v_lshlrev_b32_e32 v2, 20, v2
	v_and_b32_e32 v12, 0x80000000, v12
	v_lshl_add_u32 v6, v6, 23, v13
	v_or3_b32 v2, v12, v6, v2
.LBB2_548:
	s_or_b64 exec, exec, s[6:7]
	s_movk_i32 s4, 0x7f
	v_cmp_gt_i16_sdwa s[6:7], v3, s4 src0_sel:BYTE_0 src1_sel:DWORD
	s_mov_b64 s[4:5], 0
                                        ; implicit-def: $sgpr10
	s_and_saveexec_b64 s[8:9], s[6:7]
	s_xor_b64 s[6:7], exec, s[8:9]
	s_cbranch_execnz .LBB2_2597
; %bb.549:
	s_or_saveexec_b64 s[6:7], s[6:7]
	v_mov_b32_e32 v6, s10
	s_xor_b64 exec, exec, s[6:7]
	s_cbranch_execnz .LBB2_2600
.LBB2_550:
	s_or_b64 exec, exec, s[6:7]
	s_and_saveexec_b64 s[6:7], s[4:5]
	s_cbranch_execz .LBB2_552
.LBB2_551:
	v_and_b32_e32 v6, 7, v3
	v_ffbh_u32_e32 v13, v6
	v_min_u32_e32 v13, 32, v13
	v_lshrrev_b16_e32 v12, 3, v3
	v_subrev_u32_e32 v14, 28, v13
	v_and_b32_e32 v12, 15, v12
	v_lshlrev_b32_e32 v14, v14, v3
	v_sub_u32_e32 v13, 29, v13
	v_and_b32_e32 v14, 7, v14
	v_cmp_eq_u16_e32 vcc, 0, v12
	v_cndmask_b32_e32 v6, v6, v14, vcc
	v_cndmask_b32_e32 v12, v12, v13, vcc
	v_lshlrev_b32_e32 v13, 24, v3
	v_mov_b32_e32 v14, 0x3b800000
	v_lshlrev_b32_e32 v6, 20, v6
	v_and_b32_e32 v13, 0x80000000, v13
	v_lshl_add_u32 v12, v12, 23, v14
	v_or3_b32 v6, v13, v12, v6
.LBB2_552:
	s_or_b64 exec, exec, s[6:7]
	s_nop 0
	v_mfma_f32_16x16x4f32 a[0:3], v2, v6, a[0:3]
	v_lshrrev_b32_e32 v6, 8, v7
	s_movk_i32 s4, 0x7f
	v_cmp_gt_i16_sdwa s[6:7], v6, s4 src0_sel:BYTE_0 src1_sel:DWORD
	s_mov_b64 s[4:5], 0
                                        ; implicit-def: $sgpr10
	s_and_saveexec_b64 s[8:9], s[6:7]
	s_xor_b64 s[6:7], exec, s[8:9]
	s_cbranch_execnz .LBB2_2601
; %bb.553:
	s_or_saveexec_b64 s[6:7], s[6:7]
	v_mov_b32_e32 v2, s10
	s_xor_b64 exec, exec, s[6:7]
	s_cbranch_execnz .LBB2_2604
.LBB2_554:
	s_or_b64 exec, exec, s[6:7]
	s_and_saveexec_b64 s[6:7], s[4:5]
	s_cbranch_execz .LBB2_556
.LBB2_555:
	v_bfe_u32 v2, v7, 8, 3
	v_ffbh_u32_e32 v13, v2
	v_min_u32_e32 v13, 32, v13
	v_lshrrev_b16_e32 v12, 3, v6
	v_subrev_u32_e32 v14, 28, v13
	v_and_b32_e32 v12, 15, v12
	v_lshlrev_b32_e32 v6, v14, v6
	v_sub_u32_e32 v13, 29, v13
	v_and_b32_e32 v6, 7, v6
	v_cmp_eq_u16_e32 vcc, 0, v12
	v_cndmask_b32_e32 v2, v2, v6, vcc
	v_cndmask_b32_e32 v6, v12, v13, vcc
	v_lshlrev_b32_e32 v12, 16, v7
	v_mov_b32_e32 v13, 0x3b800000
	v_lshlrev_b32_e32 v2, 20, v2
	v_and_b32_e32 v12, 0x80000000, v12
	v_lshl_add_u32 v6, v6, 23, v13
	v_or3_b32 v2, v12, v6, v2
.LBB2_556:
	s_or_b64 exec, exec, s[6:7]
	v_lshrrev_b32_e32 v6, 8, v3
	s_movk_i32 s4, 0x7f
	v_cmp_gt_i16_sdwa s[6:7], v6, s4 src0_sel:BYTE_0 src1_sel:DWORD
	s_mov_b64 s[4:5], 0
                                        ; implicit-def: $sgpr10
	s_and_saveexec_b64 s[8:9], s[6:7]
	s_xor_b64 s[6:7], exec, s[8:9]
	s_cbranch_execnz .LBB2_2605
; %bb.557:
	s_or_saveexec_b64 s[6:7], s[6:7]
	v_mov_b32_e32 v12, s10
	s_xor_b64 exec, exec, s[6:7]
	s_cbranch_execnz .LBB2_2608
.LBB2_558:
	s_or_b64 exec, exec, s[6:7]
	s_and_saveexec_b64 s[6:7], s[4:5]
	s_cbranch_execz .LBB2_560
.LBB2_559:
	v_bfe_u32 v12, v3, 8, 3
	v_ffbh_u32_e32 v14, v12
	v_min_u32_e32 v14, 32, v14
	v_lshrrev_b16_e32 v13, 3, v6
	v_subrev_u32_e32 v15, 28, v14
	v_and_b32_e32 v13, 15, v13
	v_lshlrev_b32_e32 v6, v15, v6
	v_sub_u32_e32 v14, 29, v14
	v_and_b32_e32 v6, 7, v6
	v_cmp_eq_u16_e32 vcc, 0, v13
	v_cndmask_b32_e32 v6, v12, v6, vcc
	v_cndmask_b32_e32 v12, v13, v14, vcc
	v_lshlrev_b32_e32 v13, 16, v3
	v_mov_b32_e32 v14, 0x3b800000
	v_lshlrev_b32_e32 v6, 20, v6
	v_and_b32_e32 v13, 0x80000000, v13
	v_lshl_add_u32 v12, v12, 23, v14
	v_or3_b32 v12, v13, v12, v6
.LBB2_560:
	s_or_b64 exec, exec, s[6:7]
	s_nop 0
	v_mfma_f32_16x16x4f32 a[0:3], v2, v12, a[0:3]
	s_movk_i32 s4, 0xff
	v_and_b32_sdwa v6, v7, s4 dst_sel:DWORD dst_unused:UNUSED_PAD src0_sel:WORD_1 src1_sel:DWORD
	s_movk_i32 s4, 0x7f
	v_cmp_lt_i16_e32 vcc, s4, v6
	s_mov_b64 s[4:5], 0
                                        ; implicit-def: $sgpr10
	s_and_saveexec_b64 s[6:7], vcc
	s_xor_b64 s[6:7], exec, s[6:7]
	s_cbranch_execnz .LBB2_2609
; %bb.561:
	s_or_saveexec_b64 s[6:7], s[6:7]
	v_mov_b32_e32 v2, s10
	s_xor_b64 exec, exec, s[6:7]
	s_cbranch_execnz .LBB2_2612
.LBB2_562:
	s_or_b64 exec, exec, s[6:7]
	s_and_saveexec_b64 s[6:7], s[4:5]
	s_cbranch_execz .LBB2_564
.LBB2_563:
	v_bfe_u32 v2, v7, 16, 3
	v_ffbh_u32_e32 v13, v2
	v_min_u32_e32 v13, 32, v13
	v_lshrrev_b32_e32 v6, 19, v7
	v_subrev_u32_e32 v14, 28, v13
	v_and_b32_e32 v6, 15, v6
	v_lshlrev_b32_sdwa v14, v14, v7 dst_sel:DWORD dst_unused:UNUSED_PAD src0_sel:DWORD src1_sel:WORD_1
	v_bfe_u32 v12, v7, 19, 4
	v_sub_u32_e32 v13, 29, v13
	v_and_b32_e32 v14, 7, v14
	v_cmp_eq_u16_e32 vcc, 0, v6
	v_cndmask_b32_e32 v2, v2, v14, vcc
	v_cndmask_b32_e32 v6, v12, v13, vcc
	v_lshlrev_b32_e32 v12, 8, v7
	v_mov_b32_e32 v13, 0x3b800000
	v_lshlrev_b32_e32 v2, 20, v2
	v_and_b32_e32 v12, 0x80000000, v12
	v_lshl_add_u32 v6, v6, 23, v13
	v_or3_b32 v2, v12, v6, v2
.LBB2_564:
	s_or_b64 exec, exec, s[6:7]
	s_movk_i32 s4, 0xff
	v_and_b32_sdwa v6, v3, s4 dst_sel:DWORD dst_unused:UNUSED_PAD src0_sel:WORD_1 src1_sel:DWORD
	s_movk_i32 s4, 0x7f
	v_cmp_lt_i16_e32 vcc, s4, v6
	s_mov_b64 s[4:5], 0
                                        ; implicit-def: $sgpr10
	s_and_saveexec_b64 s[6:7], vcc
	s_xor_b64 s[6:7], exec, s[6:7]
	s_cbranch_execnz .LBB2_2613
; %bb.565:
	s_or_saveexec_b64 s[6:7], s[6:7]
	v_mov_b32_e32 v12, s10
	s_xor_b64 exec, exec, s[6:7]
	s_cbranch_execnz .LBB2_2616
.LBB2_566:
	s_or_b64 exec, exec, s[6:7]
	s_and_saveexec_b64 s[6:7], s[4:5]
	s_cbranch_execz .LBB2_568
.LBB2_567:
	v_bfe_u32 v6, v3, 16, 3
	v_ffbh_u32_e32 v14, v6
	v_min_u32_e32 v14, 32, v14
	v_lshrrev_b32_e32 v12, 19, v3
	v_subrev_u32_e32 v15, 28, v14
	v_and_b32_e32 v12, 15, v12
	v_lshlrev_b32_sdwa v15, v15, v3 dst_sel:DWORD dst_unused:UNUSED_PAD src0_sel:DWORD src1_sel:WORD_1
	v_bfe_u32 v13, v3, 19, 4
	v_sub_u32_e32 v14, 29, v14
	v_and_b32_e32 v15, 7, v15
	v_cmp_eq_u16_e32 vcc, 0, v12
	v_cndmask_b32_e32 v6, v6, v15, vcc
	v_cndmask_b32_e32 v12, v13, v14, vcc
	v_lshlrev_b32_e32 v13, 8, v3
	v_mov_b32_e32 v14, 0x3b800000
	v_lshlrev_b32_e32 v6, 20, v6
	v_and_b32_e32 v13, 0x80000000, v13
	v_lshl_add_u32 v12, v12, 23, v14
	v_or3_b32 v12, v13, v12, v6
.LBB2_568:
	s_or_b64 exec, exec, s[6:7]
	s_nop 0
	v_mfma_f32_16x16x4f32 a[0:3], v2, v12, a[0:3]
	s_movk_i32 s4, 0x7f
	v_cmp_gt_i16_sdwa s[6:7], v7, s4 src0_sel:BYTE_3 src1_sel:DWORD
	s_mov_b64 s[4:5], 0
                                        ; implicit-def: $sgpr10
	s_and_saveexec_b64 s[8:9], s[6:7]
	s_xor_b64 s[6:7], exec, s[8:9]
	s_cbranch_execnz .LBB2_2617
; %bb.569:
	s_or_saveexec_b64 s[6:7], s[6:7]
	v_mov_b32_e32 v2, s10
	s_xor_b64 exec, exec, s[6:7]
	s_cbranch_execnz .LBB2_2620
.LBB2_570:
	s_or_b64 exec, exec, s[6:7]
	s_and_saveexec_b64 s[6:7], s[4:5]
	s_cbranch_execz .LBB2_572
.LBB2_571:
	v_bfe_u32 v2, v7, 24, 3
	v_ffbh_u32_e32 v14, v2
	v_min_u32_e32 v14, 32, v14
	v_lshrrev_b32_e32 v12, 27, v7
	v_subrev_u32_e32 v15, 28, v14
	v_and_b32_e32 v6, 0x80000000, v7
	v_and_b32_e32 v12, 15, v12
	v_bfe_u32 v13, v7, 27, 4
	v_lshlrev_b32_sdwa v7, v15, v7 dst_sel:DWORD dst_unused:UNUSED_PAD src0_sel:DWORD src1_sel:BYTE_3
	v_sub_u32_e32 v14, 29, v14
	v_and_b32_e32 v7, 7, v7
	v_cmp_eq_u16_e32 vcc, 0, v12
	v_cndmask_b32_e32 v2, v2, v7, vcc
	v_cndmask_b32_e32 v7, v13, v14, vcc
	v_mov_b32_e32 v12, 0x3b800000
	v_lshlrev_b32_e32 v2, 20, v2
	v_lshl_add_u32 v7, v7, 23, v12
	v_or3_b32 v2, v6, v7, v2
.LBB2_572:
	s_or_b64 exec, exec, s[6:7]
	s_movk_i32 s4, 0x7f
	v_cmp_gt_i16_sdwa s[6:7], v3, s4 src0_sel:BYTE_3 src1_sel:DWORD
	s_mov_b64 s[4:5], 0
                                        ; implicit-def: $sgpr10
	s_and_saveexec_b64 s[8:9], s[6:7]
	s_xor_b64 s[6:7], exec, s[8:9]
	s_cbranch_execnz .LBB2_2621
; %bb.573:
	s_or_saveexec_b64 s[6:7], s[6:7]
	v_mov_b32_e32 v6, s10
	s_xor_b64 exec, exec, s[6:7]
	s_cbranch_execnz .LBB2_2624
.LBB2_574:
	s_or_b64 exec, exec, s[6:7]
	s_and_saveexec_b64 s[6:7], s[4:5]
	s_cbranch_execz .LBB2_576
.LBB2_575:
	v_bfe_u32 v6, v3, 24, 3
	v_ffbh_u32_e32 v14, v6
	v_min_u32_e32 v14, 32, v14
	v_lshrrev_b32_e32 v12, 27, v3
	v_subrev_u32_e32 v15, 28, v14
	v_and_b32_e32 v7, 0x80000000, v3
	v_and_b32_e32 v12, 15, v12
	v_bfe_u32 v13, v3, 27, 4
	v_lshlrev_b32_sdwa v3, v15, v3 dst_sel:DWORD dst_unused:UNUSED_PAD src0_sel:DWORD src1_sel:BYTE_3
	v_sub_u32_e32 v14, 29, v14
	v_and_b32_e32 v3, 7, v3
	v_cmp_eq_u16_e32 vcc, 0, v12
	v_cndmask_b32_e32 v3, v6, v3, vcc
	v_cndmask_b32_e32 v6, v13, v14, vcc
	v_mov_b32_e32 v12, 0x3b800000
	v_lshlrev_b32_e32 v3, 20, v3
	v_lshl_add_u32 v6, v6, 23, v12
	v_or3_b32 v6, v7, v6, v3
.LBB2_576:
	s_or_b64 exec, exec, s[6:7]
	s_nop 0
	v_mfma_f32_16x16x4f32 a[0:3], v2, v6, a[0:3]
	s_movk_i32 s4, 0x7f
	v_cmp_gt_i16_sdwa s[6:7], v8, s4 src0_sel:BYTE_0 src1_sel:DWORD
	s_mov_b64 s[4:5], 0
                                        ; implicit-def: $sgpr10
	s_and_saveexec_b64 s[8:9], s[6:7]
	s_xor_b64 s[6:7], exec, s[8:9]
	s_cbranch_execnz .LBB2_2625
; %bb.577:
	s_or_saveexec_b64 s[6:7], s[6:7]
	v_mov_b32_e32 v2, s10
	s_xor_b64 exec, exec, s[6:7]
	s_cbranch_execnz .LBB2_2628
.LBB2_578:
	s_or_b64 exec, exec, s[6:7]
	s_and_saveexec_b64 s[6:7], s[4:5]
	s_cbranch_execz .LBB2_580
.LBB2_579:
	v_and_b32_e32 v2, 7, v8
	v_ffbh_u32_e32 v6, v2
	v_min_u32_e32 v6, 32, v6
	v_lshrrev_b16_e32 v3, 3, v8
	v_subrev_u32_e32 v7, 28, v6
	v_and_b32_e32 v3, 15, v3
	v_lshlrev_b32_e32 v7, v7, v8
	v_sub_u32_e32 v6, 29, v6
	v_and_b32_e32 v7, 7, v7
	v_cmp_eq_u16_e32 vcc, 0, v3
	v_cndmask_b32_e32 v2, v2, v7, vcc
	v_cndmask_b32_e32 v3, v3, v6, vcc
	v_lshlrev_b32_e32 v6, 24, v8
	v_mov_b32_e32 v7, 0x3b800000
	v_lshlrev_b32_e32 v2, 20, v2
	v_and_b32_e32 v6, 0x80000000, v6
	v_lshl_add_u32 v3, v3, 23, v7
	v_or3_b32 v2, v6, v3, v2
.LBB2_580:
	s_or_b64 exec, exec, s[6:7]
	s_movk_i32 s4, 0x7f
	v_cmp_gt_i16_sdwa s[6:7], v4, s4 src0_sel:BYTE_0 src1_sel:DWORD
	s_mov_b64 s[4:5], 0
                                        ; implicit-def: $sgpr10
	s_and_saveexec_b64 s[8:9], s[6:7]
	s_xor_b64 s[6:7], exec, s[8:9]
	s_cbranch_execnz .LBB2_2629
; %bb.581:
	s_or_saveexec_b64 s[6:7], s[6:7]
	v_mov_b32_e32 v3, s10
	s_xor_b64 exec, exec, s[6:7]
	s_cbranch_execnz .LBB2_2632
.LBB2_582:
	s_or_b64 exec, exec, s[6:7]
	s_and_saveexec_b64 s[6:7], s[4:5]
	s_cbranch_execz .LBB2_584
.LBB2_583:
	v_and_b32_e32 v3, 7, v4
	v_ffbh_u32_e32 v7, v3
	v_min_u32_e32 v7, 32, v7
	v_lshrrev_b16_e32 v6, 3, v4
	v_subrev_u32_e32 v12, 28, v7
	v_and_b32_e32 v6, 15, v6
	v_lshlrev_b32_e32 v12, v12, v4
	v_sub_u32_e32 v7, 29, v7
	v_and_b32_e32 v12, 7, v12
	v_cmp_eq_u16_e32 vcc, 0, v6
	v_cndmask_b32_e32 v3, v3, v12, vcc
	v_cndmask_b32_e32 v6, v6, v7, vcc
	v_lshlrev_b32_e32 v7, 24, v4
	v_mov_b32_e32 v12, 0x3b800000
	v_lshlrev_b32_e32 v3, 20, v3
	v_and_b32_e32 v7, 0x80000000, v7
	v_lshl_add_u32 v6, v6, 23, v12
	v_or3_b32 v3, v7, v6, v3
.LBB2_584:
	s_or_b64 exec, exec, s[6:7]
	s_nop 0
	v_mfma_f32_16x16x4f32 a[0:3], v2, v3, a[0:3]
	v_lshrrev_b32_e32 v3, 8, v8
	s_movk_i32 s4, 0x7f
	v_cmp_gt_i16_sdwa s[6:7], v3, s4 src0_sel:BYTE_0 src1_sel:DWORD
	s_mov_b64 s[4:5], 0
                                        ; implicit-def: $sgpr10
	s_and_saveexec_b64 s[8:9], s[6:7]
	s_xor_b64 s[6:7], exec, s[8:9]
	s_cbranch_execnz .LBB2_2633
; %bb.585:
	s_or_saveexec_b64 s[6:7], s[6:7]
	v_mov_b32_e32 v2, s10
	s_xor_b64 exec, exec, s[6:7]
	s_cbranch_execnz .LBB2_2636
.LBB2_586:
	s_or_b64 exec, exec, s[6:7]
	s_and_saveexec_b64 s[6:7], s[4:5]
	s_cbranch_execz .LBB2_588
.LBB2_587:
	v_bfe_u32 v2, v8, 8, 3
	v_ffbh_u32_e32 v7, v2
	v_min_u32_e32 v7, 32, v7
	v_lshrrev_b16_e32 v6, 3, v3
	v_subrev_u32_e32 v12, 28, v7
	v_and_b32_e32 v6, 15, v6
	v_lshlrev_b32_e32 v3, v12, v3
	v_sub_u32_e32 v7, 29, v7
	v_and_b32_e32 v3, 7, v3
	v_cmp_eq_u16_e32 vcc, 0, v6
	v_cndmask_b32_e32 v2, v2, v3, vcc
	v_cndmask_b32_e32 v3, v6, v7, vcc
	v_lshlrev_b32_e32 v6, 16, v8
	v_mov_b32_e32 v7, 0x3b800000
	v_lshlrev_b32_e32 v2, 20, v2
	v_and_b32_e32 v6, 0x80000000, v6
	v_lshl_add_u32 v3, v3, 23, v7
	v_or3_b32 v2, v6, v3, v2
.LBB2_588:
	s_or_b64 exec, exec, s[6:7]
	v_lshrrev_b32_e32 v3, 8, v4
	s_movk_i32 s4, 0x7f
	v_cmp_gt_i16_sdwa s[6:7], v3, s4 src0_sel:BYTE_0 src1_sel:DWORD
	s_mov_b64 s[4:5], 0
                                        ; implicit-def: $sgpr10
	s_and_saveexec_b64 s[8:9], s[6:7]
	s_xor_b64 s[6:7], exec, s[8:9]
	s_cbranch_execnz .LBB2_2637
; %bb.589:
	s_or_saveexec_b64 s[6:7], s[6:7]
	v_mov_b32_e32 v6, s10
	s_xor_b64 exec, exec, s[6:7]
	s_cbranch_execnz .LBB2_2640
.LBB2_590:
	s_or_b64 exec, exec, s[6:7]
	s_and_saveexec_b64 s[6:7], s[4:5]
	s_cbranch_execz .LBB2_592
.LBB2_591:
	v_bfe_u32 v6, v4, 8, 3
	v_ffbh_u32_e32 v12, v6
	v_min_u32_e32 v12, 32, v12
	v_lshrrev_b16_e32 v7, 3, v3
	v_subrev_u32_e32 v13, 28, v12
	v_and_b32_e32 v7, 15, v7
	v_lshlrev_b32_e32 v3, v13, v3
	v_sub_u32_e32 v12, 29, v12
	v_and_b32_e32 v3, 7, v3
	v_cmp_eq_u16_e32 vcc, 0, v7
	v_cndmask_b32_e32 v3, v6, v3, vcc
	v_cndmask_b32_e32 v6, v7, v12, vcc
	v_lshlrev_b32_e32 v7, 16, v4
	v_mov_b32_e32 v12, 0x3b800000
	v_lshlrev_b32_e32 v3, 20, v3
	v_and_b32_e32 v7, 0x80000000, v7
	v_lshl_add_u32 v6, v6, 23, v12
	v_or3_b32 v6, v7, v6, v3
.LBB2_592:
	s_or_b64 exec, exec, s[6:7]
	s_nop 0
	v_mfma_f32_16x16x4f32 a[0:3], v2, v6, a[0:3]
	s_movk_i32 s4, 0xff
	v_and_b32_sdwa v3, v8, s4 dst_sel:DWORD dst_unused:UNUSED_PAD src0_sel:WORD_1 src1_sel:DWORD
	s_movk_i32 s4, 0x7f
	v_cmp_lt_i16_e32 vcc, s4, v3
	s_mov_b64 s[4:5], 0
                                        ; implicit-def: $sgpr10
	s_and_saveexec_b64 s[6:7], vcc
	s_xor_b64 s[6:7], exec, s[6:7]
	s_cbranch_execnz .LBB2_2641
; %bb.593:
	s_or_saveexec_b64 s[6:7], s[6:7]
	v_mov_b32_e32 v2, s10
	s_xor_b64 exec, exec, s[6:7]
	s_cbranch_execnz .LBB2_2644
.LBB2_594:
	s_or_b64 exec, exec, s[6:7]
	s_and_saveexec_b64 s[6:7], s[4:5]
	s_cbranch_execz .LBB2_596
.LBB2_595:
	v_bfe_u32 v2, v8, 16, 3
	v_ffbh_u32_e32 v7, v2
	v_min_u32_e32 v7, 32, v7
	v_lshrrev_b32_e32 v3, 19, v8
	v_subrev_u32_e32 v12, 28, v7
	v_and_b32_e32 v3, 15, v3
	v_lshlrev_b32_sdwa v12, v12, v8 dst_sel:DWORD dst_unused:UNUSED_PAD src0_sel:DWORD src1_sel:WORD_1
	v_bfe_u32 v6, v8, 19, 4
	v_sub_u32_e32 v7, 29, v7
	v_and_b32_e32 v12, 7, v12
	v_cmp_eq_u16_e32 vcc, 0, v3
	v_cndmask_b32_e32 v2, v2, v12, vcc
	v_cndmask_b32_e32 v3, v6, v7, vcc
	v_lshlrev_b32_e32 v6, 8, v8
	v_mov_b32_e32 v7, 0x3b800000
	v_lshlrev_b32_e32 v2, 20, v2
	v_and_b32_e32 v6, 0x80000000, v6
	v_lshl_add_u32 v3, v3, 23, v7
	v_or3_b32 v2, v6, v3, v2
.LBB2_596:
	s_or_b64 exec, exec, s[6:7]
	s_movk_i32 s4, 0xff
	v_and_b32_sdwa v3, v4, s4 dst_sel:DWORD dst_unused:UNUSED_PAD src0_sel:WORD_1 src1_sel:DWORD
	s_movk_i32 s4, 0x7f
	v_cmp_lt_i16_e32 vcc, s4, v3
	s_mov_b64 s[4:5], 0
                                        ; implicit-def: $sgpr10
	s_and_saveexec_b64 s[6:7], vcc
	s_xor_b64 s[6:7], exec, s[6:7]
	s_cbranch_execnz .LBB2_2645
; %bb.597:
	s_or_saveexec_b64 s[6:7], s[6:7]
	v_mov_b32_e32 v6, s10
	s_xor_b64 exec, exec, s[6:7]
	s_cbranch_execnz .LBB2_2648
.LBB2_598:
	s_or_b64 exec, exec, s[6:7]
	s_and_saveexec_b64 s[6:7], s[4:5]
	s_cbranch_execz .LBB2_600
.LBB2_599:
	v_bfe_u32 v3, v4, 16, 3
	v_ffbh_u32_e32 v12, v3
	v_min_u32_e32 v12, 32, v12
	v_lshrrev_b32_e32 v6, 19, v4
	v_subrev_u32_e32 v13, 28, v12
	v_and_b32_e32 v6, 15, v6
	v_lshlrev_b32_sdwa v13, v13, v4 dst_sel:DWORD dst_unused:UNUSED_PAD src0_sel:DWORD src1_sel:WORD_1
	v_bfe_u32 v7, v4, 19, 4
	v_sub_u32_e32 v12, 29, v12
	v_and_b32_e32 v13, 7, v13
	v_cmp_eq_u16_e32 vcc, 0, v6
	v_cndmask_b32_e32 v3, v3, v13, vcc
	v_cndmask_b32_e32 v6, v7, v12, vcc
	v_lshlrev_b32_e32 v7, 8, v4
	v_mov_b32_e32 v12, 0x3b800000
	v_lshlrev_b32_e32 v3, 20, v3
	v_and_b32_e32 v7, 0x80000000, v7
	v_lshl_add_u32 v6, v6, 23, v12
	v_or3_b32 v6, v7, v6, v3
.LBB2_600:
	s_or_b64 exec, exec, s[6:7]
	s_nop 0
	v_mfma_f32_16x16x4f32 a[0:3], v2, v6, a[0:3]
	s_movk_i32 s4, 0x7f
	v_cmp_gt_i16_sdwa s[6:7], v8, s4 src0_sel:BYTE_3 src1_sel:DWORD
	s_mov_b64 s[4:5], 0
                                        ; implicit-def: $sgpr10
	s_and_saveexec_b64 s[8:9], s[6:7]
	s_xor_b64 s[6:7], exec, s[8:9]
	s_cbranch_execnz .LBB2_2649
; %bb.601:
	s_or_saveexec_b64 s[6:7], s[6:7]
	v_mov_b32_e32 v2, s10
	s_xor_b64 exec, exec, s[6:7]
	s_cbranch_execnz .LBB2_2652
.LBB2_602:
	s_or_b64 exec, exec, s[6:7]
	s_and_saveexec_b64 s[6:7], s[4:5]
	s_cbranch_execz .LBB2_604
.LBB2_603:
	v_bfe_u32 v2, v8, 24, 3
	v_ffbh_u32_e32 v12, v2
	v_min_u32_e32 v12, 32, v12
	v_lshrrev_b32_e32 v6, 27, v8
	v_subrev_u32_e32 v13, 28, v12
	v_and_b32_e32 v3, 0x80000000, v8
	v_and_b32_e32 v6, 15, v6
	v_bfe_u32 v7, v8, 27, 4
	v_lshlrev_b32_sdwa v8, v13, v8 dst_sel:DWORD dst_unused:UNUSED_PAD src0_sel:DWORD src1_sel:BYTE_3
	v_sub_u32_e32 v12, 29, v12
	v_and_b32_e32 v8, 7, v8
	v_cmp_eq_u16_e32 vcc, 0, v6
	v_cndmask_b32_e32 v2, v2, v8, vcc
	v_cndmask_b32_e32 v6, v7, v12, vcc
	v_mov_b32_e32 v7, 0x3b800000
	v_lshlrev_b32_e32 v2, 20, v2
	v_lshl_add_u32 v6, v6, 23, v7
	v_or3_b32 v2, v3, v6, v2
.LBB2_604:
	s_or_b64 exec, exec, s[6:7]
	s_movk_i32 s4, 0x7f
	v_cmp_gt_i16_sdwa s[6:7], v4, s4 src0_sel:BYTE_3 src1_sel:DWORD
	s_mov_b64 s[4:5], 0
                                        ; implicit-def: $sgpr10
	s_and_saveexec_b64 s[8:9], s[6:7]
	s_xor_b64 s[6:7], exec, s[8:9]
	s_cbranch_execnz .LBB2_2653
; %bb.605:
	s_or_saveexec_b64 s[6:7], s[6:7]
	v_mov_b32_e32 v3, s10
	s_xor_b64 exec, exec, s[6:7]
	s_cbranch_execnz .LBB2_2656
.LBB2_606:
	s_or_b64 exec, exec, s[6:7]
	s_and_saveexec_b64 s[6:7], s[4:5]
	s_cbranch_execz .LBB2_608
.LBB2_607:
	v_bfe_u32 v3, v4, 24, 3
	v_ffbh_u32_e32 v12, v3
	v_min_u32_e32 v12, 32, v12
	v_lshrrev_b32_e32 v7, 27, v4
	v_subrev_u32_e32 v13, 28, v12
	v_and_b32_e32 v6, 0x80000000, v4
	v_and_b32_e32 v7, 15, v7
	v_bfe_u32 v8, v4, 27, 4
	v_lshlrev_b32_sdwa v4, v13, v4 dst_sel:DWORD dst_unused:UNUSED_PAD src0_sel:DWORD src1_sel:BYTE_3
	v_sub_u32_e32 v12, 29, v12
	v_and_b32_e32 v4, 7, v4
	v_cmp_eq_u16_e32 vcc, 0, v7
	v_cndmask_b32_e32 v3, v3, v4, vcc
	v_cndmask_b32_e32 v4, v8, v12, vcc
	v_mov_b32_e32 v7, 0x3b800000
	v_lshlrev_b32_e32 v3, 20, v3
	v_lshl_add_u32 v4, v4, 23, v7
	v_or3_b32 v3, v6, v4, v3
.LBB2_608:
	s_or_b64 exec, exec, s[6:7]
	s_nop 0
	v_mfma_f32_16x16x4f32 a[0:3], v2, v3, a[0:3]
	s_movk_i32 s4, 0x7f
	v_cmp_gt_i16_sdwa s[6:7], v9, s4 src0_sel:BYTE_0 src1_sel:DWORD
	s_mov_b64 s[4:5], 0
                                        ; implicit-def: $sgpr10
	s_and_saveexec_b64 s[8:9], s[6:7]
	s_xor_b64 s[6:7], exec, s[8:9]
	s_cbranch_execnz .LBB2_2657
; %bb.609:
	s_or_saveexec_b64 s[6:7], s[6:7]
	v_mov_b32_e32 v2, s10
	s_xor_b64 exec, exec, s[6:7]
	s_cbranch_execnz .LBB2_2660
.LBB2_610:
	s_or_b64 exec, exec, s[6:7]
	s_and_saveexec_b64 s[6:7], s[4:5]
	s_cbranch_execz .LBB2_612
.LBB2_611:
	v_mov_b32_e32 v2, 8
	v_and_b32_e32 v3, 7, v9
	v_lshrrev_b32_sdwa v2, v2, v9 dst_sel:BYTE_1 dst_unused:UNUSED_PAD src0_sel:DWORD src1_sel:DWORD
	v_ffbh_u32_e32 v4, v3
	v_or_b32_sdwa v2, v9, v2 dst_sel:DWORD dst_unused:UNUSED_PAD src0_sel:BYTE_0 src1_sel:DWORD
	v_min_u32_e32 v4, 32, v4
	v_lshrrev_b16_e32 v2, 3, v2
	v_subrev_u32_e32 v6, 28, v4
	v_and_b32_e32 v2, 15, v2
	v_lshlrev_b32_e32 v6, v6, v9
	v_sub_u32_e32 v4, 29, v4
	v_and_b32_e32 v6, 7, v6
	v_cmp_eq_u16_e32 vcc, 0, v2
	v_cndmask_b32_e32 v3, v3, v6, vcc
	v_cndmask_b32_e32 v2, v2, v4, vcc
	v_lshlrev_b32_e32 v4, 24, v9
	v_mov_b32_e32 v6, 0x3b800000
	v_lshlrev_b32_e32 v3, 20, v3
	v_and_b32_e32 v4, 0x80000000, v4
	v_lshl_add_u32 v2, v2, 23, v6
	v_or3_b32 v2, v4, v2, v3
.LBB2_612:
	s_or_b64 exec, exec, s[6:7]
	s_movk_i32 s4, 0x7f
	v_cmp_gt_i16_sdwa s[6:7], v5, s4 src0_sel:BYTE_0 src1_sel:DWORD
	s_mov_b64 s[4:5], 0
                                        ; implicit-def: $sgpr10
	s_and_saveexec_b64 s[8:9], s[6:7]
	s_xor_b64 s[6:7], exec, s[8:9]
	s_cbranch_execnz .LBB2_2661
; %bb.613:
	s_or_saveexec_b64 s[6:7], s[6:7]
	v_mov_b32_e32 v3, s10
	s_xor_b64 exec, exec, s[6:7]
	s_cbranch_execnz .LBB2_2664
.LBB2_614:
	s_or_b64 exec, exec, s[6:7]
	s_and_saveexec_b64 s[6:7], s[4:5]
	s_cbranch_execz .LBB2_616
.LBB2_615:
	v_mov_b32_e32 v3, 8
	v_and_b32_e32 v4, 7, v5
	v_lshrrev_b32_sdwa v3, v3, v5 dst_sel:BYTE_1 dst_unused:UNUSED_PAD src0_sel:DWORD src1_sel:DWORD
	v_ffbh_u32_e32 v6, v4
	v_or_b32_sdwa v3, v5, v3 dst_sel:DWORD dst_unused:UNUSED_PAD src0_sel:BYTE_0 src1_sel:DWORD
	v_min_u32_e32 v6, 32, v6
	v_lshrrev_b16_e32 v3, 3, v3
	v_subrev_u32_e32 v7, 28, v6
	v_and_b32_e32 v3, 15, v3
	v_lshlrev_b32_e32 v7, v7, v5
	v_sub_u32_e32 v6, 29, v6
	v_and_b32_e32 v7, 7, v7
	v_cmp_eq_u16_e32 vcc, 0, v3
	v_cndmask_b32_e32 v4, v4, v7, vcc
	v_cndmask_b32_e32 v3, v3, v6, vcc
	v_lshlrev_b32_e32 v6, 24, v5
	v_mov_b32_e32 v7, 0x3b800000
	v_lshlrev_b32_e32 v4, 20, v4
	v_and_b32_e32 v6, 0x80000000, v6
	v_lshl_add_u32 v3, v3, 23, v7
	v_or3_b32 v3, v6, v3, v4
.LBB2_616:
	s_or_b64 exec, exec, s[6:7]
	s_nop 0
	v_mfma_f32_16x16x4f32 a[0:3], v2, v3, a[0:3]
	v_lshrrev_b32_e32 v3, 8, v9
	s_movk_i32 s4, 0x7f
	v_cmp_gt_i16_sdwa s[6:7], v3, s4 src0_sel:BYTE_0 src1_sel:DWORD
	s_mov_b64 s[4:5], 0
                                        ; implicit-def: $sgpr10
	s_and_saveexec_b64 s[8:9], s[6:7]
	s_xor_b64 s[6:7], exec, s[8:9]
	s_cbranch_execnz .LBB2_2665
; %bb.617:
	s_or_saveexec_b64 s[6:7], s[6:7]
	v_mov_b32_e32 v2, s10
	s_xor_b64 exec, exec, s[6:7]
	s_cbranch_execnz .LBB2_2668
.LBB2_618:
	s_or_b64 exec, exec, s[6:7]
	s_and_saveexec_b64 s[6:7], s[4:5]
	s_cbranch_execz .LBB2_620
.LBB2_619:
	v_bfe_u32 v2, v9, 8, 3
	v_ffbh_u32_e32 v6, v2
	v_min_u32_e32 v6, 32, v6
	v_lshrrev_b16_e32 v4, 3, v3
	v_subrev_u32_e32 v7, 28, v6
	v_and_b32_e32 v4, 15, v4
	v_lshlrev_b32_e32 v3, v7, v3
	v_sub_u32_e32 v6, 29, v6
	v_and_b32_e32 v3, 7, v3
	v_cmp_eq_u16_e32 vcc, 0, v4
	v_cndmask_b32_e32 v2, v2, v3, vcc
	v_cndmask_b32_e32 v3, v4, v6, vcc
	v_lshlrev_b32_e32 v4, 16, v9
	v_mov_b32_e32 v6, 0x3b800000
	v_lshlrev_b32_e32 v2, 20, v2
	v_and_b32_e32 v4, 0x80000000, v4
	v_lshl_add_u32 v3, v3, 23, v6
	v_or3_b32 v2, v4, v3, v2
.LBB2_620:
	s_or_b64 exec, exec, s[6:7]
	v_lshrrev_b32_e32 v3, 8, v5
	s_movk_i32 s4, 0x7f
	v_cmp_gt_i16_sdwa s[6:7], v3, s4 src0_sel:BYTE_0 src1_sel:DWORD
	s_mov_b64 s[4:5], 0
                                        ; implicit-def: $sgpr10
	s_and_saveexec_b64 s[8:9], s[6:7]
	s_xor_b64 s[6:7], exec, s[8:9]
	s_cbranch_execnz .LBB2_2669
; %bb.621:
	s_or_saveexec_b64 s[6:7], s[6:7]
	v_mov_b32_e32 v4, s10
	s_xor_b64 exec, exec, s[6:7]
	s_cbranch_execnz .LBB2_2672
.LBB2_622:
	s_or_b64 exec, exec, s[6:7]
	s_and_saveexec_b64 s[6:7], s[4:5]
	s_cbranch_execz .LBB2_624
.LBB2_623:
	v_bfe_u32 v4, v5, 8, 3
	v_ffbh_u32_e32 v7, v4
	v_min_u32_e32 v7, 32, v7
	v_lshrrev_b16_e32 v6, 3, v3
	v_subrev_u32_e32 v8, 28, v7
	v_and_b32_e32 v6, 15, v6
	v_lshlrev_b32_e32 v3, v8, v3
	v_sub_u32_e32 v7, 29, v7
	v_and_b32_e32 v3, 7, v3
	v_cmp_eq_u16_e32 vcc, 0, v6
	v_cndmask_b32_e32 v3, v4, v3, vcc
	v_cndmask_b32_e32 v4, v6, v7, vcc
	v_lshlrev_b32_e32 v6, 16, v5
	v_mov_b32_e32 v7, 0x3b800000
	v_lshlrev_b32_e32 v3, 20, v3
	v_and_b32_e32 v6, 0x80000000, v6
	v_lshl_add_u32 v4, v4, 23, v7
	v_or3_b32 v4, v6, v4, v3
.LBB2_624:
	s_or_b64 exec, exec, s[6:7]
	s_nop 0
	v_mfma_f32_16x16x4f32 a[0:3], v2, v4, a[0:3]
	s_movk_i32 s4, 0xff
	v_and_b32_sdwa v3, v9, s4 dst_sel:DWORD dst_unused:UNUSED_PAD src0_sel:WORD_1 src1_sel:DWORD
	s_movk_i32 s4, 0x7f
	v_cmp_lt_i16_e32 vcc, s4, v3
	s_mov_b64 s[4:5], 0
                                        ; implicit-def: $sgpr10
	s_and_saveexec_b64 s[6:7], vcc
	s_xor_b64 s[6:7], exec, s[6:7]
	s_cbranch_execnz .LBB2_2673
; %bb.625:
	s_or_saveexec_b64 s[6:7], s[6:7]
	v_mov_b32_e32 v2, s10
	s_xor_b64 exec, exec, s[6:7]
	s_cbranch_execnz .LBB2_2676
.LBB2_626:
	s_or_b64 exec, exec, s[6:7]
	s_and_saveexec_b64 s[6:7], s[4:5]
	s_cbranch_execz .LBB2_628
.LBB2_627:
	v_bfe_u32 v2, v9, 16, 3
	v_ffbh_u32_e32 v6, v2
	v_min_u32_e32 v6, 32, v6
	v_lshrrev_b32_e32 v3, 19, v9
	v_subrev_u32_e32 v7, 28, v6
	v_and_b32_e32 v3, 15, v3
	v_lshlrev_b32_sdwa v7, v7, v9 dst_sel:DWORD dst_unused:UNUSED_PAD src0_sel:DWORD src1_sel:WORD_1
	v_bfe_u32 v4, v9, 19, 4
	v_sub_u32_e32 v6, 29, v6
	v_and_b32_e32 v7, 7, v7
	v_cmp_eq_u16_e32 vcc, 0, v3
	v_cndmask_b32_e32 v2, v2, v7, vcc
	v_cndmask_b32_e32 v3, v4, v6, vcc
	v_lshlrev_b32_e32 v4, 8, v9
	v_mov_b32_e32 v6, 0x3b800000
	v_lshlrev_b32_e32 v2, 20, v2
	v_and_b32_e32 v4, 0x80000000, v4
	v_lshl_add_u32 v3, v3, 23, v6
	v_or3_b32 v2, v4, v3, v2
.LBB2_628:
	s_or_b64 exec, exec, s[6:7]
	s_movk_i32 s4, 0xff
	v_and_b32_sdwa v3, v5, s4 dst_sel:DWORD dst_unused:UNUSED_PAD src0_sel:WORD_1 src1_sel:DWORD
	s_movk_i32 s4, 0x7f
	v_cmp_lt_i16_e32 vcc, s4, v3
	s_mov_b64 s[4:5], 0
                                        ; implicit-def: $sgpr10
	s_and_saveexec_b64 s[6:7], vcc
	s_xor_b64 s[6:7], exec, s[6:7]
	s_cbranch_execnz .LBB2_2677
; %bb.629:
	s_or_saveexec_b64 s[6:7], s[6:7]
	v_mov_b32_e32 v4, s10
	s_xor_b64 exec, exec, s[6:7]
	s_cbranch_execnz .LBB2_2680
.LBB2_630:
	s_or_b64 exec, exec, s[6:7]
	s_and_saveexec_b64 s[6:7], s[4:5]
	s_cbranch_execz .LBB2_632
.LBB2_631:
	v_bfe_u32 v3, v5, 16, 3
	v_ffbh_u32_e32 v7, v3
	v_min_u32_e32 v7, 32, v7
	v_lshrrev_b32_e32 v4, 19, v5
	v_subrev_u32_e32 v8, 28, v7
	v_and_b32_e32 v4, 15, v4
	v_lshlrev_b32_sdwa v8, v8, v5 dst_sel:DWORD dst_unused:UNUSED_PAD src0_sel:DWORD src1_sel:WORD_1
	v_bfe_u32 v6, v5, 19, 4
	v_sub_u32_e32 v7, 29, v7
	v_and_b32_e32 v8, 7, v8
	v_cmp_eq_u16_e32 vcc, 0, v4
	v_cndmask_b32_e32 v3, v3, v8, vcc
	v_cndmask_b32_e32 v4, v6, v7, vcc
	v_lshlrev_b32_e32 v6, 8, v5
	v_mov_b32_e32 v7, 0x3b800000
	v_lshlrev_b32_e32 v3, 20, v3
	v_and_b32_e32 v6, 0x80000000, v6
	v_lshl_add_u32 v4, v4, 23, v7
	v_or3_b32 v4, v6, v4, v3
.LBB2_632:
	s_or_b64 exec, exec, s[6:7]
	s_nop 0
	v_mfma_f32_16x16x4f32 a[0:3], v2, v4, a[0:3]
	s_movk_i32 s4, 0x7f
	v_cmp_gt_i16_sdwa s[6:7], v9, s4 src0_sel:BYTE_3 src1_sel:DWORD
	s_mov_b64 s[4:5], 0
                                        ; implicit-def: $sgpr10
	s_and_saveexec_b64 s[8:9], s[6:7]
	s_xor_b64 s[6:7], exec, s[8:9]
	s_cbranch_execnz .LBB2_2681
; %bb.633:
	s_or_saveexec_b64 s[6:7], s[6:7]
	v_mov_b32_e32 v2, s10
	s_xor_b64 exec, exec, s[6:7]
	s_cbranch_execnz .LBB2_2684
.LBB2_634:
	s_or_b64 exec, exec, s[6:7]
	s_and_saveexec_b64 s[6:7], s[4:5]
	s_cbranch_execz .LBB2_636
.LBB2_635:
	v_bfe_u32 v2, v9, 24, 3
	v_ffbh_u32_e32 v7, v2
	v_min_u32_e32 v7, 32, v7
	v_lshrrev_b32_e32 v4, 27, v9
	v_subrev_u32_e32 v8, 28, v7
	v_and_b32_e32 v4, 15, v4
	v_lshlrev_b32_sdwa v8, v8, v9 dst_sel:DWORD dst_unused:UNUSED_PAD src0_sel:DWORD src1_sel:BYTE_3
	v_bfe_u32 v6, v9, 27, 4
	v_sub_u32_e32 v7, 29, v7
	v_and_b32_e32 v8, 7, v8
	v_cmp_eq_u16_e32 vcc, 0, v4
	v_cndmask_b32_e32 v2, v2, v8, vcc
	v_cndmask_b32_e32 v4, v6, v7, vcc
	v_mov_b32_e32 v6, 0x3b800000
	v_and_b32_e32 v3, 0x80000000, v9
	v_lshlrev_b32_e32 v2, 20, v2
	v_lshl_add_u32 v4, v4, 23, v6
	v_or3_b32 v2, v3, v4, v2
.LBB2_636:
	s_or_b64 exec, exec, s[6:7]
	s_movk_i32 s4, 0x7f
	v_cmp_gt_i16_sdwa s[6:7], v5, s4 src0_sel:BYTE_3 src1_sel:DWORD
	s_mov_b64 s[4:5], 0
                                        ; implicit-def: $sgpr10
	s_and_saveexec_b64 s[8:9], s[6:7]
	s_xor_b64 s[6:7], exec, s[8:9]
	s_cbranch_execnz .LBB2_2685
; %bb.637:
	s_or_saveexec_b64 s[6:7], s[6:7]
	v_mov_b32_e32 v3, s10
	s_xor_b64 exec, exec, s[6:7]
	s_cbranch_execnz .LBB2_2688
.LBB2_638:
	s_or_b64 exec, exec, s[6:7]
	s_and_saveexec_b64 s[6:7], s[4:5]
	s_cbranch_execz .LBB2_640
.LBB2_639:
	v_bfe_u32 v3, v5, 24, 3
	v_ffbh_u32_e32 v8, v3
	v_min_u32_e32 v8, 32, v8
	v_lshrrev_b32_e32 v6, 27, v5
	v_subrev_u32_e32 v9, 28, v8
	v_and_b32_e32 v4, 0x80000000, v5
	v_and_b32_e32 v6, 15, v6
	v_bfe_u32 v7, v5, 27, 4
	v_lshlrev_b32_sdwa v5, v9, v5 dst_sel:DWORD dst_unused:UNUSED_PAD src0_sel:DWORD src1_sel:BYTE_3
	v_sub_u32_e32 v8, 29, v8
	v_and_b32_e32 v5, 7, v5
	v_cmp_eq_u16_e32 vcc, 0, v6
	v_cndmask_b32_e32 v3, v3, v5, vcc
	v_cndmask_b32_e32 v5, v7, v8, vcc
	v_mov_b32_e32 v6, 0x3b800000
	v_lshlrev_b32_e32 v3, 20, v3
	v_lshl_add_u32 v5, v5, 23, v6
	v_or3_b32 v3, v4, v5, v3
.LBB2_640:
	s_or_b64 exec, exec, s[6:7]
	s_nop 0
	v_mfma_f32_16x16x4f32 a[0:3], v2, v3, a[0:3]
	s_movk_i32 s4, 0x7f
                                        ; implicit-def: $sgpr10
	s_nop 7
	s_nop 1
	flat_store_dwordx4 v[10:11], a[0:3] offset:64
	flat_load_dwordx4 v[12:15], v[0:1] offset:8
	s_nop 0
	flat_load_dwordx2 v[10:11], v[0:1] offset:32
	s_waitcnt vmcnt(0) lgkmcnt(0)
	flat_load_dwordx4 v[6:9], v[12:13] offset:48
	flat_load_dwordx4 v[2:5], v[14:15] offset:48
	s_waitcnt vmcnt(0) lgkmcnt(0)
	v_cmp_gt_i16_sdwa s[6:7], v6, s4 src0_sel:BYTE_0 src1_sel:DWORD
	s_mov_b64 s[4:5], 0
	s_and_saveexec_b64 s[8:9], s[6:7]
	s_xor_b64 s[6:7], exec, s[8:9]
	s_cbranch_execnz .LBB2_2689
; %bb.641:
	s_or_saveexec_b64 s[6:7], s[6:7]
	v_mov_b32_e32 v12, s10
	s_xor_b64 exec, exec, s[6:7]
	s_cbranch_execnz .LBB2_2692
.LBB2_642:
	s_or_b64 exec, exec, s[6:7]
	s_and_saveexec_b64 s[6:7], s[4:5]
	s_cbranch_execz .LBB2_644
.LBB2_643:
	v_and_b32_e32 v12, 7, v6
	v_ffbh_u32_e32 v14, v12
	v_min_u32_e32 v14, 32, v14
	v_lshrrev_b16_e32 v13, 3, v6
	v_subrev_u32_e32 v15, 28, v14
	v_and_b32_e32 v13, 15, v13
	v_lshlrev_b32_e32 v15, v15, v6
	v_sub_u32_e32 v14, 29, v14
	v_and_b32_e32 v15, 7, v15
	v_cmp_eq_u16_e32 vcc, 0, v13
	v_cndmask_b32_e32 v12, v12, v15, vcc
	v_cndmask_b32_e32 v13, v13, v14, vcc
	v_lshlrev_b32_e32 v14, 24, v6
	v_mov_b32_e32 v15, 0x3b800000
	v_lshlrev_b32_e32 v12, 20, v12
	v_and_b32_e32 v14, 0x80000000, v14
	v_lshl_add_u32 v13, v13, 23, v15
	v_or3_b32 v12, v14, v13, v12
.LBB2_644:
	s_or_b64 exec, exec, s[6:7]
	s_movk_i32 s4, 0x7f
	v_cmp_gt_i16_sdwa s[6:7], v2, s4 src0_sel:BYTE_0 src1_sel:DWORD
	s_mov_b64 s[4:5], 0
                                        ; implicit-def: $sgpr10
	s_and_saveexec_b64 s[8:9], s[6:7]
	s_xor_b64 s[6:7], exec, s[8:9]
	s_cbranch_execnz .LBB2_2693
; %bb.645:
	s_or_saveexec_b64 s[6:7], s[6:7]
	v_mov_b32_e32 v13, s10
	s_xor_b64 exec, exec, s[6:7]
	s_cbranch_execnz .LBB2_2696
.LBB2_646:
	s_or_b64 exec, exec, s[6:7]
	s_and_saveexec_b64 s[6:7], s[4:5]
	s_cbranch_execz .LBB2_648
.LBB2_647:
	v_and_b32_e32 v13, 7, v2
	v_ffbh_u32_e32 v15, v13
	v_min_u32_e32 v15, 32, v15
	v_lshrrev_b16_e32 v14, 3, v2
	v_subrev_u32_e32 v16, 28, v15
	v_and_b32_e32 v14, 15, v14
	v_lshlrev_b32_e32 v16, v16, v2
	v_sub_u32_e32 v15, 29, v15
	v_and_b32_e32 v16, 7, v16
	v_cmp_eq_u16_e32 vcc, 0, v14
	v_cndmask_b32_e32 v13, v13, v16, vcc
	v_cndmask_b32_e32 v14, v14, v15, vcc
	v_lshlrev_b32_e32 v15, 24, v2
	v_mov_b32_e32 v16, 0x3b800000
	v_lshlrev_b32_e32 v13, 20, v13
	v_and_b32_e32 v15, 0x80000000, v15
	v_lshl_add_u32 v14, v14, 23, v16
	v_or3_b32 v13, v15, v14, v13
.LBB2_648:
	s_or_b64 exec, exec, s[6:7]
	flat_load_dwordx4 a[0:3], v[10:11] offset:80
	s_movk_i32 s4, 0x7f
                                        ; implicit-def: $sgpr10
	s_waitcnt vmcnt(0) lgkmcnt(0)
	v_mfma_f32_16x16x4f32 a[0:3], v12, v13, a[0:3]
	v_lshrrev_b32_e32 v13, 8, v6
	v_cmp_gt_i16_sdwa s[6:7], v13, s4 src0_sel:BYTE_0 src1_sel:DWORD
	s_mov_b64 s[4:5], 0
	s_and_saveexec_b64 s[8:9], s[6:7]
	s_xor_b64 s[6:7], exec, s[8:9]
	s_cbranch_execnz .LBB2_2697
; %bb.649:
	s_or_saveexec_b64 s[6:7], s[6:7]
	v_mov_b32_e32 v12, s10
	s_xor_b64 exec, exec, s[6:7]
	s_cbranch_execnz .LBB2_2700
.LBB2_650:
	s_or_b64 exec, exec, s[6:7]
	s_and_saveexec_b64 s[6:7], s[4:5]
	s_cbranch_execz .LBB2_652
.LBB2_651:
	v_bfe_u32 v12, v6, 8, 3
	v_ffbh_u32_e32 v15, v12
	v_min_u32_e32 v15, 32, v15
	v_lshrrev_b16_e32 v14, 3, v13
	v_subrev_u32_e32 v16, 28, v15
	v_and_b32_e32 v14, 15, v14
	v_lshlrev_b32_e32 v13, v16, v13
	v_sub_u32_e32 v15, 29, v15
	v_and_b32_e32 v13, 7, v13
	v_cmp_eq_u16_e32 vcc, 0, v14
	v_cndmask_b32_e32 v12, v12, v13, vcc
	v_cndmask_b32_e32 v13, v14, v15, vcc
	v_lshlrev_b32_e32 v14, 16, v6
	v_mov_b32_e32 v15, 0x3b800000
	v_lshlrev_b32_e32 v12, 20, v12
	v_and_b32_e32 v14, 0x80000000, v14
	v_lshl_add_u32 v13, v13, 23, v15
	v_or3_b32 v12, v14, v13, v12
.LBB2_652:
	s_or_b64 exec, exec, s[6:7]
	v_lshrrev_b32_e32 v13, 8, v2
	s_movk_i32 s4, 0x7f
	v_cmp_gt_i16_sdwa s[6:7], v13, s4 src0_sel:BYTE_0 src1_sel:DWORD
	s_mov_b64 s[4:5], 0
                                        ; implicit-def: $sgpr10
	s_and_saveexec_b64 s[8:9], s[6:7]
	s_xor_b64 s[6:7], exec, s[8:9]
	s_cbranch_execnz .LBB2_2701
; %bb.653:
	s_or_saveexec_b64 s[6:7], s[6:7]
	v_mov_b32_e32 v14, s10
	s_xor_b64 exec, exec, s[6:7]
	s_cbranch_execnz .LBB2_2704
.LBB2_654:
	s_or_b64 exec, exec, s[6:7]
	s_and_saveexec_b64 s[6:7], s[4:5]
	s_cbranch_execz .LBB2_656
.LBB2_655:
	v_bfe_u32 v14, v2, 8, 3
	v_ffbh_u32_e32 v16, v14
	v_min_u32_e32 v16, 32, v16
	v_lshrrev_b16_e32 v15, 3, v13
	v_subrev_u32_e32 v17, 28, v16
	v_and_b32_e32 v15, 15, v15
	v_lshlrev_b32_e32 v13, v17, v13
	v_sub_u32_e32 v16, 29, v16
	v_and_b32_e32 v13, 7, v13
	v_cmp_eq_u16_e32 vcc, 0, v15
	v_cndmask_b32_e32 v13, v14, v13, vcc
	v_cndmask_b32_e32 v14, v15, v16, vcc
	v_lshlrev_b32_e32 v15, 16, v2
	v_mov_b32_e32 v16, 0x3b800000
	v_lshlrev_b32_e32 v13, 20, v13
	v_and_b32_e32 v15, 0x80000000, v15
	v_lshl_add_u32 v14, v14, 23, v16
	v_or3_b32 v14, v15, v14, v13
.LBB2_656:
	s_or_b64 exec, exec, s[6:7]
	s_nop 0
	v_mfma_f32_16x16x4f32 a[0:3], v12, v14, a[0:3]
	s_movk_i32 s4, 0xff
	v_and_b32_sdwa v13, v6, s4 dst_sel:DWORD dst_unused:UNUSED_PAD src0_sel:WORD_1 src1_sel:DWORD
	s_movk_i32 s4, 0x7f
	v_cmp_lt_i16_e32 vcc, s4, v13
	s_mov_b64 s[4:5], 0
                                        ; implicit-def: $sgpr10
	s_and_saveexec_b64 s[6:7], vcc
	s_xor_b64 s[6:7], exec, s[6:7]
	s_cbranch_execnz .LBB2_2705
; %bb.657:
	s_or_saveexec_b64 s[6:7], s[6:7]
	v_mov_b32_e32 v12, s10
	s_xor_b64 exec, exec, s[6:7]
	s_cbranch_execnz .LBB2_2708
.LBB2_658:
	s_or_b64 exec, exec, s[6:7]
	s_and_saveexec_b64 s[6:7], s[4:5]
	s_cbranch_execz .LBB2_660
.LBB2_659:
	v_bfe_u32 v12, v6, 16, 3
	v_ffbh_u32_e32 v15, v12
	v_min_u32_e32 v15, 32, v15
	v_lshrrev_b32_e32 v13, 19, v6
	v_subrev_u32_e32 v16, 28, v15
	v_and_b32_e32 v13, 15, v13
	v_lshlrev_b32_sdwa v16, v16, v6 dst_sel:DWORD dst_unused:UNUSED_PAD src0_sel:DWORD src1_sel:WORD_1
	v_bfe_u32 v14, v6, 19, 4
	v_sub_u32_e32 v15, 29, v15
	v_and_b32_e32 v16, 7, v16
	v_cmp_eq_u16_e32 vcc, 0, v13
	v_cndmask_b32_e32 v12, v12, v16, vcc
	v_cndmask_b32_e32 v13, v14, v15, vcc
	v_lshlrev_b32_e32 v14, 8, v6
	v_mov_b32_e32 v15, 0x3b800000
	v_lshlrev_b32_e32 v12, 20, v12
	v_and_b32_e32 v14, 0x80000000, v14
	v_lshl_add_u32 v13, v13, 23, v15
	v_or3_b32 v12, v14, v13, v12
.LBB2_660:
	s_or_b64 exec, exec, s[6:7]
	s_movk_i32 s4, 0xff
	v_and_b32_sdwa v13, v2, s4 dst_sel:DWORD dst_unused:UNUSED_PAD src0_sel:WORD_1 src1_sel:DWORD
	s_movk_i32 s4, 0x7f
	v_cmp_lt_i16_e32 vcc, s4, v13
	s_mov_b64 s[4:5], 0
                                        ; implicit-def: $sgpr10
	s_and_saveexec_b64 s[6:7], vcc
	s_xor_b64 s[6:7], exec, s[6:7]
	s_cbranch_execnz .LBB2_2709
; %bb.661:
	s_or_saveexec_b64 s[6:7], s[6:7]
	v_mov_b32_e32 v14, s10
	s_xor_b64 exec, exec, s[6:7]
	s_cbranch_execnz .LBB2_2712
.LBB2_662:
	s_or_b64 exec, exec, s[6:7]
	s_and_saveexec_b64 s[6:7], s[4:5]
	s_cbranch_execz .LBB2_664
.LBB2_663:
	v_bfe_u32 v13, v2, 16, 3
	v_ffbh_u32_e32 v16, v13
	v_min_u32_e32 v16, 32, v16
	v_lshrrev_b32_e32 v14, 19, v2
	v_subrev_u32_e32 v17, 28, v16
	v_and_b32_e32 v14, 15, v14
	v_lshlrev_b32_sdwa v17, v17, v2 dst_sel:DWORD dst_unused:UNUSED_PAD src0_sel:DWORD src1_sel:WORD_1
	v_bfe_u32 v15, v2, 19, 4
	v_sub_u32_e32 v16, 29, v16
	v_and_b32_e32 v17, 7, v17
	v_cmp_eq_u16_e32 vcc, 0, v14
	v_cndmask_b32_e32 v13, v13, v17, vcc
	v_cndmask_b32_e32 v14, v15, v16, vcc
	v_lshlrev_b32_e32 v15, 8, v2
	v_mov_b32_e32 v16, 0x3b800000
	v_lshlrev_b32_e32 v13, 20, v13
	v_and_b32_e32 v15, 0x80000000, v15
	v_lshl_add_u32 v14, v14, 23, v16
	v_or3_b32 v14, v15, v14, v13
.LBB2_664:
	s_or_b64 exec, exec, s[6:7]
	s_nop 0
	v_mfma_f32_16x16x4f32 a[0:3], v12, v14, a[0:3]
	s_movk_i32 s4, 0x7f
	v_cmp_gt_i16_sdwa s[6:7], v6, s4 src0_sel:BYTE_3 src1_sel:DWORD
	s_mov_b64 s[4:5], 0
                                        ; implicit-def: $sgpr10
	s_and_saveexec_b64 s[8:9], s[6:7]
	s_xor_b64 s[6:7], exec, s[8:9]
	s_cbranch_execnz .LBB2_2713
; %bb.665:
	s_or_saveexec_b64 s[6:7], s[6:7]
	v_mov_b32_e32 v12, s10
	s_xor_b64 exec, exec, s[6:7]
	s_cbranch_execnz .LBB2_2716
.LBB2_666:
	s_or_b64 exec, exec, s[6:7]
	s_and_saveexec_b64 s[6:7], s[4:5]
	s_cbranch_execz .LBB2_668
.LBB2_667:
	v_bfe_u32 v12, v6, 24, 3
	v_ffbh_u32_e32 v16, v12
	v_min_u32_e32 v16, 32, v16
	v_lshrrev_b32_e32 v14, 27, v6
	v_subrev_u32_e32 v17, 28, v16
	v_and_b32_e32 v13, 0x80000000, v6
	v_and_b32_e32 v14, 15, v14
	v_bfe_u32 v15, v6, 27, 4
	v_lshlrev_b32_sdwa v6, v17, v6 dst_sel:DWORD dst_unused:UNUSED_PAD src0_sel:DWORD src1_sel:BYTE_3
	v_sub_u32_e32 v16, 29, v16
	v_and_b32_e32 v6, 7, v6
	v_cmp_eq_u16_e32 vcc, 0, v14
	v_cndmask_b32_e32 v6, v12, v6, vcc
	v_cndmask_b32_e32 v12, v15, v16, vcc
	v_mov_b32_e32 v14, 0x3b800000
	v_lshlrev_b32_e32 v6, 20, v6
	v_lshl_add_u32 v12, v12, 23, v14
	v_or3_b32 v12, v13, v12, v6
.LBB2_668:
	s_or_b64 exec, exec, s[6:7]
	s_movk_i32 s4, 0x7f
	v_cmp_gt_i16_sdwa s[6:7], v2, s4 src0_sel:BYTE_3 src1_sel:DWORD
	s_mov_b64 s[4:5], 0
                                        ; implicit-def: $sgpr10
	s_and_saveexec_b64 s[8:9], s[6:7]
	s_xor_b64 s[6:7], exec, s[8:9]
	s_cbranch_execnz .LBB2_2717
; %bb.669:
	s_or_saveexec_b64 s[6:7], s[6:7]
	v_mov_b32_e32 v6, s10
	s_xor_b64 exec, exec, s[6:7]
	s_cbranch_execnz .LBB2_2720
.LBB2_670:
	s_or_b64 exec, exec, s[6:7]
	s_and_saveexec_b64 s[6:7], s[4:5]
	s_cbranch_execz .LBB2_672
.LBB2_671:
	v_bfe_u32 v6, v2, 24, 3
	v_ffbh_u32_e32 v16, v6
	v_min_u32_e32 v16, 32, v16
	v_lshrrev_b32_e32 v14, 27, v2
	v_subrev_u32_e32 v17, 28, v16
	v_and_b32_e32 v13, 0x80000000, v2
	v_and_b32_e32 v14, 15, v14
	v_bfe_u32 v15, v2, 27, 4
	v_lshlrev_b32_sdwa v2, v17, v2 dst_sel:DWORD dst_unused:UNUSED_PAD src0_sel:DWORD src1_sel:BYTE_3
	v_sub_u32_e32 v16, 29, v16
	v_and_b32_e32 v2, 7, v2
	v_cmp_eq_u16_e32 vcc, 0, v14
	v_cndmask_b32_e32 v2, v6, v2, vcc
	v_cndmask_b32_e32 v6, v15, v16, vcc
	v_mov_b32_e32 v14, 0x3b800000
	v_lshlrev_b32_e32 v2, 20, v2
	v_lshl_add_u32 v6, v6, 23, v14
	v_or3_b32 v6, v13, v6, v2
.LBB2_672:
	s_or_b64 exec, exec, s[6:7]
	s_nop 0
	v_mfma_f32_16x16x4f32 a[0:3], v12, v6, a[0:3]
	s_movk_i32 s4, 0x7f
	v_cmp_gt_i16_sdwa s[6:7], v7, s4 src0_sel:BYTE_0 src1_sel:DWORD
	s_mov_b64 s[4:5], 0
                                        ; implicit-def: $sgpr10
	s_and_saveexec_b64 s[8:9], s[6:7]
	s_xor_b64 s[6:7], exec, s[8:9]
	s_cbranch_execnz .LBB2_2721
; %bb.673:
	s_or_saveexec_b64 s[6:7], s[6:7]
	v_mov_b32_e32 v2, s10
	s_xor_b64 exec, exec, s[6:7]
	s_cbranch_execnz .LBB2_2724
.LBB2_674:
	s_or_b64 exec, exec, s[6:7]
	s_and_saveexec_b64 s[6:7], s[4:5]
	s_cbranch_execz .LBB2_676
.LBB2_675:
	v_and_b32_e32 v2, 7, v7
	v_ffbh_u32_e32 v12, v2
	v_min_u32_e32 v12, 32, v12
	v_lshrrev_b16_e32 v6, 3, v7
	v_subrev_u32_e32 v13, 28, v12
	v_and_b32_e32 v6, 15, v6
	v_lshlrev_b32_e32 v13, v13, v7
	v_sub_u32_e32 v12, 29, v12
	v_and_b32_e32 v13, 7, v13
	v_cmp_eq_u16_e32 vcc, 0, v6
	v_cndmask_b32_e32 v2, v2, v13, vcc
	v_cndmask_b32_e32 v6, v6, v12, vcc
	v_lshlrev_b32_e32 v12, 24, v7
	v_mov_b32_e32 v13, 0x3b800000
	v_lshlrev_b32_e32 v2, 20, v2
	v_and_b32_e32 v12, 0x80000000, v12
	v_lshl_add_u32 v6, v6, 23, v13
	v_or3_b32 v2, v12, v6, v2
.LBB2_676:
	s_or_b64 exec, exec, s[6:7]
	s_movk_i32 s4, 0x7f
	v_cmp_gt_i16_sdwa s[6:7], v3, s4 src0_sel:BYTE_0 src1_sel:DWORD
	s_mov_b64 s[4:5], 0
                                        ; implicit-def: $sgpr10
	s_and_saveexec_b64 s[8:9], s[6:7]
	s_xor_b64 s[6:7], exec, s[8:9]
	s_cbranch_execnz .LBB2_2725
; %bb.677:
	s_or_saveexec_b64 s[6:7], s[6:7]
	v_mov_b32_e32 v6, s10
	s_xor_b64 exec, exec, s[6:7]
	s_cbranch_execnz .LBB2_2728
.LBB2_678:
	s_or_b64 exec, exec, s[6:7]
	s_and_saveexec_b64 s[6:7], s[4:5]
	s_cbranch_execz .LBB2_680
.LBB2_679:
	v_and_b32_e32 v6, 7, v3
	v_ffbh_u32_e32 v13, v6
	v_min_u32_e32 v13, 32, v13
	v_lshrrev_b16_e32 v12, 3, v3
	v_subrev_u32_e32 v14, 28, v13
	v_and_b32_e32 v12, 15, v12
	v_lshlrev_b32_e32 v14, v14, v3
	v_sub_u32_e32 v13, 29, v13
	v_and_b32_e32 v14, 7, v14
	v_cmp_eq_u16_e32 vcc, 0, v12
	v_cndmask_b32_e32 v6, v6, v14, vcc
	v_cndmask_b32_e32 v12, v12, v13, vcc
	v_lshlrev_b32_e32 v13, 24, v3
	v_mov_b32_e32 v14, 0x3b800000
	v_lshlrev_b32_e32 v6, 20, v6
	v_and_b32_e32 v13, 0x80000000, v13
	v_lshl_add_u32 v12, v12, 23, v14
	v_or3_b32 v6, v13, v12, v6
.LBB2_680:
	s_or_b64 exec, exec, s[6:7]
	s_nop 0
	v_mfma_f32_16x16x4f32 a[0:3], v2, v6, a[0:3]
	v_lshrrev_b32_e32 v6, 8, v7
	s_movk_i32 s4, 0x7f
	v_cmp_gt_i16_sdwa s[6:7], v6, s4 src0_sel:BYTE_0 src1_sel:DWORD
	s_mov_b64 s[4:5], 0
                                        ; implicit-def: $sgpr10
	s_and_saveexec_b64 s[8:9], s[6:7]
	s_xor_b64 s[6:7], exec, s[8:9]
	s_cbranch_execnz .LBB2_2729
; %bb.681:
	s_or_saveexec_b64 s[6:7], s[6:7]
	v_mov_b32_e32 v2, s10
	s_xor_b64 exec, exec, s[6:7]
	s_cbranch_execnz .LBB2_2732
.LBB2_682:
	s_or_b64 exec, exec, s[6:7]
	s_and_saveexec_b64 s[6:7], s[4:5]
	s_cbranch_execz .LBB2_684
.LBB2_683:
	v_bfe_u32 v2, v7, 8, 3
	v_ffbh_u32_e32 v13, v2
	v_min_u32_e32 v13, 32, v13
	v_lshrrev_b16_e32 v12, 3, v6
	v_subrev_u32_e32 v14, 28, v13
	v_and_b32_e32 v12, 15, v12
	v_lshlrev_b32_e32 v6, v14, v6
	v_sub_u32_e32 v13, 29, v13
	v_and_b32_e32 v6, 7, v6
	v_cmp_eq_u16_e32 vcc, 0, v12
	v_cndmask_b32_e32 v2, v2, v6, vcc
	v_cndmask_b32_e32 v6, v12, v13, vcc
	v_lshlrev_b32_e32 v12, 16, v7
	v_mov_b32_e32 v13, 0x3b800000
	v_lshlrev_b32_e32 v2, 20, v2
	v_and_b32_e32 v12, 0x80000000, v12
	v_lshl_add_u32 v6, v6, 23, v13
	v_or3_b32 v2, v12, v6, v2
.LBB2_684:
	s_or_b64 exec, exec, s[6:7]
	v_lshrrev_b32_e32 v6, 8, v3
	s_movk_i32 s4, 0x7f
	v_cmp_gt_i16_sdwa s[6:7], v6, s4 src0_sel:BYTE_0 src1_sel:DWORD
	s_mov_b64 s[4:5], 0
                                        ; implicit-def: $sgpr10
	s_and_saveexec_b64 s[8:9], s[6:7]
	s_xor_b64 s[6:7], exec, s[8:9]
	s_cbranch_execnz .LBB2_2733
; %bb.685:
	s_or_saveexec_b64 s[6:7], s[6:7]
	v_mov_b32_e32 v12, s10
	s_xor_b64 exec, exec, s[6:7]
	s_cbranch_execnz .LBB2_2736
.LBB2_686:
	s_or_b64 exec, exec, s[6:7]
	s_and_saveexec_b64 s[6:7], s[4:5]
	s_cbranch_execz .LBB2_688
.LBB2_687:
	v_bfe_u32 v12, v3, 8, 3
	v_ffbh_u32_e32 v14, v12
	v_min_u32_e32 v14, 32, v14
	v_lshrrev_b16_e32 v13, 3, v6
	v_subrev_u32_e32 v15, 28, v14
	v_and_b32_e32 v13, 15, v13
	v_lshlrev_b32_e32 v6, v15, v6
	v_sub_u32_e32 v14, 29, v14
	v_and_b32_e32 v6, 7, v6
	v_cmp_eq_u16_e32 vcc, 0, v13
	v_cndmask_b32_e32 v6, v12, v6, vcc
	v_cndmask_b32_e32 v12, v13, v14, vcc
	v_lshlrev_b32_e32 v13, 16, v3
	v_mov_b32_e32 v14, 0x3b800000
	v_lshlrev_b32_e32 v6, 20, v6
	v_and_b32_e32 v13, 0x80000000, v13
	v_lshl_add_u32 v12, v12, 23, v14
	v_or3_b32 v12, v13, v12, v6
.LBB2_688:
	s_or_b64 exec, exec, s[6:7]
	s_nop 0
	v_mfma_f32_16x16x4f32 a[0:3], v2, v12, a[0:3]
	s_movk_i32 s4, 0xff
	v_and_b32_sdwa v6, v7, s4 dst_sel:DWORD dst_unused:UNUSED_PAD src0_sel:WORD_1 src1_sel:DWORD
	s_movk_i32 s4, 0x7f
	v_cmp_lt_i16_e32 vcc, s4, v6
	s_mov_b64 s[4:5], 0
                                        ; implicit-def: $sgpr10
	s_and_saveexec_b64 s[6:7], vcc
	s_xor_b64 s[6:7], exec, s[6:7]
	s_cbranch_execnz .LBB2_2737
; %bb.689:
	s_or_saveexec_b64 s[6:7], s[6:7]
	v_mov_b32_e32 v2, s10
	s_xor_b64 exec, exec, s[6:7]
	s_cbranch_execnz .LBB2_2740
.LBB2_690:
	s_or_b64 exec, exec, s[6:7]
	s_and_saveexec_b64 s[6:7], s[4:5]
	s_cbranch_execz .LBB2_692
.LBB2_691:
	v_bfe_u32 v2, v7, 16, 3
	v_ffbh_u32_e32 v13, v2
	v_min_u32_e32 v13, 32, v13
	v_lshrrev_b32_e32 v6, 19, v7
	v_subrev_u32_e32 v14, 28, v13
	v_and_b32_e32 v6, 15, v6
	v_lshlrev_b32_sdwa v14, v14, v7 dst_sel:DWORD dst_unused:UNUSED_PAD src0_sel:DWORD src1_sel:WORD_1
	v_bfe_u32 v12, v7, 19, 4
	v_sub_u32_e32 v13, 29, v13
	v_and_b32_e32 v14, 7, v14
	v_cmp_eq_u16_e32 vcc, 0, v6
	v_cndmask_b32_e32 v2, v2, v14, vcc
	v_cndmask_b32_e32 v6, v12, v13, vcc
	v_lshlrev_b32_e32 v12, 8, v7
	v_mov_b32_e32 v13, 0x3b800000
	v_lshlrev_b32_e32 v2, 20, v2
	v_and_b32_e32 v12, 0x80000000, v12
	v_lshl_add_u32 v6, v6, 23, v13
	v_or3_b32 v2, v12, v6, v2
.LBB2_692:
	s_or_b64 exec, exec, s[6:7]
	s_movk_i32 s4, 0xff
	v_and_b32_sdwa v6, v3, s4 dst_sel:DWORD dst_unused:UNUSED_PAD src0_sel:WORD_1 src1_sel:DWORD
	s_movk_i32 s4, 0x7f
	v_cmp_lt_i16_e32 vcc, s4, v6
	s_mov_b64 s[4:5], 0
                                        ; implicit-def: $sgpr10
	s_and_saveexec_b64 s[6:7], vcc
	s_xor_b64 s[6:7], exec, s[6:7]
	s_cbranch_execnz .LBB2_2741
; %bb.693:
	s_or_saveexec_b64 s[6:7], s[6:7]
	v_mov_b32_e32 v12, s10
	s_xor_b64 exec, exec, s[6:7]
	s_cbranch_execnz .LBB2_2744
.LBB2_694:
	s_or_b64 exec, exec, s[6:7]
	s_and_saveexec_b64 s[6:7], s[4:5]
	s_cbranch_execz .LBB2_696
.LBB2_695:
	v_bfe_u32 v6, v3, 16, 3
	v_ffbh_u32_e32 v14, v6
	v_min_u32_e32 v14, 32, v14
	v_lshrrev_b32_e32 v12, 19, v3
	v_subrev_u32_e32 v15, 28, v14
	v_and_b32_e32 v12, 15, v12
	v_lshlrev_b32_sdwa v15, v15, v3 dst_sel:DWORD dst_unused:UNUSED_PAD src0_sel:DWORD src1_sel:WORD_1
	v_bfe_u32 v13, v3, 19, 4
	v_sub_u32_e32 v14, 29, v14
	v_and_b32_e32 v15, 7, v15
	v_cmp_eq_u16_e32 vcc, 0, v12
	v_cndmask_b32_e32 v6, v6, v15, vcc
	v_cndmask_b32_e32 v12, v13, v14, vcc
	v_lshlrev_b32_e32 v13, 8, v3
	v_mov_b32_e32 v14, 0x3b800000
	v_lshlrev_b32_e32 v6, 20, v6
	v_and_b32_e32 v13, 0x80000000, v13
	v_lshl_add_u32 v12, v12, 23, v14
	v_or3_b32 v12, v13, v12, v6
.LBB2_696:
	s_or_b64 exec, exec, s[6:7]
	s_nop 0
	v_mfma_f32_16x16x4f32 a[0:3], v2, v12, a[0:3]
	s_movk_i32 s4, 0x7f
	v_cmp_gt_i16_sdwa s[6:7], v7, s4 src0_sel:BYTE_3 src1_sel:DWORD
	s_mov_b64 s[4:5], 0
                                        ; implicit-def: $sgpr10
	s_and_saveexec_b64 s[8:9], s[6:7]
	s_xor_b64 s[6:7], exec, s[8:9]
	s_cbranch_execnz .LBB2_2745
; %bb.697:
	s_or_saveexec_b64 s[6:7], s[6:7]
	v_mov_b32_e32 v2, s10
	s_xor_b64 exec, exec, s[6:7]
	s_cbranch_execnz .LBB2_2748
.LBB2_698:
	s_or_b64 exec, exec, s[6:7]
	s_and_saveexec_b64 s[6:7], s[4:5]
	s_cbranch_execz .LBB2_700
.LBB2_699:
	v_bfe_u32 v2, v7, 24, 3
	v_ffbh_u32_e32 v14, v2
	v_min_u32_e32 v14, 32, v14
	v_lshrrev_b32_e32 v12, 27, v7
	v_subrev_u32_e32 v15, 28, v14
	v_and_b32_e32 v6, 0x80000000, v7
	v_and_b32_e32 v12, 15, v12
	v_bfe_u32 v13, v7, 27, 4
	v_lshlrev_b32_sdwa v7, v15, v7 dst_sel:DWORD dst_unused:UNUSED_PAD src0_sel:DWORD src1_sel:BYTE_3
	v_sub_u32_e32 v14, 29, v14
	v_and_b32_e32 v7, 7, v7
	v_cmp_eq_u16_e32 vcc, 0, v12
	v_cndmask_b32_e32 v2, v2, v7, vcc
	v_cndmask_b32_e32 v7, v13, v14, vcc
	v_mov_b32_e32 v12, 0x3b800000
	v_lshlrev_b32_e32 v2, 20, v2
	v_lshl_add_u32 v7, v7, 23, v12
	v_or3_b32 v2, v6, v7, v2
.LBB2_700:
	s_or_b64 exec, exec, s[6:7]
	s_movk_i32 s4, 0x7f
	v_cmp_gt_i16_sdwa s[6:7], v3, s4 src0_sel:BYTE_3 src1_sel:DWORD
	s_mov_b64 s[4:5], 0
                                        ; implicit-def: $sgpr10
	s_and_saveexec_b64 s[8:9], s[6:7]
	s_xor_b64 s[6:7], exec, s[8:9]
	s_cbranch_execnz .LBB2_2749
; %bb.701:
	s_or_saveexec_b64 s[6:7], s[6:7]
	v_mov_b32_e32 v6, s10
	s_xor_b64 exec, exec, s[6:7]
	s_cbranch_execnz .LBB2_2752
.LBB2_702:
	s_or_b64 exec, exec, s[6:7]
	s_and_saveexec_b64 s[6:7], s[4:5]
	s_cbranch_execz .LBB2_704
.LBB2_703:
	v_bfe_u32 v6, v3, 24, 3
	v_ffbh_u32_e32 v14, v6
	v_min_u32_e32 v14, 32, v14
	v_lshrrev_b32_e32 v12, 27, v3
	v_subrev_u32_e32 v15, 28, v14
	v_and_b32_e32 v7, 0x80000000, v3
	v_and_b32_e32 v12, 15, v12
	v_bfe_u32 v13, v3, 27, 4
	v_lshlrev_b32_sdwa v3, v15, v3 dst_sel:DWORD dst_unused:UNUSED_PAD src0_sel:DWORD src1_sel:BYTE_3
	v_sub_u32_e32 v14, 29, v14
	v_and_b32_e32 v3, 7, v3
	v_cmp_eq_u16_e32 vcc, 0, v12
	v_cndmask_b32_e32 v3, v6, v3, vcc
	v_cndmask_b32_e32 v6, v13, v14, vcc
	v_mov_b32_e32 v12, 0x3b800000
	v_lshlrev_b32_e32 v3, 20, v3
	v_lshl_add_u32 v6, v6, 23, v12
	v_or3_b32 v6, v7, v6, v3
.LBB2_704:
	s_or_b64 exec, exec, s[6:7]
	s_nop 0
	v_mfma_f32_16x16x4f32 a[0:3], v2, v6, a[0:3]
	s_movk_i32 s4, 0x7f
	v_cmp_gt_i16_sdwa s[6:7], v8, s4 src0_sel:BYTE_0 src1_sel:DWORD
	s_mov_b64 s[4:5], 0
                                        ; implicit-def: $sgpr10
	s_and_saveexec_b64 s[8:9], s[6:7]
	s_xor_b64 s[6:7], exec, s[8:9]
	s_cbranch_execnz .LBB2_2753
; %bb.705:
	s_or_saveexec_b64 s[6:7], s[6:7]
	v_mov_b32_e32 v2, s10
	s_xor_b64 exec, exec, s[6:7]
	s_cbranch_execnz .LBB2_2756
.LBB2_706:
	s_or_b64 exec, exec, s[6:7]
	s_and_saveexec_b64 s[6:7], s[4:5]
	s_cbranch_execz .LBB2_708
.LBB2_707:
	v_and_b32_e32 v2, 7, v8
	v_ffbh_u32_e32 v6, v2
	v_min_u32_e32 v6, 32, v6
	v_lshrrev_b16_e32 v3, 3, v8
	v_subrev_u32_e32 v7, 28, v6
	v_and_b32_e32 v3, 15, v3
	v_lshlrev_b32_e32 v7, v7, v8
	v_sub_u32_e32 v6, 29, v6
	v_and_b32_e32 v7, 7, v7
	v_cmp_eq_u16_e32 vcc, 0, v3
	v_cndmask_b32_e32 v2, v2, v7, vcc
	v_cndmask_b32_e32 v3, v3, v6, vcc
	v_lshlrev_b32_e32 v6, 24, v8
	v_mov_b32_e32 v7, 0x3b800000
	v_lshlrev_b32_e32 v2, 20, v2
	v_and_b32_e32 v6, 0x80000000, v6
	v_lshl_add_u32 v3, v3, 23, v7
	v_or3_b32 v2, v6, v3, v2
.LBB2_708:
	s_or_b64 exec, exec, s[6:7]
	s_movk_i32 s4, 0x7f
	v_cmp_gt_i16_sdwa s[6:7], v4, s4 src0_sel:BYTE_0 src1_sel:DWORD
	s_mov_b64 s[4:5], 0
                                        ; implicit-def: $sgpr10
	s_and_saveexec_b64 s[8:9], s[6:7]
	s_xor_b64 s[6:7], exec, s[8:9]
	s_cbranch_execnz .LBB2_2757
; %bb.709:
	s_or_saveexec_b64 s[6:7], s[6:7]
	v_mov_b32_e32 v3, s10
	s_xor_b64 exec, exec, s[6:7]
	s_cbranch_execnz .LBB2_2760
.LBB2_710:
	s_or_b64 exec, exec, s[6:7]
	s_and_saveexec_b64 s[6:7], s[4:5]
	s_cbranch_execz .LBB2_712
.LBB2_711:
	v_and_b32_e32 v3, 7, v4
	v_ffbh_u32_e32 v7, v3
	v_min_u32_e32 v7, 32, v7
	v_lshrrev_b16_e32 v6, 3, v4
	v_subrev_u32_e32 v12, 28, v7
	v_and_b32_e32 v6, 15, v6
	v_lshlrev_b32_e32 v12, v12, v4
	v_sub_u32_e32 v7, 29, v7
	v_and_b32_e32 v12, 7, v12
	v_cmp_eq_u16_e32 vcc, 0, v6
	v_cndmask_b32_e32 v3, v3, v12, vcc
	v_cndmask_b32_e32 v6, v6, v7, vcc
	v_lshlrev_b32_e32 v7, 24, v4
	v_mov_b32_e32 v12, 0x3b800000
	v_lshlrev_b32_e32 v3, 20, v3
	v_and_b32_e32 v7, 0x80000000, v7
	v_lshl_add_u32 v6, v6, 23, v12
	v_or3_b32 v3, v7, v6, v3
.LBB2_712:
	s_or_b64 exec, exec, s[6:7]
	s_nop 0
	v_mfma_f32_16x16x4f32 a[0:3], v2, v3, a[0:3]
	v_lshrrev_b32_e32 v3, 8, v8
	s_movk_i32 s4, 0x7f
	v_cmp_gt_i16_sdwa s[6:7], v3, s4 src0_sel:BYTE_0 src1_sel:DWORD
	s_mov_b64 s[4:5], 0
                                        ; implicit-def: $sgpr10
	s_and_saveexec_b64 s[8:9], s[6:7]
	s_xor_b64 s[6:7], exec, s[8:9]
	s_cbranch_execnz .LBB2_2761
; %bb.713:
	s_or_saveexec_b64 s[6:7], s[6:7]
	v_mov_b32_e32 v2, s10
	s_xor_b64 exec, exec, s[6:7]
	s_cbranch_execnz .LBB2_2764
.LBB2_714:
	s_or_b64 exec, exec, s[6:7]
	s_and_saveexec_b64 s[6:7], s[4:5]
	s_cbranch_execz .LBB2_716
.LBB2_715:
	v_bfe_u32 v2, v8, 8, 3
	v_ffbh_u32_e32 v7, v2
	v_min_u32_e32 v7, 32, v7
	v_lshrrev_b16_e32 v6, 3, v3
	v_subrev_u32_e32 v12, 28, v7
	v_and_b32_e32 v6, 15, v6
	v_lshlrev_b32_e32 v3, v12, v3
	v_sub_u32_e32 v7, 29, v7
	v_and_b32_e32 v3, 7, v3
	v_cmp_eq_u16_e32 vcc, 0, v6
	v_cndmask_b32_e32 v2, v2, v3, vcc
	v_cndmask_b32_e32 v3, v6, v7, vcc
	v_lshlrev_b32_e32 v6, 16, v8
	v_mov_b32_e32 v7, 0x3b800000
	v_lshlrev_b32_e32 v2, 20, v2
	v_and_b32_e32 v6, 0x80000000, v6
	v_lshl_add_u32 v3, v3, 23, v7
	v_or3_b32 v2, v6, v3, v2
.LBB2_716:
	s_or_b64 exec, exec, s[6:7]
	v_lshrrev_b32_e32 v3, 8, v4
	s_movk_i32 s4, 0x7f
	v_cmp_gt_i16_sdwa s[6:7], v3, s4 src0_sel:BYTE_0 src1_sel:DWORD
	s_mov_b64 s[4:5], 0
                                        ; implicit-def: $sgpr10
	s_and_saveexec_b64 s[8:9], s[6:7]
	s_xor_b64 s[6:7], exec, s[8:9]
	s_cbranch_execnz .LBB2_2765
; %bb.717:
	s_or_saveexec_b64 s[6:7], s[6:7]
	v_mov_b32_e32 v6, s10
	s_xor_b64 exec, exec, s[6:7]
	s_cbranch_execnz .LBB2_2768
.LBB2_718:
	s_or_b64 exec, exec, s[6:7]
	s_and_saveexec_b64 s[6:7], s[4:5]
	s_cbranch_execz .LBB2_720
.LBB2_719:
	v_bfe_u32 v6, v4, 8, 3
	v_ffbh_u32_e32 v12, v6
	v_min_u32_e32 v12, 32, v12
	v_lshrrev_b16_e32 v7, 3, v3
	v_subrev_u32_e32 v13, 28, v12
	v_and_b32_e32 v7, 15, v7
	v_lshlrev_b32_e32 v3, v13, v3
	v_sub_u32_e32 v12, 29, v12
	v_and_b32_e32 v3, 7, v3
	v_cmp_eq_u16_e32 vcc, 0, v7
	v_cndmask_b32_e32 v3, v6, v3, vcc
	v_cndmask_b32_e32 v6, v7, v12, vcc
	v_lshlrev_b32_e32 v7, 16, v4
	v_mov_b32_e32 v12, 0x3b800000
	v_lshlrev_b32_e32 v3, 20, v3
	v_and_b32_e32 v7, 0x80000000, v7
	v_lshl_add_u32 v6, v6, 23, v12
	v_or3_b32 v6, v7, v6, v3
.LBB2_720:
	s_or_b64 exec, exec, s[6:7]
	s_nop 0
	v_mfma_f32_16x16x4f32 a[0:3], v2, v6, a[0:3]
	s_movk_i32 s4, 0xff
	v_and_b32_sdwa v3, v8, s4 dst_sel:DWORD dst_unused:UNUSED_PAD src0_sel:WORD_1 src1_sel:DWORD
	s_movk_i32 s4, 0x7f
	v_cmp_lt_i16_e32 vcc, s4, v3
	s_mov_b64 s[4:5], 0
                                        ; implicit-def: $sgpr10
	s_and_saveexec_b64 s[6:7], vcc
	s_xor_b64 s[6:7], exec, s[6:7]
	s_cbranch_execnz .LBB2_2769
; %bb.721:
	s_or_saveexec_b64 s[6:7], s[6:7]
	v_mov_b32_e32 v2, s10
	s_xor_b64 exec, exec, s[6:7]
	s_cbranch_execnz .LBB2_2772
.LBB2_722:
	s_or_b64 exec, exec, s[6:7]
	s_and_saveexec_b64 s[6:7], s[4:5]
	s_cbranch_execz .LBB2_724
.LBB2_723:
	v_bfe_u32 v2, v8, 16, 3
	v_ffbh_u32_e32 v7, v2
	v_min_u32_e32 v7, 32, v7
	v_lshrrev_b32_e32 v3, 19, v8
	v_subrev_u32_e32 v12, 28, v7
	v_and_b32_e32 v3, 15, v3
	v_lshlrev_b32_sdwa v12, v12, v8 dst_sel:DWORD dst_unused:UNUSED_PAD src0_sel:DWORD src1_sel:WORD_1
	v_bfe_u32 v6, v8, 19, 4
	v_sub_u32_e32 v7, 29, v7
	v_and_b32_e32 v12, 7, v12
	v_cmp_eq_u16_e32 vcc, 0, v3
	v_cndmask_b32_e32 v2, v2, v12, vcc
	v_cndmask_b32_e32 v3, v6, v7, vcc
	v_lshlrev_b32_e32 v6, 8, v8
	v_mov_b32_e32 v7, 0x3b800000
	v_lshlrev_b32_e32 v2, 20, v2
	v_and_b32_e32 v6, 0x80000000, v6
	v_lshl_add_u32 v3, v3, 23, v7
	v_or3_b32 v2, v6, v3, v2
.LBB2_724:
	s_or_b64 exec, exec, s[6:7]
	s_movk_i32 s4, 0xff
	v_and_b32_sdwa v3, v4, s4 dst_sel:DWORD dst_unused:UNUSED_PAD src0_sel:WORD_1 src1_sel:DWORD
	s_movk_i32 s4, 0x7f
	v_cmp_lt_i16_e32 vcc, s4, v3
	s_mov_b64 s[4:5], 0
                                        ; implicit-def: $sgpr10
	s_and_saveexec_b64 s[6:7], vcc
	s_xor_b64 s[6:7], exec, s[6:7]
	s_cbranch_execnz .LBB2_2773
; %bb.725:
	s_or_saveexec_b64 s[6:7], s[6:7]
	v_mov_b32_e32 v6, s10
	s_xor_b64 exec, exec, s[6:7]
	s_cbranch_execnz .LBB2_2776
.LBB2_726:
	s_or_b64 exec, exec, s[6:7]
	s_and_saveexec_b64 s[6:7], s[4:5]
	s_cbranch_execz .LBB2_728
.LBB2_727:
	v_bfe_u32 v3, v4, 16, 3
	v_ffbh_u32_e32 v12, v3
	v_min_u32_e32 v12, 32, v12
	v_lshrrev_b32_e32 v6, 19, v4
	v_subrev_u32_e32 v13, 28, v12
	v_and_b32_e32 v6, 15, v6
	v_lshlrev_b32_sdwa v13, v13, v4 dst_sel:DWORD dst_unused:UNUSED_PAD src0_sel:DWORD src1_sel:WORD_1
	v_bfe_u32 v7, v4, 19, 4
	v_sub_u32_e32 v12, 29, v12
	v_and_b32_e32 v13, 7, v13
	v_cmp_eq_u16_e32 vcc, 0, v6
	v_cndmask_b32_e32 v3, v3, v13, vcc
	v_cndmask_b32_e32 v6, v7, v12, vcc
	v_lshlrev_b32_e32 v7, 8, v4
	v_mov_b32_e32 v12, 0x3b800000
	v_lshlrev_b32_e32 v3, 20, v3
	v_and_b32_e32 v7, 0x80000000, v7
	v_lshl_add_u32 v6, v6, 23, v12
	v_or3_b32 v6, v7, v6, v3
.LBB2_728:
	s_or_b64 exec, exec, s[6:7]
	s_nop 0
	v_mfma_f32_16x16x4f32 a[0:3], v2, v6, a[0:3]
	s_movk_i32 s4, 0x7f
	v_cmp_gt_i16_sdwa s[6:7], v8, s4 src0_sel:BYTE_3 src1_sel:DWORD
	s_mov_b64 s[4:5], 0
                                        ; implicit-def: $sgpr10
	s_and_saveexec_b64 s[8:9], s[6:7]
	s_xor_b64 s[6:7], exec, s[8:9]
	s_cbranch_execnz .LBB2_2777
; %bb.729:
	s_or_saveexec_b64 s[6:7], s[6:7]
	v_mov_b32_e32 v2, s10
	s_xor_b64 exec, exec, s[6:7]
	s_cbranch_execnz .LBB2_2780
.LBB2_730:
	s_or_b64 exec, exec, s[6:7]
	s_and_saveexec_b64 s[6:7], s[4:5]
	s_cbranch_execz .LBB2_732
.LBB2_731:
	v_bfe_u32 v2, v8, 24, 3
	v_ffbh_u32_e32 v12, v2
	v_min_u32_e32 v12, 32, v12
	v_lshrrev_b32_e32 v6, 27, v8
	v_subrev_u32_e32 v13, 28, v12
	v_and_b32_e32 v3, 0x80000000, v8
	v_and_b32_e32 v6, 15, v6
	v_bfe_u32 v7, v8, 27, 4
	v_lshlrev_b32_sdwa v8, v13, v8 dst_sel:DWORD dst_unused:UNUSED_PAD src0_sel:DWORD src1_sel:BYTE_3
	v_sub_u32_e32 v12, 29, v12
	v_and_b32_e32 v8, 7, v8
	v_cmp_eq_u16_e32 vcc, 0, v6
	v_cndmask_b32_e32 v2, v2, v8, vcc
	v_cndmask_b32_e32 v6, v7, v12, vcc
	v_mov_b32_e32 v7, 0x3b800000
	v_lshlrev_b32_e32 v2, 20, v2
	v_lshl_add_u32 v6, v6, 23, v7
	v_or3_b32 v2, v3, v6, v2
.LBB2_732:
	s_or_b64 exec, exec, s[6:7]
	s_movk_i32 s4, 0x7f
	v_cmp_gt_i16_sdwa s[6:7], v4, s4 src0_sel:BYTE_3 src1_sel:DWORD
	s_mov_b64 s[4:5], 0
                                        ; implicit-def: $sgpr10
	s_and_saveexec_b64 s[8:9], s[6:7]
	s_xor_b64 s[6:7], exec, s[8:9]
	s_cbranch_execnz .LBB2_2781
; %bb.733:
	s_or_saveexec_b64 s[6:7], s[6:7]
	v_mov_b32_e32 v3, s10
	s_xor_b64 exec, exec, s[6:7]
	s_cbranch_execnz .LBB2_2784
.LBB2_734:
	s_or_b64 exec, exec, s[6:7]
	s_and_saveexec_b64 s[6:7], s[4:5]
	s_cbranch_execz .LBB2_736
.LBB2_735:
	v_bfe_u32 v3, v4, 24, 3
	v_ffbh_u32_e32 v12, v3
	v_min_u32_e32 v12, 32, v12
	v_lshrrev_b32_e32 v7, 27, v4
	v_subrev_u32_e32 v13, 28, v12
	v_and_b32_e32 v6, 0x80000000, v4
	v_and_b32_e32 v7, 15, v7
	v_bfe_u32 v8, v4, 27, 4
	v_lshlrev_b32_sdwa v4, v13, v4 dst_sel:DWORD dst_unused:UNUSED_PAD src0_sel:DWORD src1_sel:BYTE_3
	v_sub_u32_e32 v12, 29, v12
	v_and_b32_e32 v4, 7, v4
	v_cmp_eq_u16_e32 vcc, 0, v7
	v_cndmask_b32_e32 v3, v3, v4, vcc
	v_cndmask_b32_e32 v4, v8, v12, vcc
	v_mov_b32_e32 v7, 0x3b800000
	v_lshlrev_b32_e32 v3, 20, v3
	v_lshl_add_u32 v4, v4, 23, v7
	v_or3_b32 v3, v6, v4, v3
.LBB2_736:
	s_or_b64 exec, exec, s[6:7]
	s_nop 0
	v_mfma_f32_16x16x4f32 a[0:3], v2, v3, a[0:3]
	s_movk_i32 s4, 0x7f
	v_cmp_gt_i16_sdwa s[6:7], v9, s4 src0_sel:BYTE_0 src1_sel:DWORD
	s_mov_b64 s[4:5], 0
                                        ; implicit-def: $sgpr10
	s_and_saveexec_b64 s[8:9], s[6:7]
	s_xor_b64 s[6:7], exec, s[8:9]
	s_cbranch_execnz .LBB2_2785
; %bb.737:
	s_or_saveexec_b64 s[6:7], s[6:7]
	v_mov_b32_e32 v2, s10
	s_xor_b64 exec, exec, s[6:7]
	s_cbranch_execnz .LBB2_2788
.LBB2_738:
	s_or_b64 exec, exec, s[6:7]
	s_and_saveexec_b64 s[6:7], s[4:5]
	s_cbranch_execz .LBB2_740
.LBB2_739:
	v_mov_b32_e32 v2, 8
	v_and_b32_e32 v3, 7, v9
	v_lshrrev_b32_sdwa v2, v2, v9 dst_sel:BYTE_1 dst_unused:UNUSED_PAD src0_sel:DWORD src1_sel:DWORD
	v_ffbh_u32_e32 v4, v3
	v_or_b32_sdwa v2, v9, v2 dst_sel:DWORD dst_unused:UNUSED_PAD src0_sel:BYTE_0 src1_sel:DWORD
	v_min_u32_e32 v4, 32, v4
	v_lshrrev_b16_e32 v2, 3, v2
	v_subrev_u32_e32 v6, 28, v4
	v_and_b32_e32 v2, 15, v2
	v_lshlrev_b32_e32 v6, v6, v9
	v_sub_u32_e32 v4, 29, v4
	v_and_b32_e32 v6, 7, v6
	v_cmp_eq_u16_e32 vcc, 0, v2
	v_cndmask_b32_e32 v3, v3, v6, vcc
	v_cndmask_b32_e32 v2, v2, v4, vcc
	v_lshlrev_b32_e32 v4, 24, v9
	v_mov_b32_e32 v6, 0x3b800000
	v_lshlrev_b32_e32 v3, 20, v3
	v_and_b32_e32 v4, 0x80000000, v4
	v_lshl_add_u32 v2, v2, 23, v6
	v_or3_b32 v2, v4, v2, v3
.LBB2_740:
	s_or_b64 exec, exec, s[6:7]
	s_movk_i32 s4, 0x7f
	v_cmp_gt_i16_sdwa s[6:7], v5, s4 src0_sel:BYTE_0 src1_sel:DWORD
	s_mov_b64 s[4:5], 0
                                        ; implicit-def: $sgpr10
	s_and_saveexec_b64 s[8:9], s[6:7]
	s_xor_b64 s[6:7], exec, s[8:9]
	s_cbranch_execnz .LBB2_2789
; %bb.741:
	s_or_saveexec_b64 s[6:7], s[6:7]
	v_mov_b32_e32 v3, s10
	s_xor_b64 exec, exec, s[6:7]
	s_cbranch_execnz .LBB2_2792
.LBB2_742:
	s_or_b64 exec, exec, s[6:7]
	s_and_saveexec_b64 s[6:7], s[4:5]
	s_cbranch_execz .LBB2_744
.LBB2_743:
	v_mov_b32_e32 v3, 8
	v_and_b32_e32 v4, 7, v5
	v_lshrrev_b32_sdwa v3, v3, v5 dst_sel:BYTE_1 dst_unused:UNUSED_PAD src0_sel:DWORD src1_sel:DWORD
	v_ffbh_u32_e32 v6, v4
	v_or_b32_sdwa v3, v5, v3 dst_sel:DWORD dst_unused:UNUSED_PAD src0_sel:BYTE_0 src1_sel:DWORD
	v_min_u32_e32 v6, 32, v6
	v_lshrrev_b16_e32 v3, 3, v3
	v_subrev_u32_e32 v7, 28, v6
	v_and_b32_e32 v3, 15, v3
	v_lshlrev_b32_e32 v7, v7, v5
	v_sub_u32_e32 v6, 29, v6
	v_and_b32_e32 v7, 7, v7
	v_cmp_eq_u16_e32 vcc, 0, v3
	v_cndmask_b32_e32 v4, v4, v7, vcc
	v_cndmask_b32_e32 v3, v3, v6, vcc
	v_lshlrev_b32_e32 v6, 24, v5
	v_mov_b32_e32 v7, 0x3b800000
	v_lshlrev_b32_e32 v4, 20, v4
	v_and_b32_e32 v6, 0x80000000, v6
	v_lshl_add_u32 v3, v3, 23, v7
	v_or3_b32 v3, v6, v3, v4
.LBB2_744:
	s_or_b64 exec, exec, s[6:7]
	s_nop 0
	v_mfma_f32_16x16x4f32 a[0:3], v2, v3, a[0:3]
	v_lshrrev_b32_e32 v3, 8, v9
	s_movk_i32 s4, 0x7f
	v_cmp_gt_i16_sdwa s[6:7], v3, s4 src0_sel:BYTE_0 src1_sel:DWORD
	s_mov_b64 s[4:5], 0
                                        ; implicit-def: $sgpr10
	s_and_saveexec_b64 s[8:9], s[6:7]
	s_xor_b64 s[6:7], exec, s[8:9]
	s_cbranch_execnz .LBB2_2793
; %bb.745:
	s_or_saveexec_b64 s[6:7], s[6:7]
	v_mov_b32_e32 v2, s10
	s_xor_b64 exec, exec, s[6:7]
	s_cbranch_execnz .LBB2_2796
.LBB2_746:
	s_or_b64 exec, exec, s[6:7]
	s_and_saveexec_b64 s[6:7], s[4:5]
	s_cbranch_execz .LBB2_748
.LBB2_747:
	v_bfe_u32 v2, v9, 8, 3
	v_ffbh_u32_e32 v6, v2
	v_min_u32_e32 v6, 32, v6
	v_lshrrev_b16_e32 v4, 3, v3
	v_subrev_u32_e32 v7, 28, v6
	v_and_b32_e32 v4, 15, v4
	v_lshlrev_b32_e32 v3, v7, v3
	v_sub_u32_e32 v6, 29, v6
	v_and_b32_e32 v3, 7, v3
	v_cmp_eq_u16_e32 vcc, 0, v4
	v_cndmask_b32_e32 v2, v2, v3, vcc
	v_cndmask_b32_e32 v3, v4, v6, vcc
	v_lshlrev_b32_e32 v4, 16, v9
	v_mov_b32_e32 v6, 0x3b800000
	v_lshlrev_b32_e32 v2, 20, v2
	v_and_b32_e32 v4, 0x80000000, v4
	v_lshl_add_u32 v3, v3, 23, v6
	v_or3_b32 v2, v4, v3, v2
.LBB2_748:
	s_or_b64 exec, exec, s[6:7]
	v_lshrrev_b32_e32 v3, 8, v5
	s_movk_i32 s4, 0x7f
	v_cmp_gt_i16_sdwa s[6:7], v3, s4 src0_sel:BYTE_0 src1_sel:DWORD
	s_mov_b64 s[4:5], 0
                                        ; implicit-def: $sgpr10
	s_and_saveexec_b64 s[8:9], s[6:7]
	s_xor_b64 s[6:7], exec, s[8:9]
	s_cbranch_execnz .LBB2_2797
; %bb.749:
	s_or_saveexec_b64 s[6:7], s[6:7]
	v_mov_b32_e32 v4, s10
	s_xor_b64 exec, exec, s[6:7]
	s_cbranch_execnz .LBB2_2800
.LBB2_750:
	s_or_b64 exec, exec, s[6:7]
	s_and_saveexec_b64 s[6:7], s[4:5]
	s_cbranch_execz .LBB2_752
.LBB2_751:
	v_bfe_u32 v4, v5, 8, 3
	v_ffbh_u32_e32 v7, v4
	v_min_u32_e32 v7, 32, v7
	v_lshrrev_b16_e32 v6, 3, v3
	v_subrev_u32_e32 v8, 28, v7
	v_and_b32_e32 v6, 15, v6
	v_lshlrev_b32_e32 v3, v8, v3
	v_sub_u32_e32 v7, 29, v7
	v_and_b32_e32 v3, 7, v3
	v_cmp_eq_u16_e32 vcc, 0, v6
	v_cndmask_b32_e32 v3, v4, v3, vcc
	v_cndmask_b32_e32 v4, v6, v7, vcc
	v_lshlrev_b32_e32 v6, 16, v5
	v_mov_b32_e32 v7, 0x3b800000
	v_lshlrev_b32_e32 v3, 20, v3
	v_and_b32_e32 v6, 0x80000000, v6
	v_lshl_add_u32 v4, v4, 23, v7
	v_or3_b32 v4, v6, v4, v3
.LBB2_752:
	s_or_b64 exec, exec, s[6:7]
	s_nop 0
	v_mfma_f32_16x16x4f32 a[0:3], v2, v4, a[0:3]
	s_movk_i32 s4, 0xff
	v_and_b32_sdwa v3, v9, s4 dst_sel:DWORD dst_unused:UNUSED_PAD src0_sel:WORD_1 src1_sel:DWORD
	s_movk_i32 s4, 0x7f
	v_cmp_lt_i16_e32 vcc, s4, v3
	s_mov_b64 s[4:5], 0
                                        ; implicit-def: $sgpr10
	s_and_saveexec_b64 s[6:7], vcc
	s_xor_b64 s[6:7], exec, s[6:7]
	s_cbranch_execnz .LBB2_2801
; %bb.753:
	s_or_saveexec_b64 s[6:7], s[6:7]
	v_mov_b32_e32 v2, s10
	s_xor_b64 exec, exec, s[6:7]
	s_cbranch_execnz .LBB2_2804
.LBB2_754:
	s_or_b64 exec, exec, s[6:7]
	s_and_saveexec_b64 s[6:7], s[4:5]
	s_cbranch_execz .LBB2_756
.LBB2_755:
	v_bfe_u32 v2, v9, 16, 3
	v_ffbh_u32_e32 v6, v2
	v_min_u32_e32 v6, 32, v6
	v_lshrrev_b32_e32 v3, 19, v9
	v_subrev_u32_e32 v7, 28, v6
	v_and_b32_e32 v3, 15, v3
	v_lshlrev_b32_sdwa v7, v7, v9 dst_sel:DWORD dst_unused:UNUSED_PAD src0_sel:DWORD src1_sel:WORD_1
	v_bfe_u32 v4, v9, 19, 4
	v_sub_u32_e32 v6, 29, v6
	v_and_b32_e32 v7, 7, v7
	v_cmp_eq_u16_e32 vcc, 0, v3
	v_cndmask_b32_e32 v2, v2, v7, vcc
	v_cndmask_b32_e32 v3, v4, v6, vcc
	v_lshlrev_b32_e32 v4, 8, v9
	v_mov_b32_e32 v6, 0x3b800000
	v_lshlrev_b32_e32 v2, 20, v2
	v_and_b32_e32 v4, 0x80000000, v4
	v_lshl_add_u32 v3, v3, 23, v6
	v_or3_b32 v2, v4, v3, v2
.LBB2_756:
	s_or_b64 exec, exec, s[6:7]
	s_movk_i32 s4, 0xff
	v_and_b32_sdwa v3, v5, s4 dst_sel:DWORD dst_unused:UNUSED_PAD src0_sel:WORD_1 src1_sel:DWORD
	s_movk_i32 s4, 0x7f
	v_cmp_lt_i16_e32 vcc, s4, v3
	s_mov_b64 s[4:5], 0
                                        ; implicit-def: $sgpr10
	s_and_saveexec_b64 s[6:7], vcc
	s_xor_b64 s[6:7], exec, s[6:7]
	s_cbranch_execnz .LBB2_2805
; %bb.757:
	s_or_saveexec_b64 s[6:7], s[6:7]
	v_mov_b32_e32 v4, s10
	s_xor_b64 exec, exec, s[6:7]
	s_cbranch_execnz .LBB2_2808
.LBB2_758:
	s_or_b64 exec, exec, s[6:7]
	s_and_saveexec_b64 s[6:7], s[4:5]
	s_cbranch_execz .LBB2_760
.LBB2_759:
	v_bfe_u32 v3, v5, 16, 3
	v_ffbh_u32_e32 v7, v3
	v_min_u32_e32 v7, 32, v7
	v_lshrrev_b32_e32 v4, 19, v5
	v_subrev_u32_e32 v8, 28, v7
	v_and_b32_e32 v4, 15, v4
	v_lshlrev_b32_sdwa v8, v8, v5 dst_sel:DWORD dst_unused:UNUSED_PAD src0_sel:DWORD src1_sel:WORD_1
	v_bfe_u32 v6, v5, 19, 4
	v_sub_u32_e32 v7, 29, v7
	v_and_b32_e32 v8, 7, v8
	v_cmp_eq_u16_e32 vcc, 0, v4
	v_cndmask_b32_e32 v3, v3, v8, vcc
	v_cndmask_b32_e32 v4, v6, v7, vcc
	v_lshlrev_b32_e32 v6, 8, v5
	v_mov_b32_e32 v7, 0x3b800000
	v_lshlrev_b32_e32 v3, 20, v3
	v_and_b32_e32 v6, 0x80000000, v6
	v_lshl_add_u32 v4, v4, 23, v7
	v_or3_b32 v4, v6, v4, v3
.LBB2_760:
	s_or_b64 exec, exec, s[6:7]
	s_nop 0
	v_mfma_f32_16x16x4f32 a[0:3], v2, v4, a[0:3]
	s_movk_i32 s4, 0x7f
	v_cmp_gt_i16_sdwa s[6:7], v9, s4 src0_sel:BYTE_3 src1_sel:DWORD
	s_mov_b64 s[4:5], 0
                                        ; implicit-def: $sgpr10
	s_and_saveexec_b64 s[8:9], s[6:7]
	s_xor_b64 s[6:7], exec, s[8:9]
	s_cbranch_execnz .LBB2_2809
; %bb.761:
	s_or_saveexec_b64 s[6:7], s[6:7]
	v_mov_b32_e32 v2, s10
	s_xor_b64 exec, exec, s[6:7]
	s_cbranch_execnz .LBB2_2812
.LBB2_762:
	s_or_b64 exec, exec, s[6:7]
	s_and_saveexec_b64 s[6:7], s[4:5]
	s_cbranch_execz .LBB2_764
.LBB2_763:
	v_bfe_u32 v2, v9, 24, 3
	v_ffbh_u32_e32 v7, v2
	v_min_u32_e32 v7, 32, v7
	v_lshrrev_b32_e32 v4, 27, v9
	v_subrev_u32_e32 v8, 28, v7
	v_and_b32_e32 v4, 15, v4
	v_lshlrev_b32_sdwa v8, v8, v9 dst_sel:DWORD dst_unused:UNUSED_PAD src0_sel:DWORD src1_sel:BYTE_3
	v_bfe_u32 v6, v9, 27, 4
	v_sub_u32_e32 v7, 29, v7
	v_and_b32_e32 v8, 7, v8
	v_cmp_eq_u16_e32 vcc, 0, v4
	v_cndmask_b32_e32 v2, v2, v8, vcc
	v_cndmask_b32_e32 v4, v6, v7, vcc
	v_mov_b32_e32 v6, 0x3b800000
	v_and_b32_e32 v3, 0x80000000, v9
	v_lshlrev_b32_e32 v2, 20, v2
	v_lshl_add_u32 v4, v4, 23, v6
	v_or3_b32 v2, v3, v4, v2
.LBB2_764:
	s_or_b64 exec, exec, s[6:7]
	s_movk_i32 s4, 0x7f
	v_cmp_gt_i16_sdwa s[6:7], v5, s4 src0_sel:BYTE_3 src1_sel:DWORD
	s_mov_b64 s[4:5], 0
                                        ; implicit-def: $sgpr10
	s_and_saveexec_b64 s[8:9], s[6:7]
	s_xor_b64 s[6:7], exec, s[8:9]
	s_cbranch_execnz .LBB2_2813
; %bb.765:
	s_or_saveexec_b64 s[6:7], s[6:7]
	v_mov_b32_e32 v3, s10
	s_xor_b64 exec, exec, s[6:7]
	s_cbranch_execnz .LBB2_2816
.LBB2_766:
	s_or_b64 exec, exec, s[6:7]
	s_and_saveexec_b64 s[6:7], s[4:5]
	s_cbranch_execz .LBB2_768
.LBB2_767:
	v_bfe_u32 v3, v5, 24, 3
	v_ffbh_u32_e32 v8, v3
	v_min_u32_e32 v8, 32, v8
	v_lshrrev_b32_e32 v6, 27, v5
	v_subrev_u32_e32 v9, 28, v8
	v_and_b32_e32 v4, 0x80000000, v5
	v_and_b32_e32 v6, 15, v6
	v_bfe_u32 v7, v5, 27, 4
	v_lshlrev_b32_sdwa v5, v9, v5 dst_sel:DWORD dst_unused:UNUSED_PAD src0_sel:DWORD src1_sel:BYTE_3
	v_sub_u32_e32 v8, 29, v8
	v_and_b32_e32 v5, 7, v5
	v_cmp_eq_u16_e32 vcc, 0, v6
	v_cndmask_b32_e32 v3, v3, v5, vcc
	v_cndmask_b32_e32 v5, v7, v8, vcc
	v_mov_b32_e32 v6, 0x3b800000
	v_lshlrev_b32_e32 v3, 20, v3
	v_lshl_add_u32 v5, v5, 23, v6
	v_or3_b32 v3, v4, v5, v3
.LBB2_768:
	s_or_b64 exec, exec, s[6:7]
	s_nop 0
	v_mfma_f32_16x16x4f32 a[0:3], v2, v3, a[0:3]
	s_movk_i32 s4, 0x7f
                                        ; implicit-def: $sgpr10
	s_nop 7
	s_nop 1
	flat_store_dwordx4 v[10:11], a[0:3] offset:80
	flat_load_dwordx4 v[12:15], v[0:1] offset:8
	s_nop 0
	flat_load_dwordx2 v[10:11], v[0:1] offset:32
	s_waitcnt vmcnt(0) lgkmcnt(0)
	flat_load_dwordx4 v[6:9], v[12:13] offset:48
	flat_load_dwordx4 v[2:5], v[14:15] offset:80
	s_waitcnt vmcnt(0) lgkmcnt(0)
	v_cmp_gt_i16_sdwa s[6:7], v6, s4 src0_sel:BYTE_0 src1_sel:DWORD
	s_mov_b64 s[4:5], 0
	s_and_saveexec_b64 s[8:9], s[6:7]
	s_xor_b64 s[6:7], exec, s[8:9]
	s_cbranch_execnz .LBB2_2817
; %bb.769:
	s_or_saveexec_b64 s[6:7], s[6:7]
	v_mov_b32_e32 v12, s10
	s_xor_b64 exec, exec, s[6:7]
	s_cbranch_execnz .LBB2_2820
.LBB2_770:
	s_or_b64 exec, exec, s[6:7]
	s_and_saveexec_b64 s[6:7], s[4:5]
	s_cbranch_execz .LBB2_772
.LBB2_771:
	v_and_b32_e32 v12, 7, v6
	v_ffbh_u32_e32 v14, v12
	v_min_u32_e32 v14, 32, v14
	v_lshrrev_b16_e32 v13, 3, v6
	v_subrev_u32_e32 v15, 28, v14
	v_and_b32_e32 v13, 15, v13
	v_lshlrev_b32_e32 v15, v15, v6
	v_sub_u32_e32 v14, 29, v14
	v_and_b32_e32 v15, 7, v15
	v_cmp_eq_u16_e32 vcc, 0, v13
	v_cndmask_b32_e32 v12, v12, v15, vcc
	v_cndmask_b32_e32 v13, v13, v14, vcc
	v_lshlrev_b32_e32 v14, 24, v6
	v_mov_b32_e32 v15, 0x3b800000
	v_lshlrev_b32_e32 v12, 20, v12
	v_and_b32_e32 v14, 0x80000000, v14
	v_lshl_add_u32 v13, v13, 23, v15
	v_or3_b32 v12, v14, v13, v12
.LBB2_772:
	s_or_b64 exec, exec, s[6:7]
	s_movk_i32 s4, 0x7f
	v_cmp_gt_i16_sdwa s[6:7], v2, s4 src0_sel:BYTE_0 src1_sel:DWORD
	s_mov_b64 s[4:5], 0
                                        ; implicit-def: $sgpr10
	s_and_saveexec_b64 s[8:9], s[6:7]
	s_xor_b64 s[6:7], exec, s[8:9]
	s_cbranch_execnz .LBB2_2821
; %bb.773:
	s_or_saveexec_b64 s[6:7], s[6:7]
	v_mov_b32_e32 v13, s10
	s_xor_b64 exec, exec, s[6:7]
	s_cbranch_execnz .LBB2_2824
.LBB2_774:
	s_or_b64 exec, exec, s[6:7]
	s_and_saveexec_b64 s[6:7], s[4:5]
	s_cbranch_execz .LBB2_776
.LBB2_775:
	v_and_b32_e32 v13, 7, v2
	v_ffbh_u32_e32 v15, v13
	v_min_u32_e32 v15, 32, v15
	v_lshrrev_b16_e32 v14, 3, v2
	v_subrev_u32_e32 v16, 28, v15
	v_and_b32_e32 v14, 15, v14
	v_lshlrev_b32_e32 v16, v16, v2
	v_sub_u32_e32 v15, 29, v15
	v_and_b32_e32 v16, 7, v16
	v_cmp_eq_u16_e32 vcc, 0, v14
	v_cndmask_b32_e32 v13, v13, v16, vcc
	v_cndmask_b32_e32 v14, v14, v15, vcc
	v_lshlrev_b32_e32 v15, 24, v2
	v_mov_b32_e32 v16, 0x3b800000
	v_lshlrev_b32_e32 v13, 20, v13
	v_and_b32_e32 v15, 0x80000000, v15
	v_lshl_add_u32 v14, v14, 23, v16
	v_or3_b32 v13, v15, v14, v13
.LBB2_776:
	s_or_b64 exec, exec, s[6:7]
	flat_load_dwordx4 a[0:3], v[10:11] offset:96
	s_movk_i32 s4, 0x7f
                                        ; implicit-def: $sgpr10
	s_waitcnt vmcnt(0) lgkmcnt(0)
	v_mfma_f32_16x16x4f32 a[0:3], v12, v13, a[0:3]
	v_lshrrev_b32_e32 v13, 8, v6
	v_cmp_gt_i16_sdwa s[6:7], v13, s4 src0_sel:BYTE_0 src1_sel:DWORD
	s_mov_b64 s[4:5], 0
	s_and_saveexec_b64 s[8:9], s[6:7]
	s_xor_b64 s[6:7], exec, s[8:9]
	s_cbranch_execnz .LBB2_2825
; %bb.777:
	s_or_saveexec_b64 s[6:7], s[6:7]
	v_mov_b32_e32 v12, s10
	s_xor_b64 exec, exec, s[6:7]
	s_cbranch_execnz .LBB2_2828
.LBB2_778:
	s_or_b64 exec, exec, s[6:7]
	s_and_saveexec_b64 s[6:7], s[4:5]
	s_cbranch_execz .LBB2_780
.LBB2_779:
	v_bfe_u32 v12, v6, 8, 3
	v_ffbh_u32_e32 v15, v12
	v_min_u32_e32 v15, 32, v15
	v_lshrrev_b16_e32 v14, 3, v13
	v_subrev_u32_e32 v16, 28, v15
	v_and_b32_e32 v14, 15, v14
	v_lshlrev_b32_e32 v13, v16, v13
	v_sub_u32_e32 v15, 29, v15
	v_and_b32_e32 v13, 7, v13
	v_cmp_eq_u16_e32 vcc, 0, v14
	v_cndmask_b32_e32 v12, v12, v13, vcc
	v_cndmask_b32_e32 v13, v14, v15, vcc
	v_lshlrev_b32_e32 v14, 16, v6
	v_mov_b32_e32 v15, 0x3b800000
	v_lshlrev_b32_e32 v12, 20, v12
	v_and_b32_e32 v14, 0x80000000, v14
	v_lshl_add_u32 v13, v13, 23, v15
	v_or3_b32 v12, v14, v13, v12
.LBB2_780:
	s_or_b64 exec, exec, s[6:7]
	v_lshrrev_b32_e32 v13, 8, v2
	s_movk_i32 s4, 0x7f
	v_cmp_gt_i16_sdwa s[6:7], v13, s4 src0_sel:BYTE_0 src1_sel:DWORD
	s_mov_b64 s[4:5], 0
                                        ; implicit-def: $sgpr10
	s_and_saveexec_b64 s[8:9], s[6:7]
	s_xor_b64 s[6:7], exec, s[8:9]
	s_cbranch_execnz .LBB2_2829
; %bb.781:
	s_or_saveexec_b64 s[6:7], s[6:7]
	v_mov_b32_e32 v14, s10
	s_xor_b64 exec, exec, s[6:7]
	s_cbranch_execnz .LBB2_2832
.LBB2_782:
	s_or_b64 exec, exec, s[6:7]
	s_and_saveexec_b64 s[6:7], s[4:5]
	s_cbranch_execz .LBB2_784
.LBB2_783:
	v_bfe_u32 v14, v2, 8, 3
	v_ffbh_u32_e32 v16, v14
	v_min_u32_e32 v16, 32, v16
	v_lshrrev_b16_e32 v15, 3, v13
	v_subrev_u32_e32 v17, 28, v16
	v_and_b32_e32 v15, 15, v15
	v_lshlrev_b32_e32 v13, v17, v13
	v_sub_u32_e32 v16, 29, v16
	v_and_b32_e32 v13, 7, v13
	v_cmp_eq_u16_e32 vcc, 0, v15
	v_cndmask_b32_e32 v13, v14, v13, vcc
	v_cndmask_b32_e32 v14, v15, v16, vcc
	v_lshlrev_b32_e32 v15, 16, v2
	v_mov_b32_e32 v16, 0x3b800000
	v_lshlrev_b32_e32 v13, 20, v13
	v_and_b32_e32 v15, 0x80000000, v15
	v_lshl_add_u32 v14, v14, 23, v16
	v_or3_b32 v14, v15, v14, v13
.LBB2_784:
	s_or_b64 exec, exec, s[6:7]
	s_nop 0
	v_mfma_f32_16x16x4f32 a[0:3], v12, v14, a[0:3]
	s_movk_i32 s4, 0xff
	v_and_b32_sdwa v13, v6, s4 dst_sel:DWORD dst_unused:UNUSED_PAD src0_sel:WORD_1 src1_sel:DWORD
	s_movk_i32 s4, 0x7f
	v_cmp_lt_i16_e32 vcc, s4, v13
	s_mov_b64 s[4:5], 0
                                        ; implicit-def: $sgpr10
	s_and_saveexec_b64 s[6:7], vcc
	s_xor_b64 s[6:7], exec, s[6:7]
	s_cbranch_execnz .LBB2_2833
; %bb.785:
	s_or_saveexec_b64 s[6:7], s[6:7]
	v_mov_b32_e32 v12, s10
	s_xor_b64 exec, exec, s[6:7]
	s_cbranch_execnz .LBB2_2836
.LBB2_786:
	s_or_b64 exec, exec, s[6:7]
	s_and_saveexec_b64 s[6:7], s[4:5]
	s_cbranch_execz .LBB2_788
.LBB2_787:
	v_bfe_u32 v12, v6, 16, 3
	v_ffbh_u32_e32 v15, v12
	v_min_u32_e32 v15, 32, v15
	v_lshrrev_b32_e32 v13, 19, v6
	v_subrev_u32_e32 v16, 28, v15
	v_and_b32_e32 v13, 15, v13
	v_lshlrev_b32_sdwa v16, v16, v6 dst_sel:DWORD dst_unused:UNUSED_PAD src0_sel:DWORD src1_sel:WORD_1
	v_bfe_u32 v14, v6, 19, 4
	v_sub_u32_e32 v15, 29, v15
	v_and_b32_e32 v16, 7, v16
	v_cmp_eq_u16_e32 vcc, 0, v13
	v_cndmask_b32_e32 v12, v12, v16, vcc
	v_cndmask_b32_e32 v13, v14, v15, vcc
	v_lshlrev_b32_e32 v14, 8, v6
	v_mov_b32_e32 v15, 0x3b800000
	v_lshlrev_b32_e32 v12, 20, v12
	v_and_b32_e32 v14, 0x80000000, v14
	v_lshl_add_u32 v13, v13, 23, v15
	v_or3_b32 v12, v14, v13, v12
.LBB2_788:
	s_or_b64 exec, exec, s[6:7]
	s_movk_i32 s4, 0xff
	v_and_b32_sdwa v13, v2, s4 dst_sel:DWORD dst_unused:UNUSED_PAD src0_sel:WORD_1 src1_sel:DWORD
	s_movk_i32 s4, 0x7f
	v_cmp_lt_i16_e32 vcc, s4, v13
	s_mov_b64 s[4:5], 0
                                        ; implicit-def: $sgpr10
	s_and_saveexec_b64 s[6:7], vcc
	s_xor_b64 s[6:7], exec, s[6:7]
	s_cbranch_execnz .LBB2_2837
; %bb.789:
	s_or_saveexec_b64 s[6:7], s[6:7]
	v_mov_b32_e32 v14, s10
	s_xor_b64 exec, exec, s[6:7]
	s_cbranch_execnz .LBB2_2840
.LBB2_790:
	s_or_b64 exec, exec, s[6:7]
	s_and_saveexec_b64 s[6:7], s[4:5]
	s_cbranch_execz .LBB2_792
.LBB2_791:
	v_bfe_u32 v13, v2, 16, 3
	v_ffbh_u32_e32 v16, v13
	v_min_u32_e32 v16, 32, v16
	v_lshrrev_b32_e32 v14, 19, v2
	v_subrev_u32_e32 v17, 28, v16
	v_and_b32_e32 v14, 15, v14
	v_lshlrev_b32_sdwa v17, v17, v2 dst_sel:DWORD dst_unused:UNUSED_PAD src0_sel:DWORD src1_sel:WORD_1
	v_bfe_u32 v15, v2, 19, 4
	v_sub_u32_e32 v16, 29, v16
	v_and_b32_e32 v17, 7, v17
	v_cmp_eq_u16_e32 vcc, 0, v14
	v_cndmask_b32_e32 v13, v13, v17, vcc
	v_cndmask_b32_e32 v14, v15, v16, vcc
	v_lshlrev_b32_e32 v15, 8, v2
	v_mov_b32_e32 v16, 0x3b800000
	v_lshlrev_b32_e32 v13, 20, v13
	v_and_b32_e32 v15, 0x80000000, v15
	v_lshl_add_u32 v14, v14, 23, v16
	v_or3_b32 v14, v15, v14, v13
.LBB2_792:
	s_or_b64 exec, exec, s[6:7]
	s_nop 0
	v_mfma_f32_16x16x4f32 a[0:3], v12, v14, a[0:3]
	s_movk_i32 s4, 0x7f
	v_cmp_gt_i16_sdwa s[6:7], v6, s4 src0_sel:BYTE_3 src1_sel:DWORD
	s_mov_b64 s[4:5], 0
                                        ; implicit-def: $sgpr10
	s_and_saveexec_b64 s[8:9], s[6:7]
	s_xor_b64 s[6:7], exec, s[8:9]
	s_cbranch_execnz .LBB2_2841
; %bb.793:
	s_or_saveexec_b64 s[6:7], s[6:7]
	v_mov_b32_e32 v12, s10
	s_xor_b64 exec, exec, s[6:7]
	s_cbranch_execnz .LBB2_2844
.LBB2_794:
	s_or_b64 exec, exec, s[6:7]
	s_and_saveexec_b64 s[6:7], s[4:5]
	s_cbranch_execz .LBB2_796
.LBB2_795:
	v_bfe_u32 v12, v6, 24, 3
	v_ffbh_u32_e32 v16, v12
	v_min_u32_e32 v16, 32, v16
	v_lshrrev_b32_e32 v14, 27, v6
	v_subrev_u32_e32 v17, 28, v16
	v_and_b32_e32 v13, 0x80000000, v6
	v_and_b32_e32 v14, 15, v14
	v_bfe_u32 v15, v6, 27, 4
	v_lshlrev_b32_sdwa v6, v17, v6 dst_sel:DWORD dst_unused:UNUSED_PAD src0_sel:DWORD src1_sel:BYTE_3
	v_sub_u32_e32 v16, 29, v16
	v_and_b32_e32 v6, 7, v6
	v_cmp_eq_u16_e32 vcc, 0, v14
	v_cndmask_b32_e32 v6, v12, v6, vcc
	v_cndmask_b32_e32 v12, v15, v16, vcc
	v_mov_b32_e32 v14, 0x3b800000
	v_lshlrev_b32_e32 v6, 20, v6
	v_lshl_add_u32 v12, v12, 23, v14
	v_or3_b32 v12, v13, v12, v6
.LBB2_796:
	s_or_b64 exec, exec, s[6:7]
	s_movk_i32 s4, 0x7f
	v_cmp_gt_i16_sdwa s[6:7], v2, s4 src0_sel:BYTE_3 src1_sel:DWORD
	s_mov_b64 s[4:5], 0
                                        ; implicit-def: $sgpr10
	s_and_saveexec_b64 s[8:9], s[6:7]
	s_xor_b64 s[6:7], exec, s[8:9]
	s_cbranch_execnz .LBB2_2845
; %bb.797:
	s_or_saveexec_b64 s[6:7], s[6:7]
	v_mov_b32_e32 v6, s10
	s_xor_b64 exec, exec, s[6:7]
	s_cbranch_execnz .LBB2_2848
.LBB2_798:
	s_or_b64 exec, exec, s[6:7]
	s_and_saveexec_b64 s[6:7], s[4:5]
	s_cbranch_execz .LBB2_800
.LBB2_799:
	v_bfe_u32 v6, v2, 24, 3
	v_ffbh_u32_e32 v16, v6
	v_min_u32_e32 v16, 32, v16
	v_lshrrev_b32_e32 v14, 27, v2
	v_subrev_u32_e32 v17, 28, v16
	v_and_b32_e32 v13, 0x80000000, v2
	v_and_b32_e32 v14, 15, v14
	v_bfe_u32 v15, v2, 27, 4
	v_lshlrev_b32_sdwa v2, v17, v2 dst_sel:DWORD dst_unused:UNUSED_PAD src0_sel:DWORD src1_sel:BYTE_3
	v_sub_u32_e32 v16, 29, v16
	v_and_b32_e32 v2, 7, v2
	v_cmp_eq_u16_e32 vcc, 0, v14
	v_cndmask_b32_e32 v2, v6, v2, vcc
	v_cndmask_b32_e32 v6, v15, v16, vcc
	v_mov_b32_e32 v14, 0x3b800000
	v_lshlrev_b32_e32 v2, 20, v2
	v_lshl_add_u32 v6, v6, 23, v14
	v_or3_b32 v6, v13, v6, v2
.LBB2_800:
	s_or_b64 exec, exec, s[6:7]
	s_nop 0
	v_mfma_f32_16x16x4f32 a[0:3], v12, v6, a[0:3]
	s_movk_i32 s4, 0x7f
	v_cmp_gt_i16_sdwa s[6:7], v7, s4 src0_sel:BYTE_0 src1_sel:DWORD
	s_mov_b64 s[4:5], 0
                                        ; implicit-def: $sgpr10
	s_and_saveexec_b64 s[8:9], s[6:7]
	s_xor_b64 s[6:7], exec, s[8:9]
	s_cbranch_execnz .LBB2_2849
; %bb.801:
	s_or_saveexec_b64 s[6:7], s[6:7]
	v_mov_b32_e32 v2, s10
	s_xor_b64 exec, exec, s[6:7]
	s_cbranch_execnz .LBB2_2852
.LBB2_802:
	s_or_b64 exec, exec, s[6:7]
	s_and_saveexec_b64 s[6:7], s[4:5]
	s_cbranch_execz .LBB2_804
.LBB2_803:
	v_and_b32_e32 v2, 7, v7
	v_ffbh_u32_e32 v12, v2
	v_min_u32_e32 v12, 32, v12
	v_lshrrev_b16_e32 v6, 3, v7
	v_subrev_u32_e32 v13, 28, v12
	v_and_b32_e32 v6, 15, v6
	v_lshlrev_b32_e32 v13, v13, v7
	v_sub_u32_e32 v12, 29, v12
	v_and_b32_e32 v13, 7, v13
	v_cmp_eq_u16_e32 vcc, 0, v6
	v_cndmask_b32_e32 v2, v2, v13, vcc
	v_cndmask_b32_e32 v6, v6, v12, vcc
	v_lshlrev_b32_e32 v12, 24, v7
	v_mov_b32_e32 v13, 0x3b800000
	v_lshlrev_b32_e32 v2, 20, v2
	v_and_b32_e32 v12, 0x80000000, v12
	v_lshl_add_u32 v6, v6, 23, v13
	v_or3_b32 v2, v12, v6, v2
.LBB2_804:
	s_or_b64 exec, exec, s[6:7]
	s_movk_i32 s4, 0x7f
	v_cmp_gt_i16_sdwa s[6:7], v3, s4 src0_sel:BYTE_0 src1_sel:DWORD
	s_mov_b64 s[4:5], 0
                                        ; implicit-def: $sgpr10
	s_and_saveexec_b64 s[8:9], s[6:7]
	s_xor_b64 s[6:7], exec, s[8:9]
	s_cbranch_execnz .LBB2_2853
; %bb.805:
	s_or_saveexec_b64 s[6:7], s[6:7]
	v_mov_b32_e32 v6, s10
	s_xor_b64 exec, exec, s[6:7]
	s_cbranch_execnz .LBB2_2856
.LBB2_806:
	s_or_b64 exec, exec, s[6:7]
	s_and_saveexec_b64 s[6:7], s[4:5]
	s_cbranch_execz .LBB2_808
.LBB2_807:
	v_and_b32_e32 v6, 7, v3
	v_ffbh_u32_e32 v13, v6
	v_min_u32_e32 v13, 32, v13
	v_lshrrev_b16_e32 v12, 3, v3
	v_subrev_u32_e32 v14, 28, v13
	v_and_b32_e32 v12, 15, v12
	v_lshlrev_b32_e32 v14, v14, v3
	v_sub_u32_e32 v13, 29, v13
	v_and_b32_e32 v14, 7, v14
	v_cmp_eq_u16_e32 vcc, 0, v12
	v_cndmask_b32_e32 v6, v6, v14, vcc
	v_cndmask_b32_e32 v12, v12, v13, vcc
	v_lshlrev_b32_e32 v13, 24, v3
	v_mov_b32_e32 v14, 0x3b800000
	v_lshlrev_b32_e32 v6, 20, v6
	v_and_b32_e32 v13, 0x80000000, v13
	v_lshl_add_u32 v12, v12, 23, v14
	v_or3_b32 v6, v13, v12, v6
.LBB2_808:
	s_or_b64 exec, exec, s[6:7]
	s_nop 0
	v_mfma_f32_16x16x4f32 a[0:3], v2, v6, a[0:3]
	v_lshrrev_b32_e32 v6, 8, v7
	s_movk_i32 s4, 0x7f
	v_cmp_gt_i16_sdwa s[6:7], v6, s4 src0_sel:BYTE_0 src1_sel:DWORD
	s_mov_b64 s[4:5], 0
                                        ; implicit-def: $sgpr10
	s_and_saveexec_b64 s[8:9], s[6:7]
	s_xor_b64 s[6:7], exec, s[8:9]
	s_cbranch_execnz .LBB2_2857
; %bb.809:
	s_or_saveexec_b64 s[6:7], s[6:7]
	v_mov_b32_e32 v2, s10
	s_xor_b64 exec, exec, s[6:7]
	s_cbranch_execnz .LBB2_2860
.LBB2_810:
	s_or_b64 exec, exec, s[6:7]
	s_and_saveexec_b64 s[6:7], s[4:5]
	s_cbranch_execz .LBB2_812
.LBB2_811:
	v_bfe_u32 v2, v7, 8, 3
	v_ffbh_u32_e32 v13, v2
	v_min_u32_e32 v13, 32, v13
	v_lshrrev_b16_e32 v12, 3, v6
	v_subrev_u32_e32 v14, 28, v13
	v_and_b32_e32 v12, 15, v12
	v_lshlrev_b32_e32 v6, v14, v6
	v_sub_u32_e32 v13, 29, v13
	v_and_b32_e32 v6, 7, v6
	v_cmp_eq_u16_e32 vcc, 0, v12
	v_cndmask_b32_e32 v2, v2, v6, vcc
	v_cndmask_b32_e32 v6, v12, v13, vcc
	v_lshlrev_b32_e32 v12, 16, v7
	v_mov_b32_e32 v13, 0x3b800000
	v_lshlrev_b32_e32 v2, 20, v2
	v_and_b32_e32 v12, 0x80000000, v12
	v_lshl_add_u32 v6, v6, 23, v13
	v_or3_b32 v2, v12, v6, v2
.LBB2_812:
	s_or_b64 exec, exec, s[6:7]
	v_lshrrev_b32_e32 v6, 8, v3
	s_movk_i32 s4, 0x7f
	v_cmp_gt_i16_sdwa s[6:7], v6, s4 src0_sel:BYTE_0 src1_sel:DWORD
	s_mov_b64 s[4:5], 0
                                        ; implicit-def: $sgpr10
	s_and_saveexec_b64 s[8:9], s[6:7]
	s_xor_b64 s[6:7], exec, s[8:9]
	s_cbranch_execnz .LBB2_2861
; %bb.813:
	s_or_saveexec_b64 s[6:7], s[6:7]
	v_mov_b32_e32 v12, s10
	s_xor_b64 exec, exec, s[6:7]
	s_cbranch_execnz .LBB2_2864
.LBB2_814:
	s_or_b64 exec, exec, s[6:7]
	s_and_saveexec_b64 s[6:7], s[4:5]
	s_cbranch_execz .LBB2_816
.LBB2_815:
	v_bfe_u32 v12, v3, 8, 3
	v_ffbh_u32_e32 v14, v12
	v_min_u32_e32 v14, 32, v14
	v_lshrrev_b16_e32 v13, 3, v6
	v_subrev_u32_e32 v15, 28, v14
	v_and_b32_e32 v13, 15, v13
	v_lshlrev_b32_e32 v6, v15, v6
	v_sub_u32_e32 v14, 29, v14
	v_and_b32_e32 v6, 7, v6
	v_cmp_eq_u16_e32 vcc, 0, v13
	v_cndmask_b32_e32 v6, v12, v6, vcc
	v_cndmask_b32_e32 v12, v13, v14, vcc
	v_lshlrev_b32_e32 v13, 16, v3
	v_mov_b32_e32 v14, 0x3b800000
	v_lshlrev_b32_e32 v6, 20, v6
	v_and_b32_e32 v13, 0x80000000, v13
	v_lshl_add_u32 v12, v12, 23, v14
	v_or3_b32 v12, v13, v12, v6
.LBB2_816:
	s_or_b64 exec, exec, s[6:7]
	s_nop 0
	v_mfma_f32_16x16x4f32 a[0:3], v2, v12, a[0:3]
	s_movk_i32 s4, 0xff
	v_and_b32_sdwa v6, v7, s4 dst_sel:DWORD dst_unused:UNUSED_PAD src0_sel:WORD_1 src1_sel:DWORD
	s_movk_i32 s4, 0x7f
	v_cmp_lt_i16_e32 vcc, s4, v6
	s_mov_b64 s[4:5], 0
                                        ; implicit-def: $sgpr10
	s_and_saveexec_b64 s[6:7], vcc
	s_xor_b64 s[6:7], exec, s[6:7]
	s_cbranch_execnz .LBB2_2865
; %bb.817:
	s_or_saveexec_b64 s[6:7], s[6:7]
	v_mov_b32_e32 v2, s10
	s_xor_b64 exec, exec, s[6:7]
	s_cbranch_execnz .LBB2_2868
.LBB2_818:
	s_or_b64 exec, exec, s[6:7]
	s_and_saveexec_b64 s[6:7], s[4:5]
	s_cbranch_execz .LBB2_820
.LBB2_819:
	v_bfe_u32 v2, v7, 16, 3
	v_ffbh_u32_e32 v13, v2
	v_min_u32_e32 v13, 32, v13
	v_lshrrev_b32_e32 v6, 19, v7
	v_subrev_u32_e32 v14, 28, v13
	v_and_b32_e32 v6, 15, v6
	v_lshlrev_b32_sdwa v14, v14, v7 dst_sel:DWORD dst_unused:UNUSED_PAD src0_sel:DWORD src1_sel:WORD_1
	v_bfe_u32 v12, v7, 19, 4
	v_sub_u32_e32 v13, 29, v13
	v_and_b32_e32 v14, 7, v14
	v_cmp_eq_u16_e32 vcc, 0, v6
	v_cndmask_b32_e32 v2, v2, v14, vcc
	v_cndmask_b32_e32 v6, v12, v13, vcc
	v_lshlrev_b32_e32 v12, 8, v7
	v_mov_b32_e32 v13, 0x3b800000
	v_lshlrev_b32_e32 v2, 20, v2
	v_and_b32_e32 v12, 0x80000000, v12
	v_lshl_add_u32 v6, v6, 23, v13
	v_or3_b32 v2, v12, v6, v2
.LBB2_820:
	s_or_b64 exec, exec, s[6:7]
	s_movk_i32 s4, 0xff
	v_and_b32_sdwa v6, v3, s4 dst_sel:DWORD dst_unused:UNUSED_PAD src0_sel:WORD_1 src1_sel:DWORD
	s_movk_i32 s4, 0x7f
	v_cmp_lt_i16_e32 vcc, s4, v6
	s_mov_b64 s[4:5], 0
                                        ; implicit-def: $sgpr10
	s_and_saveexec_b64 s[6:7], vcc
	s_xor_b64 s[6:7], exec, s[6:7]
	s_cbranch_execnz .LBB2_2869
; %bb.821:
	s_or_saveexec_b64 s[6:7], s[6:7]
	v_mov_b32_e32 v12, s10
	s_xor_b64 exec, exec, s[6:7]
	s_cbranch_execnz .LBB2_2872
.LBB2_822:
	s_or_b64 exec, exec, s[6:7]
	s_and_saveexec_b64 s[6:7], s[4:5]
	s_cbranch_execz .LBB2_824
.LBB2_823:
	v_bfe_u32 v6, v3, 16, 3
	v_ffbh_u32_e32 v14, v6
	v_min_u32_e32 v14, 32, v14
	v_lshrrev_b32_e32 v12, 19, v3
	v_subrev_u32_e32 v15, 28, v14
	v_and_b32_e32 v12, 15, v12
	v_lshlrev_b32_sdwa v15, v15, v3 dst_sel:DWORD dst_unused:UNUSED_PAD src0_sel:DWORD src1_sel:WORD_1
	v_bfe_u32 v13, v3, 19, 4
	v_sub_u32_e32 v14, 29, v14
	v_and_b32_e32 v15, 7, v15
	v_cmp_eq_u16_e32 vcc, 0, v12
	v_cndmask_b32_e32 v6, v6, v15, vcc
	v_cndmask_b32_e32 v12, v13, v14, vcc
	v_lshlrev_b32_e32 v13, 8, v3
	v_mov_b32_e32 v14, 0x3b800000
	v_lshlrev_b32_e32 v6, 20, v6
	v_and_b32_e32 v13, 0x80000000, v13
	v_lshl_add_u32 v12, v12, 23, v14
	v_or3_b32 v12, v13, v12, v6
.LBB2_824:
	s_or_b64 exec, exec, s[6:7]
	s_nop 0
	v_mfma_f32_16x16x4f32 a[0:3], v2, v12, a[0:3]
	s_movk_i32 s4, 0x7f
	v_cmp_gt_i16_sdwa s[6:7], v7, s4 src0_sel:BYTE_3 src1_sel:DWORD
	s_mov_b64 s[4:5], 0
                                        ; implicit-def: $sgpr10
	s_and_saveexec_b64 s[8:9], s[6:7]
	s_xor_b64 s[6:7], exec, s[8:9]
	s_cbranch_execnz .LBB2_2873
; %bb.825:
	s_or_saveexec_b64 s[6:7], s[6:7]
	v_mov_b32_e32 v2, s10
	s_xor_b64 exec, exec, s[6:7]
	s_cbranch_execnz .LBB2_2876
.LBB2_826:
	s_or_b64 exec, exec, s[6:7]
	s_and_saveexec_b64 s[6:7], s[4:5]
	s_cbranch_execz .LBB2_828
.LBB2_827:
	v_bfe_u32 v2, v7, 24, 3
	v_ffbh_u32_e32 v14, v2
	v_min_u32_e32 v14, 32, v14
	v_lshrrev_b32_e32 v12, 27, v7
	v_subrev_u32_e32 v15, 28, v14
	v_and_b32_e32 v6, 0x80000000, v7
	v_and_b32_e32 v12, 15, v12
	v_bfe_u32 v13, v7, 27, 4
	v_lshlrev_b32_sdwa v7, v15, v7 dst_sel:DWORD dst_unused:UNUSED_PAD src0_sel:DWORD src1_sel:BYTE_3
	v_sub_u32_e32 v14, 29, v14
	v_and_b32_e32 v7, 7, v7
	v_cmp_eq_u16_e32 vcc, 0, v12
	v_cndmask_b32_e32 v2, v2, v7, vcc
	v_cndmask_b32_e32 v7, v13, v14, vcc
	v_mov_b32_e32 v12, 0x3b800000
	v_lshlrev_b32_e32 v2, 20, v2
	v_lshl_add_u32 v7, v7, 23, v12
	v_or3_b32 v2, v6, v7, v2
.LBB2_828:
	s_or_b64 exec, exec, s[6:7]
	s_movk_i32 s4, 0x7f
	v_cmp_gt_i16_sdwa s[6:7], v3, s4 src0_sel:BYTE_3 src1_sel:DWORD
	s_mov_b64 s[4:5], 0
                                        ; implicit-def: $sgpr10
	s_and_saveexec_b64 s[8:9], s[6:7]
	s_xor_b64 s[6:7], exec, s[8:9]
	s_cbranch_execnz .LBB2_2877
; %bb.829:
	s_or_saveexec_b64 s[6:7], s[6:7]
	v_mov_b32_e32 v6, s10
	s_xor_b64 exec, exec, s[6:7]
	s_cbranch_execnz .LBB2_2880
.LBB2_830:
	s_or_b64 exec, exec, s[6:7]
	s_and_saveexec_b64 s[6:7], s[4:5]
	s_cbranch_execz .LBB2_832
.LBB2_831:
	v_bfe_u32 v6, v3, 24, 3
	v_ffbh_u32_e32 v14, v6
	v_min_u32_e32 v14, 32, v14
	v_lshrrev_b32_e32 v12, 27, v3
	v_subrev_u32_e32 v15, 28, v14
	v_and_b32_e32 v7, 0x80000000, v3
	v_and_b32_e32 v12, 15, v12
	v_bfe_u32 v13, v3, 27, 4
	v_lshlrev_b32_sdwa v3, v15, v3 dst_sel:DWORD dst_unused:UNUSED_PAD src0_sel:DWORD src1_sel:BYTE_3
	v_sub_u32_e32 v14, 29, v14
	v_and_b32_e32 v3, 7, v3
	v_cmp_eq_u16_e32 vcc, 0, v12
	v_cndmask_b32_e32 v3, v6, v3, vcc
	v_cndmask_b32_e32 v6, v13, v14, vcc
	v_mov_b32_e32 v12, 0x3b800000
	v_lshlrev_b32_e32 v3, 20, v3
	v_lshl_add_u32 v6, v6, 23, v12
	v_or3_b32 v6, v7, v6, v3
.LBB2_832:
	s_or_b64 exec, exec, s[6:7]
	s_nop 0
	v_mfma_f32_16x16x4f32 a[0:3], v2, v6, a[0:3]
	s_movk_i32 s4, 0x7f
	v_cmp_gt_i16_sdwa s[6:7], v8, s4 src0_sel:BYTE_0 src1_sel:DWORD
	s_mov_b64 s[4:5], 0
                                        ; implicit-def: $sgpr10
	s_and_saveexec_b64 s[8:9], s[6:7]
	s_xor_b64 s[6:7], exec, s[8:9]
	s_cbranch_execnz .LBB2_2881
; %bb.833:
	s_or_saveexec_b64 s[6:7], s[6:7]
	v_mov_b32_e32 v2, s10
	s_xor_b64 exec, exec, s[6:7]
	s_cbranch_execnz .LBB2_2884
.LBB2_834:
	s_or_b64 exec, exec, s[6:7]
	s_and_saveexec_b64 s[6:7], s[4:5]
	s_cbranch_execz .LBB2_836
.LBB2_835:
	v_and_b32_e32 v2, 7, v8
	v_ffbh_u32_e32 v6, v2
	v_min_u32_e32 v6, 32, v6
	v_lshrrev_b16_e32 v3, 3, v8
	v_subrev_u32_e32 v7, 28, v6
	v_and_b32_e32 v3, 15, v3
	v_lshlrev_b32_e32 v7, v7, v8
	v_sub_u32_e32 v6, 29, v6
	v_and_b32_e32 v7, 7, v7
	v_cmp_eq_u16_e32 vcc, 0, v3
	v_cndmask_b32_e32 v2, v2, v7, vcc
	v_cndmask_b32_e32 v3, v3, v6, vcc
	v_lshlrev_b32_e32 v6, 24, v8
	v_mov_b32_e32 v7, 0x3b800000
	v_lshlrev_b32_e32 v2, 20, v2
	v_and_b32_e32 v6, 0x80000000, v6
	v_lshl_add_u32 v3, v3, 23, v7
	v_or3_b32 v2, v6, v3, v2
.LBB2_836:
	s_or_b64 exec, exec, s[6:7]
	s_movk_i32 s4, 0x7f
	v_cmp_gt_i16_sdwa s[6:7], v4, s4 src0_sel:BYTE_0 src1_sel:DWORD
	s_mov_b64 s[4:5], 0
                                        ; implicit-def: $sgpr10
	s_and_saveexec_b64 s[8:9], s[6:7]
	s_xor_b64 s[6:7], exec, s[8:9]
	s_cbranch_execnz .LBB2_2885
; %bb.837:
	s_or_saveexec_b64 s[6:7], s[6:7]
	v_mov_b32_e32 v3, s10
	s_xor_b64 exec, exec, s[6:7]
	s_cbranch_execnz .LBB2_2888
.LBB2_838:
	s_or_b64 exec, exec, s[6:7]
	s_and_saveexec_b64 s[6:7], s[4:5]
	s_cbranch_execz .LBB2_840
.LBB2_839:
	v_and_b32_e32 v3, 7, v4
	v_ffbh_u32_e32 v7, v3
	v_min_u32_e32 v7, 32, v7
	v_lshrrev_b16_e32 v6, 3, v4
	v_subrev_u32_e32 v12, 28, v7
	v_and_b32_e32 v6, 15, v6
	v_lshlrev_b32_e32 v12, v12, v4
	v_sub_u32_e32 v7, 29, v7
	v_and_b32_e32 v12, 7, v12
	v_cmp_eq_u16_e32 vcc, 0, v6
	v_cndmask_b32_e32 v3, v3, v12, vcc
	v_cndmask_b32_e32 v6, v6, v7, vcc
	v_lshlrev_b32_e32 v7, 24, v4
	v_mov_b32_e32 v12, 0x3b800000
	v_lshlrev_b32_e32 v3, 20, v3
	v_and_b32_e32 v7, 0x80000000, v7
	v_lshl_add_u32 v6, v6, 23, v12
	v_or3_b32 v3, v7, v6, v3
.LBB2_840:
	s_or_b64 exec, exec, s[6:7]
	s_nop 0
	v_mfma_f32_16x16x4f32 a[0:3], v2, v3, a[0:3]
	v_lshrrev_b32_e32 v3, 8, v8
	s_movk_i32 s4, 0x7f
	v_cmp_gt_i16_sdwa s[6:7], v3, s4 src0_sel:BYTE_0 src1_sel:DWORD
	s_mov_b64 s[4:5], 0
                                        ; implicit-def: $sgpr10
	s_and_saveexec_b64 s[8:9], s[6:7]
	s_xor_b64 s[6:7], exec, s[8:9]
	s_cbranch_execnz .LBB2_2889
; %bb.841:
	s_or_saveexec_b64 s[6:7], s[6:7]
	v_mov_b32_e32 v2, s10
	s_xor_b64 exec, exec, s[6:7]
	s_cbranch_execnz .LBB2_2892
.LBB2_842:
	s_or_b64 exec, exec, s[6:7]
	s_and_saveexec_b64 s[6:7], s[4:5]
	s_cbranch_execz .LBB2_844
.LBB2_843:
	v_bfe_u32 v2, v8, 8, 3
	v_ffbh_u32_e32 v7, v2
	v_min_u32_e32 v7, 32, v7
	v_lshrrev_b16_e32 v6, 3, v3
	v_subrev_u32_e32 v12, 28, v7
	v_and_b32_e32 v6, 15, v6
	v_lshlrev_b32_e32 v3, v12, v3
	v_sub_u32_e32 v7, 29, v7
	v_and_b32_e32 v3, 7, v3
	v_cmp_eq_u16_e32 vcc, 0, v6
	v_cndmask_b32_e32 v2, v2, v3, vcc
	v_cndmask_b32_e32 v3, v6, v7, vcc
	v_lshlrev_b32_e32 v6, 16, v8
	v_mov_b32_e32 v7, 0x3b800000
	v_lshlrev_b32_e32 v2, 20, v2
	v_and_b32_e32 v6, 0x80000000, v6
	v_lshl_add_u32 v3, v3, 23, v7
	v_or3_b32 v2, v6, v3, v2
.LBB2_844:
	s_or_b64 exec, exec, s[6:7]
	v_lshrrev_b32_e32 v3, 8, v4
	s_movk_i32 s4, 0x7f
	v_cmp_gt_i16_sdwa s[6:7], v3, s4 src0_sel:BYTE_0 src1_sel:DWORD
	s_mov_b64 s[4:5], 0
                                        ; implicit-def: $sgpr10
	s_and_saveexec_b64 s[8:9], s[6:7]
	s_xor_b64 s[6:7], exec, s[8:9]
	s_cbranch_execnz .LBB2_2893
; %bb.845:
	s_or_saveexec_b64 s[6:7], s[6:7]
	v_mov_b32_e32 v6, s10
	s_xor_b64 exec, exec, s[6:7]
	s_cbranch_execnz .LBB2_2896
.LBB2_846:
	s_or_b64 exec, exec, s[6:7]
	s_and_saveexec_b64 s[6:7], s[4:5]
	s_cbranch_execz .LBB2_848
.LBB2_847:
	v_bfe_u32 v6, v4, 8, 3
	v_ffbh_u32_e32 v12, v6
	v_min_u32_e32 v12, 32, v12
	v_lshrrev_b16_e32 v7, 3, v3
	v_subrev_u32_e32 v13, 28, v12
	v_and_b32_e32 v7, 15, v7
	v_lshlrev_b32_e32 v3, v13, v3
	v_sub_u32_e32 v12, 29, v12
	v_and_b32_e32 v3, 7, v3
	v_cmp_eq_u16_e32 vcc, 0, v7
	v_cndmask_b32_e32 v3, v6, v3, vcc
	v_cndmask_b32_e32 v6, v7, v12, vcc
	v_lshlrev_b32_e32 v7, 16, v4
	v_mov_b32_e32 v12, 0x3b800000
	v_lshlrev_b32_e32 v3, 20, v3
	v_and_b32_e32 v7, 0x80000000, v7
	v_lshl_add_u32 v6, v6, 23, v12
	v_or3_b32 v6, v7, v6, v3
.LBB2_848:
	s_or_b64 exec, exec, s[6:7]
	s_nop 0
	v_mfma_f32_16x16x4f32 a[0:3], v2, v6, a[0:3]
	s_movk_i32 s4, 0xff
	v_and_b32_sdwa v3, v8, s4 dst_sel:DWORD dst_unused:UNUSED_PAD src0_sel:WORD_1 src1_sel:DWORD
	s_movk_i32 s4, 0x7f
	v_cmp_lt_i16_e32 vcc, s4, v3
	s_mov_b64 s[4:5], 0
                                        ; implicit-def: $sgpr10
	s_and_saveexec_b64 s[6:7], vcc
	s_xor_b64 s[6:7], exec, s[6:7]
	s_cbranch_execnz .LBB2_2897
; %bb.849:
	s_or_saveexec_b64 s[6:7], s[6:7]
	v_mov_b32_e32 v2, s10
	s_xor_b64 exec, exec, s[6:7]
	s_cbranch_execnz .LBB2_2900
.LBB2_850:
	s_or_b64 exec, exec, s[6:7]
	s_and_saveexec_b64 s[6:7], s[4:5]
	s_cbranch_execz .LBB2_852
.LBB2_851:
	v_bfe_u32 v2, v8, 16, 3
	v_ffbh_u32_e32 v7, v2
	v_min_u32_e32 v7, 32, v7
	v_lshrrev_b32_e32 v3, 19, v8
	v_subrev_u32_e32 v12, 28, v7
	v_and_b32_e32 v3, 15, v3
	v_lshlrev_b32_sdwa v12, v12, v8 dst_sel:DWORD dst_unused:UNUSED_PAD src0_sel:DWORD src1_sel:WORD_1
	v_bfe_u32 v6, v8, 19, 4
	v_sub_u32_e32 v7, 29, v7
	v_and_b32_e32 v12, 7, v12
	v_cmp_eq_u16_e32 vcc, 0, v3
	v_cndmask_b32_e32 v2, v2, v12, vcc
	v_cndmask_b32_e32 v3, v6, v7, vcc
	v_lshlrev_b32_e32 v6, 8, v8
	v_mov_b32_e32 v7, 0x3b800000
	v_lshlrev_b32_e32 v2, 20, v2
	v_and_b32_e32 v6, 0x80000000, v6
	v_lshl_add_u32 v3, v3, 23, v7
	v_or3_b32 v2, v6, v3, v2
.LBB2_852:
	s_or_b64 exec, exec, s[6:7]
	s_movk_i32 s4, 0xff
	v_and_b32_sdwa v3, v4, s4 dst_sel:DWORD dst_unused:UNUSED_PAD src0_sel:WORD_1 src1_sel:DWORD
	s_movk_i32 s4, 0x7f
	v_cmp_lt_i16_e32 vcc, s4, v3
	s_mov_b64 s[4:5], 0
                                        ; implicit-def: $sgpr10
	s_and_saveexec_b64 s[6:7], vcc
	s_xor_b64 s[6:7], exec, s[6:7]
	s_cbranch_execnz .LBB2_2901
; %bb.853:
	s_or_saveexec_b64 s[6:7], s[6:7]
	v_mov_b32_e32 v6, s10
	s_xor_b64 exec, exec, s[6:7]
	s_cbranch_execnz .LBB2_2904
.LBB2_854:
	s_or_b64 exec, exec, s[6:7]
	s_and_saveexec_b64 s[6:7], s[4:5]
	s_cbranch_execz .LBB2_856
.LBB2_855:
	v_bfe_u32 v3, v4, 16, 3
	v_ffbh_u32_e32 v12, v3
	v_min_u32_e32 v12, 32, v12
	v_lshrrev_b32_e32 v6, 19, v4
	v_subrev_u32_e32 v13, 28, v12
	v_and_b32_e32 v6, 15, v6
	v_lshlrev_b32_sdwa v13, v13, v4 dst_sel:DWORD dst_unused:UNUSED_PAD src0_sel:DWORD src1_sel:WORD_1
	v_bfe_u32 v7, v4, 19, 4
	v_sub_u32_e32 v12, 29, v12
	v_and_b32_e32 v13, 7, v13
	v_cmp_eq_u16_e32 vcc, 0, v6
	v_cndmask_b32_e32 v3, v3, v13, vcc
	v_cndmask_b32_e32 v6, v7, v12, vcc
	v_lshlrev_b32_e32 v7, 8, v4
	v_mov_b32_e32 v12, 0x3b800000
	v_lshlrev_b32_e32 v3, 20, v3
	v_and_b32_e32 v7, 0x80000000, v7
	v_lshl_add_u32 v6, v6, 23, v12
	v_or3_b32 v6, v7, v6, v3
.LBB2_856:
	s_or_b64 exec, exec, s[6:7]
	s_nop 0
	v_mfma_f32_16x16x4f32 a[0:3], v2, v6, a[0:3]
	s_movk_i32 s4, 0x7f
	v_cmp_gt_i16_sdwa s[6:7], v8, s4 src0_sel:BYTE_3 src1_sel:DWORD
	s_mov_b64 s[4:5], 0
                                        ; implicit-def: $sgpr10
	s_and_saveexec_b64 s[8:9], s[6:7]
	s_xor_b64 s[6:7], exec, s[8:9]
	s_cbranch_execnz .LBB2_2905
; %bb.857:
	s_or_saveexec_b64 s[6:7], s[6:7]
	v_mov_b32_e32 v2, s10
	s_xor_b64 exec, exec, s[6:7]
	s_cbranch_execnz .LBB2_2908
.LBB2_858:
	s_or_b64 exec, exec, s[6:7]
	s_and_saveexec_b64 s[6:7], s[4:5]
	s_cbranch_execz .LBB2_860
.LBB2_859:
	v_bfe_u32 v2, v8, 24, 3
	v_ffbh_u32_e32 v12, v2
	v_min_u32_e32 v12, 32, v12
	v_lshrrev_b32_e32 v6, 27, v8
	v_subrev_u32_e32 v13, 28, v12
	v_and_b32_e32 v3, 0x80000000, v8
	v_and_b32_e32 v6, 15, v6
	v_bfe_u32 v7, v8, 27, 4
	v_lshlrev_b32_sdwa v8, v13, v8 dst_sel:DWORD dst_unused:UNUSED_PAD src0_sel:DWORD src1_sel:BYTE_3
	v_sub_u32_e32 v12, 29, v12
	v_and_b32_e32 v8, 7, v8
	v_cmp_eq_u16_e32 vcc, 0, v6
	v_cndmask_b32_e32 v2, v2, v8, vcc
	v_cndmask_b32_e32 v6, v7, v12, vcc
	v_mov_b32_e32 v7, 0x3b800000
	v_lshlrev_b32_e32 v2, 20, v2
	v_lshl_add_u32 v6, v6, 23, v7
	v_or3_b32 v2, v3, v6, v2
.LBB2_860:
	s_or_b64 exec, exec, s[6:7]
	s_movk_i32 s4, 0x7f
	v_cmp_gt_i16_sdwa s[6:7], v4, s4 src0_sel:BYTE_3 src1_sel:DWORD
	s_mov_b64 s[4:5], 0
                                        ; implicit-def: $sgpr10
	s_and_saveexec_b64 s[8:9], s[6:7]
	s_xor_b64 s[6:7], exec, s[8:9]
	s_cbranch_execnz .LBB2_2909
; %bb.861:
	s_or_saveexec_b64 s[6:7], s[6:7]
	v_mov_b32_e32 v3, s10
	s_xor_b64 exec, exec, s[6:7]
	s_cbranch_execnz .LBB2_2912
.LBB2_862:
	s_or_b64 exec, exec, s[6:7]
	s_and_saveexec_b64 s[6:7], s[4:5]
	s_cbranch_execz .LBB2_864
.LBB2_863:
	v_bfe_u32 v3, v4, 24, 3
	v_ffbh_u32_e32 v12, v3
	v_min_u32_e32 v12, 32, v12
	v_lshrrev_b32_e32 v7, 27, v4
	v_subrev_u32_e32 v13, 28, v12
	v_and_b32_e32 v6, 0x80000000, v4
	v_and_b32_e32 v7, 15, v7
	v_bfe_u32 v8, v4, 27, 4
	v_lshlrev_b32_sdwa v4, v13, v4 dst_sel:DWORD dst_unused:UNUSED_PAD src0_sel:DWORD src1_sel:BYTE_3
	v_sub_u32_e32 v12, 29, v12
	v_and_b32_e32 v4, 7, v4
	v_cmp_eq_u16_e32 vcc, 0, v7
	v_cndmask_b32_e32 v3, v3, v4, vcc
	v_cndmask_b32_e32 v4, v8, v12, vcc
	v_mov_b32_e32 v7, 0x3b800000
	v_lshlrev_b32_e32 v3, 20, v3
	v_lshl_add_u32 v4, v4, 23, v7
	v_or3_b32 v3, v6, v4, v3
.LBB2_864:
	s_or_b64 exec, exec, s[6:7]
	s_nop 0
	v_mfma_f32_16x16x4f32 a[0:3], v2, v3, a[0:3]
	s_movk_i32 s4, 0x7f
	v_cmp_gt_i16_sdwa s[6:7], v9, s4 src0_sel:BYTE_0 src1_sel:DWORD
	s_mov_b64 s[4:5], 0
                                        ; implicit-def: $sgpr10
	s_and_saveexec_b64 s[8:9], s[6:7]
	s_xor_b64 s[6:7], exec, s[8:9]
	s_cbranch_execnz .LBB2_2913
; %bb.865:
	s_or_saveexec_b64 s[6:7], s[6:7]
	v_mov_b32_e32 v2, s10
	s_xor_b64 exec, exec, s[6:7]
	s_cbranch_execnz .LBB2_2916
.LBB2_866:
	s_or_b64 exec, exec, s[6:7]
	s_and_saveexec_b64 s[6:7], s[4:5]
	s_cbranch_execz .LBB2_868
.LBB2_867:
	v_mov_b32_e32 v2, 8
	v_and_b32_e32 v3, 7, v9
	v_lshrrev_b32_sdwa v2, v2, v9 dst_sel:BYTE_1 dst_unused:UNUSED_PAD src0_sel:DWORD src1_sel:DWORD
	v_ffbh_u32_e32 v4, v3
	v_or_b32_sdwa v2, v9, v2 dst_sel:DWORD dst_unused:UNUSED_PAD src0_sel:BYTE_0 src1_sel:DWORD
	v_min_u32_e32 v4, 32, v4
	v_lshrrev_b16_e32 v2, 3, v2
	v_subrev_u32_e32 v6, 28, v4
	v_and_b32_e32 v2, 15, v2
	v_lshlrev_b32_e32 v6, v6, v9
	v_sub_u32_e32 v4, 29, v4
	v_and_b32_e32 v6, 7, v6
	v_cmp_eq_u16_e32 vcc, 0, v2
	v_cndmask_b32_e32 v3, v3, v6, vcc
	v_cndmask_b32_e32 v2, v2, v4, vcc
	v_lshlrev_b32_e32 v4, 24, v9
	v_mov_b32_e32 v6, 0x3b800000
	v_lshlrev_b32_e32 v3, 20, v3
	v_and_b32_e32 v4, 0x80000000, v4
	v_lshl_add_u32 v2, v2, 23, v6
	v_or3_b32 v2, v4, v2, v3
.LBB2_868:
	s_or_b64 exec, exec, s[6:7]
	s_movk_i32 s4, 0x7f
	v_cmp_gt_i16_sdwa s[6:7], v5, s4 src0_sel:BYTE_0 src1_sel:DWORD
	s_mov_b64 s[4:5], 0
                                        ; implicit-def: $sgpr10
	s_and_saveexec_b64 s[8:9], s[6:7]
	s_xor_b64 s[6:7], exec, s[8:9]
	s_cbranch_execnz .LBB2_2917
; %bb.869:
	s_or_saveexec_b64 s[6:7], s[6:7]
	v_mov_b32_e32 v3, s10
	s_xor_b64 exec, exec, s[6:7]
	s_cbranch_execnz .LBB2_2920
.LBB2_870:
	s_or_b64 exec, exec, s[6:7]
	s_and_saveexec_b64 s[6:7], s[4:5]
	s_cbranch_execz .LBB2_872
.LBB2_871:
	v_mov_b32_e32 v3, 8
	v_and_b32_e32 v4, 7, v5
	v_lshrrev_b32_sdwa v3, v3, v5 dst_sel:BYTE_1 dst_unused:UNUSED_PAD src0_sel:DWORD src1_sel:DWORD
	v_ffbh_u32_e32 v6, v4
	v_or_b32_sdwa v3, v5, v3 dst_sel:DWORD dst_unused:UNUSED_PAD src0_sel:BYTE_0 src1_sel:DWORD
	v_min_u32_e32 v6, 32, v6
	v_lshrrev_b16_e32 v3, 3, v3
	v_subrev_u32_e32 v7, 28, v6
	v_and_b32_e32 v3, 15, v3
	v_lshlrev_b32_e32 v7, v7, v5
	v_sub_u32_e32 v6, 29, v6
	v_and_b32_e32 v7, 7, v7
	v_cmp_eq_u16_e32 vcc, 0, v3
	v_cndmask_b32_e32 v4, v4, v7, vcc
	v_cndmask_b32_e32 v3, v3, v6, vcc
	v_lshlrev_b32_e32 v6, 24, v5
	v_mov_b32_e32 v7, 0x3b800000
	v_lshlrev_b32_e32 v4, 20, v4
	v_and_b32_e32 v6, 0x80000000, v6
	v_lshl_add_u32 v3, v3, 23, v7
	v_or3_b32 v3, v6, v3, v4
.LBB2_872:
	s_or_b64 exec, exec, s[6:7]
	s_nop 0
	v_mfma_f32_16x16x4f32 a[0:3], v2, v3, a[0:3]
	v_lshrrev_b32_e32 v3, 8, v9
	s_movk_i32 s4, 0x7f
	v_cmp_gt_i16_sdwa s[6:7], v3, s4 src0_sel:BYTE_0 src1_sel:DWORD
	s_mov_b64 s[4:5], 0
                                        ; implicit-def: $sgpr10
	s_and_saveexec_b64 s[8:9], s[6:7]
	s_xor_b64 s[6:7], exec, s[8:9]
	s_cbranch_execnz .LBB2_2921
; %bb.873:
	s_or_saveexec_b64 s[6:7], s[6:7]
	v_mov_b32_e32 v2, s10
	s_xor_b64 exec, exec, s[6:7]
	s_cbranch_execnz .LBB2_2924
.LBB2_874:
	s_or_b64 exec, exec, s[6:7]
	s_and_saveexec_b64 s[6:7], s[4:5]
	s_cbranch_execz .LBB2_876
.LBB2_875:
	v_bfe_u32 v2, v9, 8, 3
	v_ffbh_u32_e32 v6, v2
	v_min_u32_e32 v6, 32, v6
	v_lshrrev_b16_e32 v4, 3, v3
	v_subrev_u32_e32 v7, 28, v6
	v_and_b32_e32 v4, 15, v4
	v_lshlrev_b32_e32 v3, v7, v3
	v_sub_u32_e32 v6, 29, v6
	v_and_b32_e32 v3, 7, v3
	v_cmp_eq_u16_e32 vcc, 0, v4
	v_cndmask_b32_e32 v2, v2, v3, vcc
	v_cndmask_b32_e32 v3, v4, v6, vcc
	v_lshlrev_b32_e32 v4, 16, v9
	v_mov_b32_e32 v6, 0x3b800000
	v_lshlrev_b32_e32 v2, 20, v2
	v_and_b32_e32 v4, 0x80000000, v4
	v_lshl_add_u32 v3, v3, 23, v6
	v_or3_b32 v2, v4, v3, v2
.LBB2_876:
	s_or_b64 exec, exec, s[6:7]
	v_lshrrev_b32_e32 v3, 8, v5
	s_movk_i32 s4, 0x7f
	v_cmp_gt_i16_sdwa s[6:7], v3, s4 src0_sel:BYTE_0 src1_sel:DWORD
	s_mov_b64 s[4:5], 0
                                        ; implicit-def: $sgpr10
	s_and_saveexec_b64 s[8:9], s[6:7]
	s_xor_b64 s[6:7], exec, s[8:9]
	s_cbranch_execnz .LBB2_2925
; %bb.877:
	s_or_saveexec_b64 s[6:7], s[6:7]
	v_mov_b32_e32 v4, s10
	s_xor_b64 exec, exec, s[6:7]
	s_cbranch_execnz .LBB2_2928
.LBB2_878:
	s_or_b64 exec, exec, s[6:7]
	s_and_saveexec_b64 s[6:7], s[4:5]
	s_cbranch_execz .LBB2_880
.LBB2_879:
	v_bfe_u32 v4, v5, 8, 3
	v_ffbh_u32_e32 v7, v4
	v_min_u32_e32 v7, 32, v7
	v_lshrrev_b16_e32 v6, 3, v3
	v_subrev_u32_e32 v8, 28, v7
	v_and_b32_e32 v6, 15, v6
	v_lshlrev_b32_e32 v3, v8, v3
	v_sub_u32_e32 v7, 29, v7
	v_and_b32_e32 v3, 7, v3
	v_cmp_eq_u16_e32 vcc, 0, v6
	v_cndmask_b32_e32 v3, v4, v3, vcc
	v_cndmask_b32_e32 v4, v6, v7, vcc
	v_lshlrev_b32_e32 v6, 16, v5
	v_mov_b32_e32 v7, 0x3b800000
	v_lshlrev_b32_e32 v3, 20, v3
	v_and_b32_e32 v6, 0x80000000, v6
	v_lshl_add_u32 v4, v4, 23, v7
	v_or3_b32 v4, v6, v4, v3
.LBB2_880:
	s_or_b64 exec, exec, s[6:7]
	s_nop 0
	v_mfma_f32_16x16x4f32 a[0:3], v2, v4, a[0:3]
	s_movk_i32 s4, 0xff
	v_and_b32_sdwa v3, v9, s4 dst_sel:DWORD dst_unused:UNUSED_PAD src0_sel:WORD_1 src1_sel:DWORD
	s_movk_i32 s4, 0x7f
	v_cmp_lt_i16_e32 vcc, s4, v3
	s_mov_b64 s[4:5], 0
                                        ; implicit-def: $sgpr10
	s_and_saveexec_b64 s[6:7], vcc
	s_xor_b64 s[6:7], exec, s[6:7]
	s_cbranch_execnz .LBB2_2929
; %bb.881:
	s_or_saveexec_b64 s[6:7], s[6:7]
	v_mov_b32_e32 v2, s10
	s_xor_b64 exec, exec, s[6:7]
	s_cbranch_execnz .LBB2_2932
.LBB2_882:
	s_or_b64 exec, exec, s[6:7]
	s_and_saveexec_b64 s[6:7], s[4:5]
	s_cbranch_execz .LBB2_884
.LBB2_883:
	v_bfe_u32 v2, v9, 16, 3
	v_ffbh_u32_e32 v6, v2
	v_min_u32_e32 v6, 32, v6
	v_lshrrev_b32_e32 v3, 19, v9
	v_subrev_u32_e32 v7, 28, v6
	v_and_b32_e32 v3, 15, v3
	v_lshlrev_b32_sdwa v7, v7, v9 dst_sel:DWORD dst_unused:UNUSED_PAD src0_sel:DWORD src1_sel:WORD_1
	v_bfe_u32 v4, v9, 19, 4
	v_sub_u32_e32 v6, 29, v6
	v_and_b32_e32 v7, 7, v7
	v_cmp_eq_u16_e32 vcc, 0, v3
	v_cndmask_b32_e32 v2, v2, v7, vcc
	v_cndmask_b32_e32 v3, v4, v6, vcc
	v_lshlrev_b32_e32 v4, 8, v9
	v_mov_b32_e32 v6, 0x3b800000
	v_lshlrev_b32_e32 v2, 20, v2
	v_and_b32_e32 v4, 0x80000000, v4
	v_lshl_add_u32 v3, v3, 23, v6
	v_or3_b32 v2, v4, v3, v2
.LBB2_884:
	s_or_b64 exec, exec, s[6:7]
	s_movk_i32 s4, 0xff
	v_and_b32_sdwa v3, v5, s4 dst_sel:DWORD dst_unused:UNUSED_PAD src0_sel:WORD_1 src1_sel:DWORD
	s_movk_i32 s4, 0x7f
	v_cmp_lt_i16_e32 vcc, s4, v3
	s_mov_b64 s[4:5], 0
                                        ; implicit-def: $sgpr10
	s_and_saveexec_b64 s[6:7], vcc
	s_xor_b64 s[6:7], exec, s[6:7]
	s_cbranch_execnz .LBB2_2933
; %bb.885:
	s_or_saveexec_b64 s[6:7], s[6:7]
	v_mov_b32_e32 v4, s10
	s_xor_b64 exec, exec, s[6:7]
	s_cbranch_execnz .LBB2_2936
.LBB2_886:
	s_or_b64 exec, exec, s[6:7]
	s_and_saveexec_b64 s[6:7], s[4:5]
	s_cbranch_execz .LBB2_888
.LBB2_887:
	v_bfe_u32 v3, v5, 16, 3
	v_ffbh_u32_e32 v7, v3
	v_min_u32_e32 v7, 32, v7
	v_lshrrev_b32_e32 v4, 19, v5
	v_subrev_u32_e32 v8, 28, v7
	v_and_b32_e32 v4, 15, v4
	v_lshlrev_b32_sdwa v8, v8, v5 dst_sel:DWORD dst_unused:UNUSED_PAD src0_sel:DWORD src1_sel:WORD_1
	v_bfe_u32 v6, v5, 19, 4
	v_sub_u32_e32 v7, 29, v7
	v_and_b32_e32 v8, 7, v8
	v_cmp_eq_u16_e32 vcc, 0, v4
	v_cndmask_b32_e32 v3, v3, v8, vcc
	v_cndmask_b32_e32 v4, v6, v7, vcc
	v_lshlrev_b32_e32 v6, 8, v5
	v_mov_b32_e32 v7, 0x3b800000
	v_lshlrev_b32_e32 v3, 20, v3
	v_and_b32_e32 v6, 0x80000000, v6
	v_lshl_add_u32 v4, v4, 23, v7
	v_or3_b32 v4, v6, v4, v3
.LBB2_888:
	s_or_b64 exec, exec, s[6:7]
	s_nop 0
	v_mfma_f32_16x16x4f32 a[0:3], v2, v4, a[0:3]
	s_movk_i32 s4, 0x7f
	v_cmp_gt_i16_sdwa s[6:7], v9, s4 src0_sel:BYTE_3 src1_sel:DWORD
	s_mov_b64 s[4:5], 0
                                        ; implicit-def: $sgpr10
	s_and_saveexec_b64 s[8:9], s[6:7]
	s_xor_b64 s[6:7], exec, s[8:9]
	s_cbranch_execnz .LBB2_2937
; %bb.889:
	s_or_saveexec_b64 s[6:7], s[6:7]
	v_mov_b32_e32 v2, s10
	s_xor_b64 exec, exec, s[6:7]
	s_cbranch_execnz .LBB2_2940
.LBB2_890:
	s_or_b64 exec, exec, s[6:7]
	s_and_saveexec_b64 s[6:7], s[4:5]
	s_cbranch_execz .LBB2_892
.LBB2_891:
	v_bfe_u32 v2, v9, 24, 3
	v_ffbh_u32_e32 v7, v2
	v_min_u32_e32 v7, 32, v7
	v_lshrrev_b32_e32 v4, 27, v9
	v_subrev_u32_e32 v8, 28, v7
	v_and_b32_e32 v4, 15, v4
	v_lshlrev_b32_sdwa v8, v8, v9 dst_sel:DWORD dst_unused:UNUSED_PAD src0_sel:DWORD src1_sel:BYTE_3
	v_bfe_u32 v6, v9, 27, 4
	v_sub_u32_e32 v7, 29, v7
	v_and_b32_e32 v8, 7, v8
	v_cmp_eq_u16_e32 vcc, 0, v4
	v_cndmask_b32_e32 v2, v2, v8, vcc
	v_cndmask_b32_e32 v4, v6, v7, vcc
	v_mov_b32_e32 v6, 0x3b800000
	v_and_b32_e32 v3, 0x80000000, v9
	v_lshlrev_b32_e32 v2, 20, v2
	v_lshl_add_u32 v4, v4, 23, v6
	v_or3_b32 v2, v3, v4, v2
.LBB2_892:
	s_or_b64 exec, exec, s[6:7]
	s_movk_i32 s4, 0x7f
	v_cmp_gt_i16_sdwa s[6:7], v5, s4 src0_sel:BYTE_3 src1_sel:DWORD
	s_mov_b64 s[4:5], 0
                                        ; implicit-def: $sgpr10
	s_and_saveexec_b64 s[8:9], s[6:7]
	s_xor_b64 s[6:7], exec, s[8:9]
	s_cbranch_execnz .LBB2_2941
; %bb.893:
	s_or_saveexec_b64 s[6:7], s[6:7]
	v_mov_b32_e32 v3, s10
	s_xor_b64 exec, exec, s[6:7]
	s_cbranch_execnz .LBB2_2944
.LBB2_894:
	s_or_b64 exec, exec, s[6:7]
	s_and_saveexec_b64 s[6:7], s[4:5]
	s_cbranch_execz .LBB2_896
.LBB2_895:
	v_bfe_u32 v3, v5, 24, 3
	v_ffbh_u32_e32 v8, v3
	v_min_u32_e32 v8, 32, v8
	v_lshrrev_b32_e32 v6, 27, v5
	v_subrev_u32_e32 v9, 28, v8
	v_and_b32_e32 v4, 0x80000000, v5
	v_and_b32_e32 v6, 15, v6
	v_bfe_u32 v7, v5, 27, 4
	v_lshlrev_b32_sdwa v5, v9, v5 dst_sel:DWORD dst_unused:UNUSED_PAD src0_sel:DWORD src1_sel:BYTE_3
	v_sub_u32_e32 v8, 29, v8
	v_and_b32_e32 v5, 7, v5
	v_cmp_eq_u16_e32 vcc, 0, v6
	v_cndmask_b32_e32 v3, v3, v5, vcc
	v_cndmask_b32_e32 v5, v7, v8, vcc
	v_mov_b32_e32 v6, 0x3b800000
	v_lshlrev_b32_e32 v3, 20, v3
	v_lshl_add_u32 v5, v5, 23, v6
	v_or3_b32 v3, v4, v5, v3
.LBB2_896:
	s_or_b64 exec, exec, s[6:7]
	s_nop 0
	v_mfma_f32_16x16x4f32 a[0:3], v2, v3, a[0:3]
	s_movk_i32 s4, 0x7f
                                        ; implicit-def: $sgpr10
	s_nop 7
	s_nop 1
	flat_store_dwordx4 v[10:11], a[0:3] offset:96
	flat_load_dwordx4 v[12:15], v[0:1] offset:8
	s_nop 0
	flat_load_dwordx2 v[10:11], v[0:1] offset:32
	s_waitcnt vmcnt(0) lgkmcnt(0)
	flat_load_dwordx4 v[6:9], v[12:13] offset:48
	flat_load_dwordx4 v[2:5], v[14:15] offset:112
	s_waitcnt vmcnt(0) lgkmcnt(0)
	v_cmp_gt_i16_sdwa s[6:7], v6, s4 src0_sel:BYTE_0 src1_sel:DWORD
	s_mov_b64 s[4:5], 0
	s_and_saveexec_b64 s[8:9], s[6:7]
	s_xor_b64 s[6:7], exec, s[8:9]
	s_cbranch_execnz .LBB2_2945
; %bb.897:
	s_or_saveexec_b64 s[6:7], s[6:7]
	v_mov_b32_e32 v12, s10
	s_xor_b64 exec, exec, s[6:7]
	s_cbranch_execnz .LBB2_2948
.LBB2_898:
	s_or_b64 exec, exec, s[6:7]
	s_and_saveexec_b64 s[6:7], s[4:5]
	s_cbranch_execz .LBB2_900
.LBB2_899:
	v_and_b32_e32 v12, 7, v6
	v_ffbh_u32_e32 v14, v12
	v_min_u32_e32 v14, 32, v14
	v_lshrrev_b16_e32 v13, 3, v6
	v_subrev_u32_e32 v15, 28, v14
	v_and_b32_e32 v13, 15, v13
	v_lshlrev_b32_e32 v15, v15, v6
	v_sub_u32_e32 v14, 29, v14
	v_and_b32_e32 v15, 7, v15
	v_cmp_eq_u16_e32 vcc, 0, v13
	v_cndmask_b32_e32 v12, v12, v15, vcc
	v_cndmask_b32_e32 v13, v13, v14, vcc
	v_lshlrev_b32_e32 v14, 24, v6
	v_mov_b32_e32 v15, 0x3b800000
	v_lshlrev_b32_e32 v12, 20, v12
	v_and_b32_e32 v14, 0x80000000, v14
	v_lshl_add_u32 v13, v13, 23, v15
	v_or3_b32 v12, v14, v13, v12
.LBB2_900:
	s_or_b64 exec, exec, s[6:7]
	s_movk_i32 s4, 0x7f
	v_cmp_gt_i16_sdwa s[6:7], v2, s4 src0_sel:BYTE_0 src1_sel:DWORD
	s_mov_b64 s[4:5], 0
                                        ; implicit-def: $sgpr10
	s_and_saveexec_b64 s[8:9], s[6:7]
	s_xor_b64 s[6:7], exec, s[8:9]
	s_cbranch_execnz .LBB2_2949
; %bb.901:
	s_or_saveexec_b64 s[6:7], s[6:7]
	v_mov_b32_e32 v13, s10
	s_xor_b64 exec, exec, s[6:7]
	s_cbranch_execnz .LBB2_2952
.LBB2_902:
	s_or_b64 exec, exec, s[6:7]
	s_and_saveexec_b64 s[6:7], s[4:5]
	s_cbranch_execz .LBB2_904
.LBB2_903:
	v_and_b32_e32 v13, 7, v2
	v_ffbh_u32_e32 v15, v13
	v_min_u32_e32 v15, 32, v15
	v_lshrrev_b16_e32 v14, 3, v2
	v_subrev_u32_e32 v16, 28, v15
	v_and_b32_e32 v14, 15, v14
	v_lshlrev_b32_e32 v16, v16, v2
	v_sub_u32_e32 v15, 29, v15
	v_and_b32_e32 v16, 7, v16
	v_cmp_eq_u16_e32 vcc, 0, v14
	v_cndmask_b32_e32 v13, v13, v16, vcc
	v_cndmask_b32_e32 v14, v14, v15, vcc
	v_lshlrev_b32_e32 v15, 24, v2
	v_mov_b32_e32 v16, 0x3b800000
	v_lshlrev_b32_e32 v13, 20, v13
	v_and_b32_e32 v15, 0x80000000, v15
	v_lshl_add_u32 v14, v14, 23, v16
	v_or3_b32 v13, v15, v14, v13
.LBB2_904:
	s_or_b64 exec, exec, s[6:7]
	flat_load_dwordx4 a[0:3], v[10:11] offset:112
	s_movk_i32 s4, 0x7f
                                        ; implicit-def: $sgpr10
	s_waitcnt vmcnt(0) lgkmcnt(0)
	v_mfma_f32_16x16x4f32 a[0:3], v12, v13, a[0:3]
	v_lshrrev_b32_e32 v13, 8, v6
	v_cmp_gt_i16_sdwa s[6:7], v13, s4 src0_sel:BYTE_0 src1_sel:DWORD
	s_mov_b64 s[4:5], 0
	s_and_saveexec_b64 s[8:9], s[6:7]
	s_xor_b64 s[6:7], exec, s[8:9]
	s_cbranch_execnz .LBB2_2953
; %bb.905:
	s_or_saveexec_b64 s[6:7], s[6:7]
	v_mov_b32_e32 v12, s10
	s_xor_b64 exec, exec, s[6:7]
	s_cbranch_execnz .LBB2_2956
.LBB2_906:
	s_or_b64 exec, exec, s[6:7]
	s_and_saveexec_b64 s[6:7], s[4:5]
	s_cbranch_execz .LBB2_908
.LBB2_907:
	v_bfe_u32 v12, v6, 8, 3
	v_ffbh_u32_e32 v15, v12
	v_min_u32_e32 v15, 32, v15
	v_lshrrev_b16_e32 v14, 3, v13
	v_subrev_u32_e32 v16, 28, v15
	v_and_b32_e32 v14, 15, v14
	v_lshlrev_b32_e32 v13, v16, v13
	v_sub_u32_e32 v15, 29, v15
	v_and_b32_e32 v13, 7, v13
	v_cmp_eq_u16_e32 vcc, 0, v14
	v_cndmask_b32_e32 v12, v12, v13, vcc
	v_cndmask_b32_e32 v13, v14, v15, vcc
	v_lshlrev_b32_e32 v14, 16, v6
	v_mov_b32_e32 v15, 0x3b800000
	v_lshlrev_b32_e32 v12, 20, v12
	v_and_b32_e32 v14, 0x80000000, v14
	v_lshl_add_u32 v13, v13, 23, v15
	v_or3_b32 v12, v14, v13, v12
.LBB2_908:
	s_or_b64 exec, exec, s[6:7]
	v_lshrrev_b32_e32 v13, 8, v2
	s_movk_i32 s4, 0x7f
	v_cmp_gt_i16_sdwa s[6:7], v13, s4 src0_sel:BYTE_0 src1_sel:DWORD
	s_mov_b64 s[4:5], 0
                                        ; implicit-def: $sgpr10
	s_and_saveexec_b64 s[8:9], s[6:7]
	s_xor_b64 s[6:7], exec, s[8:9]
	s_cbranch_execnz .LBB2_2957
; %bb.909:
	s_or_saveexec_b64 s[6:7], s[6:7]
	v_mov_b32_e32 v14, s10
	s_xor_b64 exec, exec, s[6:7]
	s_cbranch_execnz .LBB2_2960
.LBB2_910:
	s_or_b64 exec, exec, s[6:7]
	s_and_saveexec_b64 s[6:7], s[4:5]
	s_cbranch_execz .LBB2_912
.LBB2_911:
	v_bfe_u32 v14, v2, 8, 3
	v_ffbh_u32_e32 v16, v14
	v_min_u32_e32 v16, 32, v16
	v_lshrrev_b16_e32 v15, 3, v13
	v_subrev_u32_e32 v17, 28, v16
	v_and_b32_e32 v15, 15, v15
	v_lshlrev_b32_e32 v13, v17, v13
	v_sub_u32_e32 v16, 29, v16
	v_and_b32_e32 v13, 7, v13
	v_cmp_eq_u16_e32 vcc, 0, v15
	v_cndmask_b32_e32 v13, v14, v13, vcc
	v_cndmask_b32_e32 v14, v15, v16, vcc
	v_lshlrev_b32_e32 v15, 16, v2
	v_mov_b32_e32 v16, 0x3b800000
	v_lshlrev_b32_e32 v13, 20, v13
	v_and_b32_e32 v15, 0x80000000, v15
	v_lshl_add_u32 v14, v14, 23, v16
	v_or3_b32 v14, v15, v14, v13
.LBB2_912:
	s_or_b64 exec, exec, s[6:7]
	s_nop 0
	v_mfma_f32_16x16x4f32 a[0:3], v12, v14, a[0:3]
	s_movk_i32 s4, 0xff
	v_and_b32_sdwa v13, v6, s4 dst_sel:DWORD dst_unused:UNUSED_PAD src0_sel:WORD_1 src1_sel:DWORD
	s_movk_i32 s4, 0x7f
	v_cmp_lt_i16_e32 vcc, s4, v13
	s_mov_b64 s[4:5], 0
                                        ; implicit-def: $sgpr10
	s_and_saveexec_b64 s[6:7], vcc
	s_xor_b64 s[6:7], exec, s[6:7]
	s_cbranch_execnz .LBB2_2961
; %bb.913:
	s_or_saveexec_b64 s[6:7], s[6:7]
	v_mov_b32_e32 v12, s10
	s_xor_b64 exec, exec, s[6:7]
	s_cbranch_execnz .LBB2_2964
.LBB2_914:
	s_or_b64 exec, exec, s[6:7]
	s_and_saveexec_b64 s[6:7], s[4:5]
	s_cbranch_execz .LBB2_916
.LBB2_915:
	v_bfe_u32 v12, v6, 16, 3
	v_ffbh_u32_e32 v15, v12
	v_min_u32_e32 v15, 32, v15
	v_lshrrev_b32_e32 v13, 19, v6
	v_subrev_u32_e32 v16, 28, v15
	v_and_b32_e32 v13, 15, v13
	v_lshlrev_b32_sdwa v16, v16, v6 dst_sel:DWORD dst_unused:UNUSED_PAD src0_sel:DWORD src1_sel:WORD_1
	v_bfe_u32 v14, v6, 19, 4
	v_sub_u32_e32 v15, 29, v15
	v_and_b32_e32 v16, 7, v16
	v_cmp_eq_u16_e32 vcc, 0, v13
	v_cndmask_b32_e32 v12, v12, v16, vcc
	v_cndmask_b32_e32 v13, v14, v15, vcc
	v_lshlrev_b32_e32 v14, 8, v6
	v_mov_b32_e32 v15, 0x3b800000
	v_lshlrev_b32_e32 v12, 20, v12
	v_and_b32_e32 v14, 0x80000000, v14
	v_lshl_add_u32 v13, v13, 23, v15
	v_or3_b32 v12, v14, v13, v12
.LBB2_916:
	s_or_b64 exec, exec, s[6:7]
	s_movk_i32 s4, 0xff
	v_and_b32_sdwa v13, v2, s4 dst_sel:DWORD dst_unused:UNUSED_PAD src0_sel:WORD_1 src1_sel:DWORD
	s_movk_i32 s4, 0x7f
	v_cmp_lt_i16_e32 vcc, s4, v13
	s_mov_b64 s[4:5], 0
                                        ; implicit-def: $sgpr10
	s_and_saveexec_b64 s[6:7], vcc
	s_xor_b64 s[6:7], exec, s[6:7]
	s_cbranch_execnz .LBB2_2965
; %bb.917:
	s_or_saveexec_b64 s[6:7], s[6:7]
	v_mov_b32_e32 v14, s10
	s_xor_b64 exec, exec, s[6:7]
	s_cbranch_execnz .LBB2_2968
.LBB2_918:
	s_or_b64 exec, exec, s[6:7]
	s_and_saveexec_b64 s[6:7], s[4:5]
	s_cbranch_execz .LBB2_920
.LBB2_919:
	v_bfe_u32 v13, v2, 16, 3
	v_ffbh_u32_e32 v16, v13
	v_min_u32_e32 v16, 32, v16
	v_lshrrev_b32_e32 v14, 19, v2
	v_subrev_u32_e32 v17, 28, v16
	v_and_b32_e32 v14, 15, v14
	v_lshlrev_b32_sdwa v17, v17, v2 dst_sel:DWORD dst_unused:UNUSED_PAD src0_sel:DWORD src1_sel:WORD_1
	v_bfe_u32 v15, v2, 19, 4
	v_sub_u32_e32 v16, 29, v16
	v_and_b32_e32 v17, 7, v17
	v_cmp_eq_u16_e32 vcc, 0, v14
	v_cndmask_b32_e32 v13, v13, v17, vcc
	v_cndmask_b32_e32 v14, v15, v16, vcc
	v_lshlrev_b32_e32 v15, 8, v2
	v_mov_b32_e32 v16, 0x3b800000
	v_lshlrev_b32_e32 v13, 20, v13
	v_and_b32_e32 v15, 0x80000000, v15
	v_lshl_add_u32 v14, v14, 23, v16
	v_or3_b32 v14, v15, v14, v13
.LBB2_920:
	s_or_b64 exec, exec, s[6:7]
	s_nop 0
	v_mfma_f32_16x16x4f32 a[0:3], v12, v14, a[0:3]
	s_movk_i32 s4, 0x7f
	v_cmp_gt_i16_sdwa s[6:7], v6, s4 src0_sel:BYTE_3 src1_sel:DWORD
	s_mov_b64 s[4:5], 0
                                        ; implicit-def: $sgpr10
	s_and_saveexec_b64 s[8:9], s[6:7]
	s_xor_b64 s[6:7], exec, s[8:9]
	s_cbranch_execnz .LBB2_2969
; %bb.921:
	s_or_saveexec_b64 s[6:7], s[6:7]
	v_mov_b32_e32 v12, s10
	s_xor_b64 exec, exec, s[6:7]
	s_cbranch_execnz .LBB2_2972
.LBB2_922:
	s_or_b64 exec, exec, s[6:7]
	s_and_saveexec_b64 s[6:7], s[4:5]
	s_cbranch_execz .LBB2_924
.LBB2_923:
	v_bfe_u32 v12, v6, 24, 3
	v_ffbh_u32_e32 v16, v12
	v_min_u32_e32 v16, 32, v16
	v_lshrrev_b32_e32 v14, 27, v6
	v_subrev_u32_e32 v17, 28, v16
	v_and_b32_e32 v13, 0x80000000, v6
	v_and_b32_e32 v14, 15, v14
	v_bfe_u32 v15, v6, 27, 4
	v_lshlrev_b32_sdwa v6, v17, v6 dst_sel:DWORD dst_unused:UNUSED_PAD src0_sel:DWORD src1_sel:BYTE_3
	v_sub_u32_e32 v16, 29, v16
	v_and_b32_e32 v6, 7, v6
	v_cmp_eq_u16_e32 vcc, 0, v14
	v_cndmask_b32_e32 v6, v12, v6, vcc
	v_cndmask_b32_e32 v12, v15, v16, vcc
	v_mov_b32_e32 v14, 0x3b800000
	v_lshlrev_b32_e32 v6, 20, v6
	v_lshl_add_u32 v12, v12, 23, v14
	v_or3_b32 v12, v13, v12, v6
.LBB2_924:
	s_or_b64 exec, exec, s[6:7]
	s_movk_i32 s4, 0x7f
	v_cmp_gt_i16_sdwa s[6:7], v2, s4 src0_sel:BYTE_3 src1_sel:DWORD
	s_mov_b64 s[4:5], 0
                                        ; implicit-def: $sgpr10
	s_and_saveexec_b64 s[8:9], s[6:7]
	s_xor_b64 s[6:7], exec, s[8:9]
	s_cbranch_execnz .LBB2_2973
; %bb.925:
	s_or_saveexec_b64 s[6:7], s[6:7]
	v_mov_b32_e32 v6, s10
	s_xor_b64 exec, exec, s[6:7]
	s_cbranch_execnz .LBB2_2976
.LBB2_926:
	s_or_b64 exec, exec, s[6:7]
	s_and_saveexec_b64 s[6:7], s[4:5]
	s_cbranch_execz .LBB2_928
.LBB2_927:
	v_bfe_u32 v6, v2, 24, 3
	v_ffbh_u32_e32 v16, v6
	v_min_u32_e32 v16, 32, v16
	v_lshrrev_b32_e32 v14, 27, v2
	v_subrev_u32_e32 v17, 28, v16
	v_and_b32_e32 v13, 0x80000000, v2
	v_and_b32_e32 v14, 15, v14
	v_bfe_u32 v15, v2, 27, 4
	v_lshlrev_b32_sdwa v2, v17, v2 dst_sel:DWORD dst_unused:UNUSED_PAD src0_sel:DWORD src1_sel:BYTE_3
	v_sub_u32_e32 v16, 29, v16
	v_and_b32_e32 v2, 7, v2
	v_cmp_eq_u16_e32 vcc, 0, v14
	v_cndmask_b32_e32 v2, v6, v2, vcc
	v_cndmask_b32_e32 v6, v15, v16, vcc
	v_mov_b32_e32 v14, 0x3b800000
	v_lshlrev_b32_e32 v2, 20, v2
	v_lshl_add_u32 v6, v6, 23, v14
	v_or3_b32 v6, v13, v6, v2
.LBB2_928:
	s_or_b64 exec, exec, s[6:7]
	s_nop 0
	v_mfma_f32_16x16x4f32 a[0:3], v12, v6, a[0:3]
	s_movk_i32 s4, 0x7f
	v_cmp_gt_i16_sdwa s[6:7], v7, s4 src0_sel:BYTE_0 src1_sel:DWORD
	s_mov_b64 s[4:5], 0
                                        ; implicit-def: $sgpr10
	s_and_saveexec_b64 s[8:9], s[6:7]
	s_xor_b64 s[6:7], exec, s[8:9]
	s_cbranch_execnz .LBB2_2977
; %bb.929:
	s_or_saveexec_b64 s[6:7], s[6:7]
	v_mov_b32_e32 v2, s10
	s_xor_b64 exec, exec, s[6:7]
	s_cbranch_execnz .LBB2_2980
.LBB2_930:
	s_or_b64 exec, exec, s[6:7]
	s_and_saveexec_b64 s[6:7], s[4:5]
	s_cbranch_execz .LBB2_932
.LBB2_931:
	v_and_b32_e32 v2, 7, v7
	v_ffbh_u32_e32 v12, v2
	v_min_u32_e32 v12, 32, v12
	v_lshrrev_b16_e32 v6, 3, v7
	v_subrev_u32_e32 v13, 28, v12
	v_and_b32_e32 v6, 15, v6
	v_lshlrev_b32_e32 v13, v13, v7
	v_sub_u32_e32 v12, 29, v12
	v_and_b32_e32 v13, 7, v13
	v_cmp_eq_u16_e32 vcc, 0, v6
	v_cndmask_b32_e32 v2, v2, v13, vcc
	v_cndmask_b32_e32 v6, v6, v12, vcc
	v_lshlrev_b32_e32 v12, 24, v7
	v_mov_b32_e32 v13, 0x3b800000
	v_lshlrev_b32_e32 v2, 20, v2
	v_and_b32_e32 v12, 0x80000000, v12
	v_lshl_add_u32 v6, v6, 23, v13
	v_or3_b32 v2, v12, v6, v2
.LBB2_932:
	s_or_b64 exec, exec, s[6:7]
	s_movk_i32 s4, 0x7f
	v_cmp_gt_i16_sdwa s[6:7], v3, s4 src0_sel:BYTE_0 src1_sel:DWORD
	s_mov_b64 s[4:5], 0
                                        ; implicit-def: $sgpr10
	s_and_saveexec_b64 s[8:9], s[6:7]
	s_xor_b64 s[6:7], exec, s[8:9]
	s_cbranch_execnz .LBB2_2981
; %bb.933:
	s_or_saveexec_b64 s[6:7], s[6:7]
	v_mov_b32_e32 v6, s10
	s_xor_b64 exec, exec, s[6:7]
	s_cbranch_execnz .LBB2_2984
.LBB2_934:
	s_or_b64 exec, exec, s[6:7]
	s_and_saveexec_b64 s[6:7], s[4:5]
	s_cbranch_execz .LBB2_936
.LBB2_935:
	v_and_b32_e32 v6, 7, v3
	v_ffbh_u32_e32 v13, v6
	v_min_u32_e32 v13, 32, v13
	v_lshrrev_b16_e32 v12, 3, v3
	v_subrev_u32_e32 v14, 28, v13
	v_and_b32_e32 v12, 15, v12
	v_lshlrev_b32_e32 v14, v14, v3
	v_sub_u32_e32 v13, 29, v13
	v_and_b32_e32 v14, 7, v14
	v_cmp_eq_u16_e32 vcc, 0, v12
	v_cndmask_b32_e32 v6, v6, v14, vcc
	v_cndmask_b32_e32 v12, v12, v13, vcc
	v_lshlrev_b32_e32 v13, 24, v3
	v_mov_b32_e32 v14, 0x3b800000
	v_lshlrev_b32_e32 v6, 20, v6
	v_and_b32_e32 v13, 0x80000000, v13
	v_lshl_add_u32 v12, v12, 23, v14
	v_or3_b32 v6, v13, v12, v6
.LBB2_936:
	s_or_b64 exec, exec, s[6:7]
	s_nop 0
	v_mfma_f32_16x16x4f32 a[0:3], v2, v6, a[0:3]
	v_lshrrev_b32_e32 v6, 8, v7
	s_movk_i32 s4, 0x7f
	v_cmp_gt_i16_sdwa s[6:7], v6, s4 src0_sel:BYTE_0 src1_sel:DWORD
	s_mov_b64 s[4:5], 0
                                        ; implicit-def: $sgpr10
	s_and_saveexec_b64 s[8:9], s[6:7]
	s_xor_b64 s[6:7], exec, s[8:9]
	s_cbranch_execnz .LBB2_2985
; %bb.937:
	s_or_saveexec_b64 s[6:7], s[6:7]
	v_mov_b32_e32 v2, s10
	s_xor_b64 exec, exec, s[6:7]
	s_cbranch_execnz .LBB2_2988
.LBB2_938:
	s_or_b64 exec, exec, s[6:7]
	s_and_saveexec_b64 s[6:7], s[4:5]
	s_cbranch_execz .LBB2_940
.LBB2_939:
	v_bfe_u32 v2, v7, 8, 3
	v_ffbh_u32_e32 v13, v2
	v_min_u32_e32 v13, 32, v13
	v_lshrrev_b16_e32 v12, 3, v6
	v_subrev_u32_e32 v14, 28, v13
	v_and_b32_e32 v12, 15, v12
	v_lshlrev_b32_e32 v6, v14, v6
	v_sub_u32_e32 v13, 29, v13
	v_and_b32_e32 v6, 7, v6
	v_cmp_eq_u16_e32 vcc, 0, v12
	v_cndmask_b32_e32 v2, v2, v6, vcc
	v_cndmask_b32_e32 v6, v12, v13, vcc
	v_lshlrev_b32_e32 v12, 16, v7
	v_mov_b32_e32 v13, 0x3b800000
	v_lshlrev_b32_e32 v2, 20, v2
	v_and_b32_e32 v12, 0x80000000, v12
	v_lshl_add_u32 v6, v6, 23, v13
	v_or3_b32 v2, v12, v6, v2
.LBB2_940:
	s_or_b64 exec, exec, s[6:7]
	v_lshrrev_b32_e32 v6, 8, v3
	s_movk_i32 s4, 0x7f
	v_cmp_gt_i16_sdwa s[6:7], v6, s4 src0_sel:BYTE_0 src1_sel:DWORD
	s_mov_b64 s[4:5], 0
                                        ; implicit-def: $sgpr10
	s_and_saveexec_b64 s[8:9], s[6:7]
	s_xor_b64 s[6:7], exec, s[8:9]
	s_cbranch_execnz .LBB2_2989
; %bb.941:
	s_or_saveexec_b64 s[6:7], s[6:7]
	v_mov_b32_e32 v12, s10
	s_xor_b64 exec, exec, s[6:7]
	s_cbranch_execnz .LBB2_2992
.LBB2_942:
	s_or_b64 exec, exec, s[6:7]
	s_and_saveexec_b64 s[6:7], s[4:5]
	s_cbranch_execz .LBB2_944
.LBB2_943:
	v_bfe_u32 v12, v3, 8, 3
	v_ffbh_u32_e32 v14, v12
	v_min_u32_e32 v14, 32, v14
	v_lshrrev_b16_e32 v13, 3, v6
	v_subrev_u32_e32 v15, 28, v14
	v_and_b32_e32 v13, 15, v13
	v_lshlrev_b32_e32 v6, v15, v6
	v_sub_u32_e32 v14, 29, v14
	v_and_b32_e32 v6, 7, v6
	v_cmp_eq_u16_e32 vcc, 0, v13
	v_cndmask_b32_e32 v6, v12, v6, vcc
	v_cndmask_b32_e32 v12, v13, v14, vcc
	v_lshlrev_b32_e32 v13, 16, v3
	v_mov_b32_e32 v14, 0x3b800000
	v_lshlrev_b32_e32 v6, 20, v6
	v_and_b32_e32 v13, 0x80000000, v13
	v_lshl_add_u32 v12, v12, 23, v14
	v_or3_b32 v12, v13, v12, v6
.LBB2_944:
	s_or_b64 exec, exec, s[6:7]
	s_nop 0
	v_mfma_f32_16x16x4f32 a[0:3], v2, v12, a[0:3]
	s_movk_i32 s4, 0xff
	v_and_b32_sdwa v6, v7, s4 dst_sel:DWORD dst_unused:UNUSED_PAD src0_sel:WORD_1 src1_sel:DWORD
	s_movk_i32 s4, 0x7f
	v_cmp_lt_i16_e32 vcc, s4, v6
	s_mov_b64 s[4:5], 0
                                        ; implicit-def: $sgpr10
	s_and_saveexec_b64 s[6:7], vcc
	s_xor_b64 s[6:7], exec, s[6:7]
	s_cbranch_execnz .LBB2_2993
; %bb.945:
	s_or_saveexec_b64 s[6:7], s[6:7]
	v_mov_b32_e32 v2, s10
	s_xor_b64 exec, exec, s[6:7]
	s_cbranch_execnz .LBB2_2996
.LBB2_946:
	s_or_b64 exec, exec, s[6:7]
	s_and_saveexec_b64 s[6:7], s[4:5]
	s_cbranch_execz .LBB2_948
.LBB2_947:
	v_bfe_u32 v2, v7, 16, 3
	v_ffbh_u32_e32 v13, v2
	v_min_u32_e32 v13, 32, v13
	v_lshrrev_b32_e32 v6, 19, v7
	v_subrev_u32_e32 v14, 28, v13
	v_and_b32_e32 v6, 15, v6
	v_lshlrev_b32_sdwa v14, v14, v7 dst_sel:DWORD dst_unused:UNUSED_PAD src0_sel:DWORD src1_sel:WORD_1
	v_bfe_u32 v12, v7, 19, 4
	v_sub_u32_e32 v13, 29, v13
	v_and_b32_e32 v14, 7, v14
	v_cmp_eq_u16_e32 vcc, 0, v6
	v_cndmask_b32_e32 v2, v2, v14, vcc
	v_cndmask_b32_e32 v6, v12, v13, vcc
	v_lshlrev_b32_e32 v12, 8, v7
	v_mov_b32_e32 v13, 0x3b800000
	v_lshlrev_b32_e32 v2, 20, v2
	v_and_b32_e32 v12, 0x80000000, v12
	v_lshl_add_u32 v6, v6, 23, v13
	v_or3_b32 v2, v12, v6, v2
.LBB2_948:
	s_or_b64 exec, exec, s[6:7]
	s_movk_i32 s4, 0xff
	v_and_b32_sdwa v6, v3, s4 dst_sel:DWORD dst_unused:UNUSED_PAD src0_sel:WORD_1 src1_sel:DWORD
	s_movk_i32 s4, 0x7f
	v_cmp_lt_i16_e32 vcc, s4, v6
	s_mov_b64 s[4:5], 0
                                        ; implicit-def: $sgpr10
	s_and_saveexec_b64 s[6:7], vcc
	s_xor_b64 s[6:7], exec, s[6:7]
	s_cbranch_execnz .LBB2_2997
; %bb.949:
	s_or_saveexec_b64 s[6:7], s[6:7]
	v_mov_b32_e32 v12, s10
	s_xor_b64 exec, exec, s[6:7]
	s_cbranch_execnz .LBB2_3000
.LBB2_950:
	s_or_b64 exec, exec, s[6:7]
	s_and_saveexec_b64 s[6:7], s[4:5]
	s_cbranch_execz .LBB2_952
.LBB2_951:
	v_bfe_u32 v6, v3, 16, 3
	v_ffbh_u32_e32 v14, v6
	v_min_u32_e32 v14, 32, v14
	v_lshrrev_b32_e32 v12, 19, v3
	v_subrev_u32_e32 v15, 28, v14
	v_and_b32_e32 v12, 15, v12
	v_lshlrev_b32_sdwa v15, v15, v3 dst_sel:DWORD dst_unused:UNUSED_PAD src0_sel:DWORD src1_sel:WORD_1
	v_bfe_u32 v13, v3, 19, 4
	v_sub_u32_e32 v14, 29, v14
	v_and_b32_e32 v15, 7, v15
	v_cmp_eq_u16_e32 vcc, 0, v12
	v_cndmask_b32_e32 v6, v6, v15, vcc
	v_cndmask_b32_e32 v12, v13, v14, vcc
	v_lshlrev_b32_e32 v13, 8, v3
	v_mov_b32_e32 v14, 0x3b800000
	v_lshlrev_b32_e32 v6, 20, v6
	v_and_b32_e32 v13, 0x80000000, v13
	v_lshl_add_u32 v12, v12, 23, v14
	v_or3_b32 v12, v13, v12, v6
.LBB2_952:
	s_or_b64 exec, exec, s[6:7]
	s_nop 0
	v_mfma_f32_16x16x4f32 a[0:3], v2, v12, a[0:3]
	s_movk_i32 s4, 0x7f
	v_cmp_gt_i16_sdwa s[6:7], v7, s4 src0_sel:BYTE_3 src1_sel:DWORD
	s_mov_b64 s[4:5], 0
                                        ; implicit-def: $sgpr10
	s_and_saveexec_b64 s[8:9], s[6:7]
	s_xor_b64 s[6:7], exec, s[8:9]
	s_cbranch_execnz .LBB2_3001
; %bb.953:
	s_or_saveexec_b64 s[6:7], s[6:7]
	v_mov_b32_e32 v2, s10
	s_xor_b64 exec, exec, s[6:7]
	s_cbranch_execnz .LBB2_3004
.LBB2_954:
	s_or_b64 exec, exec, s[6:7]
	s_and_saveexec_b64 s[6:7], s[4:5]
	s_cbranch_execz .LBB2_956
.LBB2_955:
	v_bfe_u32 v2, v7, 24, 3
	v_ffbh_u32_e32 v14, v2
	v_min_u32_e32 v14, 32, v14
	v_lshrrev_b32_e32 v12, 27, v7
	v_subrev_u32_e32 v15, 28, v14
	v_and_b32_e32 v6, 0x80000000, v7
	v_and_b32_e32 v12, 15, v12
	v_bfe_u32 v13, v7, 27, 4
	v_lshlrev_b32_sdwa v7, v15, v7 dst_sel:DWORD dst_unused:UNUSED_PAD src0_sel:DWORD src1_sel:BYTE_3
	v_sub_u32_e32 v14, 29, v14
	v_and_b32_e32 v7, 7, v7
	v_cmp_eq_u16_e32 vcc, 0, v12
	v_cndmask_b32_e32 v2, v2, v7, vcc
	v_cndmask_b32_e32 v7, v13, v14, vcc
	v_mov_b32_e32 v12, 0x3b800000
	v_lshlrev_b32_e32 v2, 20, v2
	v_lshl_add_u32 v7, v7, 23, v12
	v_or3_b32 v2, v6, v7, v2
.LBB2_956:
	s_or_b64 exec, exec, s[6:7]
	s_movk_i32 s4, 0x7f
	v_cmp_gt_i16_sdwa s[6:7], v3, s4 src0_sel:BYTE_3 src1_sel:DWORD
	s_mov_b64 s[4:5], 0
                                        ; implicit-def: $sgpr10
	s_and_saveexec_b64 s[8:9], s[6:7]
	s_xor_b64 s[6:7], exec, s[8:9]
	s_cbranch_execnz .LBB2_3005
; %bb.957:
	s_or_saveexec_b64 s[6:7], s[6:7]
	v_mov_b32_e32 v6, s10
	s_xor_b64 exec, exec, s[6:7]
	s_cbranch_execnz .LBB2_3008
.LBB2_958:
	s_or_b64 exec, exec, s[6:7]
	s_and_saveexec_b64 s[6:7], s[4:5]
	s_cbranch_execz .LBB2_960
.LBB2_959:
	v_bfe_u32 v6, v3, 24, 3
	v_ffbh_u32_e32 v14, v6
	v_min_u32_e32 v14, 32, v14
	v_lshrrev_b32_e32 v12, 27, v3
	v_subrev_u32_e32 v15, 28, v14
	v_and_b32_e32 v7, 0x80000000, v3
	v_and_b32_e32 v12, 15, v12
	v_bfe_u32 v13, v3, 27, 4
	v_lshlrev_b32_sdwa v3, v15, v3 dst_sel:DWORD dst_unused:UNUSED_PAD src0_sel:DWORD src1_sel:BYTE_3
	v_sub_u32_e32 v14, 29, v14
	v_and_b32_e32 v3, 7, v3
	v_cmp_eq_u16_e32 vcc, 0, v12
	v_cndmask_b32_e32 v3, v6, v3, vcc
	v_cndmask_b32_e32 v6, v13, v14, vcc
	v_mov_b32_e32 v12, 0x3b800000
	v_lshlrev_b32_e32 v3, 20, v3
	v_lshl_add_u32 v6, v6, 23, v12
	v_or3_b32 v6, v7, v6, v3
.LBB2_960:
	s_or_b64 exec, exec, s[6:7]
	s_nop 0
	v_mfma_f32_16x16x4f32 a[0:3], v2, v6, a[0:3]
	s_movk_i32 s4, 0x7f
	v_cmp_gt_i16_sdwa s[6:7], v8, s4 src0_sel:BYTE_0 src1_sel:DWORD
	s_mov_b64 s[4:5], 0
                                        ; implicit-def: $sgpr10
	s_and_saveexec_b64 s[8:9], s[6:7]
	s_xor_b64 s[6:7], exec, s[8:9]
	s_cbranch_execnz .LBB2_3009
; %bb.961:
	s_or_saveexec_b64 s[6:7], s[6:7]
	v_mov_b32_e32 v2, s10
	s_xor_b64 exec, exec, s[6:7]
	s_cbranch_execnz .LBB2_3012
.LBB2_962:
	s_or_b64 exec, exec, s[6:7]
	s_and_saveexec_b64 s[6:7], s[4:5]
	s_cbranch_execz .LBB2_964
.LBB2_963:
	v_and_b32_e32 v2, 7, v8
	v_ffbh_u32_e32 v6, v2
	v_min_u32_e32 v6, 32, v6
	v_lshrrev_b16_e32 v3, 3, v8
	v_subrev_u32_e32 v7, 28, v6
	v_and_b32_e32 v3, 15, v3
	v_lshlrev_b32_e32 v7, v7, v8
	v_sub_u32_e32 v6, 29, v6
	v_and_b32_e32 v7, 7, v7
	v_cmp_eq_u16_e32 vcc, 0, v3
	v_cndmask_b32_e32 v2, v2, v7, vcc
	v_cndmask_b32_e32 v3, v3, v6, vcc
	v_lshlrev_b32_e32 v6, 24, v8
	v_mov_b32_e32 v7, 0x3b800000
	v_lshlrev_b32_e32 v2, 20, v2
	v_and_b32_e32 v6, 0x80000000, v6
	v_lshl_add_u32 v3, v3, 23, v7
	v_or3_b32 v2, v6, v3, v2
.LBB2_964:
	s_or_b64 exec, exec, s[6:7]
	s_movk_i32 s4, 0x7f
	v_cmp_gt_i16_sdwa s[6:7], v4, s4 src0_sel:BYTE_0 src1_sel:DWORD
	s_mov_b64 s[4:5], 0
                                        ; implicit-def: $sgpr10
	s_and_saveexec_b64 s[8:9], s[6:7]
	s_xor_b64 s[6:7], exec, s[8:9]
	s_cbranch_execnz .LBB2_3013
; %bb.965:
	s_or_saveexec_b64 s[6:7], s[6:7]
	v_mov_b32_e32 v3, s10
	s_xor_b64 exec, exec, s[6:7]
	s_cbranch_execnz .LBB2_3016
.LBB2_966:
	s_or_b64 exec, exec, s[6:7]
	s_and_saveexec_b64 s[6:7], s[4:5]
	s_cbranch_execz .LBB2_968
.LBB2_967:
	v_and_b32_e32 v3, 7, v4
	v_ffbh_u32_e32 v7, v3
	v_min_u32_e32 v7, 32, v7
	v_lshrrev_b16_e32 v6, 3, v4
	v_subrev_u32_e32 v12, 28, v7
	v_and_b32_e32 v6, 15, v6
	v_lshlrev_b32_e32 v12, v12, v4
	v_sub_u32_e32 v7, 29, v7
	v_and_b32_e32 v12, 7, v12
	v_cmp_eq_u16_e32 vcc, 0, v6
	v_cndmask_b32_e32 v3, v3, v12, vcc
	v_cndmask_b32_e32 v6, v6, v7, vcc
	v_lshlrev_b32_e32 v7, 24, v4
	v_mov_b32_e32 v12, 0x3b800000
	v_lshlrev_b32_e32 v3, 20, v3
	v_and_b32_e32 v7, 0x80000000, v7
	v_lshl_add_u32 v6, v6, 23, v12
	v_or3_b32 v3, v7, v6, v3
.LBB2_968:
	s_or_b64 exec, exec, s[6:7]
	s_nop 0
	v_mfma_f32_16x16x4f32 a[0:3], v2, v3, a[0:3]
	v_lshrrev_b32_e32 v3, 8, v8
	s_movk_i32 s4, 0x7f
	v_cmp_gt_i16_sdwa s[6:7], v3, s4 src0_sel:BYTE_0 src1_sel:DWORD
	s_mov_b64 s[4:5], 0
                                        ; implicit-def: $sgpr10
	s_and_saveexec_b64 s[8:9], s[6:7]
	s_xor_b64 s[6:7], exec, s[8:9]
	s_cbranch_execnz .LBB2_3017
; %bb.969:
	s_or_saveexec_b64 s[6:7], s[6:7]
	v_mov_b32_e32 v2, s10
	s_xor_b64 exec, exec, s[6:7]
	s_cbranch_execnz .LBB2_3020
.LBB2_970:
	s_or_b64 exec, exec, s[6:7]
	s_and_saveexec_b64 s[6:7], s[4:5]
	s_cbranch_execz .LBB2_972
.LBB2_971:
	v_bfe_u32 v2, v8, 8, 3
	v_ffbh_u32_e32 v7, v2
	v_min_u32_e32 v7, 32, v7
	v_lshrrev_b16_e32 v6, 3, v3
	v_subrev_u32_e32 v12, 28, v7
	v_and_b32_e32 v6, 15, v6
	v_lshlrev_b32_e32 v3, v12, v3
	v_sub_u32_e32 v7, 29, v7
	v_and_b32_e32 v3, 7, v3
	v_cmp_eq_u16_e32 vcc, 0, v6
	v_cndmask_b32_e32 v2, v2, v3, vcc
	v_cndmask_b32_e32 v3, v6, v7, vcc
	v_lshlrev_b32_e32 v6, 16, v8
	v_mov_b32_e32 v7, 0x3b800000
	v_lshlrev_b32_e32 v2, 20, v2
	v_and_b32_e32 v6, 0x80000000, v6
	v_lshl_add_u32 v3, v3, 23, v7
	v_or3_b32 v2, v6, v3, v2
.LBB2_972:
	s_or_b64 exec, exec, s[6:7]
	v_lshrrev_b32_e32 v3, 8, v4
	s_movk_i32 s4, 0x7f
	v_cmp_gt_i16_sdwa s[6:7], v3, s4 src0_sel:BYTE_0 src1_sel:DWORD
	s_mov_b64 s[4:5], 0
                                        ; implicit-def: $sgpr10
	s_and_saveexec_b64 s[8:9], s[6:7]
	s_xor_b64 s[6:7], exec, s[8:9]
	s_cbranch_execnz .LBB2_3021
; %bb.973:
	s_or_saveexec_b64 s[6:7], s[6:7]
	v_mov_b32_e32 v6, s10
	s_xor_b64 exec, exec, s[6:7]
	s_cbranch_execnz .LBB2_3024
.LBB2_974:
	s_or_b64 exec, exec, s[6:7]
	s_and_saveexec_b64 s[6:7], s[4:5]
	s_cbranch_execz .LBB2_976
.LBB2_975:
	v_bfe_u32 v6, v4, 8, 3
	v_ffbh_u32_e32 v12, v6
	v_min_u32_e32 v12, 32, v12
	v_lshrrev_b16_e32 v7, 3, v3
	v_subrev_u32_e32 v13, 28, v12
	v_and_b32_e32 v7, 15, v7
	v_lshlrev_b32_e32 v3, v13, v3
	v_sub_u32_e32 v12, 29, v12
	v_and_b32_e32 v3, 7, v3
	v_cmp_eq_u16_e32 vcc, 0, v7
	v_cndmask_b32_e32 v3, v6, v3, vcc
	v_cndmask_b32_e32 v6, v7, v12, vcc
	v_lshlrev_b32_e32 v7, 16, v4
	v_mov_b32_e32 v12, 0x3b800000
	v_lshlrev_b32_e32 v3, 20, v3
	v_and_b32_e32 v7, 0x80000000, v7
	v_lshl_add_u32 v6, v6, 23, v12
	v_or3_b32 v6, v7, v6, v3
.LBB2_976:
	s_or_b64 exec, exec, s[6:7]
	s_nop 0
	v_mfma_f32_16x16x4f32 a[0:3], v2, v6, a[0:3]
	s_movk_i32 s4, 0xff
	v_and_b32_sdwa v3, v8, s4 dst_sel:DWORD dst_unused:UNUSED_PAD src0_sel:WORD_1 src1_sel:DWORD
	s_movk_i32 s4, 0x7f
	v_cmp_lt_i16_e32 vcc, s4, v3
	s_mov_b64 s[4:5], 0
                                        ; implicit-def: $sgpr10
	s_and_saveexec_b64 s[6:7], vcc
	s_xor_b64 s[6:7], exec, s[6:7]
	s_cbranch_execnz .LBB2_3025
; %bb.977:
	s_or_saveexec_b64 s[6:7], s[6:7]
	v_mov_b32_e32 v2, s10
	s_xor_b64 exec, exec, s[6:7]
	s_cbranch_execnz .LBB2_3028
.LBB2_978:
	s_or_b64 exec, exec, s[6:7]
	s_and_saveexec_b64 s[6:7], s[4:5]
	s_cbranch_execz .LBB2_980
.LBB2_979:
	v_bfe_u32 v2, v8, 16, 3
	v_ffbh_u32_e32 v7, v2
	v_min_u32_e32 v7, 32, v7
	v_lshrrev_b32_e32 v3, 19, v8
	v_subrev_u32_e32 v12, 28, v7
	v_and_b32_e32 v3, 15, v3
	v_lshlrev_b32_sdwa v12, v12, v8 dst_sel:DWORD dst_unused:UNUSED_PAD src0_sel:DWORD src1_sel:WORD_1
	v_bfe_u32 v6, v8, 19, 4
	v_sub_u32_e32 v7, 29, v7
	v_and_b32_e32 v12, 7, v12
	v_cmp_eq_u16_e32 vcc, 0, v3
	v_cndmask_b32_e32 v2, v2, v12, vcc
	v_cndmask_b32_e32 v3, v6, v7, vcc
	v_lshlrev_b32_e32 v6, 8, v8
	v_mov_b32_e32 v7, 0x3b800000
	v_lshlrev_b32_e32 v2, 20, v2
	v_and_b32_e32 v6, 0x80000000, v6
	v_lshl_add_u32 v3, v3, 23, v7
	v_or3_b32 v2, v6, v3, v2
.LBB2_980:
	s_or_b64 exec, exec, s[6:7]
	s_movk_i32 s4, 0xff
	v_and_b32_sdwa v3, v4, s4 dst_sel:DWORD dst_unused:UNUSED_PAD src0_sel:WORD_1 src1_sel:DWORD
	s_movk_i32 s4, 0x7f
	v_cmp_lt_i16_e32 vcc, s4, v3
	s_mov_b64 s[4:5], 0
                                        ; implicit-def: $sgpr10
	s_and_saveexec_b64 s[6:7], vcc
	s_xor_b64 s[6:7], exec, s[6:7]
	s_cbranch_execnz .LBB2_3029
; %bb.981:
	s_or_saveexec_b64 s[6:7], s[6:7]
	v_mov_b32_e32 v6, s10
	s_xor_b64 exec, exec, s[6:7]
	s_cbranch_execnz .LBB2_3032
.LBB2_982:
	s_or_b64 exec, exec, s[6:7]
	s_and_saveexec_b64 s[6:7], s[4:5]
	s_cbranch_execz .LBB2_984
.LBB2_983:
	v_bfe_u32 v3, v4, 16, 3
	v_ffbh_u32_e32 v12, v3
	v_min_u32_e32 v12, 32, v12
	v_lshrrev_b32_e32 v6, 19, v4
	v_subrev_u32_e32 v13, 28, v12
	v_and_b32_e32 v6, 15, v6
	v_lshlrev_b32_sdwa v13, v13, v4 dst_sel:DWORD dst_unused:UNUSED_PAD src0_sel:DWORD src1_sel:WORD_1
	v_bfe_u32 v7, v4, 19, 4
	v_sub_u32_e32 v12, 29, v12
	v_and_b32_e32 v13, 7, v13
	v_cmp_eq_u16_e32 vcc, 0, v6
	v_cndmask_b32_e32 v3, v3, v13, vcc
	v_cndmask_b32_e32 v6, v7, v12, vcc
	v_lshlrev_b32_e32 v7, 8, v4
	v_mov_b32_e32 v12, 0x3b800000
	v_lshlrev_b32_e32 v3, 20, v3
	v_and_b32_e32 v7, 0x80000000, v7
	v_lshl_add_u32 v6, v6, 23, v12
	v_or3_b32 v6, v7, v6, v3
.LBB2_984:
	s_or_b64 exec, exec, s[6:7]
	s_nop 0
	v_mfma_f32_16x16x4f32 a[0:3], v2, v6, a[0:3]
	s_movk_i32 s4, 0x7f
	v_cmp_gt_i16_sdwa s[6:7], v8, s4 src0_sel:BYTE_3 src1_sel:DWORD
	s_mov_b64 s[4:5], 0
                                        ; implicit-def: $sgpr10
	s_and_saveexec_b64 s[8:9], s[6:7]
	s_xor_b64 s[6:7], exec, s[8:9]
	s_cbranch_execnz .LBB2_3033
; %bb.985:
	s_or_saveexec_b64 s[6:7], s[6:7]
	v_mov_b32_e32 v2, s10
	s_xor_b64 exec, exec, s[6:7]
	s_cbranch_execnz .LBB2_3036
.LBB2_986:
	s_or_b64 exec, exec, s[6:7]
	s_and_saveexec_b64 s[6:7], s[4:5]
	s_cbranch_execz .LBB2_988
.LBB2_987:
	v_bfe_u32 v2, v8, 24, 3
	v_ffbh_u32_e32 v12, v2
	v_min_u32_e32 v12, 32, v12
	v_lshrrev_b32_e32 v6, 27, v8
	v_subrev_u32_e32 v13, 28, v12
	v_and_b32_e32 v3, 0x80000000, v8
	v_and_b32_e32 v6, 15, v6
	v_bfe_u32 v7, v8, 27, 4
	v_lshlrev_b32_sdwa v8, v13, v8 dst_sel:DWORD dst_unused:UNUSED_PAD src0_sel:DWORD src1_sel:BYTE_3
	v_sub_u32_e32 v12, 29, v12
	v_and_b32_e32 v8, 7, v8
	v_cmp_eq_u16_e32 vcc, 0, v6
	v_cndmask_b32_e32 v2, v2, v8, vcc
	v_cndmask_b32_e32 v6, v7, v12, vcc
	v_mov_b32_e32 v7, 0x3b800000
	v_lshlrev_b32_e32 v2, 20, v2
	v_lshl_add_u32 v6, v6, 23, v7
	v_or3_b32 v2, v3, v6, v2
.LBB2_988:
	s_or_b64 exec, exec, s[6:7]
	s_movk_i32 s4, 0x7f
	v_cmp_gt_i16_sdwa s[6:7], v4, s4 src0_sel:BYTE_3 src1_sel:DWORD
	s_mov_b64 s[4:5], 0
                                        ; implicit-def: $sgpr10
	s_and_saveexec_b64 s[8:9], s[6:7]
	s_xor_b64 s[6:7], exec, s[8:9]
	s_cbranch_execnz .LBB2_3037
; %bb.989:
	s_or_saveexec_b64 s[6:7], s[6:7]
	v_mov_b32_e32 v3, s10
	s_xor_b64 exec, exec, s[6:7]
	s_cbranch_execnz .LBB2_3040
.LBB2_990:
	s_or_b64 exec, exec, s[6:7]
	s_and_saveexec_b64 s[6:7], s[4:5]
	s_cbranch_execz .LBB2_992
.LBB2_991:
	v_bfe_u32 v3, v4, 24, 3
	v_ffbh_u32_e32 v12, v3
	v_min_u32_e32 v12, 32, v12
	v_lshrrev_b32_e32 v7, 27, v4
	v_subrev_u32_e32 v13, 28, v12
	v_and_b32_e32 v6, 0x80000000, v4
	v_and_b32_e32 v7, 15, v7
	v_bfe_u32 v8, v4, 27, 4
	v_lshlrev_b32_sdwa v4, v13, v4 dst_sel:DWORD dst_unused:UNUSED_PAD src0_sel:DWORD src1_sel:BYTE_3
	v_sub_u32_e32 v12, 29, v12
	v_and_b32_e32 v4, 7, v4
	v_cmp_eq_u16_e32 vcc, 0, v7
	v_cndmask_b32_e32 v3, v3, v4, vcc
	v_cndmask_b32_e32 v4, v8, v12, vcc
	v_mov_b32_e32 v7, 0x3b800000
	v_lshlrev_b32_e32 v3, 20, v3
	v_lshl_add_u32 v4, v4, 23, v7
	v_or3_b32 v3, v6, v4, v3
.LBB2_992:
	s_or_b64 exec, exec, s[6:7]
	s_nop 0
	v_mfma_f32_16x16x4f32 a[0:3], v2, v3, a[0:3]
	s_movk_i32 s4, 0x7f
	v_cmp_gt_i16_sdwa s[6:7], v9, s4 src0_sel:BYTE_0 src1_sel:DWORD
	s_mov_b64 s[4:5], 0
                                        ; implicit-def: $sgpr10
	s_and_saveexec_b64 s[8:9], s[6:7]
	s_xor_b64 s[6:7], exec, s[8:9]
	s_cbranch_execnz .LBB2_3041
; %bb.993:
	s_or_saveexec_b64 s[6:7], s[6:7]
	v_mov_b32_e32 v2, s10
	s_xor_b64 exec, exec, s[6:7]
	s_cbranch_execnz .LBB2_3044
.LBB2_994:
	s_or_b64 exec, exec, s[6:7]
	s_and_saveexec_b64 s[6:7], s[4:5]
	s_cbranch_execz .LBB2_996
.LBB2_995:
	v_mov_b32_e32 v2, 8
	v_and_b32_e32 v3, 7, v9
	v_lshrrev_b32_sdwa v2, v2, v9 dst_sel:BYTE_1 dst_unused:UNUSED_PAD src0_sel:DWORD src1_sel:DWORD
	v_ffbh_u32_e32 v4, v3
	v_or_b32_sdwa v2, v9, v2 dst_sel:DWORD dst_unused:UNUSED_PAD src0_sel:BYTE_0 src1_sel:DWORD
	v_min_u32_e32 v4, 32, v4
	v_lshrrev_b16_e32 v2, 3, v2
	v_subrev_u32_e32 v6, 28, v4
	v_and_b32_e32 v2, 15, v2
	v_lshlrev_b32_e32 v6, v6, v9
	v_sub_u32_e32 v4, 29, v4
	v_and_b32_e32 v6, 7, v6
	v_cmp_eq_u16_e32 vcc, 0, v2
	v_cndmask_b32_e32 v3, v3, v6, vcc
	v_cndmask_b32_e32 v2, v2, v4, vcc
	v_lshlrev_b32_e32 v4, 24, v9
	v_mov_b32_e32 v6, 0x3b800000
	v_lshlrev_b32_e32 v3, 20, v3
	v_and_b32_e32 v4, 0x80000000, v4
	v_lshl_add_u32 v2, v2, 23, v6
	v_or3_b32 v2, v4, v2, v3
.LBB2_996:
	s_or_b64 exec, exec, s[6:7]
	s_movk_i32 s4, 0x7f
	v_cmp_gt_i16_sdwa s[6:7], v5, s4 src0_sel:BYTE_0 src1_sel:DWORD
	s_mov_b64 s[4:5], 0
                                        ; implicit-def: $sgpr10
	s_and_saveexec_b64 s[8:9], s[6:7]
	s_xor_b64 s[6:7], exec, s[8:9]
	s_cbranch_execnz .LBB2_3045
; %bb.997:
	s_or_saveexec_b64 s[6:7], s[6:7]
	v_mov_b32_e32 v3, s10
	s_xor_b64 exec, exec, s[6:7]
	s_cbranch_execnz .LBB2_3048
.LBB2_998:
	s_or_b64 exec, exec, s[6:7]
	s_and_saveexec_b64 s[6:7], s[4:5]
	s_cbranch_execz .LBB2_1000
.LBB2_999:
	v_mov_b32_e32 v3, 8
	v_and_b32_e32 v4, 7, v5
	v_lshrrev_b32_sdwa v3, v3, v5 dst_sel:BYTE_1 dst_unused:UNUSED_PAD src0_sel:DWORD src1_sel:DWORD
	v_ffbh_u32_e32 v6, v4
	v_or_b32_sdwa v3, v5, v3 dst_sel:DWORD dst_unused:UNUSED_PAD src0_sel:BYTE_0 src1_sel:DWORD
	v_min_u32_e32 v6, 32, v6
	v_lshrrev_b16_e32 v3, 3, v3
	v_subrev_u32_e32 v7, 28, v6
	v_and_b32_e32 v3, 15, v3
	v_lshlrev_b32_e32 v7, v7, v5
	v_sub_u32_e32 v6, 29, v6
	v_and_b32_e32 v7, 7, v7
	v_cmp_eq_u16_e32 vcc, 0, v3
	v_cndmask_b32_e32 v4, v4, v7, vcc
	v_cndmask_b32_e32 v3, v3, v6, vcc
	v_lshlrev_b32_e32 v6, 24, v5
	v_mov_b32_e32 v7, 0x3b800000
	v_lshlrev_b32_e32 v4, 20, v4
	v_and_b32_e32 v6, 0x80000000, v6
	v_lshl_add_u32 v3, v3, 23, v7
	v_or3_b32 v3, v6, v3, v4
.LBB2_1000:
	s_or_b64 exec, exec, s[6:7]
	s_nop 0
	v_mfma_f32_16x16x4f32 a[0:3], v2, v3, a[0:3]
	v_lshrrev_b32_e32 v3, 8, v9
	s_movk_i32 s4, 0x7f
	v_cmp_gt_i16_sdwa s[6:7], v3, s4 src0_sel:BYTE_0 src1_sel:DWORD
	s_mov_b64 s[4:5], 0
                                        ; implicit-def: $sgpr10
	s_and_saveexec_b64 s[8:9], s[6:7]
	s_xor_b64 s[6:7], exec, s[8:9]
	s_cbranch_execnz .LBB2_3049
; %bb.1001:
	s_or_saveexec_b64 s[6:7], s[6:7]
	v_mov_b32_e32 v2, s10
	s_xor_b64 exec, exec, s[6:7]
	s_cbranch_execnz .LBB2_3052
.LBB2_1002:
	s_or_b64 exec, exec, s[6:7]
	s_and_saveexec_b64 s[6:7], s[4:5]
	s_cbranch_execz .LBB2_1004
.LBB2_1003:
	v_bfe_u32 v2, v9, 8, 3
	v_ffbh_u32_e32 v6, v2
	v_min_u32_e32 v6, 32, v6
	v_lshrrev_b16_e32 v4, 3, v3
	v_subrev_u32_e32 v7, 28, v6
	v_and_b32_e32 v4, 15, v4
	v_lshlrev_b32_e32 v3, v7, v3
	v_sub_u32_e32 v6, 29, v6
	v_and_b32_e32 v3, 7, v3
	v_cmp_eq_u16_e32 vcc, 0, v4
	v_cndmask_b32_e32 v2, v2, v3, vcc
	v_cndmask_b32_e32 v3, v4, v6, vcc
	v_lshlrev_b32_e32 v4, 16, v9
	v_mov_b32_e32 v6, 0x3b800000
	v_lshlrev_b32_e32 v2, 20, v2
	v_and_b32_e32 v4, 0x80000000, v4
	v_lshl_add_u32 v3, v3, 23, v6
	v_or3_b32 v2, v4, v3, v2
.LBB2_1004:
	s_or_b64 exec, exec, s[6:7]
	v_lshrrev_b32_e32 v3, 8, v5
	s_movk_i32 s4, 0x7f
	v_cmp_gt_i16_sdwa s[6:7], v3, s4 src0_sel:BYTE_0 src1_sel:DWORD
	s_mov_b64 s[4:5], 0
                                        ; implicit-def: $sgpr10
	s_and_saveexec_b64 s[8:9], s[6:7]
	s_xor_b64 s[6:7], exec, s[8:9]
	s_cbranch_execnz .LBB2_3053
; %bb.1005:
	s_or_saveexec_b64 s[6:7], s[6:7]
	v_mov_b32_e32 v4, s10
	s_xor_b64 exec, exec, s[6:7]
	s_cbranch_execnz .LBB2_3056
.LBB2_1006:
	s_or_b64 exec, exec, s[6:7]
	s_and_saveexec_b64 s[6:7], s[4:5]
	s_cbranch_execz .LBB2_1008
.LBB2_1007:
	v_bfe_u32 v4, v5, 8, 3
	v_ffbh_u32_e32 v7, v4
	v_min_u32_e32 v7, 32, v7
	v_lshrrev_b16_e32 v6, 3, v3
	v_subrev_u32_e32 v8, 28, v7
	v_and_b32_e32 v6, 15, v6
	v_lshlrev_b32_e32 v3, v8, v3
	v_sub_u32_e32 v7, 29, v7
	v_and_b32_e32 v3, 7, v3
	v_cmp_eq_u16_e32 vcc, 0, v6
	v_cndmask_b32_e32 v3, v4, v3, vcc
	v_cndmask_b32_e32 v4, v6, v7, vcc
	v_lshlrev_b32_e32 v6, 16, v5
	v_mov_b32_e32 v7, 0x3b800000
	v_lshlrev_b32_e32 v3, 20, v3
	v_and_b32_e32 v6, 0x80000000, v6
	v_lshl_add_u32 v4, v4, 23, v7
	v_or3_b32 v4, v6, v4, v3
.LBB2_1008:
	s_or_b64 exec, exec, s[6:7]
	s_nop 0
	v_mfma_f32_16x16x4f32 a[0:3], v2, v4, a[0:3]
	s_movk_i32 s4, 0xff
	v_and_b32_sdwa v3, v9, s4 dst_sel:DWORD dst_unused:UNUSED_PAD src0_sel:WORD_1 src1_sel:DWORD
	s_movk_i32 s4, 0x7f
	v_cmp_lt_i16_e32 vcc, s4, v3
	s_mov_b64 s[4:5], 0
                                        ; implicit-def: $sgpr10
	s_and_saveexec_b64 s[6:7], vcc
	s_xor_b64 s[6:7], exec, s[6:7]
	s_cbranch_execnz .LBB2_3057
; %bb.1009:
	s_or_saveexec_b64 s[6:7], s[6:7]
	v_mov_b32_e32 v2, s10
	s_xor_b64 exec, exec, s[6:7]
	s_cbranch_execnz .LBB2_3060
.LBB2_1010:
	s_or_b64 exec, exec, s[6:7]
	s_and_saveexec_b64 s[6:7], s[4:5]
	s_cbranch_execz .LBB2_1012
.LBB2_1011:
	v_bfe_u32 v2, v9, 16, 3
	v_ffbh_u32_e32 v6, v2
	v_min_u32_e32 v6, 32, v6
	v_lshrrev_b32_e32 v3, 19, v9
	v_subrev_u32_e32 v7, 28, v6
	v_and_b32_e32 v3, 15, v3
	v_lshlrev_b32_sdwa v7, v7, v9 dst_sel:DWORD dst_unused:UNUSED_PAD src0_sel:DWORD src1_sel:WORD_1
	v_bfe_u32 v4, v9, 19, 4
	v_sub_u32_e32 v6, 29, v6
	v_and_b32_e32 v7, 7, v7
	v_cmp_eq_u16_e32 vcc, 0, v3
	v_cndmask_b32_e32 v2, v2, v7, vcc
	v_cndmask_b32_e32 v3, v4, v6, vcc
	v_lshlrev_b32_e32 v4, 8, v9
	v_mov_b32_e32 v6, 0x3b800000
	v_lshlrev_b32_e32 v2, 20, v2
	v_and_b32_e32 v4, 0x80000000, v4
	v_lshl_add_u32 v3, v3, 23, v6
	v_or3_b32 v2, v4, v3, v2
.LBB2_1012:
	s_or_b64 exec, exec, s[6:7]
	s_movk_i32 s4, 0xff
	v_and_b32_sdwa v3, v5, s4 dst_sel:DWORD dst_unused:UNUSED_PAD src0_sel:WORD_1 src1_sel:DWORD
	s_movk_i32 s4, 0x7f
	v_cmp_lt_i16_e32 vcc, s4, v3
	s_mov_b64 s[4:5], 0
                                        ; implicit-def: $sgpr10
	s_and_saveexec_b64 s[6:7], vcc
	s_xor_b64 s[6:7], exec, s[6:7]
	s_cbranch_execnz .LBB2_3061
; %bb.1013:
	s_or_saveexec_b64 s[6:7], s[6:7]
	v_mov_b32_e32 v4, s10
	s_xor_b64 exec, exec, s[6:7]
	s_cbranch_execnz .LBB2_3064
.LBB2_1014:
	s_or_b64 exec, exec, s[6:7]
	s_and_saveexec_b64 s[6:7], s[4:5]
	s_cbranch_execz .LBB2_1016
.LBB2_1015:
	v_bfe_u32 v3, v5, 16, 3
	v_ffbh_u32_e32 v7, v3
	v_min_u32_e32 v7, 32, v7
	v_lshrrev_b32_e32 v4, 19, v5
	v_subrev_u32_e32 v8, 28, v7
	v_and_b32_e32 v4, 15, v4
	v_lshlrev_b32_sdwa v8, v8, v5 dst_sel:DWORD dst_unused:UNUSED_PAD src0_sel:DWORD src1_sel:WORD_1
	v_bfe_u32 v6, v5, 19, 4
	v_sub_u32_e32 v7, 29, v7
	v_and_b32_e32 v8, 7, v8
	v_cmp_eq_u16_e32 vcc, 0, v4
	v_cndmask_b32_e32 v3, v3, v8, vcc
	v_cndmask_b32_e32 v4, v6, v7, vcc
	v_lshlrev_b32_e32 v6, 8, v5
	v_mov_b32_e32 v7, 0x3b800000
	v_lshlrev_b32_e32 v3, 20, v3
	v_and_b32_e32 v6, 0x80000000, v6
	v_lshl_add_u32 v4, v4, 23, v7
	v_or3_b32 v4, v6, v4, v3
.LBB2_1016:
	s_or_b64 exec, exec, s[6:7]
	s_nop 0
	v_mfma_f32_16x16x4f32 a[0:3], v2, v4, a[0:3]
	s_movk_i32 s4, 0x7f
	v_cmp_gt_i16_sdwa s[6:7], v9, s4 src0_sel:BYTE_3 src1_sel:DWORD
	s_mov_b64 s[4:5], 0
                                        ; implicit-def: $sgpr10
	s_and_saveexec_b64 s[8:9], s[6:7]
	s_xor_b64 s[6:7], exec, s[8:9]
	s_cbranch_execnz .LBB2_3065
; %bb.1017:
	s_or_saveexec_b64 s[6:7], s[6:7]
	v_mov_b32_e32 v2, s10
	s_xor_b64 exec, exec, s[6:7]
	s_cbranch_execnz .LBB2_3068
.LBB2_1018:
	s_or_b64 exec, exec, s[6:7]
	s_and_saveexec_b64 s[6:7], s[4:5]
	s_cbranch_execz .LBB2_1020
.LBB2_1019:
	v_bfe_u32 v2, v9, 24, 3
	v_ffbh_u32_e32 v7, v2
	v_min_u32_e32 v7, 32, v7
	v_lshrrev_b32_e32 v4, 27, v9
	v_subrev_u32_e32 v8, 28, v7
	v_and_b32_e32 v4, 15, v4
	v_lshlrev_b32_sdwa v8, v8, v9 dst_sel:DWORD dst_unused:UNUSED_PAD src0_sel:DWORD src1_sel:BYTE_3
	v_bfe_u32 v6, v9, 27, 4
	v_sub_u32_e32 v7, 29, v7
	v_and_b32_e32 v8, 7, v8
	v_cmp_eq_u16_e32 vcc, 0, v4
	v_cndmask_b32_e32 v2, v2, v8, vcc
	v_cndmask_b32_e32 v4, v6, v7, vcc
	v_mov_b32_e32 v6, 0x3b800000
	v_and_b32_e32 v3, 0x80000000, v9
	v_lshlrev_b32_e32 v2, 20, v2
	v_lshl_add_u32 v4, v4, 23, v6
	v_or3_b32 v2, v3, v4, v2
.LBB2_1020:
	s_or_b64 exec, exec, s[6:7]
	s_movk_i32 s4, 0x7f
	v_cmp_gt_i16_sdwa s[6:7], v5, s4 src0_sel:BYTE_3 src1_sel:DWORD
	s_mov_b64 s[4:5], 0
                                        ; implicit-def: $sgpr10
	s_and_saveexec_b64 s[8:9], s[6:7]
	s_xor_b64 s[6:7], exec, s[8:9]
	s_cbranch_execnz .LBB2_3069
; %bb.1021:
	s_or_saveexec_b64 s[6:7], s[6:7]
	v_mov_b32_e32 v3, s10
	s_xor_b64 exec, exec, s[6:7]
	s_cbranch_execnz .LBB2_3072
.LBB2_1022:
	s_or_b64 exec, exec, s[6:7]
	s_and_saveexec_b64 s[6:7], s[4:5]
	s_cbranch_execz .LBB2_1024
.LBB2_1023:
	v_bfe_u32 v3, v5, 24, 3
	v_ffbh_u32_e32 v8, v3
	v_min_u32_e32 v8, 32, v8
	v_lshrrev_b32_e32 v6, 27, v5
	v_subrev_u32_e32 v9, 28, v8
	v_and_b32_e32 v4, 0x80000000, v5
	v_and_b32_e32 v6, 15, v6
	v_bfe_u32 v7, v5, 27, 4
	v_lshlrev_b32_sdwa v5, v9, v5 dst_sel:DWORD dst_unused:UNUSED_PAD src0_sel:DWORD src1_sel:BYTE_3
	v_sub_u32_e32 v8, 29, v8
	v_and_b32_e32 v5, 7, v5
	v_cmp_eq_u16_e32 vcc, 0, v6
	v_cndmask_b32_e32 v3, v3, v5, vcc
	v_cndmask_b32_e32 v5, v7, v8, vcc
	v_mov_b32_e32 v6, 0x3b800000
	v_lshlrev_b32_e32 v3, 20, v3
	v_lshl_add_u32 v5, v5, 23, v6
	v_or3_b32 v3, v4, v5, v3
.LBB2_1024:
	s_or_b64 exec, exec, s[6:7]
	s_nop 0
	v_mfma_f32_16x16x4f32 a[0:3], v2, v3, a[0:3]
	s_movk_i32 s4, 0x7f
                                        ; implicit-def: $sgpr10
	s_nop 7
	s_nop 1
	flat_store_dwordx4 v[10:11], a[0:3] offset:112
	flat_load_dwordx4 v[12:15], v[0:1] offset:8
	s_nop 0
	flat_load_dwordx2 v[10:11], v[0:1] offset:32
	s_waitcnt vmcnt(0) lgkmcnt(0)
	flat_load_dwordx4 v[6:9], v[12:13] offset:80
	flat_load_dwordx4 v[2:5], v[14:15] offset:16
	s_waitcnt vmcnt(0) lgkmcnt(0)
	v_cmp_gt_i16_sdwa s[6:7], v6, s4 src0_sel:BYTE_0 src1_sel:DWORD
	s_mov_b64 s[4:5], 0
	s_and_saveexec_b64 s[8:9], s[6:7]
	s_xor_b64 s[6:7], exec, s[8:9]
	s_cbranch_execnz .LBB2_3073
; %bb.1025:
	s_or_saveexec_b64 s[6:7], s[6:7]
	v_mov_b32_e32 v12, s10
	s_xor_b64 exec, exec, s[6:7]
	s_cbranch_execnz .LBB2_3076
.LBB2_1026:
	s_or_b64 exec, exec, s[6:7]
	s_and_saveexec_b64 s[6:7], s[4:5]
	s_cbranch_execz .LBB2_1028
.LBB2_1027:
	v_and_b32_e32 v12, 7, v6
	v_ffbh_u32_e32 v14, v12
	v_min_u32_e32 v14, 32, v14
	v_lshrrev_b16_e32 v13, 3, v6
	v_subrev_u32_e32 v15, 28, v14
	v_and_b32_e32 v13, 15, v13
	v_lshlrev_b32_e32 v15, v15, v6
	v_sub_u32_e32 v14, 29, v14
	v_and_b32_e32 v15, 7, v15
	v_cmp_eq_u16_e32 vcc, 0, v13
	v_cndmask_b32_e32 v12, v12, v15, vcc
	v_cndmask_b32_e32 v13, v13, v14, vcc
	v_lshlrev_b32_e32 v14, 24, v6
	v_mov_b32_e32 v15, 0x3b800000
	v_lshlrev_b32_e32 v12, 20, v12
	v_and_b32_e32 v14, 0x80000000, v14
	v_lshl_add_u32 v13, v13, 23, v15
	v_or3_b32 v12, v14, v13, v12
.LBB2_1028:
	s_or_b64 exec, exec, s[6:7]
	s_movk_i32 s4, 0x7f
	v_cmp_gt_i16_sdwa s[6:7], v2, s4 src0_sel:BYTE_0 src1_sel:DWORD
	s_mov_b64 s[4:5], 0
                                        ; implicit-def: $sgpr10
	s_and_saveexec_b64 s[8:9], s[6:7]
	s_xor_b64 s[6:7], exec, s[8:9]
	s_cbranch_execnz .LBB2_3077
; %bb.1029:
	s_or_saveexec_b64 s[6:7], s[6:7]
	v_mov_b32_e32 v13, s10
	s_xor_b64 exec, exec, s[6:7]
	s_cbranch_execnz .LBB2_3080
.LBB2_1030:
	s_or_b64 exec, exec, s[6:7]
	s_and_saveexec_b64 s[6:7], s[4:5]
	s_cbranch_execz .LBB2_1032
.LBB2_1031:
	v_and_b32_e32 v13, 7, v2
	v_ffbh_u32_e32 v15, v13
	v_min_u32_e32 v15, 32, v15
	v_lshrrev_b16_e32 v14, 3, v2
	v_subrev_u32_e32 v16, 28, v15
	v_and_b32_e32 v14, 15, v14
	v_lshlrev_b32_e32 v16, v16, v2
	v_sub_u32_e32 v15, 29, v15
	v_and_b32_e32 v16, 7, v16
	v_cmp_eq_u16_e32 vcc, 0, v14
	v_cndmask_b32_e32 v13, v13, v16, vcc
	v_cndmask_b32_e32 v14, v14, v15, vcc
	v_lshlrev_b32_e32 v15, 24, v2
	v_mov_b32_e32 v16, 0x3b800000
	v_lshlrev_b32_e32 v13, 20, v13
	v_and_b32_e32 v15, 0x80000000, v15
	v_lshl_add_u32 v14, v14, 23, v16
	v_or3_b32 v13, v15, v14, v13
.LBB2_1032:
	s_or_b64 exec, exec, s[6:7]
	flat_load_dwordx4 a[0:3], v[10:11] offset:128
	s_movk_i32 s4, 0x7f
                                        ; implicit-def: $sgpr10
	s_waitcnt vmcnt(0) lgkmcnt(0)
	v_mfma_f32_16x16x4f32 a[0:3], v12, v13, a[0:3]
	v_lshrrev_b32_e32 v13, 8, v6
	v_cmp_gt_i16_sdwa s[6:7], v13, s4 src0_sel:BYTE_0 src1_sel:DWORD
	s_mov_b64 s[4:5], 0
	s_and_saveexec_b64 s[8:9], s[6:7]
	s_xor_b64 s[6:7], exec, s[8:9]
	s_cbranch_execnz .LBB2_3081
; %bb.1033:
	s_or_saveexec_b64 s[6:7], s[6:7]
	v_mov_b32_e32 v12, s10
	s_xor_b64 exec, exec, s[6:7]
	s_cbranch_execnz .LBB2_3084
.LBB2_1034:
	s_or_b64 exec, exec, s[6:7]
	s_and_saveexec_b64 s[6:7], s[4:5]
	s_cbranch_execz .LBB2_1036
.LBB2_1035:
	v_bfe_u32 v12, v6, 8, 3
	v_ffbh_u32_e32 v15, v12
	v_min_u32_e32 v15, 32, v15
	v_lshrrev_b16_e32 v14, 3, v13
	v_subrev_u32_e32 v16, 28, v15
	v_and_b32_e32 v14, 15, v14
	v_lshlrev_b32_e32 v13, v16, v13
	v_sub_u32_e32 v15, 29, v15
	v_and_b32_e32 v13, 7, v13
	v_cmp_eq_u16_e32 vcc, 0, v14
	v_cndmask_b32_e32 v12, v12, v13, vcc
	v_cndmask_b32_e32 v13, v14, v15, vcc
	v_lshlrev_b32_e32 v14, 16, v6
	v_mov_b32_e32 v15, 0x3b800000
	v_lshlrev_b32_e32 v12, 20, v12
	v_and_b32_e32 v14, 0x80000000, v14
	v_lshl_add_u32 v13, v13, 23, v15
	v_or3_b32 v12, v14, v13, v12
.LBB2_1036:
	s_or_b64 exec, exec, s[6:7]
	v_lshrrev_b32_e32 v13, 8, v2
	s_movk_i32 s4, 0x7f
	v_cmp_gt_i16_sdwa s[6:7], v13, s4 src0_sel:BYTE_0 src1_sel:DWORD
	s_mov_b64 s[4:5], 0
                                        ; implicit-def: $sgpr10
	s_and_saveexec_b64 s[8:9], s[6:7]
	s_xor_b64 s[6:7], exec, s[8:9]
	s_cbranch_execnz .LBB2_3085
; %bb.1037:
	s_or_saveexec_b64 s[6:7], s[6:7]
	v_mov_b32_e32 v14, s10
	s_xor_b64 exec, exec, s[6:7]
	s_cbranch_execnz .LBB2_3088
.LBB2_1038:
	s_or_b64 exec, exec, s[6:7]
	s_and_saveexec_b64 s[6:7], s[4:5]
	s_cbranch_execz .LBB2_1040
.LBB2_1039:
	v_bfe_u32 v14, v2, 8, 3
	v_ffbh_u32_e32 v16, v14
	v_min_u32_e32 v16, 32, v16
	v_lshrrev_b16_e32 v15, 3, v13
	v_subrev_u32_e32 v17, 28, v16
	v_and_b32_e32 v15, 15, v15
	v_lshlrev_b32_e32 v13, v17, v13
	v_sub_u32_e32 v16, 29, v16
	v_and_b32_e32 v13, 7, v13
	v_cmp_eq_u16_e32 vcc, 0, v15
	v_cndmask_b32_e32 v13, v14, v13, vcc
	v_cndmask_b32_e32 v14, v15, v16, vcc
	v_lshlrev_b32_e32 v15, 16, v2
	v_mov_b32_e32 v16, 0x3b800000
	v_lshlrev_b32_e32 v13, 20, v13
	v_and_b32_e32 v15, 0x80000000, v15
	v_lshl_add_u32 v14, v14, 23, v16
	v_or3_b32 v14, v15, v14, v13
.LBB2_1040:
	s_or_b64 exec, exec, s[6:7]
	s_nop 0
	v_mfma_f32_16x16x4f32 a[0:3], v12, v14, a[0:3]
	s_movk_i32 s4, 0xff
	v_and_b32_sdwa v13, v6, s4 dst_sel:DWORD dst_unused:UNUSED_PAD src0_sel:WORD_1 src1_sel:DWORD
	s_movk_i32 s4, 0x7f
	v_cmp_lt_i16_e32 vcc, s4, v13
	s_mov_b64 s[4:5], 0
                                        ; implicit-def: $sgpr10
	s_and_saveexec_b64 s[6:7], vcc
	s_xor_b64 s[6:7], exec, s[6:7]
	s_cbranch_execnz .LBB2_3089
; %bb.1041:
	s_or_saveexec_b64 s[6:7], s[6:7]
	v_mov_b32_e32 v12, s10
	s_xor_b64 exec, exec, s[6:7]
	s_cbranch_execnz .LBB2_3092
.LBB2_1042:
	s_or_b64 exec, exec, s[6:7]
	s_and_saveexec_b64 s[6:7], s[4:5]
	s_cbranch_execz .LBB2_1044
.LBB2_1043:
	v_bfe_u32 v12, v6, 16, 3
	v_ffbh_u32_e32 v15, v12
	v_min_u32_e32 v15, 32, v15
	v_lshrrev_b32_e32 v13, 19, v6
	v_subrev_u32_e32 v16, 28, v15
	v_and_b32_e32 v13, 15, v13
	v_lshlrev_b32_sdwa v16, v16, v6 dst_sel:DWORD dst_unused:UNUSED_PAD src0_sel:DWORD src1_sel:WORD_1
	v_bfe_u32 v14, v6, 19, 4
	v_sub_u32_e32 v15, 29, v15
	v_and_b32_e32 v16, 7, v16
	v_cmp_eq_u16_e32 vcc, 0, v13
	v_cndmask_b32_e32 v12, v12, v16, vcc
	v_cndmask_b32_e32 v13, v14, v15, vcc
	v_lshlrev_b32_e32 v14, 8, v6
	v_mov_b32_e32 v15, 0x3b800000
	v_lshlrev_b32_e32 v12, 20, v12
	v_and_b32_e32 v14, 0x80000000, v14
	v_lshl_add_u32 v13, v13, 23, v15
	v_or3_b32 v12, v14, v13, v12
.LBB2_1044:
	s_or_b64 exec, exec, s[6:7]
	s_movk_i32 s4, 0xff
	v_and_b32_sdwa v13, v2, s4 dst_sel:DWORD dst_unused:UNUSED_PAD src0_sel:WORD_1 src1_sel:DWORD
	s_movk_i32 s4, 0x7f
	v_cmp_lt_i16_e32 vcc, s4, v13
	s_mov_b64 s[4:5], 0
                                        ; implicit-def: $sgpr10
	s_and_saveexec_b64 s[6:7], vcc
	s_xor_b64 s[6:7], exec, s[6:7]
	s_cbranch_execnz .LBB2_3093
; %bb.1045:
	s_or_saveexec_b64 s[6:7], s[6:7]
	v_mov_b32_e32 v14, s10
	s_xor_b64 exec, exec, s[6:7]
	s_cbranch_execnz .LBB2_3096
.LBB2_1046:
	s_or_b64 exec, exec, s[6:7]
	s_and_saveexec_b64 s[6:7], s[4:5]
	s_cbranch_execz .LBB2_1048
.LBB2_1047:
	v_bfe_u32 v13, v2, 16, 3
	v_ffbh_u32_e32 v16, v13
	v_min_u32_e32 v16, 32, v16
	v_lshrrev_b32_e32 v14, 19, v2
	v_subrev_u32_e32 v17, 28, v16
	v_and_b32_e32 v14, 15, v14
	v_lshlrev_b32_sdwa v17, v17, v2 dst_sel:DWORD dst_unused:UNUSED_PAD src0_sel:DWORD src1_sel:WORD_1
	v_bfe_u32 v15, v2, 19, 4
	v_sub_u32_e32 v16, 29, v16
	v_and_b32_e32 v17, 7, v17
	v_cmp_eq_u16_e32 vcc, 0, v14
	v_cndmask_b32_e32 v13, v13, v17, vcc
	v_cndmask_b32_e32 v14, v15, v16, vcc
	v_lshlrev_b32_e32 v15, 8, v2
	v_mov_b32_e32 v16, 0x3b800000
	v_lshlrev_b32_e32 v13, 20, v13
	v_and_b32_e32 v15, 0x80000000, v15
	v_lshl_add_u32 v14, v14, 23, v16
	v_or3_b32 v14, v15, v14, v13
.LBB2_1048:
	s_or_b64 exec, exec, s[6:7]
	s_nop 0
	v_mfma_f32_16x16x4f32 a[0:3], v12, v14, a[0:3]
	s_movk_i32 s4, 0x7f
	v_cmp_gt_i16_sdwa s[6:7], v6, s4 src0_sel:BYTE_3 src1_sel:DWORD
	s_mov_b64 s[4:5], 0
                                        ; implicit-def: $sgpr10
	s_and_saveexec_b64 s[8:9], s[6:7]
	s_xor_b64 s[6:7], exec, s[8:9]
	s_cbranch_execnz .LBB2_3097
; %bb.1049:
	s_or_saveexec_b64 s[6:7], s[6:7]
	v_mov_b32_e32 v12, s10
	s_xor_b64 exec, exec, s[6:7]
	s_cbranch_execnz .LBB2_3100
.LBB2_1050:
	s_or_b64 exec, exec, s[6:7]
	s_and_saveexec_b64 s[6:7], s[4:5]
	s_cbranch_execz .LBB2_1052
.LBB2_1051:
	v_bfe_u32 v12, v6, 24, 3
	v_ffbh_u32_e32 v16, v12
	v_min_u32_e32 v16, 32, v16
	v_lshrrev_b32_e32 v14, 27, v6
	v_subrev_u32_e32 v17, 28, v16
	v_and_b32_e32 v13, 0x80000000, v6
	v_and_b32_e32 v14, 15, v14
	v_bfe_u32 v15, v6, 27, 4
	v_lshlrev_b32_sdwa v6, v17, v6 dst_sel:DWORD dst_unused:UNUSED_PAD src0_sel:DWORD src1_sel:BYTE_3
	v_sub_u32_e32 v16, 29, v16
	v_and_b32_e32 v6, 7, v6
	v_cmp_eq_u16_e32 vcc, 0, v14
	v_cndmask_b32_e32 v6, v12, v6, vcc
	v_cndmask_b32_e32 v12, v15, v16, vcc
	v_mov_b32_e32 v14, 0x3b800000
	v_lshlrev_b32_e32 v6, 20, v6
	v_lshl_add_u32 v12, v12, 23, v14
	v_or3_b32 v12, v13, v12, v6
.LBB2_1052:
	s_or_b64 exec, exec, s[6:7]
	s_movk_i32 s4, 0x7f
	v_cmp_gt_i16_sdwa s[6:7], v2, s4 src0_sel:BYTE_3 src1_sel:DWORD
	s_mov_b64 s[4:5], 0
                                        ; implicit-def: $sgpr10
	s_and_saveexec_b64 s[8:9], s[6:7]
	s_xor_b64 s[6:7], exec, s[8:9]
	s_cbranch_execnz .LBB2_3101
; %bb.1053:
	s_or_saveexec_b64 s[6:7], s[6:7]
	v_mov_b32_e32 v6, s10
	s_xor_b64 exec, exec, s[6:7]
	s_cbranch_execnz .LBB2_3104
.LBB2_1054:
	s_or_b64 exec, exec, s[6:7]
	s_and_saveexec_b64 s[6:7], s[4:5]
	s_cbranch_execz .LBB2_1056
.LBB2_1055:
	v_bfe_u32 v6, v2, 24, 3
	v_ffbh_u32_e32 v16, v6
	v_min_u32_e32 v16, 32, v16
	v_lshrrev_b32_e32 v14, 27, v2
	v_subrev_u32_e32 v17, 28, v16
	v_and_b32_e32 v13, 0x80000000, v2
	v_and_b32_e32 v14, 15, v14
	v_bfe_u32 v15, v2, 27, 4
	v_lshlrev_b32_sdwa v2, v17, v2 dst_sel:DWORD dst_unused:UNUSED_PAD src0_sel:DWORD src1_sel:BYTE_3
	v_sub_u32_e32 v16, 29, v16
	v_and_b32_e32 v2, 7, v2
	v_cmp_eq_u16_e32 vcc, 0, v14
	v_cndmask_b32_e32 v2, v6, v2, vcc
	v_cndmask_b32_e32 v6, v15, v16, vcc
	v_mov_b32_e32 v14, 0x3b800000
	v_lshlrev_b32_e32 v2, 20, v2
	v_lshl_add_u32 v6, v6, 23, v14
	v_or3_b32 v6, v13, v6, v2
.LBB2_1056:
	s_or_b64 exec, exec, s[6:7]
	s_nop 0
	v_mfma_f32_16x16x4f32 a[0:3], v12, v6, a[0:3]
	s_movk_i32 s4, 0x7f
	v_cmp_gt_i16_sdwa s[6:7], v7, s4 src0_sel:BYTE_0 src1_sel:DWORD
	s_mov_b64 s[4:5], 0
                                        ; implicit-def: $sgpr10
	s_and_saveexec_b64 s[8:9], s[6:7]
	s_xor_b64 s[6:7], exec, s[8:9]
	s_cbranch_execnz .LBB2_3105
; %bb.1057:
	s_or_saveexec_b64 s[6:7], s[6:7]
	v_mov_b32_e32 v2, s10
	s_xor_b64 exec, exec, s[6:7]
	s_cbranch_execnz .LBB2_3108
.LBB2_1058:
	s_or_b64 exec, exec, s[6:7]
	s_and_saveexec_b64 s[6:7], s[4:5]
	s_cbranch_execz .LBB2_1060
.LBB2_1059:
	v_and_b32_e32 v2, 7, v7
	v_ffbh_u32_e32 v12, v2
	v_min_u32_e32 v12, 32, v12
	v_lshrrev_b16_e32 v6, 3, v7
	v_subrev_u32_e32 v13, 28, v12
	v_and_b32_e32 v6, 15, v6
	v_lshlrev_b32_e32 v13, v13, v7
	v_sub_u32_e32 v12, 29, v12
	v_and_b32_e32 v13, 7, v13
	v_cmp_eq_u16_e32 vcc, 0, v6
	v_cndmask_b32_e32 v2, v2, v13, vcc
	v_cndmask_b32_e32 v6, v6, v12, vcc
	v_lshlrev_b32_e32 v12, 24, v7
	v_mov_b32_e32 v13, 0x3b800000
	v_lshlrev_b32_e32 v2, 20, v2
	v_and_b32_e32 v12, 0x80000000, v12
	v_lshl_add_u32 v6, v6, 23, v13
	v_or3_b32 v2, v12, v6, v2
.LBB2_1060:
	s_or_b64 exec, exec, s[6:7]
	s_movk_i32 s4, 0x7f
	v_cmp_gt_i16_sdwa s[6:7], v3, s4 src0_sel:BYTE_0 src1_sel:DWORD
	s_mov_b64 s[4:5], 0
                                        ; implicit-def: $sgpr10
	s_and_saveexec_b64 s[8:9], s[6:7]
	s_xor_b64 s[6:7], exec, s[8:9]
	s_cbranch_execnz .LBB2_3109
; %bb.1061:
	s_or_saveexec_b64 s[6:7], s[6:7]
	v_mov_b32_e32 v6, s10
	s_xor_b64 exec, exec, s[6:7]
	s_cbranch_execnz .LBB2_3112
.LBB2_1062:
	s_or_b64 exec, exec, s[6:7]
	s_and_saveexec_b64 s[6:7], s[4:5]
	s_cbranch_execz .LBB2_1064
.LBB2_1063:
	v_and_b32_e32 v6, 7, v3
	v_ffbh_u32_e32 v13, v6
	v_min_u32_e32 v13, 32, v13
	v_lshrrev_b16_e32 v12, 3, v3
	v_subrev_u32_e32 v14, 28, v13
	v_and_b32_e32 v12, 15, v12
	v_lshlrev_b32_e32 v14, v14, v3
	v_sub_u32_e32 v13, 29, v13
	v_and_b32_e32 v14, 7, v14
	v_cmp_eq_u16_e32 vcc, 0, v12
	v_cndmask_b32_e32 v6, v6, v14, vcc
	v_cndmask_b32_e32 v12, v12, v13, vcc
	v_lshlrev_b32_e32 v13, 24, v3
	v_mov_b32_e32 v14, 0x3b800000
	v_lshlrev_b32_e32 v6, 20, v6
	v_and_b32_e32 v13, 0x80000000, v13
	v_lshl_add_u32 v12, v12, 23, v14
	v_or3_b32 v6, v13, v12, v6
.LBB2_1064:
	s_or_b64 exec, exec, s[6:7]
	s_nop 0
	v_mfma_f32_16x16x4f32 a[0:3], v2, v6, a[0:3]
	v_lshrrev_b32_e32 v6, 8, v7
	s_movk_i32 s4, 0x7f
	v_cmp_gt_i16_sdwa s[6:7], v6, s4 src0_sel:BYTE_0 src1_sel:DWORD
	s_mov_b64 s[4:5], 0
                                        ; implicit-def: $sgpr10
	s_and_saveexec_b64 s[8:9], s[6:7]
	s_xor_b64 s[6:7], exec, s[8:9]
	s_cbranch_execnz .LBB2_3113
; %bb.1065:
	s_or_saveexec_b64 s[6:7], s[6:7]
	v_mov_b32_e32 v2, s10
	s_xor_b64 exec, exec, s[6:7]
	s_cbranch_execnz .LBB2_3116
.LBB2_1066:
	s_or_b64 exec, exec, s[6:7]
	s_and_saveexec_b64 s[6:7], s[4:5]
	s_cbranch_execz .LBB2_1068
.LBB2_1067:
	v_bfe_u32 v2, v7, 8, 3
	v_ffbh_u32_e32 v13, v2
	v_min_u32_e32 v13, 32, v13
	v_lshrrev_b16_e32 v12, 3, v6
	v_subrev_u32_e32 v14, 28, v13
	v_and_b32_e32 v12, 15, v12
	v_lshlrev_b32_e32 v6, v14, v6
	v_sub_u32_e32 v13, 29, v13
	v_and_b32_e32 v6, 7, v6
	v_cmp_eq_u16_e32 vcc, 0, v12
	v_cndmask_b32_e32 v2, v2, v6, vcc
	v_cndmask_b32_e32 v6, v12, v13, vcc
	v_lshlrev_b32_e32 v12, 16, v7
	v_mov_b32_e32 v13, 0x3b800000
	v_lshlrev_b32_e32 v2, 20, v2
	v_and_b32_e32 v12, 0x80000000, v12
	v_lshl_add_u32 v6, v6, 23, v13
	v_or3_b32 v2, v12, v6, v2
.LBB2_1068:
	s_or_b64 exec, exec, s[6:7]
	v_lshrrev_b32_e32 v6, 8, v3
	s_movk_i32 s4, 0x7f
	v_cmp_gt_i16_sdwa s[6:7], v6, s4 src0_sel:BYTE_0 src1_sel:DWORD
	s_mov_b64 s[4:5], 0
                                        ; implicit-def: $sgpr10
	s_and_saveexec_b64 s[8:9], s[6:7]
	s_xor_b64 s[6:7], exec, s[8:9]
	s_cbranch_execnz .LBB2_3117
; %bb.1069:
	s_or_saveexec_b64 s[6:7], s[6:7]
	v_mov_b32_e32 v12, s10
	s_xor_b64 exec, exec, s[6:7]
	s_cbranch_execnz .LBB2_3120
.LBB2_1070:
	s_or_b64 exec, exec, s[6:7]
	s_and_saveexec_b64 s[6:7], s[4:5]
	s_cbranch_execz .LBB2_1072
.LBB2_1071:
	v_bfe_u32 v12, v3, 8, 3
	v_ffbh_u32_e32 v14, v12
	v_min_u32_e32 v14, 32, v14
	v_lshrrev_b16_e32 v13, 3, v6
	v_subrev_u32_e32 v15, 28, v14
	v_and_b32_e32 v13, 15, v13
	v_lshlrev_b32_e32 v6, v15, v6
	v_sub_u32_e32 v14, 29, v14
	v_and_b32_e32 v6, 7, v6
	v_cmp_eq_u16_e32 vcc, 0, v13
	v_cndmask_b32_e32 v6, v12, v6, vcc
	v_cndmask_b32_e32 v12, v13, v14, vcc
	v_lshlrev_b32_e32 v13, 16, v3
	v_mov_b32_e32 v14, 0x3b800000
	v_lshlrev_b32_e32 v6, 20, v6
	v_and_b32_e32 v13, 0x80000000, v13
	v_lshl_add_u32 v12, v12, 23, v14
	v_or3_b32 v12, v13, v12, v6
.LBB2_1072:
	s_or_b64 exec, exec, s[6:7]
	s_nop 0
	v_mfma_f32_16x16x4f32 a[0:3], v2, v12, a[0:3]
	s_movk_i32 s4, 0xff
	v_and_b32_sdwa v6, v7, s4 dst_sel:DWORD dst_unused:UNUSED_PAD src0_sel:WORD_1 src1_sel:DWORD
	s_movk_i32 s4, 0x7f
	v_cmp_lt_i16_e32 vcc, s4, v6
	s_mov_b64 s[4:5], 0
                                        ; implicit-def: $sgpr10
	s_and_saveexec_b64 s[6:7], vcc
	s_xor_b64 s[6:7], exec, s[6:7]
	s_cbranch_execnz .LBB2_3121
; %bb.1073:
	s_or_saveexec_b64 s[6:7], s[6:7]
	v_mov_b32_e32 v2, s10
	s_xor_b64 exec, exec, s[6:7]
	s_cbranch_execnz .LBB2_3124
.LBB2_1074:
	s_or_b64 exec, exec, s[6:7]
	s_and_saveexec_b64 s[6:7], s[4:5]
	s_cbranch_execz .LBB2_1076
.LBB2_1075:
	v_bfe_u32 v2, v7, 16, 3
	v_ffbh_u32_e32 v13, v2
	v_min_u32_e32 v13, 32, v13
	v_lshrrev_b32_e32 v6, 19, v7
	v_subrev_u32_e32 v14, 28, v13
	v_and_b32_e32 v6, 15, v6
	v_lshlrev_b32_sdwa v14, v14, v7 dst_sel:DWORD dst_unused:UNUSED_PAD src0_sel:DWORD src1_sel:WORD_1
	v_bfe_u32 v12, v7, 19, 4
	v_sub_u32_e32 v13, 29, v13
	v_and_b32_e32 v14, 7, v14
	v_cmp_eq_u16_e32 vcc, 0, v6
	v_cndmask_b32_e32 v2, v2, v14, vcc
	v_cndmask_b32_e32 v6, v12, v13, vcc
	v_lshlrev_b32_e32 v12, 8, v7
	v_mov_b32_e32 v13, 0x3b800000
	v_lshlrev_b32_e32 v2, 20, v2
	v_and_b32_e32 v12, 0x80000000, v12
	v_lshl_add_u32 v6, v6, 23, v13
	v_or3_b32 v2, v12, v6, v2
.LBB2_1076:
	s_or_b64 exec, exec, s[6:7]
	s_movk_i32 s4, 0xff
	v_and_b32_sdwa v6, v3, s4 dst_sel:DWORD dst_unused:UNUSED_PAD src0_sel:WORD_1 src1_sel:DWORD
	s_movk_i32 s4, 0x7f
	v_cmp_lt_i16_e32 vcc, s4, v6
	s_mov_b64 s[4:5], 0
                                        ; implicit-def: $sgpr10
	s_and_saveexec_b64 s[6:7], vcc
	s_xor_b64 s[6:7], exec, s[6:7]
	s_cbranch_execnz .LBB2_3125
; %bb.1077:
	s_or_saveexec_b64 s[6:7], s[6:7]
	v_mov_b32_e32 v12, s10
	s_xor_b64 exec, exec, s[6:7]
	s_cbranch_execnz .LBB2_3128
.LBB2_1078:
	s_or_b64 exec, exec, s[6:7]
	s_and_saveexec_b64 s[6:7], s[4:5]
	s_cbranch_execz .LBB2_1080
.LBB2_1079:
	v_bfe_u32 v6, v3, 16, 3
	v_ffbh_u32_e32 v14, v6
	v_min_u32_e32 v14, 32, v14
	v_lshrrev_b32_e32 v12, 19, v3
	v_subrev_u32_e32 v15, 28, v14
	v_and_b32_e32 v12, 15, v12
	v_lshlrev_b32_sdwa v15, v15, v3 dst_sel:DWORD dst_unused:UNUSED_PAD src0_sel:DWORD src1_sel:WORD_1
	v_bfe_u32 v13, v3, 19, 4
	v_sub_u32_e32 v14, 29, v14
	v_and_b32_e32 v15, 7, v15
	v_cmp_eq_u16_e32 vcc, 0, v12
	v_cndmask_b32_e32 v6, v6, v15, vcc
	v_cndmask_b32_e32 v12, v13, v14, vcc
	v_lshlrev_b32_e32 v13, 8, v3
	v_mov_b32_e32 v14, 0x3b800000
	v_lshlrev_b32_e32 v6, 20, v6
	v_and_b32_e32 v13, 0x80000000, v13
	v_lshl_add_u32 v12, v12, 23, v14
	v_or3_b32 v12, v13, v12, v6
.LBB2_1080:
	s_or_b64 exec, exec, s[6:7]
	s_nop 0
	v_mfma_f32_16x16x4f32 a[0:3], v2, v12, a[0:3]
	s_movk_i32 s4, 0x7f
	v_cmp_gt_i16_sdwa s[6:7], v7, s4 src0_sel:BYTE_3 src1_sel:DWORD
	s_mov_b64 s[4:5], 0
                                        ; implicit-def: $sgpr10
	s_and_saveexec_b64 s[8:9], s[6:7]
	s_xor_b64 s[6:7], exec, s[8:9]
	s_cbranch_execnz .LBB2_3129
; %bb.1081:
	s_or_saveexec_b64 s[6:7], s[6:7]
	v_mov_b32_e32 v2, s10
	s_xor_b64 exec, exec, s[6:7]
	s_cbranch_execnz .LBB2_3132
.LBB2_1082:
	s_or_b64 exec, exec, s[6:7]
	s_and_saveexec_b64 s[6:7], s[4:5]
	s_cbranch_execz .LBB2_1084
.LBB2_1083:
	v_bfe_u32 v2, v7, 24, 3
	v_ffbh_u32_e32 v14, v2
	v_min_u32_e32 v14, 32, v14
	v_lshrrev_b32_e32 v12, 27, v7
	v_subrev_u32_e32 v15, 28, v14
	v_and_b32_e32 v6, 0x80000000, v7
	v_and_b32_e32 v12, 15, v12
	v_bfe_u32 v13, v7, 27, 4
	v_lshlrev_b32_sdwa v7, v15, v7 dst_sel:DWORD dst_unused:UNUSED_PAD src0_sel:DWORD src1_sel:BYTE_3
	v_sub_u32_e32 v14, 29, v14
	v_and_b32_e32 v7, 7, v7
	v_cmp_eq_u16_e32 vcc, 0, v12
	v_cndmask_b32_e32 v2, v2, v7, vcc
	v_cndmask_b32_e32 v7, v13, v14, vcc
	v_mov_b32_e32 v12, 0x3b800000
	v_lshlrev_b32_e32 v2, 20, v2
	v_lshl_add_u32 v7, v7, 23, v12
	v_or3_b32 v2, v6, v7, v2
.LBB2_1084:
	s_or_b64 exec, exec, s[6:7]
	s_movk_i32 s4, 0x7f
	v_cmp_gt_i16_sdwa s[6:7], v3, s4 src0_sel:BYTE_3 src1_sel:DWORD
	s_mov_b64 s[4:5], 0
                                        ; implicit-def: $sgpr10
	s_and_saveexec_b64 s[8:9], s[6:7]
	s_xor_b64 s[6:7], exec, s[8:9]
	s_cbranch_execnz .LBB2_3133
; %bb.1085:
	s_or_saveexec_b64 s[6:7], s[6:7]
	v_mov_b32_e32 v6, s10
	s_xor_b64 exec, exec, s[6:7]
	s_cbranch_execnz .LBB2_3136
.LBB2_1086:
	s_or_b64 exec, exec, s[6:7]
	s_and_saveexec_b64 s[6:7], s[4:5]
	s_cbranch_execz .LBB2_1088
.LBB2_1087:
	v_bfe_u32 v6, v3, 24, 3
	v_ffbh_u32_e32 v14, v6
	v_min_u32_e32 v14, 32, v14
	v_lshrrev_b32_e32 v12, 27, v3
	v_subrev_u32_e32 v15, 28, v14
	v_and_b32_e32 v7, 0x80000000, v3
	v_and_b32_e32 v12, 15, v12
	v_bfe_u32 v13, v3, 27, 4
	v_lshlrev_b32_sdwa v3, v15, v3 dst_sel:DWORD dst_unused:UNUSED_PAD src0_sel:DWORD src1_sel:BYTE_3
	v_sub_u32_e32 v14, 29, v14
	v_and_b32_e32 v3, 7, v3
	v_cmp_eq_u16_e32 vcc, 0, v12
	v_cndmask_b32_e32 v3, v6, v3, vcc
	v_cndmask_b32_e32 v6, v13, v14, vcc
	v_mov_b32_e32 v12, 0x3b800000
	v_lshlrev_b32_e32 v3, 20, v3
	v_lshl_add_u32 v6, v6, 23, v12
	v_or3_b32 v6, v7, v6, v3
.LBB2_1088:
	s_or_b64 exec, exec, s[6:7]
	s_nop 0
	v_mfma_f32_16x16x4f32 a[0:3], v2, v6, a[0:3]
	s_movk_i32 s4, 0x7f
	v_cmp_gt_i16_sdwa s[6:7], v8, s4 src0_sel:BYTE_0 src1_sel:DWORD
	s_mov_b64 s[4:5], 0
                                        ; implicit-def: $sgpr10
	s_and_saveexec_b64 s[8:9], s[6:7]
	s_xor_b64 s[6:7], exec, s[8:9]
	s_cbranch_execnz .LBB2_3137
; %bb.1089:
	s_or_saveexec_b64 s[6:7], s[6:7]
	v_mov_b32_e32 v2, s10
	s_xor_b64 exec, exec, s[6:7]
	s_cbranch_execnz .LBB2_3140
.LBB2_1090:
	s_or_b64 exec, exec, s[6:7]
	s_and_saveexec_b64 s[6:7], s[4:5]
	s_cbranch_execz .LBB2_1092
.LBB2_1091:
	v_and_b32_e32 v2, 7, v8
	v_ffbh_u32_e32 v6, v2
	v_min_u32_e32 v6, 32, v6
	v_lshrrev_b16_e32 v3, 3, v8
	v_subrev_u32_e32 v7, 28, v6
	v_and_b32_e32 v3, 15, v3
	v_lshlrev_b32_e32 v7, v7, v8
	v_sub_u32_e32 v6, 29, v6
	v_and_b32_e32 v7, 7, v7
	v_cmp_eq_u16_e32 vcc, 0, v3
	v_cndmask_b32_e32 v2, v2, v7, vcc
	v_cndmask_b32_e32 v3, v3, v6, vcc
	v_lshlrev_b32_e32 v6, 24, v8
	v_mov_b32_e32 v7, 0x3b800000
	v_lshlrev_b32_e32 v2, 20, v2
	v_and_b32_e32 v6, 0x80000000, v6
	v_lshl_add_u32 v3, v3, 23, v7
	v_or3_b32 v2, v6, v3, v2
.LBB2_1092:
	s_or_b64 exec, exec, s[6:7]
	s_movk_i32 s4, 0x7f
	v_cmp_gt_i16_sdwa s[6:7], v4, s4 src0_sel:BYTE_0 src1_sel:DWORD
	s_mov_b64 s[4:5], 0
                                        ; implicit-def: $sgpr10
	s_and_saveexec_b64 s[8:9], s[6:7]
	s_xor_b64 s[6:7], exec, s[8:9]
	s_cbranch_execnz .LBB2_3141
; %bb.1093:
	s_or_saveexec_b64 s[6:7], s[6:7]
	v_mov_b32_e32 v3, s10
	s_xor_b64 exec, exec, s[6:7]
	s_cbranch_execnz .LBB2_3144
.LBB2_1094:
	s_or_b64 exec, exec, s[6:7]
	s_and_saveexec_b64 s[6:7], s[4:5]
	s_cbranch_execz .LBB2_1096
.LBB2_1095:
	v_and_b32_e32 v3, 7, v4
	v_ffbh_u32_e32 v7, v3
	v_min_u32_e32 v7, 32, v7
	v_lshrrev_b16_e32 v6, 3, v4
	v_subrev_u32_e32 v12, 28, v7
	v_and_b32_e32 v6, 15, v6
	v_lshlrev_b32_e32 v12, v12, v4
	v_sub_u32_e32 v7, 29, v7
	v_and_b32_e32 v12, 7, v12
	v_cmp_eq_u16_e32 vcc, 0, v6
	v_cndmask_b32_e32 v3, v3, v12, vcc
	v_cndmask_b32_e32 v6, v6, v7, vcc
	v_lshlrev_b32_e32 v7, 24, v4
	v_mov_b32_e32 v12, 0x3b800000
	v_lshlrev_b32_e32 v3, 20, v3
	v_and_b32_e32 v7, 0x80000000, v7
	v_lshl_add_u32 v6, v6, 23, v12
	v_or3_b32 v3, v7, v6, v3
.LBB2_1096:
	s_or_b64 exec, exec, s[6:7]
	s_nop 0
	v_mfma_f32_16x16x4f32 a[0:3], v2, v3, a[0:3]
	v_lshrrev_b32_e32 v3, 8, v8
	s_movk_i32 s4, 0x7f
	v_cmp_gt_i16_sdwa s[6:7], v3, s4 src0_sel:BYTE_0 src1_sel:DWORD
	s_mov_b64 s[4:5], 0
                                        ; implicit-def: $sgpr10
	s_and_saveexec_b64 s[8:9], s[6:7]
	s_xor_b64 s[6:7], exec, s[8:9]
	s_cbranch_execnz .LBB2_3145
; %bb.1097:
	s_or_saveexec_b64 s[6:7], s[6:7]
	v_mov_b32_e32 v2, s10
	s_xor_b64 exec, exec, s[6:7]
	s_cbranch_execnz .LBB2_3148
.LBB2_1098:
	s_or_b64 exec, exec, s[6:7]
	s_and_saveexec_b64 s[6:7], s[4:5]
	s_cbranch_execz .LBB2_1100
.LBB2_1099:
	v_bfe_u32 v2, v8, 8, 3
	v_ffbh_u32_e32 v7, v2
	v_min_u32_e32 v7, 32, v7
	v_lshrrev_b16_e32 v6, 3, v3
	v_subrev_u32_e32 v12, 28, v7
	v_and_b32_e32 v6, 15, v6
	v_lshlrev_b32_e32 v3, v12, v3
	v_sub_u32_e32 v7, 29, v7
	v_and_b32_e32 v3, 7, v3
	v_cmp_eq_u16_e32 vcc, 0, v6
	v_cndmask_b32_e32 v2, v2, v3, vcc
	v_cndmask_b32_e32 v3, v6, v7, vcc
	v_lshlrev_b32_e32 v6, 16, v8
	v_mov_b32_e32 v7, 0x3b800000
	v_lshlrev_b32_e32 v2, 20, v2
	v_and_b32_e32 v6, 0x80000000, v6
	v_lshl_add_u32 v3, v3, 23, v7
	v_or3_b32 v2, v6, v3, v2
.LBB2_1100:
	s_or_b64 exec, exec, s[6:7]
	v_lshrrev_b32_e32 v3, 8, v4
	s_movk_i32 s4, 0x7f
	v_cmp_gt_i16_sdwa s[6:7], v3, s4 src0_sel:BYTE_0 src1_sel:DWORD
	s_mov_b64 s[4:5], 0
                                        ; implicit-def: $sgpr10
	s_and_saveexec_b64 s[8:9], s[6:7]
	s_xor_b64 s[6:7], exec, s[8:9]
	s_cbranch_execnz .LBB2_3149
; %bb.1101:
	s_or_saveexec_b64 s[6:7], s[6:7]
	v_mov_b32_e32 v6, s10
	s_xor_b64 exec, exec, s[6:7]
	s_cbranch_execnz .LBB2_3152
.LBB2_1102:
	s_or_b64 exec, exec, s[6:7]
	s_and_saveexec_b64 s[6:7], s[4:5]
	s_cbranch_execz .LBB2_1104
.LBB2_1103:
	v_bfe_u32 v6, v4, 8, 3
	v_ffbh_u32_e32 v12, v6
	v_min_u32_e32 v12, 32, v12
	v_lshrrev_b16_e32 v7, 3, v3
	v_subrev_u32_e32 v13, 28, v12
	v_and_b32_e32 v7, 15, v7
	v_lshlrev_b32_e32 v3, v13, v3
	v_sub_u32_e32 v12, 29, v12
	v_and_b32_e32 v3, 7, v3
	v_cmp_eq_u16_e32 vcc, 0, v7
	v_cndmask_b32_e32 v3, v6, v3, vcc
	v_cndmask_b32_e32 v6, v7, v12, vcc
	v_lshlrev_b32_e32 v7, 16, v4
	v_mov_b32_e32 v12, 0x3b800000
	v_lshlrev_b32_e32 v3, 20, v3
	v_and_b32_e32 v7, 0x80000000, v7
	v_lshl_add_u32 v6, v6, 23, v12
	v_or3_b32 v6, v7, v6, v3
.LBB2_1104:
	s_or_b64 exec, exec, s[6:7]
	s_nop 0
	v_mfma_f32_16x16x4f32 a[0:3], v2, v6, a[0:3]
	s_movk_i32 s4, 0xff
	v_and_b32_sdwa v3, v8, s4 dst_sel:DWORD dst_unused:UNUSED_PAD src0_sel:WORD_1 src1_sel:DWORD
	s_movk_i32 s4, 0x7f
	v_cmp_lt_i16_e32 vcc, s4, v3
	s_mov_b64 s[4:5], 0
                                        ; implicit-def: $sgpr10
	s_and_saveexec_b64 s[6:7], vcc
	s_xor_b64 s[6:7], exec, s[6:7]
	s_cbranch_execnz .LBB2_3153
; %bb.1105:
	s_or_saveexec_b64 s[6:7], s[6:7]
	v_mov_b32_e32 v2, s10
	s_xor_b64 exec, exec, s[6:7]
	s_cbranch_execnz .LBB2_3156
.LBB2_1106:
	s_or_b64 exec, exec, s[6:7]
	s_and_saveexec_b64 s[6:7], s[4:5]
	s_cbranch_execz .LBB2_1108
.LBB2_1107:
	v_bfe_u32 v2, v8, 16, 3
	v_ffbh_u32_e32 v7, v2
	v_min_u32_e32 v7, 32, v7
	v_lshrrev_b32_e32 v3, 19, v8
	v_subrev_u32_e32 v12, 28, v7
	v_and_b32_e32 v3, 15, v3
	v_lshlrev_b32_sdwa v12, v12, v8 dst_sel:DWORD dst_unused:UNUSED_PAD src0_sel:DWORD src1_sel:WORD_1
	v_bfe_u32 v6, v8, 19, 4
	v_sub_u32_e32 v7, 29, v7
	v_and_b32_e32 v12, 7, v12
	v_cmp_eq_u16_e32 vcc, 0, v3
	v_cndmask_b32_e32 v2, v2, v12, vcc
	v_cndmask_b32_e32 v3, v6, v7, vcc
	v_lshlrev_b32_e32 v6, 8, v8
	v_mov_b32_e32 v7, 0x3b800000
	v_lshlrev_b32_e32 v2, 20, v2
	v_and_b32_e32 v6, 0x80000000, v6
	v_lshl_add_u32 v3, v3, 23, v7
	v_or3_b32 v2, v6, v3, v2
.LBB2_1108:
	s_or_b64 exec, exec, s[6:7]
	s_movk_i32 s4, 0xff
	v_and_b32_sdwa v3, v4, s4 dst_sel:DWORD dst_unused:UNUSED_PAD src0_sel:WORD_1 src1_sel:DWORD
	s_movk_i32 s4, 0x7f
	v_cmp_lt_i16_e32 vcc, s4, v3
	s_mov_b64 s[4:5], 0
                                        ; implicit-def: $sgpr10
	s_and_saveexec_b64 s[6:7], vcc
	s_xor_b64 s[6:7], exec, s[6:7]
	s_cbranch_execnz .LBB2_3157
; %bb.1109:
	s_or_saveexec_b64 s[6:7], s[6:7]
	v_mov_b32_e32 v6, s10
	s_xor_b64 exec, exec, s[6:7]
	s_cbranch_execnz .LBB2_3160
.LBB2_1110:
	s_or_b64 exec, exec, s[6:7]
	s_and_saveexec_b64 s[6:7], s[4:5]
	s_cbranch_execz .LBB2_1112
.LBB2_1111:
	v_bfe_u32 v3, v4, 16, 3
	v_ffbh_u32_e32 v12, v3
	v_min_u32_e32 v12, 32, v12
	v_lshrrev_b32_e32 v6, 19, v4
	v_subrev_u32_e32 v13, 28, v12
	v_and_b32_e32 v6, 15, v6
	v_lshlrev_b32_sdwa v13, v13, v4 dst_sel:DWORD dst_unused:UNUSED_PAD src0_sel:DWORD src1_sel:WORD_1
	v_bfe_u32 v7, v4, 19, 4
	v_sub_u32_e32 v12, 29, v12
	v_and_b32_e32 v13, 7, v13
	v_cmp_eq_u16_e32 vcc, 0, v6
	v_cndmask_b32_e32 v3, v3, v13, vcc
	v_cndmask_b32_e32 v6, v7, v12, vcc
	v_lshlrev_b32_e32 v7, 8, v4
	v_mov_b32_e32 v12, 0x3b800000
	v_lshlrev_b32_e32 v3, 20, v3
	v_and_b32_e32 v7, 0x80000000, v7
	v_lshl_add_u32 v6, v6, 23, v12
	v_or3_b32 v6, v7, v6, v3
.LBB2_1112:
	s_or_b64 exec, exec, s[6:7]
	s_nop 0
	v_mfma_f32_16x16x4f32 a[0:3], v2, v6, a[0:3]
	s_movk_i32 s4, 0x7f
	v_cmp_gt_i16_sdwa s[6:7], v8, s4 src0_sel:BYTE_3 src1_sel:DWORD
	s_mov_b64 s[4:5], 0
                                        ; implicit-def: $sgpr10
	s_and_saveexec_b64 s[8:9], s[6:7]
	s_xor_b64 s[6:7], exec, s[8:9]
	s_cbranch_execnz .LBB2_3161
; %bb.1113:
	s_or_saveexec_b64 s[6:7], s[6:7]
	v_mov_b32_e32 v2, s10
	s_xor_b64 exec, exec, s[6:7]
	s_cbranch_execnz .LBB2_3164
.LBB2_1114:
	s_or_b64 exec, exec, s[6:7]
	s_and_saveexec_b64 s[6:7], s[4:5]
	s_cbranch_execz .LBB2_1116
.LBB2_1115:
	v_bfe_u32 v2, v8, 24, 3
	v_ffbh_u32_e32 v12, v2
	v_min_u32_e32 v12, 32, v12
	v_lshrrev_b32_e32 v6, 27, v8
	v_subrev_u32_e32 v13, 28, v12
	v_and_b32_e32 v3, 0x80000000, v8
	v_and_b32_e32 v6, 15, v6
	v_bfe_u32 v7, v8, 27, 4
	v_lshlrev_b32_sdwa v8, v13, v8 dst_sel:DWORD dst_unused:UNUSED_PAD src0_sel:DWORD src1_sel:BYTE_3
	v_sub_u32_e32 v12, 29, v12
	v_and_b32_e32 v8, 7, v8
	v_cmp_eq_u16_e32 vcc, 0, v6
	v_cndmask_b32_e32 v2, v2, v8, vcc
	v_cndmask_b32_e32 v6, v7, v12, vcc
	v_mov_b32_e32 v7, 0x3b800000
	v_lshlrev_b32_e32 v2, 20, v2
	v_lshl_add_u32 v6, v6, 23, v7
	v_or3_b32 v2, v3, v6, v2
.LBB2_1116:
	s_or_b64 exec, exec, s[6:7]
	s_movk_i32 s4, 0x7f
	v_cmp_gt_i16_sdwa s[6:7], v4, s4 src0_sel:BYTE_3 src1_sel:DWORD
	s_mov_b64 s[4:5], 0
                                        ; implicit-def: $sgpr10
	s_and_saveexec_b64 s[8:9], s[6:7]
	s_xor_b64 s[6:7], exec, s[8:9]
	s_cbranch_execnz .LBB2_3165
; %bb.1117:
	s_or_saveexec_b64 s[6:7], s[6:7]
	v_mov_b32_e32 v3, s10
	s_xor_b64 exec, exec, s[6:7]
	s_cbranch_execnz .LBB2_3168
.LBB2_1118:
	s_or_b64 exec, exec, s[6:7]
	s_and_saveexec_b64 s[6:7], s[4:5]
	s_cbranch_execz .LBB2_1120
.LBB2_1119:
	v_bfe_u32 v3, v4, 24, 3
	v_ffbh_u32_e32 v12, v3
	v_min_u32_e32 v12, 32, v12
	v_lshrrev_b32_e32 v7, 27, v4
	v_subrev_u32_e32 v13, 28, v12
	v_and_b32_e32 v6, 0x80000000, v4
	v_and_b32_e32 v7, 15, v7
	v_bfe_u32 v8, v4, 27, 4
	v_lshlrev_b32_sdwa v4, v13, v4 dst_sel:DWORD dst_unused:UNUSED_PAD src0_sel:DWORD src1_sel:BYTE_3
	v_sub_u32_e32 v12, 29, v12
	v_and_b32_e32 v4, 7, v4
	v_cmp_eq_u16_e32 vcc, 0, v7
	v_cndmask_b32_e32 v3, v3, v4, vcc
	v_cndmask_b32_e32 v4, v8, v12, vcc
	v_mov_b32_e32 v7, 0x3b800000
	v_lshlrev_b32_e32 v3, 20, v3
	v_lshl_add_u32 v4, v4, 23, v7
	v_or3_b32 v3, v6, v4, v3
.LBB2_1120:
	s_or_b64 exec, exec, s[6:7]
	s_nop 0
	v_mfma_f32_16x16x4f32 a[0:3], v2, v3, a[0:3]
	s_movk_i32 s4, 0x7f
	v_cmp_gt_i16_sdwa s[6:7], v9, s4 src0_sel:BYTE_0 src1_sel:DWORD
	s_mov_b64 s[4:5], 0
                                        ; implicit-def: $sgpr10
	s_and_saveexec_b64 s[8:9], s[6:7]
	s_xor_b64 s[6:7], exec, s[8:9]
	s_cbranch_execnz .LBB2_3169
; %bb.1121:
	s_or_saveexec_b64 s[6:7], s[6:7]
	v_mov_b32_e32 v2, s10
	s_xor_b64 exec, exec, s[6:7]
	s_cbranch_execnz .LBB2_3172
.LBB2_1122:
	s_or_b64 exec, exec, s[6:7]
	s_and_saveexec_b64 s[6:7], s[4:5]
	s_cbranch_execz .LBB2_1124
.LBB2_1123:
	v_mov_b32_e32 v2, 8
	v_and_b32_e32 v3, 7, v9
	v_lshrrev_b32_sdwa v2, v2, v9 dst_sel:BYTE_1 dst_unused:UNUSED_PAD src0_sel:DWORD src1_sel:DWORD
	v_ffbh_u32_e32 v4, v3
	v_or_b32_sdwa v2, v9, v2 dst_sel:DWORD dst_unused:UNUSED_PAD src0_sel:BYTE_0 src1_sel:DWORD
	v_min_u32_e32 v4, 32, v4
	v_lshrrev_b16_e32 v2, 3, v2
	v_subrev_u32_e32 v6, 28, v4
	v_and_b32_e32 v2, 15, v2
	v_lshlrev_b32_e32 v6, v6, v9
	v_sub_u32_e32 v4, 29, v4
	v_and_b32_e32 v6, 7, v6
	v_cmp_eq_u16_e32 vcc, 0, v2
	v_cndmask_b32_e32 v3, v3, v6, vcc
	v_cndmask_b32_e32 v2, v2, v4, vcc
	v_lshlrev_b32_e32 v4, 24, v9
	v_mov_b32_e32 v6, 0x3b800000
	v_lshlrev_b32_e32 v3, 20, v3
	v_and_b32_e32 v4, 0x80000000, v4
	v_lshl_add_u32 v2, v2, 23, v6
	v_or3_b32 v2, v4, v2, v3
.LBB2_1124:
	s_or_b64 exec, exec, s[6:7]
	s_movk_i32 s4, 0x7f
	v_cmp_gt_i16_sdwa s[6:7], v5, s4 src0_sel:BYTE_0 src1_sel:DWORD
	s_mov_b64 s[4:5], 0
                                        ; implicit-def: $sgpr10
	s_and_saveexec_b64 s[8:9], s[6:7]
	s_xor_b64 s[6:7], exec, s[8:9]
	s_cbranch_execnz .LBB2_3173
; %bb.1125:
	s_or_saveexec_b64 s[6:7], s[6:7]
	v_mov_b32_e32 v3, s10
	s_xor_b64 exec, exec, s[6:7]
	s_cbranch_execnz .LBB2_3176
.LBB2_1126:
	s_or_b64 exec, exec, s[6:7]
	s_and_saveexec_b64 s[6:7], s[4:5]
	s_cbranch_execz .LBB2_1128
.LBB2_1127:
	v_mov_b32_e32 v3, 8
	v_and_b32_e32 v4, 7, v5
	v_lshrrev_b32_sdwa v3, v3, v5 dst_sel:BYTE_1 dst_unused:UNUSED_PAD src0_sel:DWORD src1_sel:DWORD
	v_ffbh_u32_e32 v6, v4
	v_or_b32_sdwa v3, v5, v3 dst_sel:DWORD dst_unused:UNUSED_PAD src0_sel:BYTE_0 src1_sel:DWORD
	v_min_u32_e32 v6, 32, v6
	v_lshrrev_b16_e32 v3, 3, v3
	v_subrev_u32_e32 v7, 28, v6
	v_and_b32_e32 v3, 15, v3
	v_lshlrev_b32_e32 v7, v7, v5
	v_sub_u32_e32 v6, 29, v6
	v_and_b32_e32 v7, 7, v7
	v_cmp_eq_u16_e32 vcc, 0, v3
	v_cndmask_b32_e32 v4, v4, v7, vcc
	v_cndmask_b32_e32 v3, v3, v6, vcc
	v_lshlrev_b32_e32 v6, 24, v5
	v_mov_b32_e32 v7, 0x3b800000
	v_lshlrev_b32_e32 v4, 20, v4
	v_and_b32_e32 v6, 0x80000000, v6
	v_lshl_add_u32 v3, v3, 23, v7
	v_or3_b32 v3, v6, v3, v4
.LBB2_1128:
	s_or_b64 exec, exec, s[6:7]
	s_nop 0
	v_mfma_f32_16x16x4f32 a[0:3], v2, v3, a[0:3]
	v_lshrrev_b32_e32 v3, 8, v9
	s_movk_i32 s4, 0x7f
	v_cmp_gt_i16_sdwa s[6:7], v3, s4 src0_sel:BYTE_0 src1_sel:DWORD
	s_mov_b64 s[4:5], 0
                                        ; implicit-def: $sgpr10
	s_and_saveexec_b64 s[8:9], s[6:7]
	s_xor_b64 s[6:7], exec, s[8:9]
	s_cbranch_execnz .LBB2_3177
; %bb.1129:
	s_or_saveexec_b64 s[6:7], s[6:7]
	v_mov_b32_e32 v2, s10
	s_xor_b64 exec, exec, s[6:7]
	s_cbranch_execnz .LBB2_3180
.LBB2_1130:
	s_or_b64 exec, exec, s[6:7]
	s_and_saveexec_b64 s[6:7], s[4:5]
	s_cbranch_execz .LBB2_1132
.LBB2_1131:
	v_bfe_u32 v2, v9, 8, 3
	v_ffbh_u32_e32 v6, v2
	v_min_u32_e32 v6, 32, v6
	v_lshrrev_b16_e32 v4, 3, v3
	v_subrev_u32_e32 v7, 28, v6
	v_and_b32_e32 v4, 15, v4
	v_lshlrev_b32_e32 v3, v7, v3
	v_sub_u32_e32 v6, 29, v6
	v_and_b32_e32 v3, 7, v3
	v_cmp_eq_u16_e32 vcc, 0, v4
	v_cndmask_b32_e32 v2, v2, v3, vcc
	v_cndmask_b32_e32 v3, v4, v6, vcc
	v_lshlrev_b32_e32 v4, 16, v9
	v_mov_b32_e32 v6, 0x3b800000
	v_lshlrev_b32_e32 v2, 20, v2
	v_and_b32_e32 v4, 0x80000000, v4
	v_lshl_add_u32 v3, v3, 23, v6
	v_or3_b32 v2, v4, v3, v2
.LBB2_1132:
	s_or_b64 exec, exec, s[6:7]
	v_lshrrev_b32_e32 v3, 8, v5
	s_movk_i32 s4, 0x7f
	v_cmp_gt_i16_sdwa s[6:7], v3, s4 src0_sel:BYTE_0 src1_sel:DWORD
	s_mov_b64 s[4:5], 0
                                        ; implicit-def: $sgpr10
	s_and_saveexec_b64 s[8:9], s[6:7]
	s_xor_b64 s[6:7], exec, s[8:9]
	s_cbranch_execnz .LBB2_3181
; %bb.1133:
	s_or_saveexec_b64 s[6:7], s[6:7]
	v_mov_b32_e32 v4, s10
	s_xor_b64 exec, exec, s[6:7]
	s_cbranch_execnz .LBB2_3184
.LBB2_1134:
	s_or_b64 exec, exec, s[6:7]
	s_and_saveexec_b64 s[6:7], s[4:5]
	s_cbranch_execz .LBB2_1136
.LBB2_1135:
	v_bfe_u32 v4, v5, 8, 3
	v_ffbh_u32_e32 v7, v4
	v_min_u32_e32 v7, 32, v7
	v_lshrrev_b16_e32 v6, 3, v3
	v_subrev_u32_e32 v8, 28, v7
	v_and_b32_e32 v6, 15, v6
	v_lshlrev_b32_e32 v3, v8, v3
	v_sub_u32_e32 v7, 29, v7
	v_and_b32_e32 v3, 7, v3
	v_cmp_eq_u16_e32 vcc, 0, v6
	v_cndmask_b32_e32 v3, v4, v3, vcc
	v_cndmask_b32_e32 v4, v6, v7, vcc
	v_lshlrev_b32_e32 v6, 16, v5
	v_mov_b32_e32 v7, 0x3b800000
	v_lshlrev_b32_e32 v3, 20, v3
	v_and_b32_e32 v6, 0x80000000, v6
	v_lshl_add_u32 v4, v4, 23, v7
	v_or3_b32 v4, v6, v4, v3
.LBB2_1136:
	s_or_b64 exec, exec, s[6:7]
	s_nop 0
	v_mfma_f32_16x16x4f32 a[0:3], v2, v4, a[0:3]
	s_movk_i32 s4, 0xff
	v_and_b32_sdwa v3, v9, s4 dst_sel:DWORD dst_unused:UNUSED_PAD src0_sel:WORD_1 src1_sel:DWORD
	s_movk_i32 s4, 0x7f
	v_cmp_lt_i16_e32 vcc, s4, v3
	s_mov_b64 s[4:5], 0
                                        ; implicit-def: $sgpr10
	s_and_saveexec_b64 s[6:7], vcc
	s_xor_b64 s[6:7], exec, s[6:7]
	s_cbranch_execnz .LBB2_3185
; %bb.1137:
	s_or_saveexec_b64 s[6:7], s[6:7]
	v_mov_b32_e32 v2, s10
	s_xor_b64 exec, exec, s[6:7]
	s_cbranch_execnz .LBB2_3188
.LBB2_1138:
	s_or_b64 exec, exec, s[6:7]
	s_and_saveexec_b64 s[6:7], s[4:5]
	s_cbranch_execz .LBB2_1140
.LBB2_1139:
	v_bfe_u32 v2, v9, 16, 3
	v_ffbh_u32_e32 v6, v2
	v_min_u32_e32 v6, 32, v6
	v_lshrrev_b32_e32 v3, 19, v9
	v_subrev_u32_e32 v7, 28, v6
	v_and_b32_e32 v3, 15, v3
	v_lshlrev_b32_sdwa v7, v7, v9 dst_sel:DWORD dst_unused:UNUSED_PAD src0_sel:DWORD src1_sel:WORD_1
	v_bfe_u32 v4, v9, 19, 4
	v_sub_u32_e32 v6, 29, v6
	v_and_b32_e32 v7, 7, v7
	v_cmp_eq_u16_e32 vcc, 0, v3
	v_cndmask_b32_e32 v2, v2, v7, vcc
	v_cndmask_b32_e32 v3, v4, v6, vcc
	v_lshlrev_b32_e32 v4, 8, v9
	v_mov_b32_e32 v6, 0x3b800000
	v_lshlrev_b32_e32 v2, 20, v2
	v_and_b32_e32 v4, 0x80000000, v4
	v_lshl_add_u32 v3, v3, 23, v6
	v_or3_b32 v2, v4, v3, v2
.LBB2_1140:
	s_or_b64 exec, exec, s[6:7]
	s_movk_i32 s4, 0xff
	v_and_b32_sdwa v3, v5, s4 dst_sel:DWORD dst_unused:UNUSED_PAD src0_sel:WORD_1 src1_sel:DWORD
	s_movk_i32 s4, 0x7f
	v_cmp_lt_i16_e32 vcc, s4, v3
	s_mov_b64 s[4:5], 0
                                        ; implicit-def: $sgpr10
	s_and_saveexec_b64 s[6:7], vcc
	s_xor_b64 s[6:7], exec, s[6:7]
	s_cbranch_execnz .LBB2_3189
; %bb.1141:
	s_or_saveexec_b64 s[6:7], s[6:7]
	v_mov_b32_e32 v4, s10
	s_xor_b64 exec, exec, s[6:7]
	s_cbranch_execnz .LBB2_3192
.LBB2_1142:
	s_or_b64 exec, exec, s[6:7]
	s_and_saveexec_b64 s[6:7], s[4:5]
	s_cbranch_execz .LBB2_1144
.LBB2_1143:
	v_bfe_u32 v3, v5, 16, 3
	v_ffbh_u32_e32 v7, v3
	v_min_u32_e32 v7, 32, v7
	v_lshrrev_b32_e32 v4, 19, v5
	v_subrev_u32_e32 v8, 28, v7
	v_and_b32_e32 v4, 15, v4
	v_lshlrev_b32_sdwa v8, v8, v5 dst_sel:DWORD dst_unused:UNUSED_PAD src0_sel:DWORD src1_sel:WORD_1
	v_bfe_u32 v6, v5, 19, 4
	v_sub_u32_e32 v7, 29, v7
	v_and_b32_e32 v8, 7, v8
	v_cmp_eq_u16_e32 vcc, 0, v4
	v_cndmask_b32_e32 v3, v3, v8, vcc
	v_cndmask_b32_e32 v4, v6, v7, vcc
	v_lshlrev_b32_e32 v6, 8, v5
	v_mov_b32_e32 v7, 0x3b800000
	v_lshlrev_b32_e32 v3, 20, v3
	v_and_b32_e32 v6, 0x80000000, v6
	v_lshl_add_u32 v4, v4, 23, v7
	v_or3_b32 v4, v6, v4, v3
.LBB2_1144:
	s_or_b64 exec, exec, s[6:7]
	s_nop 0
	v_mfma_f32_16x16x4f32 a[0:3], v2, v4, a[0:3]
	s_movk_i32 s4, 0x7f
	v_cmp_gt_i16_sdwa s[6:7], v9, s4 src0_sel:BYTE_3 src1_sel:DWORD
	s_mov_b64 s[4:5], 0
                                        ; implicit-def: $sgpr10
	s_and_saveexec_b64 s[8:9], s[6:7]
	s_xor_b64 s[6:7], exec, s[8:9]
	s_cbranch_execnz .LBB2_3193
; %bb.1145:
	s_or_saveexec_b64 s[6:7], s[6:7]
	v_mov_b32_e32 v2, s10
	s_xor_b64 exec, exec, s[6:7]
	s_cbranch_execnz .LBB2_3196
.LBB2_1146:
	s_or_b64 exec, exec, s[6:7]
	s_and_saveexec_b64 s[6:7], s[4:5]
	s_cbranch_execz .LBB2_1148
.LBB2_1147:
	v_bfe_u32 v2, v9, 24, 3
	v_ffbh_u32_e32 v7, v2
	v_min_u32_e32 v7, 32, v7
	v_lshrrev_b32_e32 v4, 27, v9
	v_subrev_u32_e32 v8, 28, v7
	v_and_b32_e32 v4, 15, v4
	v_lshlrev_b32_sdwa v8, v8, v9 dst_sel:DWORD dst_unused:UNUSED_PAD src0_sel:DWORD src1_sel:BYTE_3
	v_bfe_u32 v6, v9, 27, 4
	v_sub_u32_e32 v7, 29, v7
	v_and_b32_e32 v8, 7, v8
	v_cmp_eq_u16_e32 vcc, 0, v4
	v_cndmask_b32_e32 v2, v2, v8, vcc
	v_cndmask_b32_e32 v4, v6, v7, vcc
	v_mov_b32_e32 v6, 0x3b800000
	v_and_b32_e32 v3, 0x80000000, v9
	v_lshlrev_b32_e32 v2, 20, v2
	v_lshl_add_u32 v4, v4, 23, v6
	v_or3_b32 v2, v3, v4, v2
.LBB2_1148:
	s_or_b64 exec, exec, s[6:7]
	s_movk_i32 s4, 0x7f
	v_cmp_gt_i16_sdwa s[6:7], v5, s4 src0_sel:BYTE_3 src1_sel:DWORD
	s_mov_b64 s[4:5], 0
                                        ; implicit-def: $sgpr10
	s_and_saveexec_b64 s[8:9], s[6:7]
	s_xor_b64 s[6:7], exec, s[8:9]
	s_cbranch_execnz .LBB2_3197
; %bb.1149:
	s_or_saveexec_b64 s[6:7], s[6:7]
	v_mov_b32_e32 v3, s10
	s_xor_b64 exec, exec, s[6:7]
	s_cbranch_execnz .LBB2_3200
.LBB2_1150:
	s_or_b64 exec, exec, s[6:7]
	s_and_saveexec_b64 s[6:7], s[4:5]
	s_cbranch_execz .LBB2_1152
.LBB2_1151:
	v_bfe_u32 v3, v5, 24, 3
	v_ffbh_u32_e32 v8, v3
	v_min_u32_e32 v8, 32, v8
	v_lshrrev_b32_e32 v6, 27, v5
	v_subrev_u32_e32 v9, 28, v8
	v_and_b32_e32 v4, 0x80000000, v5
	v_and_b32_e32 v6, 15, v6
	v_bfe_u32 v7, v5, 27, 4
	v_lshlrev_b32_sdwa v5, v9, v5 dst_sel:DWORD dst_unused:UNUSED_PAD src0_sel:DWORD src1_sel:BYTE_3
	v_sub_u32_e32 v8, 29, v8
	v_and_b32_e32 v5, 7, v5
	v_cmp_eq_u16_e32 vcc, 0, v6
	v_cndmask_b32_e32 v3, v3, v5, vcc
	v_cndmask_b32_e32 v5, v7, v8, vcc
	v_mov_b32_e32 v6, 0x3b800000
	v_lshlrev_b32_e32 v3, 20, v3
	v_lshl_add_u32 v5, v5, 23, v6
	v_or3_b32 v3, v4, v5, v3
.LBB2_1152:
	s_or_b64 exec, exec, s[6:7]
	s_nop 0
	v_mfma_f32_16x16x4f32 a[0:3], v2, v3, a[0:3]
	s_movk_i32 s4, 0x7f
                                        ; implicit-def: $sgpr10
	s_nop 7
	s_nop 1
	flat_store_dwordx4 v[10:11], a[0:3] offset:128
	flat_load_dwordx4 v[12:15], v[0:1] offset:8
	s_nop 0
	flat_load_dwordx2 v[10:11], v[0:1] offset:32
	s_waitcnt vmcnt(0) lgkmcnt(0)
	flat_load_dwordx4 v[6:9], v[12:13] offset:80
	flat_load_dwordx4 v[2:5], v[14:15] offset:48
	s_waitcnt vmcnt(0) lgkmcnt(0)
	v_cmp_gt_i16_sdwa s[6:7], v6, s4 src0_sel:BYTE_0 src1_sel:DWORD
	s_mov_b64 s[4:5], 0
	s_and_saveexec_b64 s[8:9], s[6:7]
	s_xor_b64 s[6:7], exec, s[8:9]
	s_cbranch_execnz .LBB2_3201
; %bb.1153:
	s_or_saveexec_b64 s[6:7], s[6:7]
	v_mov_b32_e32 v12, s10
	s_xor_b64 exec, exec, s[6:7]
	s_cbranch_execnz .LBB2_3204
.LBB2_1154:
	s_or_b64 exec, exec, s[6:7]
	s_and_saveexec_b64 s[6:7], s[4:5]
	s_cbranch_execz .LBB2_1156
.LBB2_1155:
	v_and_b32_e32 v12, 7, v6
	v_ffbh_u32_e32 v14, v12
	v_min_u32_e32 v14, 32, v14
	v_lshrrev_b16_e32 v13, 3, v6
	v_subrev_u32_e32 v15, 28, v14
	v_and_b32_e32 v13, 15, v13
	v_lshlrev_b32_e32 v15, v15, v6
	v_sub_u32_e32 v14, 29, v14
	v_and_b32_e32 v15, 7, v15
	v_cmp_eq_u16_e32 vcc, 0, v13
	v_cndmask_b32_e32 v12, v12, v15, vcc
	v_cndmask_b32_e32 v13, v13, v14, vcc
	v_lshlrev_b32_e32 v14, 24, v6
	v_mov_b32_e32 v15, 0x3b800000
	v_lshlrev_b32_e32 v12, 20, v12
	v_and_b32_e32 v14, 0x80000000, v14
	v_lshl_add_u32 v13, v13, 23, v15
	v_or3_b32 v12, v14, v13, v12
.LBB2_1156:
	s_or_b64 exec, exec, s[6:7]
	s_movk_i32 s4, 0x7f
	v_cmp_gt_i16_sdwa s[6:7], v2, s4 src0_sel:BYTE_0 src1_sel:DWORD
	s_mov_b64 s[4:5], 0
                                        ; implicit-def: $sgpr10
	s_and_saveexec_b64 s[8:9], s[6:7]
	s_xor_b64 s[6:7], exec, s[8:9]
	s_cbranch_execnz .LBB2_3205
; %bb.1157:
	s_or_saveexec_b64 s[6:7], s[6:7]
	v_mov_b32_e32 v13, s10
	s_xor_b64 exec, exec, s[6:7]
	s_cbranch_execnz .LBB2_3208
.LBB2_1158:
	s_or_b64 exec, exec, s[6:7]
	s_and_saveexec_b64 s[6:7], s[4:5]
	s_cbranch_execz .LBB2_1160
.LBB2_1159:
	v_and_b32_e32 v13, 7, v2
	v_ffbh_u32_e32 v15, v13
	v_min_u32_e32 v15, 32, v15
	v_lshrrev_b16_e32 v14, 3, v2
	v_subrev_u32_e32 v16, 28, v15
	v_and_b32_e32 v14, 15, v14
	v_lshlrev_b32_e32 v16, v16, v2
	v_sub_u32_e32 v15, 29, v15
	v_and_b32_e32 v16, 7, v16
	v_cmp_eq_u16_e32 vcc, 0, v14
	v_cndmask_b32_e32 v13, v13, v16, vcc
	v_cndmask_b32_e32 v14, v14, v15, vcc
	v_lshlrev_b32_e32 v15, 24, v2
	v_mov_b32_e32 v16, 0x3b800000
	v_lshlrev_b32_e32 v13, 20, v13
	v_and_b32_e32 v15, 0x80000000, v15
	v_lshl_add_u32 v14, v14, 23, v16
	v_or3_b32 v13, v15, v14, v13
.LBB2_1160:
	s_or_b64 exec, exec, s[6:7]
	flat_load_dwordx4 a[0:3], v[10:11] offset:144
	s_movk_i32 s4, 0x7f
                                        ; implicit-def: $sgpr10
	s_waitcnt vmcnt(0) lgkmcnt(0)
	v_mfma_f32_16x16x4f32 a[0:3], v12, v13, a[0:3]
	v_lshrrev_b32_e32 v13, 8, v6
	v_cmp_gt_i16_sdwa s[6:7], v13, s4 src0_sel:BYTE_0 src1_sel:DWORD
	s_mov_b64 s[4:5], 0
	s_and_saveexec_b64 s[8:9], s[6:7]
	s_xor_b64 s[6:7], exec, s[8:9]
	s_cbranch_execnz .LBB2_3209
; %bb.1161:
	s_or_saveexec_b64 s[6:7], s[6:7]
	v_mov_b32_e32 v12, s10
	s_xor_b64 exec, exec, s[6:7]
	s_cbranch_execnz .LBB2_3212
.LBB2_1162:
	s_or_b64 exec, exec, s[6:7]
	s_and_saveexec_b64 s[6:7], s[4:5]
	s_cbranch_execz .LBB2_1164
.LBB2_1163:
	v_bfe_u32 v12, v6, 8, 3
	v_ffbh_u32_e32 v15, v12
	v_min_u32_e32 v15, 32, v15
	v_lshrrev_b16_e32 v14, 3, v13
	v_subrev_u32_e32 v16, 28, v15
	v_and_b32_e32 v14, 15, v14
	v_lshlrev_b32_e32 v13, v16, v13
	v_sub_u32_e32 v15, 29, v15
	v_and_b32_e32 v13, 7, v13
	v_cmp_eq_u16_e32 vcc, 0, v14
	v_cndmask_b32_e32 v12, v12, v13, vcc
	v_cndmask_b32_e32 v13, v14, v15, vcc
	v_lshlrev_b32_e32 v14, 16, v6
	v_mov_b32_e32 v15, 0x3b800000
	v_lshlrev_b32_e32 v12, 20, v12
	v_and_b32_e32 v14, 0x80000000, v14
	v_lshl_add_u32 v13, v13, 23, v15
	v_or3_b32 v12, v14, v13, v12
.LBB2_1164:
	s_or_b64 exec, exec, s[6:7]
	v_lshrrev_b32_e32 v13, 8, v2
	s_movk_i32 s4, 0x7f
	v_cmp_gt_i16_sdwa s[6:7], v13, s4 src0_sel:BYTE_0 src1_sel:DWORD
	s_mov_b64 s[4:5], 0
                                        ; implicit-def: $sgpr10
	s_and_saveexec_b64 s[8:9], s[6:7]
	s_xor_b64 s[6:7], exec, s[8:9]
	s_cbranch_execnz .LBB2_3213
; %bb.1165:
	s_or_saveexec_b64 s[6:7], s[6:7]
	v_mov_b32_e32 v14, s10
	s_xor_b64 exec, exec, s[6:7]
	s_cbranch_execnz .LBB2_3216
.LBB2_1166:
	s_or_b64 exec, exec, s[6:7]
	s_and_saveexec_b64 s[6:7], s[4:5]
	s_cbranch_execz .LBB2_1168
.LBB2_1167:
	v_bfe_u32 v14, v2, 8, 3
	v_ffbh_u32_e32 v16, v14
	v_min_u32_e32 v16, 32, v16
	v_lshrrev_b16_e32 v15, 3, v13
	v_subrev_u32_e32 v17, 28, v16
	v_and_b32_e32 v15, 15, v15
	v_lshlrev_b32_e32 v13, v17, v13
	v_sub_u32_e32 v16, 29, v16
	v_and_b32_e32 v13, 7, v13
	v_cmp_eq_u16_e32 vcc, 0, v15
	v_cndmask_b32_e32 v13, v14, v13, vcc
	v_cndmask_b32_e32 v14, v15, v16, vcc
	v_lshlrev_b32_e32 v15, 16, v2
	v_mov_b32_e32 v16, 0x3b800000
	v_lshlrev_b32_e32 v13, 20, v13
	v_and_b32_e32 v15, 0x80000000, v15
	v_lshl_add_u32 v14, v14, 23, v16
	v_or3_b32 v14, v15, v14, v13
.LBB2_1168:
	s_or_b64 exec, exec, s[6:7]
	s_nop 0
	v_mfma_f32_16x16x4f32 a[0:3], v12, v14, a[0:3]
	s_movk_i32 s4, 0xff
	v_and_b32_sdwa v13, v6, s4 dst_sel:DWORD dst_unused:UNUSED_PAD src0_sel:WORD_1 src1_sel:DWORD
	s_movk_i32 s4, 0x7f
	v_cmp_lt_i16_e32 vcc, s4, v13
	s_mov_b64 s[4:5], 0
                                        ; implicit-def: $sgpr10
	s_and_saveexec_b64 s[6:7], vcc
	s_xor_b64 s[6:7], exec, s[6:7]
	s_cbranch_execnz .LBB2_3217
; %bb.1169:
	s_or_saveexec_b64 s[6:7], s[6:7]
	v_mov_b32_e32 v12, s10
	s_xor_b64 exec, exec, s[6:7]
	s_cbranch_execnz .LBB2_3220
.LBB2_1170:
	s_or_b64 exec, exec, s[6:7]
	s_and_saveexec_b64 s[6:7], s[4:5]
	s_cbranch_execz .LBB2_1172
.LBB2_1171:
	v_bfe_u32 v12, v6, 16, 3
	v_ffbh_u32_e32 v15, v12
	v_min_u32_e32 v15, 32, v15
	v_lshrrev_b32_e32 v13, 19, v6
	v_subrev_u32_e32 v16, 28, v15
	v_and_b32_e32 v13, 15, v13
	v_lshlrev_b32_sdwa v16, v16, v6 dst_sel:DWORD dst_unused:UNUSED_PAD src0_sel:DWORD src1_sel:WORD_1
	v_bfe_u32 v14, v6, 19, 4
	v_sub_u32_e32 v15, 29, v15
	v_and_b32_e32 v16, 7, v16
	v_cmp_eq_u16_e32 vcc, 0, v13
	v_cndmask_b32_e32 v12, v12, v16, vcc
	v_cndmask_b32_e32 v13, v14, v15, vcc
	v_lshlrev_b32_e32 v14, 8, v6
	v_mov_b32_e32 v15, 0x3b800000
	v_lshlrev_b32_e32 v12, 20, v12
	v_and_b32_e32 v14, 0x80000000, v14
	v_lshl_add_u32 v13, v13, 23, v15
	v_or3_b32 v12, v14, v13, v12
.LBB2_1172:
	s_or_b64 exec, exec, s[6:7]
	s_movk_i32 s4, 0xff
	v_and_b32_sdwa v13, v2, s4 dst_sel:DWORD dst_unused:UNUSED_PAD src0_sel:WORD_1 src1_sel:DWORD
	s_movk_i32 s4, 0x7f
	v_cmp_lt_i16_e32 vcc, s4, v13
	s_mov_b64 s[4:5], 0
                                        ; implicit-def: $sgpr10
	s_and_saveexec_b64 s[6:7], vcc
	s_xor_b64 s[6:7], exec, s[6:7]
	s_cbranch_execnz .LBB2_3221
; %bb.1173:
	s_or_saveexec_b64 s[6:7], s[6:7]
	v_mov_b32_e32 v14, s10
	s_xor_b64 exec, exec, s[6:7]
	s_cbranch_execnz .LBB2_3224
.LBB2_1174:
	s_or_b64 exec, exec, s[6:7]
	s_and_saveexec_b64 s[6:7], s[4:5]
	s_cbranch_execz .LBB2_1176
.LBB2_1175:
	v_bfe_u32 v13, v2, 16, 3
	v_ffbh_u32_e32 v16, v13
	v_min_u32_e32 v16, 32, v16
	v_lshrrev_b32_e32 v14, 19, v2
	v_subrev_u32_e32 v17, 28, v16
	v_and_b32_e32 v14, 15, v14
	v_lshlrev_b32_sdwa v17, v17, v2 dst_sel:DWORD dst_unused:UNUSED_PAD src0_sel:DWORD src1_sel:WORD_1
	v_bfe_u32 v15, v2, 19, 4
	v_sub_u32_e32 v16, 29, v16
	v_and_b32_e32 v17, 7, v17
	v_cmp_eq_u16_e32 vcc, 0, v14
	v_cndmask_b32_e32 v13, v13, v17, vcc
	v_cndmask_b32_e32 v14, v15, v16, vcc
	v_lshlrev_b32_e32 v15, 8, v2
	v_mov_b32_e32 v16, 0x3b800000
	v_lshlrev_b32_e32 v13, 20, v13
	v_and_b32_e32 v15, 0x80000000, v15
	v_lshl_add_u32 v14, v14, 23, v16
	v_or3_b32 v14, v15, v14, v13
.LBB2_1176:
	s_or_b64 exec, exec, s[6:7]
	s_nop 0
	v_mfma_f32_16x16x4f32 a[0:3], v12, v14, a[0:3]
	s_movk_i32 s4, 0x7f
	v_cmp_gt_i16_sdwa s[6:7], v6, s4 src0_sel:BYTE_3 src1_sel:DWORD
	s_mov_b64 s[4:5], 0
                                        ; implicit-def: $sgpr10
	s_and_saveexec_b64 s[8:9], s[6:7]
	s_xor_b64 s[6:7], exec, s[8:9]
	s_cbranch_execnz .LBB2_3225
; %bb.1177:
	s_or_saveexec_b64 s[6:7], s[6:7]
	v_mov_b32_e32 v12, s10
	s_xor_b64 exec, exec, s[6:7]
	s_cbranch_execnz .LBB2_3228
.LBB2_1178:
	s_or_b64 exec, exec, s[6:7]
	s_and_saveexec_b64 s[6:7], s[4:5]
	s_cbranch_execz .LBB2_1180
.LBB2_1179:
	v_bfe_u32 v12, v6, 24, 3
	v_ffbh_u32_e32 v16, v12
	v_min_u32_e32 v16, 32, v16
	v_lshrrev_b32_e32 v14, 27, v6
	v_subrev_u32_e32 v17, 28, v16
	v_and_b32_e32 v13, 0x80000000, v6
	v_and_b32_e32 v14, 15, v14
	v_bfe_u32 v15, v6, 27, 4
	v_lshlrev_b32_sdwa v6, v17, v6 dst_sel:DWORD dst_unused:UNUSED_PAD src0_sel:DWORD src1_sel:BYTE_3
	v_sub_u32_e32 v16, 29, v16
	v_and_b32_e32 v6, 7, v6
	v_cmp_eq_u16_e32 vcc, 0, v14
	v_cndmask_b32_e32 v6, v12, v6, vcc
	v_cndmask_b32_e32 v12, v15, v16, vcc
	v_mov_b32_e32 v14, 0x3b800000
	v_lshlrev_b32_e32 v6, 20, v6
	v_lshl_add_u32 v12, v12, 23, v14
	v_or3_b32 v12, v13, v12, v6
.LBB2_1180:
	s_or_b64 exec, exec, s[6:7]
	s_movk_i32 s4, 0x7f
	v_cmp_gt_i16_sdwa s[6:7], v2, s4 src0_sel:BYTE_3 src1_sel:DWORD
	s_mov_b64 s[4:5], 0
                                        ; implicit-def: $sgpr10
	s_and_saveexec_b64 s[8:9], s[6:7]
	s_xor_b64 s[6:7], exec, s[8:9]
	s_cbranch_execnz .LBB2_3229
; %bb.1181:
	s_or_saveexec_b64 s[6:7], s[6:7]
	v_mov_b32_e32 v6, s10
	s_xor_b64 exec, exec, s[6:7]
	s_cbranch_execnz .LBB2_3232
.LBB2_1182:
	s_or_b64 exec, exec, s[6:7]
	s_and_saveexec_b64 s[6:7], s[4:5]
	s_cbranch_execz .LBB2_1184
.LBB2_1183:
	v_bfe_u32 v6, v2, 24, 3
	v_ffbh_u32_e32 v16, v6
	v_min_u32_e32 v16, 32, v16
	v_lshrrev_b32_e32 v14, 27, v2
	v_subrev_u32_e32 v17, 28, v16
	v_and_b32_e32 v13, 0x80000000, v2
	v_and_b32_e32 v14, 15, v14
	v_bfe_u32 v15, v2, 27, 4
	v_lshlrev_b32_sdwa v2, v17, v2 dst_sel:DWORD dst_unused:UNUSED_PAD src0_sel:DWORD src1_sel:BYTE_3
	v_sub_u32_e32 v16, 29, v16
	v_and_b32_e32 v2, 7, v2
	v_cmp_eq_u16_e32 vcc, 0, v14
	v_cndmask_b32_e32 v2, v6, v2, vcc
	v_cndmask_b32_e32 v6, v15, v16, vcc
	v_mov_b32_e32 v14, 0x3b800000
	v_lshlrev_b32_e32 v2, 20, v2
	v_lshl_add_u32 v6, v6, 23, v14
	v_or3_b32 v6, v13, v6, v2
.LBB2_1184:
	s_or_b64 exec, exec, s[6:7]
	s_nop 0
	v_mfma_f32_16x16x4f32 a[0:3], v12, v6, a[0:3]
	s_movk_i32 s4, 0x7f
	v_cmp_gt_i16_sdwa s[6:7], v7, s4 src0_sel:BYTE_0 src1_sel:DWORD
	s_mov_b64 s[4:5], 0
                                        ; implicit-def: $sgpr10
	s_and_saveexec_b64 s[8:9], s[6:7]
	s_xor_b64 s[6:7], exec, s[8:9]
	s_cbranch_execnz .LBB2_3233
; %bb.1185:
	s_or_saveexec_b64 s[6:7], s[6:7]
	v_mov_b32_e32 v2, s10
	s_xor_b64 exec, exec, s[6:7]
	s_cbranch_execnz .LBB2_3236
.LBB2_1186:
	s_or_b64 exec, exec, s[6:7]
	s_and_saveexec_b64 s[6:7], s[4:5]
	s_cbranch_execz .LBB2_1188
.LBB2_1187:
	v_and_b32_e32 v2, 7, v7
	v_ffbh_u32_e32 v12, v2
	v_min_u32_e32 v12, 32, v12
	v_lshrrev_b16_e32 v6, 3, v7
	v_subrev_u32_e32 v13, 28, v12
	v_and_b32_e32 v6, 15, v6
	v_lshlrev_b32_e32 v13, v13, v7
	v_sub_u32_e32 v12, 29, v12
	v_and_b32_e32 v13, 7, v13
	v_cmp_eq_u16_e32 vcc, 0, v6
	v_cndmask_b32_e32 v2, v2, v13, vcc
	v_cndmask_b32_e32 v6, v6, v12, vcc
	v_lshlrev_b32_e32 v12, 24, v7
	v_mov_b32_e32 v13, 0x3b800000
	v_lshlrev_b32_e32 v2, 20, v2
	v_and_b32_e32 v12, 0x80000000, v12
	v_lshl_add_u32 v6, v6, 23, v13
	v_or3_b32 v2, v12, v6, v2
.LBB2_1188:
	s_or_b64 exec, exec, s[6:7]
	s_movk_i32 s4, 0x7f
	v_cmp_gt_i16_sdwa s[6:7], v3, s4 src0_sel:BYTE_0 src1_sel:DWORD
	s_mov_b64 s[4:5], 0
                                        ; implicit-def: $sgpr10
	s_and_saveexec_b64 s[8:9], s[6:7]
	s_xor_b64 s[6:7], exec, s[8:9]
	s_cbranch_execnz .LBB2_3237
; %bb.1189:
	s_or_saveexec_b64 s[6:7], s[6:7]
	v_mov_b32_e32 v6, s10
	s_xor_b64 exec, exec, s[6:7]
	s_cbranch_execnz .LBB2_3240
.LBB2_1190:
	s_or_b64 exec, exec, s[6:7]
	s_and_saveexec_b64 s[6:7], s[4:5]
	s_cbranch_execz .LBB2_1192
.LBB2_1191:
	v_and_b32_e32 v6, 7, v3
	v_ffbh_u32_e32 v13, v6
	v_min_u32_e32 v13, 32, v13
	v_lshrrev_b16_e32 v12, 3, v3
	v_subrev_u32_e32 v14, 28, v13
	v_and_b32_e32 v12, 15, v12
	v_lshlrev_b32_e32 v14, v14, v3
	v_sub_u32_e32 v13, 29, v13
	v_and_b32_e32 v14, 7, v14
	v_cmp_eq_u16_e32 vcc, 0, v12
	v_cndmask_b32_e32 v6, v6, v14, vcc
	v_cndmask_b32_e32 v12, v12, v13, vcc
	v_lshlrev_b32_e32 v13, 24, v3
	v_mov_b32_e32 v14, 0x3b800000
	v_lshlrev_b32_e32 v6, 20, v6
	v_and_b32_e32 v13, 0x80000000, v13
	v_lshl_add_u32 v12, v12, 23, v14
	v_or3_b32 v6, v13, v12, v6
.LBB2_1192:
	s_or_b64 exec, exec, s[6:7]
	s_nop 0
	v_mfma_f32_16x16x4f32 a[0:3], v2, v6, a[0:3]
	v_lshrrev_b32_e32 v6, 8, v7
	s_movk_i32 s4, 0x7f
	v_cmp_gt_i16_sdwa s[6:7], v6, s4 src0_sel:BYTE_0 src1_sel:DWORD
	s_mov_b64 s[4:5], 0
                                        ; implicit-def: $sgpr10
	s_and_saveexec_b64 s[8:9], s[6:7]
	s_xor_b64 s[6:7], exec, s[8:9]
	s_cbranch_execnz .LBB2_3241
; %bb.1193:
	s_or_saveexec_b64 s[6:7], s[6:7]
	v_mov_b32_e32 v2, s10
	s_xor_b64 exec, exec, s[6:7]
	s_cbranch_execnz .LBB2_3244
.LBB2_1194:
	s_or_b64 exec, exec, s[6:7]
	s_and_saveexec_b64 s[6:7], s[4:5]
	s_cbranch_execz .LBB2_1196
.LBB2_1195:
	v_bfe_u32 v2, v7, 8, 3
	v_ffbh_u32_e32 v13, v2
	v_min_u32_e32 v13, 32, v13
	v_lshrrev_b16_e32 v12, 3, v6
	v_subrev_u32_e32 v14, 28, v13
	v_and_b32_e32 v12, 15, v12
	v_lshlrev_b32_e32 v6, v14, v6
	v_sub_u32_e32 v13, 29, v13
	v_and_b32_e32 v6, 7, v6
	v_cmp_eq_u16_e32 vcc, 0, v12
	v_cndmask_b32_e32 v2, v2, v6, vcc
	v_cndmask_b32_e32 v6, v12, v13, vcc
	v_lshlrev_b32_e32 v12, 16, v7
	v_mov_b32_e32 v13, 0x3b800000
	v_lshlrev_b32_e32 v2, 20, v2
	v_and_b32_e32 v12, 0x80000000, v12
	v_lshl_add_u32 v6, v6, 23, v13
	v_or3_b32 v2, v12, v6, v2
.LBB2_1196:
	s_or_b64 exec, exec, s[6:7]
	v_lshrrev_b32_e32 v6, 8, v3
	s_movk_i32 s4, 0x7f
	v_cmp_gt_i16_sdwa s[6:7], v6, s4 src0_sel:BYTE_0 src1_sel:DWORD
	s_mov_b64 s[4:5], 0
                                        ; implicit-def: $sgpr10
	s_and_saveexec_b64 s[8:9], s[6:7]
	s_xor_b64 s[6:7], exec, s[8:9]
	s_cbranch_execnz .LBB2_3245
; %bb.1197:
	s_or_saveexec_b64 s[6:7], s[6:7]
	v_mov_b32_e32 v12, s10
	s_xor_b64 exec, exec, s[6:7]
	s_cbranch_execnz .LBB2_3248
.LBB2_1198:
	s_or_b64 exec, exec, s[6:7]
	s_and_saveexec_b64 s[6:7], s[4:5]
	s_cbranch_execz .LBB2_1200
.LBB2_1199:
	v_bfe_u32 v12, v3, 8, 3
	v_ffbh_u32_e32 v14, v12
	v_min_u32_e32 v14, 32, v14
	v_lshrrev_b16_e32 v13, 3, v6
	v_subrev_u32_e32 v15, 28, v14
	v_and_b32_e32 v13, 15, v13
	v_lshlrev_b32_e32 v6, v15, v6
	v_sub_u32_e32 v14, 29, v14
	v_and_b32_e32 v6, 7, v6
	v_cmp_eq_u16_e32 vcc, 0, v13
	v_cndmask_b32_e32 v6, v12, v6, vcc
	v_cndmask_b32_e32 v12, v13, v14, vcc
	v_lshlrev_b32_e32 v13, 16, v3
	v_mov_b32_e32 v14, 0x3b800000
	v_lshlrev_b32_e32 v6, 20, v6
	v_and_b32_e32 v13, 0x80000000, v13
	v_lshl_add_u32 v12, v12, 23, v14
	v_or3_b32 v12, v13, v12, v6
.LBB2_1200:
	s_or_b64 exec, exec, s[6:7]
	s_nop 0
	v_mfma_f32_16x16x4f32 a[0:3], v2, v12, a[0:3]
	s_movk_i32 s4, 0xff
	v_and_b32_sdwa v6, v7, s4 dst_sel:DWORD dst_unused:UNUSED_PAD src0_sel:WORD_1 src1_sel:DWORD
	s_movk_i32 s4, 0x7f
	v_cmp_lt_i16_e32 vcc, s4, v6
	s_mov_b64 s[4:5], 0
                                        ; implicit-def: $sgpr10
	s_and_saveexec_b64 s[6:7], vcc
	s_xor_b64 s[6:7], exec, s[6:7]
	s_cbranch_execnz .LBB2_3249
; %bb.1201:
	s_or_saveexec_b64 s[6:7], s[6:7]
	v_mov_b32_e32 v2, s10
	s_xor_b64 exec, exec, s[6:7]
	s_cbranch_execnz .LBB2_3252
.LBB2_1202:
	s_or_b64 exec, exec, s[6:7]
	s_and_saveexec_b64 s[6:7], s[4:5]
	s_cbranch_execz .LBB2_1204
.LBB2_1203:
	v_bfe_u32 v2, v7, 16, 3
	v_ffbh_u32_e32 v13, v2
	v_min_u32_e32 v13, 32, v13
	v_lshrrev_b32_e32 v6, 19, v7
	v_subrev_u32_e32 v14, 28, v13
	v_and_b32_e32 v6, 15, v6
	v_lshlrev_b32_sdwa v14, v14, v7 dst_sel:DWORD dst_unused:UNUSED_PAD src0_sel:DWORD src1_sel:WORD_1
	v_bfe_u32 v12, v7, 19, 4
	v_sub_u32_e32 v13, 29, v13
	v_and_b32_e32 v14, 7, v14
	v_cmp_eq_u16_e32 vcc, 0, v6
	v_cndmask_b32_e32 v2, v2, v14, vcc
	v_cndmask_b32_e32 v6, v12, v13, vcc
	v_lshlrev_b32_e32 v12, 8, v7
	v_mov_b32_e32 v13, 0x3b800000
	v_lshlrev_b32_e32 v2, 20, v2
	v_and_b32_e32 v12, 0x80000000, v12
	v_lshl_add_u32 v6, v6, 23, v13
	v_or3_b32 v2, v12, v6, v2
.LBB2_1204:
	s_or_b64 exec, exec, s[6:7]
	s_movk_i32 s4, 0xff
	v_and_b32_sdwa v6, v3, s4 dst_sel:DWORD dst_unused:UNUSED_PAD src0_sel:WORD_1 src1_sel:DWORD
	s_movk_i32 s4, 0x7f
	v_cmp_lt_i16_e32 vcc, s4, v6
	s_mov_b64 s[4:5], 0
                                        ; implicit-def: $sgpr10
	s_and_saveexec_b64 s[6:7], vcc
	s_xor_b64 s[6:7], exec, s[6:7]
	s_cbranch_execnz .LBB2_3253
; %bb.1205:
	s_or_saveexec_b64 s[6:7], s[6:7]
	v_mov_b32_e32 v12, s10
	s_xor_b64 exec, exec, s[6:7]
	s_cbranch_execnz .LBB2_3256
.LBB2_1206:
	s_or_b64 exec, exec, s[6:7]
	s_and_saveexec_b64 s[6:7], s[4:5]
	s_cbranch_execz .LBB2_1208
.LBB2_1207:
	v_bfe_u32 v6, v3, 16, 3
	v_ffbh_u32_e32 v14, v6
	v_min_u32_e32 v14, 32, v14
	v_lshrrev_b32_e32 v12, 19, v3
	v_subrev_u32_e32 v15, 28, v14
	v_and_b32_e32 v12, 15, v12
	v_lshlrev_b32_sdwa v15, v15, v3 dst_sel:DWORD dst_unused:UNUSED_PAD src0_sel:DWORD src1_sel:WORD_1
	v_bfe_u32 v13, v3, 19, 4
	v_sub_u32_e32 v14, 29, v14
	v_and_b32_e32 v15, 7, v15
	v_cmp_eq_u16_e32 vcc, 0, v12
	v_cndmask_b32_e32 v6, v6, v15, vcc
	v_cndmask_b32_e32 v12, v13, v14, vcc
	v_lshlrev_b32_e32 v13, 8, v3
	v_mov_b32_e32 v14, 0x3b800000
	v_lshlrev_b32_e32 v6, 20, v6
	v_and_b32_e32 v13, 0x80000000, v13
	v_lshl_add_u32 v12, v12, 23, v14
	v_or3_b32 v12, v13, v12, v6
.LBB2_1208:
	s_or_b64 exec, exec, s[6:7]
	s_nop 0
	v_mfma_f32_16x16x4f32 a[0:3], v2, v12, a[0:3]
	s_movk_i32 s4, 0x7f
	v_cmp_gt_i16_sdwa s[6:7], v7, s4 src0_sel:BYTE_3 src1_sel:DWORD
	s_mov_b64 s[4:5], 0
                                        ; implicit-def: $sgpr10
	s_and_saveexec_b64 s[8:9], s[6:7]
	s_xor_b64 s[6:7], exec, s[8:9]
	s_cbranch_execnz .LBB2_3257
; %bb.1209:
	s_or_saveexec_b64 s[6:7], s[6:7]
	v_mov_b32_e32 v2, s10
	s_xor_b64 exec, exec, s[6:7]
	s_cbranch_execnz .LBB2_3260
.LBB2_1210:
	s_or_b64 exec, exec, s[6:7]
	s_and_saveexec_b64 s[6:7], s[4:5]
	s_cbranch_execz .LBB2_1212
.LBB2_1211:
	v_bfe_u32 v2, v7, 24, 3
	v_ffbh_u32_e32 v14, v2
	v_min_u32_e32 v14, 32, v14
	v_lshrrev_b32_e32 v12, 27, v7
	v_subrev_u32_e32 v15, 28, v14
	v_and_b32_e32 v6, 0x80000000, v7
	v_and_b32_e32 v12, 15, v12
	v_bfe_u32 v13, v7, 27, 4
	v_lshlrev_b32_sdwa v7, v15, v7 dst_sel:DWORD dst_unused:UNUSED_PAD src0_sel:DWORD src1_sel:BYTE_3
	v_sub_u32_e32 v14, 29, v14
	v_and_b32_e32 v7, 7, v7
	v_cmp_eq_u16_e32 vcc, 0, v12
	v_cndmask_b32_e32 v2, v2, v7, vcc
	v_cndmask_b32_e32 v7, v13, v14, vcc
	v_mov_b32_e32 v12, 0x3b800000
	v_lshlrev_b32_e32 v2, 20, v2
	v_lshl_add_u32 v7, v7, 23, v12
	v_or3_b32 v2, v6, v7, v2
.LBB2_1212:
	s_or_b64 exec, exec, s[6:7]
	s_movk_i32 s4, 0x7f
	v_cmp_gt_i16_sdwa s[6:7], v3, s4 src0_sel:BYTE_3 src1_sel:DWORD
	s_mov_b64 s[4:5], 0
                                        ; implicit-def: $sgpr10
	s_and_saveexec_b64 s[8:9], s[6:7]
	s_xor_b64 s[6:7], exec, s[8:9]
	s_cbranch_execnz .LBB2_3261
; %bb.1213:
	s_or_saveexec_b64 s[6:7], s[6:7]
	v_mov_b32_e32 v6, s10
	s_xor_b64 exec, exec, s[6:7]
	s_cbranch_execnz .LBB2_3264
.LBB2_1214:
	s_or_b64 exec, exec, s[6:7]
	s_and_saveexec_b64 s[6:7], s[4:5]
	s_cbranch_execz .LBB2_1216
.LBB2_1215:
	v_bfe_u32 v6, v3, 24, 3
	v_ffbh_u32_e32 v14, v6
	v_min_u32_e32 v14, 32, v14
	v_lshrrev_b32_e32 v12, 27, v3
	v_subrev_u32_e32 v15, 28, v14
	v_and_b32_e32 v7, 0x80000000, v3
	v_and_b32_e32 v12, 15, v12
	v_bfe_u32 v13, v3, 27, 4
	v_lshlrev_b32_sdwa v3, v15, v3 dst_sel:DWORD dst_unused:UNUSED_PAD src0_sel:DWORD src1_sel:BYTE_3
	v_sub_u32_e32 v14, 29, v14
	v_and_b32_e32 v3, 7, v3
	v_cmp_eq_u16_e32 vcc, 0, v12
	v_cndmask_b32_e32 v3, v6, v3, vcc
	v_cndmask_b32_e32 v6, v13, v14, vcc
	v_mov_b32_e32 v12, 0x3b800000
	v_lshlrev_b32_e32 v3, 20, v3
	v_lshl_add_u32 v6, v6, 23, v12
	v_or3_b32 v6, v7, v6, v3
.LBB2_1216:
	s_or_b64 exec, exec, s[6:7]
	s_nop 0
	v_mfma_f32_16x16x4f32 a[0:3], v2, v6, a[0:3]
	s_movk_i32 s4, 0x7f
	v_cmp_gt_i16_sdwa s[6:7], v8, s4 src0_sel:BYTE_0 src1_sel:DWORD
	s_mov_b64 s[4:5], 0
                                        ; implicit-def: $sgpr10
	s_and_saveexec_b64 s[8:9], s[6:7]
	s_xor_b64 s[6:7], exec, s[8:9]
	s_cbranch_execnz .LBB2_3265
; %bb.1217:
	s_or_saveexec_b64 s[6:7], s[6:7]
	v_mov_b32_e32 v2, s10
	s_xor_b64 exec, exec, s[6:7]
	s_cbranch_execnz .LBB2_3268
.LBB2_1218:
	s_or_b64 exec, exec, s[6:7]
	s_and_saveexec_b64 s[6:7], s[4:5]
	s_cbranch_execz .LBB2_1220
.LBB2_1219:
	v_and_b32_e32 v2, 7, v8
	v_ffbh_u32_e32 v6, v2
	v_min_u32_e32 v6, 32, v6
	v_lshrrev_b16_e32 v3, 3, v8
	v_subrev_u32_e32 v7, 28, v6
	v_and_b32_e32 v3, 15, v3
	v_lshlrev_b32_e32 v7, v7, v8
	v_sub_u32_e32 v6, 29, v6
	v_and_b32_e32 v7, 7, v7
	v_cmp_eq_u16_e32 vcc, 0, v3
	v_cndmask_b32_e32 v2, v2, v7, vcc
	v_cndmask_b32_e32 v3, v3, v6, vcc
	v_lshlrev_b32_e32 v6, 24, v8
	v_mov_b32_e32 v7, 0x3b800000
	v_lshlrev_b32_e32 v2, 20, v2
	v_and_b32_e32 v6, 0x80000000, v6
	v_lshl_add_u32 v3, v3, 23, v7
	v_or3_b32 v2, v6, v3, v2
.LBB2_1220:
	s_or_b64 exec, exec, s[6:7]
	s_movk_i32 s4, 0x7f
	v_cmp_gt_i16_sdwa s[6:7], v4, s4 src0_sel:BYTE_0 src1_sel:DWORD
	s_mov_b64 s[4:5], 0
                                        ; implicit-def: $sgpr10
	s_and_saveexec_b64 s[8:9], s[6:7]
	s_xor_b64 s[6:7], exec, s[8:9]
	s_cbranch_execnz .LBB2_3269
; %bb.1221:
	s_or_saveexec_b64 s[6:7], s[6:7]
	v_mov_b32_e32 v3, s10
	s_xor_b64 exec, exec, s[6:7]
	s_cbranch_execnz .LBB2_3272
.LBB2_1222:
	s_or_b64 exec, exec, s[6:7]
	s_and_saveexec_b64 s[6:7], s[4:5]
	s_cbranch_execz .LBB2_1224
.LBB2_1223:
	v_and_b32_e32 v3, 7, v4
	v_ffbh_u32_e32 v7, v3
	v_min_u32_e32 v7, 32, v7
	v_lshrrev_b16_e32 v6, 3, v4
	v_subrev_u32_e32 v12, 28, v7
	v_and_b32_e32 v6, 15, v6
	v_lshlrev_b32_e32 v12, v12, v4
	v_sub_u32_e32 v7, 29, v7
	v_and_b32_e32 v12, 7, v12
	v_cmp_eq_u16_e32 vcc, 0, v6
	v_cndmask_b32_e32 v3, v3, v12, vcc
	v_cndmask_b32_e32 v6, v6, v7, vcc
	v_lshlrev_b32_e32 v7, 24, v4
	v_mov_b32_e32 v12, 0x3b800000
	v_lshlrev_b32_e32 v3, 20, v3
	v_and_b32_e32 v7, 0x80000000, v7
	v_lshl_add_u32 v6, v6, 23, v12
	v_or3_b32 v3, v7, v6, v3
.LBB2_1224:
	s_or_b64 exec, exec, s[6:7]
	s_nop 0
	v_mfma_f32_16x16x4f32 a[0:3], v2, v3, a[0:3]
	v_lshrrev_b32_e32 v3, 8, v8
	s_movk_i32 s4, 0x7f
	v_cmp_gt_i16_sdwa s[6:7], v3, s4 src0_sel:BYTE_0 src1_sel:DWORD
	s_mov_b64 s[4:5], 0
                                        ; implicit-def: $sgpr10
	s_and_saveexec_b64 s[8:9], s[6:7]
	s_xor_b64 s[6:7], exec, s[8:9]
	s_cbranch_execnz .LBB2_3273
; %bb.1225:
	s_or_saveexec_b64 s[6:7], s[6:7]
	v_mov_b32_e32 v2, s10
	s_xor_b64 exec, exec, s[6:7]
	s_cbranch_execnz .LBB2_3276
.LBB2_1226:
	s_or_b64 exec, exec, s[6:7]
	s_and_saveexec_b64 s[6:7], s[4:5]
	s_cbranch_execz .LBB2_1228
.LBB2_1227:
	v_bfe_u32 v2, v8, 8, 3
	v_ffbh_u32_e32 v7, v2
	v_min_u32_e32 v7, 32, v7
	v_lshrrev_b16_e32 v6, 3, v3
	v_subrev_u32_e32 v12, 28, v7
	v_and_b32_e32 v6, 15, v6
	v_lshlrev_b32_e32 v3, v12, v3
	v_sub_u32_e32 v7, 29, v7
	v_and_b32_e32 v3, 7, v3
	v_cmp_eq_u16_e32 vcc, 0, v6
	v_cndmask_b32_e32 v2, v2, v3, vcc
	v_cndmask_b32_e32 v3, v6, v7, vcc
	v_lshlrev_b32_e32 v6, 16, v8
	v_mov_b32_e32 v7, 0x3b800000
	v_lshlrev_b32_e32 v2, 20, v2
	v_and_b32_e32 v6, 0x80000000, v6
	v_lshl_add_u32 v3, v3, 23, v7
	v_or3_b32 v2, v6, v3, v2
.LBB2_1228:
	s_or_b64 exec, exec, s[6:7]
	v_lshrrev_b32_e32 v3, 8, v4
	s_movk_i32 s4, 0x7f
	v_cmp_gt_i16_sdwa s[6:7], v3, s4 src0_sel:BYTE_0 src1_sel:DWORD
	s_mov_b64 s[4:5], 0
                                        ; implicit-def: $sgpr10
	s_and_saveexec_b64 s[8:9], s[6:7]
	s_xor_b64 s[6:7], exec, s[8:9]
	s_cbranch_execnz .LBB2_3277
; %bb.1229:
	s_or_saveexec_b64 s[6:7], s[6:7]
	v_mov_b32_e32 v6, s10
	s_xor_b64 exec, exec, s[6:7]
	s_cbranch_execnz .LBB2_3280
.LBB2_1230:
	s_or_b64 exec, exec, s[6:7]
	s_and_saveexec_b64 s[6:7], s[4:5]
	s_cbranch_execz .LBB2_1232
.LBB2_1231:
	v_bfe_u32 v6, v4, 8, 3
	v_ffbh_u32_e32 v12, v6
	v_min_u32_e32 v12, 32, v12
	v_lshrrev_b16_e32 v7, 3, v3
	v_subrev_u32_e32 v13, 28, v12
	v_and_b32_e32 v7, 15, v7
	v_lshlrev_b32_e32 v3, v13, v3
	v_sub_u32_e32 v12, 29, v12
	v_and_b32_e32 v3, 7, v3
	v_cmp_eq_u16_e32 vcc, 0, v7
	v_cndmask_b32_e32 v3, v6, v3, vcc
	v_cndmask_b32_e32 v6, v7, v12, vcc
	v_lshlrev_b32_e32 v7, 16, v4
	v_mov_b32_e32 v12, 0x3b800000
	v_lshlrev_b32_e32 v3, 20, v3
	v_and_b32_e32 v7, 0x80000000, v7
	v_lshl_add_u32 v6, v6, 23, v12
	v_or3_b32 v6, v7, v6, v3
.LBB2_1232:
	s_or_b64 exec, exec, s[6:7]
	s_nop 0
	v_mfma_f32_16x16x4f32 a[0:3], v2, v6, a[0:3]
	s_movk_i32 s4, 0xff
	v_and_b32_sdwa v3, v8, s4 dst_sel:DWORD dst_unused:UNUSED_PAD src0_sel:WORD_1 src1_sel:DWORD
	s_movk_i32 s4, 0x7f
	v_cmp_lt_i16_e32 vcc, s4, v3
	s_mov_b64 s[4:5], 0
                                        ; implicit-def: $sgpr10
	s_and_saveexec_b64 s[6:7], vcc
	s_xor_b64 s[6:7], exec, s[6:7]
	s_cbranch_execnz .LBB2_3281
; %bb.1233:
	s_or_saveexec_b64 s[6:7], s[6:7]
	v_mov_b32_e32 v2, s10
	s_xor_b64 exec, exec, s[6:7]
	s_cbranch_execnz .LBB2_3284
.LBB2_1234:
	s_or_b64 exec, exec, s[6:7]
	s_and_saveexec_b64 s[6:7], s[4:5]
	s_cbranch_execz .LBB2_1236
.LBB2_1235:
	v_bfe_u32 v2, v8, 16, 3
	v_ffbh_u32_e32 v7, v2
	v_min_u32_e32 v7, 32, v7
	v_lshrrev_b32_e32 v3, 19, v8
	v_subrev_u32_e32 v12, 28, v7
	v_and_b32_e32 v3, 15, v3
	v_lshlrev_b32_sdwa v12, v12, v8 dst_sel:DWORD dst_unused:UNUSED_PAD src0_sel:DWORD src1_sel:WORD_1
	v_bfe_u32 v6, v8, 19, 4
	v_sub_u32_e32 v7, 29, v7
	v_and_b32_e32 v12, 7, v12
	v_cmp_eq_u16_e32 vcc, 0, v3
	v_cndmask_b32_e32 v2, v2, v12, vcc
	v_cndmask_b32_e32 v3, v6, v7, vcc
	v_lshlrev_b32_e32 v6, 8, v8
	v_mov_b32_e32 v7, 0x3b800000
	v_lshlrev_b32_e32 v2, 20, v2
	v_and_b32_e32 v6, 0x80000000, v6
	v_lshl_add_u32 v3, v3, 23, v7
	v_or3_b32 v2, v6, v3, v2
.LBB2_1236:
	s_or_b64 exec, exec, s[6:7]
	s_movk_i32 s4, 0xff
	v_and_b32_sdwa v3, v4, s4 dst_sel:DWORD dst_unused:UNUSED_PAD src0_sel:WORD_1 src1_sel:DWORD
	s_movk_i32 s4, 0x7f
	v_cmp_lt_i16_e32 vcc, s4, v3
	s_mov_b64 s[4:5], 0
                                        ; implicit-def: $sgpr10
	s_and_saveexec_b64 s[6:7], vcc
	s_xor_b64 s[6:7], exec, s[6:7]
	s_cbranch_execnz .LBB2_3285
; %bb.1237:
	s_or_saveexec_b64 s[6:7], s[6:7]
	v_mov_b32_e32 v6, s10
	s_xor_b64 exec, exec, s[6:7]
	s_cbranch_execnz .LBB2_3288
.LBB2_1238:
	s_or_b64 exec, exec, s[6:7]
	s_and_saveexec_b64 s[6:7], s[4:5]
	s_cbranch_execz .LBB2_1240
.LBB2_1239:
	v_bfe_u32 v3, v4, 16, 3
	v_ffbh_u32_e32 v12, v3
	v_min_u32_e32 v12, 32, v12
	v_lshrrev_b32_e32 v6, 19, v4
	v_subrev_u32_e32 v13, 28, v12
	v_and_b32_e32 v6, 15, v6
	v_lshlrev_b32_sdwa v13, v13, v4 dst_sel:DWORD dst_unused:UNUSED_PAD src0_sel:DWORD src1_sel:WORD_1
	v_bfe_u32 v7, v4, 19, 4
	v_sub_u32_e32 v12, 29, v12
	v_and_b32_e32 v13, 7, v13
	v_cmp_eq_u16_e32 vcc, 0, v6
	v_cndmask_b32_e32 v3, v3, v13, vcc
	v_cndmask_b32_e32 v6, v7, v12, vcc
	v_lshlrev_b32_e32 v7, 8, v4
	v_mov_b32_e32 v12, 0x3b800000
	v_lshlrev_b32_e32 v3, 20, v3
	v_and_b32_e32 v7, 0x80000000, v7
	v_lshl_add_u32 v6, v6, 23, v12
	v_or3_b32 v6, v7, v6, v3
.LBB2_1240:
	s_or_b64 exec, exec, s[6:7]
	s_nop 0
	v_mfma_f32_16x16x4f32 a[0:3], v2, v6, a[0:3]
	s_movk_i32 s4, 0x7f
	v_cmp_gt_i16_sdwa s[6:7], v8, s4 src0_sel:BYTE_3 src1_sel:DWORD
	s_mov_b64 s[4:5], 0
                                        ; implicit-def: $sgpr10
	s_and_saveexec_b64 s[8:9], s[6:7]
	s_xor_b64 s[6:7], exec, s[8:9]
	s_cbranch_execnz .LBB2_3289
; %bb.1241:
	s_or_saveexec_b64 s[6:7], s[6:7]
	v_mov_b32_e32 v2, s10
	s_xor_b64 exec, exec, s[6:7]
	s_cbranch_execnz .LBB2_3292
.LBB2_1242:
	s_or_b64 exec, exec, s[6:7]
	s_and_saveexec_b64 s[6:7], s[4:5]
	s_cbranch_execz .LBB2_1244
.LBB2_1243:
	v_bfe_u32 v2, v8, 24, 3
	v_ffbh_u32_e32 v12, v2
	v_min_u32_e32 v12, 32, v12
	v_lshrrev_b32_e32 v6, 27, v8
	v_subrev_u32_e32 v13, 28, v12
	v_and_b32_e32 v3, 0x80000000, v8
	v_and_b32_e32 v6, 15, v6
	v_bfe_u32 v7, v8, 27, 4
	v_lshlrev_b32_sdwa v8, v13, v8 dst_sel:DWORD dst_unused:UNUSED_PAD src0_sel:DWORD src1_sel:BYTE_3
	v_sub_u32_e32 v12, 29, v12
	v_and_b32_e32 v8, 7, v8
	v_cmp_eq_u16_e32 vcc, 0, v6
	v_cndmask_b32_e32 v2, v2, v8, vcc
	v_cndmask_b32_e32 v6, v7, v12, vcc
	v_mov_b32_e32 v7, 0x3b800000
	v_lshlrev_b32_e32 v2, 20, v2
	v_lshl_add_u32 v6, v6, 23, v7
	v_or3_b32 v2, v3, v6, v2
.LBB2_1244:
	s_or_b64 exec, exec, s[6:7]
	s_movk_i32 s4, 0x7f
	v_cmp_gt_i16_sdwa s[6:7], v4, s4 src0_sel:BYTE_3 src1_sel:DWORD
	s_mov_b64 s[4:5], 0
                                        ; implicit-def: $sgpr10
	s_and_saveexec_b64 s[8:9], s[6:7]
	s_xor_b64 s[6:7], exec, s[8:9]
	s_cbranch_execnz .LBB2_3293
; %bb.1245:
	s_or_saveexec_b64 s[6:7], s[6:7]
	v_mov_b32_e32 v3, s10
	s_xor_b64 exec, exec, s[6:7]
	s_cbranch_execnz .LBB2_3296
.LBB2_1246:
	s_or_b64 exec, exec, s[6:7]
	s_and_saveexec_b64 s[6:7], s[4:5]
	s_cbranch_execz .LBB2_1248
.LBB2_1247:
	v_bfe_u32 v3, v4, 24, 3
	v_ffbh_u32_e32 v12, v3
	v_min_u32_e32 v12, 32, v12
	v_lshrrev_b32_e32 v7, 27, v4
	v_subrev_u32_e32 v13, 28, v12
	v_and_b32_e32 v6, 0x80000000, v4
	v_and_b32_e32 v7, 15, v7
	v_bfe_u32 v8, v4, 27, 4
	v_lshlrev_b32_sdwa v4, v13, v4 dst_sel:DWORD dst_unused:UNUSED_PAD src0_sel:DWORD src1_sel:BYTE_3
	v_sub_u32_e32 v12, 29, v12
	v_and_b32_e32 v4, 7, v4
	v_cmp_eq_u16_e32 vcc, 0, v7
	v_cndmask_b32_e32 v3, v3, v4, vcc
	v_cndmask_b32_e32 v4, v8, v12, vcc
	v_mov_b32_e32 v7, 0x3b800000
	v_lshlrev_b32_e32 v3, 20, v3
	v_lshl_add_u32 v4, v4, 23, v7
	v_or3_b32 v3, v6, v4, v3
.LBB2_1248:
	s_or_b64 exec, exec, s[6:7]
	s_nop 0
	v_mfma_f32_16x16x4f32 a[0:3], v2, v3, a[0:3]
	s_movk_i32 s4, 0x7f
	v_cmp_gt_i16_sdwa s[6:7], v9, s4 src0_sel:BYTE_0 src1_sel:DWORD
	s_mov_b64 s[4:5], 0
                                        ; implicit-def: $sgpr10
	s_and_saveexec_b64 s[8:9], s[6:7]
	s_xor_b64 s[6:7], exec, s[8:9]
	s_cbranch_execnz .LBB2_3297
; %bb.1249:
	s_or_saveexec_b64 s[6:7], s[6:7]
	v_mov_b32_e32 v2, s10
	s_xor_b64 exec, exec, s[6:7]
	s_cbranch_execnz .LBB2_3300
.LBB2_1250:
	s_or_b64 exec, exec, s[6:7]
	s_and_saveexec_b64 s[6:7], s[4:5]
	s_cbranch_execz .LBB2_1252
.LBB2_1251:
	v_mov_b32_e32 v2, 8
	v_and_b32_e32 v3, 7, v9
	v_lshrrev_b32_sdwa v2, v2, v9 dst_sel:BYTE_1 dst_unused:UNUSED_PAD src0_sel:DWORD src1_sel:DWORD
	v_ffbh_u32_e32 v4, v3
	v_or_b32_sdwa v2, v9, v2 dst_sel:DWORD dst_unused:UNUSED_PAD src0_sel:BYTE_0 src1_sel:DWORD
	v_min_u32_e32 v4, 32, v4
	v_lshrrev_b16_e32 v2, 3, v2
	v_subrev_u32_e32 v6, 28, v4
	v_and_b32_e32 v2, 15, v2
	v_lshlrev_b32_e32 v6, v6, v9
	v_sub_u32_e32 v4, 29, v4
	v_and_b32_e32 v6, 7, v6
	v_cmp_eq_u16_e32 vcc, 0, v2
	v_cndmask_b32_e32 v3, v3, v6, vcc
	v_cndmask_b32_e32 v2, v2, v4, vcc
	v_lshlrev_b32_e32 v4, 24, v9
	v_mov_b32_e32 v6, 0x3b800000
	v_lshlrev_b32_e32 v3, 20, v3
	v_and_b32_e32 v4, 0x80000000, v4
	v_lshl_add_u32 v2, v2, 23, v6
	v_or3_b32 v2, v4, v2, v3
.LBB2_1252:
	s_or_b64 exec, exec, s[6:7]
	s_movk_i32 s4, 0x7f
	v_cmp_gt_i16_sdwa s[6:7], v5, s4 src0_sel:BYTE_0 src1_sel:DWORD
	s_mov_b64 s[4:5], 0
                                        ; implicit-def: $sgpr10
	s_and_saveexec_b64 s[8:9], s[6:7]
	s_xor_b64 s[6:7], exec, s[8:9]
	s_cbranch_execnz .LBB2_3301
; %bb.1253:
	s_or_saveexec_b64 s[6:7], s[6:7]
	v_mov_b32_e32 v3, s10
	s_xor_b64 exec, exec, s[6:7]
	s_cbranch_execnz .LBB2_3304
.LBB2_1254:
	s_or_b64 exec, exec, s[6:7]
	s_and_saveexec_b64 s[6:7], s[4:5]
	s_cbranch_execz .LBB2_1256
.LBB2_1255:
	v_mov_b32_e32 v3, 8
	v_and_b32_e32 v4, 7, v5
	v_lshrrev_b32_sdwa v3, v3, v5 dst_sel:BYTE_1 dst_unused:UNUSED_PAD src0_sel:DWORD src1_sel:DWORD
	v_ffbh_u32_e32 v6, v4
	v_or_b32_sdwa v3, v5, v3 dst_sel:DWORD dst_unused:UNUSED_PAD src0_sel:BYTE_0 src1_sel:DWORD
	v_min_u32_e32 v6, 32, v6
	v_lshrrev_b16_e32 v3, 3, v3
	v_subrev_u32_e32 v7, 28, v6
	v_and_b32_e32 v3, 15, v3
	v_lshlrev_b32_e32 v7, v7, v5
	v_sub_u32_e32 v6, 29, v6
	v_and_b32_e32 v7, 7, v7
	v_cmp_eq_u16_e32 vcc, 0, v3
	v_cndmask_b32_e32 v4, v4, v7, vcc
	v_cndmask_b32_e32 v3, v3, v6, vcc
	v_lshlrev_b32_e32 v6, 24, v5
	v_mov_b32_e32 v7, 0x3b800000
	v_lshlrev_b32_e32 v4, 20, v4
	v_and_b32_e32 v6, 0x80000000, v6
	v_lshl_add_u32 v3, v3, 23, v7
	v_or3_b32 v3, v6, v3, v4
.LBB2_1256:
	s_or_b64 exec, exec, s[6:7]
	s_nop 0
	v_mfma_f32_16x16x4f32 a[0:3], v2, v3, a[0:3]
	v_lshrrev_b32_e32 v3, 8, v9
	s_movk_i32 s4, 0x7f
	v_cmp_gt_i16_sdwa s[6:7], v3, s4 src0_sel:BYTE_0 src1_sel:DWORD
	s_mov_b64 s[4:5], 0
                                        ; implicit-def: $sgpr10
	s_and_saveexec_b64 s[8:9], s[6:7]
	s_xor_b64 s[6:7], exec, s[8:9]
	s_cbranch_execnz .LBB2_3305
; %bb.1257:
	s_or_saveexec_b64 s[6:7], s[6:7]
	v_mov_b32_e32 v2, s10
	s_xor_b64 exec, exec, s[6:7]
	s_cbranch_execnz .LBB2_3308
.LBB2_1258:
	s_or_b64 exec, exec, s[6:7]
	s_and_saveexec_b64 s[6:7], s[4:5]
	s_cbranch_execz .LBB2_1260
.LBB2_1259:
	v_bfe_u32 v2, v9, 8, 3
	v_ffbh_u32_e32 v6, v2
	v_min_u32_e32 v6, 32, v6
	v_lshrrev_b16_e32 v4, 3, v3
	v_subrev_u32_e32 v7, 28, v6
	v_and_b32_e32 v4, 15, v4
	v_lshlrev_b32_e32 v3, v7, v3
	v_sub_u32_e32 v6, 29, v6
	v_and_b32_e32 v3, 7, v3
	v_cmp_eq_u16_e32 vcc, 0, v4
	v_cndmask_b32_e32 v2, v2, v3, vcc
	v_cndmask_b32_e32 v3, v4, v6, vcc
	v_lshlrev_b32_e32 v4, 16, v9
	v_mov_b32_e32 v6, 0x3b800000
	v_lshlrev_b32_e32 v2, 20, v2
	v_and_b32_e32 v4, 0x80000000, v4
	v_lshl_add_u32 v3, v3, 23, v6
	v_or3_b32 v2, v4, v3, v2
.LBB2_1260:
	s_or_b64 exec, exec, s[6:7]
	v_lshrrev_b32_e32 v3, 8, v5
	s_movk_i32 s4, 0x7f
	v_cmp_gt_i16_sdwa s[6:7], v3, s4 src0_sel:BYTE_0 src1_sel:DWORD
	s_mov_b64 s[4:5], 0
                                        ; implicit-def: $sgpr10
	s_and_saveexec_b64 s[8:9], s[6:7]
	s_xor_b64 s[6:7], exec, s[8:9]
	s_cbranch_execnz .LBB2_3309
; %bb.1261:
	s_or_saveexec_b64 s[6:7], s[6:7]
	v_mov_b32_e32 v4, s10
	s_xor_b64 exec, exec, s[6:7]
	s_cbranch_execnz .LBB2_3312
.LBB2_1262:
	s_or_b64 exec, exec, s[6:7]
	s_and_saveexec_b64 s[6:7], s[4:5]
	s_cbranch_execz .LBB2_1264
.LBB2_1263:
	v_bfe_u32 v4, v5, 8, 3
	v_ffbh_u32_e32 v7, v4
	v_min_u32_e32 v7, 32, v7
	v_lshrrev_b16_e32 v6, 3, v3
	v_subrev_u32_e32 v8, 28, v7
	v_and_b32_e32 v6, 15, v6
	v_lshlrev_b32_e32 v3, v8, v3
	v_sub_u32_e32 v7, 29, v7
	v_and_b32_e32 v3, 7, v3
	v_cmp_eq_u16_e32 vcc, 0, v6
	v_cndmask_b32_e32 v3, v4, v3, vcc
	v_cndmask_b32_e32 v4, v6, v7, vcc
	v_lshlrev_b32_e32 v6, 16, v5
	v_mov_b32_e32 v7, 0x3b800000
	v_lshlrev_b32_e32 v3, 20, v3
	v_and_b32_e32 v6, 0x80000000, v6
	v_lshl_add_u32 v4, v4, 23, v7
	v_or3_b32 v4, v6, v4, v3
.LBB2_1264:
	s_or_b64 exec, exec, s[6:7]
	s_nop 0
	v_mfma_f32_16x16x4f32 a[0:3], v2, v4, a[0:3]
	s_movk_i32 s4, 0xff
	v_and_b32_sdwa v3, v9, s4 dst_sel:DWORD dst_unused:UNUSED_PAD src0_sel:WORD_1 src1_sel:DWORD
	s_movk_i32 s4, 0x7f
	v_cmp_lt_i16_e32 vcc, s4, v3
	s_mov_b64 s[4:5], 0
                                        ; implicit-def: $sgpr10
	s_and_saveexec_b64 s[6:7], vcc
	s_xor_b64 s[6:7], exec, s[6:7]
	s_cbranch_execnz .LBB2_3313
; %bb.1265:
	s_or_saveexec_b64 s[6:7], s[6:7]
	v_mov_b32_e32 v2, s10
	s_xor_b64 exec, exec, s[6:7]
	s_cbranch_execnz .LBB2_3316
.LBB2_1266:
	s_or_b64 exec, exec, s[6:7]
	s_and_saveexec_b64 s[6:7], s[4:5]
	s_cbranch_execz .LBB2_1268
.LBB2_1267:
	v_bfe_u32 v2, v9, 16, 3
	v_ffbh_u32_e32 v6, v2
	v_min_u32_e32 v6, 32, v6
	v_lshrrev_b32_e32 v3, 19, v9
	v_subrev_u32_e32 v7, 28, v6
	v_and_b32_e32 v3, 15, v3
	v_lshlrev_b32_sdwa v7, v7, v9 dst_sel:DWORD dst_unused:UNUSED_PAD src0_sel:DWORD src1_sel:WORD_1
	v_bfe_u32 v4, v9, 19, 4
	v_sub_u32_e32 v6, 29, v6
	v_and_b32_e32 v7, 7, v7
	v_cmp_eq_u16_e32 vcc, 0, v3
	v_cndmask_b32_e32 v2, v2, v7, vcc
	v_cndmask_b32_e32 v3, v4, v6, vcc
	v_lshlrev_b32_e32 v4, 8, v9
	v_mov_b32_e32 v6, 0x3b800000
	v_lshlrev_b32_e32 v2, 20, v2
	v_and_b32_e32 v4, 0x80000000, v4
	v_lshl_add_u32 v3, v3, 23, v6
	v_or3_b32 v2, v4, v3, v2
.LBB2_1268:
	s_or_b64 exec, exec, s[6:7]
	s_movk_i32 s4, 0xff
	v_and_b32_sdwa v3, v5, s4 dst_sel:DWORD dst_unused:UNUSED_PAD src0_sel:WORD_1 src1_sel:DWORD
	s_movk_i32 s4, 0x7f
	v_cmp_lt_i16_e32 vcc, s4, v3
	s_mov_b64 s[4:5], 0
                                        ; implicit-def: $sgpr10
	s_and_saveexec_b64 s[6:7], vcc
	s_xor_b64 s[6:7], exec, s[6:7]
	s_cbranch_execnz .LBB2_3317
; %bb.1269:
	s_or_saveexec_b64 s[6:7], s[6:7]
	v_mov_b32_e32 v4, s10
	s_xor_b64 exec, exec, s[6:7]
	s_cbranch_execnz .LBB2_3320
.LBB2_1270:
	s_or_b64 exec, exec, s[6:7]
	s_and_saveexec_b64 s[6:7], s[4:5]
	s_cbranch_execz .LBB2_1272
.LBB2_1271:
	v_bfe_u32 v3, v5, 16, 3
	v_ffbh_u32_e32 v7, v3
	v_min_u32_e32 v7, 32, v7
	v_lshrrev_b32_e32 v4, 19, v5
	v_subrev_u32_e32 v8, 28, v7
	v_and_b32_e32 v4, 15, v4
	v_lshlrev_b32_sdwa v8, v8, v5 dst_sel:DWORD dst_unused:UNUSED_PAD src0_sel:DWORD src1_sel:WORD_1
	v_bfe_u32 v6, v5, 19, 4
	v_sub_u32_e32 v7, 29, v7
	v_and_b32_e32 v8, 7, v8
	v_cmp_eq_u16_e32 vcc, 0, v4
	v_cndmask_b32_e32 v3, v3, v8, vcc
	v_cndmask_b32_e32 v4, v6, v7, vcc
	v_lshlrev_b32_e32 v6, 8, v5
	v_mov_b32_e32 v7, 0x3b800000
	v_lshlrev_b32_e32 v3, 20, v3
	v_and_b32_e32 v6, 0x80000000, v6
	v_lshl_add_u32 v4, v4, 23, v7
	v_or3_b32 v4, v6, v4, v3
.LBB2_1272:
	s_or_b64 exec, exec, s[6:7]
	s_nop 0
	v_mfma_f32_16x16x4f32 a[0:3], v2, v4, a[0:3]
	s_movk_i32 s4, 0x7f
	v_cmp_gt_i16_sdwa s[6:7], v9, s4 src0_sel:BYTE_3 src1_sel:DWORD
	s_mov_b64 s[4:5], 0
                                        ; implicit-def: $sgpr10
	s_and_saveexec_b64 s[8:9], s[6:7]
	s_xor_b64 s[6:7], exec, s[8:9]
	s_cbranch_execnz .LBB2_3321
; %bb.1273:
	s_or_saveexec_b64 s[6:7], s[6:7]
	v_mov_b32_e32 v2, s10
	s_xor_b64 exec, exec, s[6:7]
	s_cbranch_execnz .LBB2_3324
.LBB2_1274:
	s_or_b64 exec, exec, s[6:7]
	s_and_saveexec_b64 s[6:7], s[4:5]
	s_cbranch_execz .LBB2_1276
.LBB2_1275:
	v_bfe_u32 v2, v9, 24, 3
	v_ffbh_u32_e32 v7, v2
	v_min_u32_e32 v7, 32, v7
	v_lshrrev_b32_e32 v4, 27, v9
	v_subrev_u32_e32 v8, 28, v7
	v_and_b32_e32 v4, 15, v4
	v_lshlrev_b32_sdwa v8, v8, v9 dst_sel:DWORD dst_unused:UNUSED_PAD src0_sel:DWORD src1_sel:BYTE_3
	v_bfe_u32 v6, v9, 27, 4
	v_sub_u32_e32 v7, 29, v7
	v_and_b32_e32 v8, 7, v8
	v_cmp_eq_u16_e32 vcc, 0, v4
	v_cndmask_b32_e32 v2, v2, v8, vcc
	v_cndmask_b32_e32 v4, v6, v7, vcc
	v_mov_b32_e32 v6, 0x3b800000
	v_and_b32_e32 v3, 0x80000000, v9
	v_lshlrev_b32_e32 v2, 20, v2
	v_lshl_add_u32 v4, v4, 23, v6
	v_or3_b32 v2, v3, v4, v2
.LBB2_1276:
	s_or_b64 exec, exec, s[6:7]
	s_movk_i32 s4, 0x7f
	v_cmp_gt_i16_sdwa s[6:7], v5, s4 src0_sel:BYTE_3 src1_sel:DWORD
	s_mov_b64 s[4:5], 0
                                        ; implicit-def: $sgpr10
	s_and_saveexec_b64 s[8:9], s[6:7]
	s_xor_b64 s[6:7], exec, s[8:9]
	s_cbranch_execnz .LBB2_3325
; %bb.1277:
	s_or_saveexec_b64 s[6:7], s[6:7]
	v_mov_b32_e32 v3, s10
	s_xor_b64 exec, exec, s[6:7]
	s_cbranch_execnz .LBB2_3328
.LBB2_1278:
	s_or_b64 exec, exec, s[6:7]
	s_and_saveexec_b64 s[6:7], s[4:5]
	s_cbranch_execz .LBB2_1280
.LBB2_1279:
	v_bfe_u32 v3, v5, 24, 3
	v_ffbh_u32_e32 v8, v3
	v_min_u32_e32 v8, 32, v8
	v_lshrrev_b32_e32 v6, 27, v5
	v_subrev_u32_e32 v9, 28, v8
	v_and_b32_e32 v4, 0x80000000, v5
	v_and_b32_e32 v6, 15, v6
	v_bfe_u32 v7, v5, 27, 4
	v_lshlrev_b32_sdwa v5, v9, v5 dst_sel:DWORD dst_unused:UNUSED_PAD src0_sel:DWORD src1_sel:BYTE_3
	v_sub_u32_e32 v8, 29, v8
	v_and_b32_e32 v5, 7, v5
	v_cmp_eq_u16_e32 vcc, 0, v6
	v_cndmask_b32_e32 v3, v3, v5, vcc
	v_cndmask_b32_e32 v5, v7, v8, vcc
	v_mov_b32_e32 v6, 0x3b800000
	v_lshlrev_b32_e32 v3, 20, v3
	v_lshl_add_u32 v5, v5, 23, v6
	v_or3_b32 v3, v4, v5, v3
.LBB2_1280:
	s_or_b64 exec, exec, s[6:7]
	s_nop 0
	v_mfma_f32_16x16x4f32 a[0:3], v2, v3, a[0:3]
	s_movk_i32 s4, 0x7f
                                        ; implicit-def: $sgpr10
	s_nop 7
	s_nop 1
	flat_store_dwordx4 v[10:11], a[0:3] offset:144
	flat_load_dwordx4 v[12:15], v[0:1] offset:8
	s_nop 0
	flat_load_dwordx2 v[10:11], v[0:1] offset:32
	s_waitcnt vmcnt(0) lgkmcnt(0)
	flat_load_dwordx4 v[6:9], v[12:13] offset:80
	flat_load_dwordx4 v[2:5], v[14:15] offset:80
	s_waitcnt vmcnt(0) lgkmcnt(0)
	v_cmp_gt_i16_sdwa s[6:7], v6, s4 src0_sel:BYTE_0 src1_sel:DWORD
	s_mov_b64 s[4:5], 0
	s_and_saveexec_b64 s[8:9], s[6:7]
	s_xor_b64 s[6:7], exec, s[8:9]
	s_cbranch_execnz .LBB2_3329
; %bb.1281:
	s_or_saveexec_b64 s[6:7], s[6:7]
	v_mov_b32_e32 v12, s10
	s_xor_b64 exec, exec, s[6:7]
	s_cbranch_execnz .LBB2_3332
.LBB2_1282:
	s_or_b64 exec, exec, s[6:7]
	s_and_saveexec_b64 s[6:7], s[4:5]
	s_cbranch_execz .LBB2_1284
.LBB2_1283:
	v_and_b32_e32 v12, 7, v6
	v_ffbh_u32_e32 v14, v12
	v_min_u32_e32 v14, 32, v14
	v_lshrrev_b16_e32 v13, 3, v6
	v_subrev_u32_e32 v15, 28, v14
	v_and_b32_e32 v13, 15, v13
	v_lshlrev_b32_e32 v15, v15, v6
	v_sub_u32_e32 v14, 29, v14
	v_and_b32_e32 v15, 7, v15
	v_cmp_eq_u16_e32 vcc, 0, v13
	v_cndmask_b32_e32 v12, v12, v15, vcc
	v_cndmask_b32_e32 v13, v13, v14, vcc
	v_lshlrev_b32_e32 v14, 24, v6
	v_mov_b32_e32 v15, 0x3b800000
	v_lshlrev_b32_e32 v12, 20, v12
	v_and_b32_e32 v14, 0x80000000, v14
	v_lshl_add_u32 v13, v13, 23, v15
	v_or3_b32 v12, v14, v13, v12
.LBB2_1284:
	s_or_b64 exec, exec, s[6:7]
	s_movk_i32 s4, 0x7f
	v_cmp_gt_i16_sdwa s[6:7], v2, s4 src0_sel:BYTE_0 src1_sel:DWORD
	s_mov_b64 s[4:5], 0
                                        ; implicit-def: $sgpr10
	s_and_saveexec_b64 s[8:9], s[6:7]
	s_xor_b64 s[6:7], exec, s[8:9]
	s_cbranch_execnz .LBB2_3333
; %bb.1285:
	s_or_saveexec_b64 s[6:7], s[6:7]
	v_mov_b32_e32 v13, s10
	s_xor_b64 exec, exec, s[6:7]
	s_cbranch_execnz .LBB2_3336
.LBB2_1286:
	s_or_b64 exec, exec, s[6:7]
	s_and_saveexec_b64 s[6:7], s[4:5]
	s_cbranch_execz .LBB2_1288
.LBB2_1287:
	v_and_b32_e32 v13, 7, v2
	v_ffbh_u32_e32 v15, v13
	v_min_u32_e32 v15, 32, v15
	v_lshrrev_b16_e32 v14, 3, v2
	v_subrev_u32_e32 v16, 28, v15
	v_and_b32_e32 v14, 15, v14
	v_lshlrev_b32_e32 v16, v16, v2
	v_sub_u32_e32 v15, 29, v15
	v_and_b32_e32 v16, 7, v16
	v_cmp_eq_u16_e32 vcc, 0, v14
	v_cndmask_b32_e32 v13, v13, v16, vcc
	v_cndmask_b32_e32 v14, v14, v15, vcc
	v_lshlrev_b32_e32 v15, 24, v2
	v_mov_b32_e32 v16, 0x3b800000
	v_lshlrev_b32_e32 v13, 20, v13
	v_and_b32_e32 v15, 0x80000000, v15
	v_lshl_add_u32 v14, v14, 23, v16
	v_or3_b32 v13, v15, v14, v13
.LBB2_1288:
	s_or_b64 exec, exec, s[6:7]
	flat_load_dwordx4 a[0:3], v[10:11] offset:160
	s_movk_i32 s4, 0x7f
                                        ; implicit-def: $sgpr10
	s_waitcnt vmcnt(0) lgkmcnt(0)
	v_mfma_f32_16x16x4f32 a[0:3], v12, v13, a[0:3]
	v_lshrrev_b32_e32 v13, 8, v6
	v_cmp_gt_i16_sdwa s[6:7], v13, s4 src0_sel:BYTE_0 src1_sel:DWORD
	s_mov_b64 s[4:5], 0
	s_and_saveexec_b64 s[8:9], s[6:7]
	s_xor_b64 s[6:7], exec, s[8:9]
	s_cbranch_execnz .LBB2_3337
; %bb.1289:
	s_or_saveexec_b64 s[6:7], s[6:7]
	v_mov_b32_e32 v12, s10
	s_xor_b64 exec, exec, s[6:7]
	s_cbranch_execnz .LBB2_3340
.LBB2_1290:
	s_or_b64 exec, exec, s[6:7]
	s_and_saveexec_b64 s[6:7], s[4:5]
	s_cbranch_execz .LBB2_1292
.LBB2_1291:
	v_bfe_u32 v12, v6, 8, 3
	v_ffbh_u32_e32 v15, v12
	v_min_u32_e32 v15, 32, v15
	v_lshrrev_b16_e32 v14, 3, v13
	v_subrev_u32_e32 v16, 28, v15
	v_and_b32_e32 v14, 15, v14
	v_lshlrev_b32_e32 v13, v16, v13
	v_sub_u32_e32 v15, 29, v15
	v_and_b32_e32 v13, 7, v13
	v_cmp_eq_u16_e32 vcc, 0, v14
	v_cndmask_b32_e32 v12, v12, v13, vcc
	v_cndmask_b32_e32 v13, v14, v15, vcc
	v_lshlrev_b32_e32 v14, 16, v6
	v_mov_b32_e32 v15, 0x3b800000
	v_lshlrev_b32_e32 v12, 20, v12
	v_and_b32_e32 v14, 0x80000000, v14
	v_lshl_add_u32 v13, v13, 23, v15
	v_or3_b32 v12, v14, v13, v12
.LBB2_1292:
	s_or_b64 exec, exec, s[6:7]
	v_lshrrev_b32_e32 v13, 8, v2
	s_movk_i32 s4, 0x7f
	v_cmp_gt_i16_sdwa s[6:7], v13, s4 src0_sel:BYTE_0 src1_sel:DWORD
	s_mov_b64 s[4:5], 0
                                        ; implicit-def: $sgpr10
	s_and_saveexec_b64 s[8:9], s[6:7]
	s_xor_b64 s[6:7], exec, s[8:9]
	s_cbranch_execnz .LBB2_3341
; %bb.1293:
	s_or_saveexec_b64 s[6:7], s[6:7]
	v_mov_b32_e32 v14, s10
	s_xor_b64 exec, exec, s[6:7]
	s_cbranch_execnz .LBB2_3344
.LBB2_1294:
	s_or_b64 exec, exec, s[6:7]
	s_and_saveexec_b64 s[6:7], s[4:5]
	s_cbranch_execz .LBB2_1296
.LBB2_1295:
	v_bfe_u32 v14, v2, 8, 3
	v_ffbh_u32_e32 v16, v14
	v_min_u32_e32 v16, 32, v16
	v_lshrrev_b16_e32 v15, 3, v13
	v_subrev_u32_e32 v17, 28, v16
	v_and_b32_e32 v15, 15, v15
	v_lshlrev_b32_e32 v13, v17, v13
	v_sub_u32_e32 v16, 29, v16
	v_and_b32_e32 v13, 7, v13
	v_cmp_eq_u16_e32 vcc, 0, v15
	v_cndmask_b32_e32 v13, v14, v13, vcc
	v_cndmask_b32_e32 v14, v15, v16, vcc
	v_lshlrev_b32_e32 v15, 16, v2
	v_mov_b32_e32 v16, 0x3b800000
	v_lshlrev_b32_e32 v13, 20, v13
	v_and_b32_e32 v15, 0x80000000, v15
	v_lshl_add_u32 v14, v14, 23, v16
	v_or3_b32 v14, v15, v14, v13
.LBB2_1296:
	s_or_b64 exec, exec, s[6:7]
	s_nop 0
	v_mfma_f32_16x16x4f32 a[0:3], v12, v14, a[0:3]
	s_movk_i32 s4, 0xff
	v_and_b32_sdwa v13, v6, s4 dst_sel:DWORD dst_unused:UNUSED_PAD src0_sel:WORD_1 src1_sel:DWORD
	s_movk_i32 s4, 0x7f
	v_cmp_lt_i16_e32 vcc, s4, v13
	s_mov_b64 s[4:5], 0
                                        ; implicit-def: $sgpr10
	s_and_saveexec_b64 s[6:7], vcc
	s_xor_b64 s[6:7], exec, s[6:7]
	s_cbranch_execnz .LBB2_3345
; %bb.1297:
	s_or_saveexec_b64 s[6:7], s[6:7]
	v_mov_b32_e32 v12, s10
	s_xor_b64 exec, exec, s[6:7]
	s_cbranch_execnz .LBB2_3348
.LBB2_1298:
	s_or_b64 exec, exec, s[6:7]
	s_and_saveexec_b64 s[6:7], s[4:5]
	s_cbranch_execz .LBB2_1300
.LBB2_1299:
	v_bfe_u32 v12, v6, 16, 3
	v_ffbh_u32_e32 v15, v12
	v_min_u32_e32 v15, 32, v15
	v_lshrrev_b32_e32 v13, 19, v6
	v_subrev_u32_e32 v16, 28, v15
	v_and_b32_e32 v13, 15, v13
	v_lshlrev_b32_sdwa v16, v16, v6 dst_sel:DWORD dst_unused:UNUSED_PAD src0_sel:DWORD src1_sel:WORD_1
	v_bfe_u32 v14, v6, 19, 4
	v_sub_u32_e32 v15, 29, v15
	v_and_b32_e32 v16, 7, v16
	v_cmp_eq_u16_e32 vcc, 0, v13
	v_cndmask_b32_e32 v12, v12, v16, vcc
	v_cndmask_b32_e32 v13, v14, v15, vcc
	v_lshlrev_b32_e32 v14, 8, v6
	v_mov_b32_e32 v15, 0x3b800000
	v_lshlrev_b32_e32 v12, 20, v12
	v_and_b32_e32 v14, 0x80000000, v14
	v_lshl_add_u32 v13, v13, 23, v15
	v_or3_b32 v12, v14, v13, v12
.LBB2_1300:
	s_or_b64 exec, exec, s[6:7]
	s_movk_i32 s4, 0xff
	v_and_b32_sdwa v13, v2, s4 dst_sel:DWORD dst_unused:UNUSED_PAD src0_sel:WORD_1 src1_sel:DWORD
	s_movk_i32 s4, 0x7f
	v_cmp_lt_i16_e32 vcc, s4, v13
	s_mov_b64 s[4:5], 0
                                        ; implicit-def: $sgpr10
	s_and_saveexec_b64 s[6:7], vcc
	s_xor_b64 s[6:7], exec, s[6:7]
	s_cbranch_execnz .LBB2_3349
; %bb.1301:
	s_or_saveexec_b64 s[6:7], s[6:7]
	v_mov_b32_e32 v14, s10
	s_xor_b64 exec, exec, s[6:7]
	s_cbranch_execnz .LBB2_3352
.LBB2_1302:
	s_or_b64 exec, exec, s[6:7]
	s_and_saveexec_b64 s[6:7], s[4:5]
	s_cbranch_execz .LBB2_1304
.LBB2_1303:
	v_bfe_u32 v13, v2, 16, 3
	v_ffbh_u32_e32 v16, v13
	v_min_u32_e32 v16, 32, v16
	v_lshrrev_b32_e32 v14, 19, v2
	v_subrev_u32_e32 v17, 28, v16
	v_and_b32_e32 v14, 15, v14
	v_lshlrev_b32_sdwa v17, v17, v2 dst_sel:DWORD dst_unused:UNUSED_PAD src0_sel:DWORD src1_sel:WORD_1
	v_bfe_u32 v15, v2, 19, 4
	v_sub_u32_e32 v16, 29, v16
	v_and_b32_e32 v17, 7, v17
	v_cmp_eq_u16_e32 vcc, 0, v14
	v_cndmask_b32_e32 v13, v13, v17, vcc
	v_cndmask_b32_e32 v14, v15, v16, vcc
	v_lshlrev_b32_e32 v15, 8, v2
	v_mov_b32_e32 v16, 0x3b800000
	v_lshlrev_b32_e32 v13, 20, v13
	v_and_b32_e32 v15, 0x80000000, v15
	v_lshl_add_u32 v14, v14, 23, v16
	v_or3_b32 v14, v15, v14, v13
.LBB2_1304:
	s_or_b64 exec, exec, s[6:7]
	s_nop 0
	v_mfma_f32_16x16x4f32 a[0:3], v12, v14, a[0:3]
	s_movk_i32 s4, 0x7f
	v_cmp_gt_i16_sdwa s[6:7], v6, s4 src0_sel:BYTE_3 src1_sel:DWORD
	s_mov_b64 s[4:5], 0
                                        ; implicit-def: $sgpr10
	s_and_saveexec_b64 s[8:9], s[6:7]
	s_xor_b64 s[6:7], exec, s[8:9]
	s_cbranch_execnz .LBB2_3353
; %bb.1305:
	s_or_saveexec_b64 s[6:7], s[6:7]
	v_mov_b32_e32 v12, s10
	s_xor_b64 exec, exec, s[6:7]
	s_cbranch_execnz .LBB2_3356
.LBB2_1306:
	s_or_b64 exec, exec, s[6:7]
	s_and_saveexec_b64 s[6:7], s[4:5]
	s_cbranch_execz .LBB2_1308
.LBB2_1307:
	v_bfe_u32 v12, v6, 24, 3
	v_ffbh_u32_e32 v16, v12
	v_min_u32_e32 v16, 32, v16
	v_lshrrev_b32_e32 v14, 27, v6
	v_subrev_u32_e32 v17, 28, v16
	v_and_b32_e32 v13, 0x80000000, v6
	v_and_b32_e32 v14, 15, v14
	v_bfe_u32 v15, v6, 27, 4
	v_lshlrev_b32_sdwa v6, v17, v6 dst_sel:DWORD dst_unused:UNUSED_PAD src0_sel:DWORD src1_sel:BYTE_3
	v_sub_u32_e32 v16, 29, v16
	v_and_b32_e32 v6, 7, v6
	v_cmp_eq_u16_e32 vcc, 0, v14
	v_cndmask_b32_e32 v6, v12, v6, vcc
	v_cndmask_b32_e32 v12, v15, v16, vcc
	v_mov_b32_e32 v14, 0x3b800000
	v_lshlrev_b32_e32 v6, 20, v6
	v_lshl_add_u32 v12, v12, 23, v14
	v_or3_b32 v12, v13, v12, v6
.LBB2_1308:
	s_or_b64 exec, exec, s[6:7]
	s_movk_i32 s4, 0x7f
	v_cmp_gt_i16_sdwa s[6:7], v2, s4 src0_sel:BYTE_3 src1_sel:DWORD
	s_mov_b64 s[4:5], 0
                                        ; implicit-def: $sgpr10
	s_and_saveexec_b64 s[8:9], s[6:7]
	s_xor_b64 s[6:7], exec, s[8:9]
	s_cbranch_execnz .LBB2_3357
; %bb.1309:
	s_or_saveexec_b64 s[6:7], s[6:7]
	v_mov_b32_e32 v6, s10
	s_xor_b64 exec, exec, s[6:7]
	s_cbranch_execnz .LBB2_3360
.LBB2_1310:
	s_or_b64 exec, exec, s[6:7]
	s_and_saveexec_b64 s[6:7], s[4:5]
	s_cbranch_execz .LBB2_1312
.LBB2_1311:
	v_bfe_u32 v6, v2, 24, 3
	v_ffbh_u32_e32 v16, v6
	v_min_u32_e32 v16, 32, v16
	v_lshrrev_b32_e32 v14, 27, v2
	v_subrev_u32_e32 v17, 28, v16
	v_and_b32_e32 v13, 0x80000000, v2
	v_and_b32_e32 v14, 15, v14
	v_bfe_u32 v15, v2, 27, 4
	v_lshlrev_b32_sdwa v2, v17, v2 dst_sel:DWORD dst_unused:UNUSED_PAD src0_sel:DWORD src1_sel:BYTE_3
	v_sub_u32_e32 v16, 29, v16
	v_and_b32_e32 v2, 7, v2
	v_cmp_eq_u16_e32 vcc, 0, v14
	v_cndmask_b32_e32 v2, v6, v2, vcc
	v_cndmask_b32_e32 v6, v15, v16, vcc
	v_mov_b32_e32 v14, 0x3b800000
	v_lshlrev_b32_e32 v2, 20, v2
	v_lshl_add_u32 v6, v6, 23, v14
	v_or3_b32 v6, v13, v6, v2
.LBB2_1312:
	s_or_b64 exec, exec, s[6:7]
	s_nop 0
	v_mfma_f32_16x16x4f32 a[0:3], v12, v6, a[0:3]
	s_movk_i32 s4, 0x7f
	v_cmp_gt_i16_sdwa s[6:7], v7, s4 src0_sel:BYTE_0 src1_sel:DWORD
	s_mov_b64 s[4:5], 0
                                        ; implicit-def: $sgpr10
	s_and_saveexec_b64 s[8:9], s[6:7]
	s_xor_b64 s[6:7], exec, s[8:9]
	s_cbranch_execnz .LBB2_3361
; %bb.1313:
	s_or_saveexec_b64 s[6:7], s[6:7]
	v_mov_b32_e32 v2, s10
	s_xor_b64 exec, exec, s[6:7]
	s_cbranch_execnz .LBB2_3364
.LBB2_1314:
	s_or_b64 exec, exec, s[6:7]
	s_and_saveexec_b64 s[6:7], s[4:5]
	s_cbranch_execz .LBB2_1316
.LBB2_1315:
	v_and_b32_e32 v2, 7, v7
	v_ffbh_u32_e32 v12, v2
	v_min_u32_e32 v12, 32, v12
	v_lshrrev_b16_e32 v6, 3, v7
	v_subrev_u32_e32 v13, 28, v12
	v_and_b32_e32 v6, 15, v6
	v_lshlrev_b32_e32 v13, v13, v7
	v_sub_u32_e32 v12, 29, v12
	v_and_b32_e32 v13, 7, v13
	v_cmp_eq_u16_e32 vcc, 0, v6
	v_cndmask_b32_e32 v2, v2, v13, vcc
	v_cndmask_b32_e32 v6, v6, v12, vcc
	v_lshlrev_b32_e32 v12, 24, v7
	v_mov_b32_e32 v13, 0x3b800000
	v_lshlrev_b32_e32 v2, 20, v2
	v_and_b32_e32 v12, 0x80000000, v12
	v_lshl_add_u32 v6, v6, 23, v13
	v_or3_b32 v2, v12, v6, v2
.LBB2_1316:
	s_or_b64 exec, exec, s[6:7]
	s_movk_i32 s4, 0x7f
	v_cmp_gt_i16_sdwa s[6:7], v3, s4 src0_sel:BYTE_0 src1_sel:DWORD
	s_mov_b64 s[4:5], 0
                                        ; implicit-def: $sgpr10
	s_and_saveexec_b64 s[8:9], s[6:7]
	s_xor_b64 s[6:7], exec, s[8:9]
	s_cbranch_execnz .LBB2_3365
; %bb.1317:
	s_or_saveexec_b64 s[6:7], s[6:7]
	v_mov_b32_e32 v6, s10
	s_xor_b64 exec, exec, s[6:7]
	s_cbranch_execnz .LBB2_3368
.LBB2_1318:
	s_or_b64 exec, exec, s[6:7]
	s_and_saveexec_b64 s[6:7], s[4:5]
	s_cbranch_execz .LBB2_1320
.LBB2_1319:
	v_and_b32_e32 v6, 7, v3
	v_ffbh_u32_e32 v13, v6
	v_min_u32_e32 v13, 32, v13
	v_lshrrev_b16_e32 v12, 3, v3
	v_subrev_u32_e32 v14, 28, v13
	v_and_b32_e32 v12, 15, v12
	v_lshlrev_b32_e32 v14, v14, v3
	v_sub_u32_e32 v13, 29, v13
	v_and_b32_e32 v14, 7, v14
	v_cmp_eq_u16_e32 vcc, 0, v12
	v_cndmask_b32_e32 v6, v6, v14, vcc
	v_cndmask_b32_e32 v12, v12, v13, vcc
	v_lshlrev_b32_e32 v13, 24, v3
	v_mov_b32_e32 v14, 0x3b800000
	v_lshlrev_b32_e32 v6, 20, v6
	v_and_b32_e32 v13, 0x80000000, v13
	v_lshl_add_u32 v12, v12, 23, v14
	v_or3_b32 v6, v13, v12, v6
.LBB2_1320:
	s_or_b64 exec, exec, s[6:7]
	s_nop 0
	v_mfma_f32_16x16x4f32 a[0:3], v2, v6, a[0:3]
	v_lshrrev_b32_e32 v6, 8, v7
	s_movk_i32 s4, 0x7f
	v_cmp_gt_i16_sdwa s[6:7], v6, s4 src0_sel:BYTE_0 src1_sel:DWORD
	s_mov_b64 s[4:5], 0
                                        ; implicit-def: $sgpr10
	s_and_saveexec_b64 s[8:9], s[6:7]
	s_xor_b64 s[6:7], exec, s[8:9]
	s_cbranch_execnz .LBB2_3369
; %bb.1321:
	s_or_saveexec_b64 s[6:7], s[6:7]
	v_mov_b32_e32 v2, s10
	s_xor_b64 exec, exec, s[6:7]
	s_cbranch_execnz .LBB2_3372
.LBB2_1322:
	s_or_b64 exec, exec, s[6:7]
	s_and_saveexec_b64 s[6:7], s[4:5]
	s_cbranch_execz .LBB2_1324
.LBB2_1323:
	v_bfe_u32 v2, v7, 8, 3
	v_ffbh_u32_e32 v13, v2
	v_min_u32_e32 v13, 32, v13
	v_lshrrev_b16_e32 v12, 3, v6
	v_subrev_u32_e32 v14, 28, v13
	v_and_b32_e32 v12, 15, v12
	v_lshlrev_b32_e32 v6, v14, v6
	v_sub_u32_e32 v13, 29, v13
	v_and_b32_e32 v6, 7, v6
	v_cmp_eq_u16_e32 vcc, 0, v12
	v_cndmask_b32_e32 v2, v2, v6, vcc
	v_cndmask_b32_e32 v6, v12, v13, vcc
	v_lshlrev_b32_e32 v12, 16, v7
	v_mov_b32_e32 v13, 0x3b800000
	v_lshlrev_b32_e32 v2, 20, v2
	v_and_b32_e32 v12, 0x80000000, v12
	v_lshl_add_u32 v6, v6, 23, v13
	v_or3_b32 v2, v12, v6, v2
.LBB2_1324:
	s_or_b64 exec, exec, s[6:7]
	v_lshrrev_b32_e32 v6, 8, v3
	s_movk_i32 s4, 0x7f
	v_cmp_gt_i16_sdwa s[6:7], v6, s4 src0_sel:BYTE_0 src1_sel:DWORD
	s_mov_b64 s[4:5], 0
                                        ; implicit-def: $sgpr10
	s_and_saveexec_b64 s[8:9], s[6:7]
	s_xor_b64 s[6:7], exec, s[8:9]
	s_cbranch_execnz .LBB2_3373
; %bb.1325:
	s_or_saveexec_b64 s[6:7], s[6:7]
	v_mov_b32_e32 v12, s10
	s_xor_b64 exec, exec, s[6:7]
	s_cbranch_execnz .LBB2_3376
.LBB2_1326:
	s_or_b64 exec, exec, s[6:7]
	s_and_saveexec_b64 s[6:7], s[4:5]
	s_cbranch_execz .LBB2_1328
.LBB2_1327:
	v_bfe_u32 v12, v3, 8, 3
	v_ffbh_u32_e32 v14, v12
	v_min_u32_e32 v14, 32, v14
	v_lshrrev_b16_e32 v13, 3, v6
	v_subrev_u32_e32 v15, 28, v14
	v_and_b32_e32 v13, 15, v13
	v_lshlrev_b32_e32 v6, v15, v6
	v_sub_u32_e32 v14, 29, v14
	v_and_b32_e32 v6, 7, v6
	v_cmp_eq_u16_e32 vcc, 0, v13
	v_cndmask_b32_e32 v6, v12, v6, vcc
	v_cndmask_b32_e32 v12, v13, v14, vcc
	v_lshlrev_b32_e32 v13, 16, v3
	v_mov_b32_e32 v14, 0x3b800000
	v_lshlrev_b32_e32 v6, 20, v6
	v_and_b32_e32 v13, 0x80000000, v13
	v_lshl_add_u32 v12, v12, 23, v14
	v_or3_b32 v12, v13, v12, v6
.LBB2_1328:
	s_or_b64 exec, exec, s[6:7]
	s_nop 0
	v_mfma_f32_16x16x4f32 a[0:3], v2, v12, a[0:3]
	s_movk_i32 s4, 0xff
	v_and_b32_sdwa v6, v7, s4 dst_sel:DWORD dst_unused:UNUSED_PAD src0_sel:WORD_1 src1_sel:DWORD
	s_movk_i32 s4, 0x7f
	v_cmp_lt_i16_e32 vcc, s4, v6
	s_mov_b64 s[4:5], 0
                                        ; implicit-def: $sgpr10
	s_and_saveexec_b64 s[6:7], vcc
	s_xor_b64 s[6:7], exec, s[6:7]
	s_cbranch_execnz .LBB2_3377
; %bb.1329:
	s_or_saveexec_b64 s[6:7], s[6:7]
	v_mov_b32_e32 v2, s10
	s_xor_b64 exec, exec, s[6:7]
	s_cbranch_execnz .LBB2_3380
.LBB2_1330:
	s_or_b64 exec, exec, s[6:7]
	s_and_saveexec_b64 s[6:7], s[4:5]
	s_cbranch_execz .LBB2_1332
.LBB2_1331:
	v_bfe_u32 v2, v7, 16, 3
	v_ffbh_u32_e32 v13, v2
	v_min_u32_e32 v13, 32, v13
	v_lshrrev_b32_e32 v6, 19, v7
	v_subrev_u32_e32 v14, 28, v13
	v_and_b32_e32 v6, 15, v6
	v_lshlrev_b32_sdwa v14, v14, v7 dst_sel:DWORD dst_unused:UNUSED_PAD src0_sel:DWORD src1_sel:WORD_1
	v_bfe_u32 v12, v7, 19, 4
	v_sub_u32_e32 v13, 29, v13
	v_and_b32_e32 v14, 7, v14
	v_cmp_eq_u16_e32 vcc, 0, v6
	v_cndmask_b32_e32 v2, v2, v14, vcc
	v_cndmask_b32_e32 v6, v12, v13, vcc
	v_lshlrev_b32_e32 v12, 8, v7
	v_mov_b32_e32 v13, 0x3b800000
	v_lshlrev_b32_e32 v2, 20, v2
	v_and_b32_e32 v12, 0x80000000, v12
	v_lshl_add_u32 v6, v6, 23, v13
	v_or3_b32 v2, v12, v6, v2
.LBB2_1332:
	s_or_b64 exec, exec, s[6:7]
	s_movk_i32 s4, 0xff
	v_and_b32_sdwa v6, v3, s4 dst_sel:DWORD dst_unused:UNUSED_PAD src0_sel:WORD_1 src1_sel:DWORD
	s_movk_i32 s4, 0x7f
	v_cmp_lt_i16_e32 vcc, s4, v6
	s_mov_b64 s[4:5], 0
                                        ; implicit-def: $sgpr10
	s_and_saveexec_b64 s[6:7], vcc
	s_xor_b64 s[6:7], exec, s[6:7]
	s_cbranch_execnz .LBB2_3381
; %bb.1333:
	s_or_saveexec_b64 s[6:7], s[6:7]
	v_mov_b32_e32 v12, s10
	s_xor_b64 exec, exec, s[6:7]
	s_cbranch_execnz .LBB2_3384
.LBB2_1334:
	s_or_b64 exec, exec, s[6:7]
	s_and_saveexec_b64 s[6:7], s[4:5]
	s_cbranch_execz .LBB2_1336
.LBB2_1335:
	v_bfe_u32 v6, v3, 16, 3
	v_ffbh_u32_e32 v14, v6
	v_min_u32_e32 v14, 32, v14
	v_lshrrev_b32_e32 v12, 19, v3
	v_subrev_u32_e32 v15, 28, v14
	v_and_b32_e32 v12, 15, v12
	v_lshlrev_b32_sdwa v15, v15, v3 dst_sel:DWORD dst_unused:UNUSED_PAD src0_sel:DWORD src1_sel:WORD_1
	v_bfe_u32 v13, v3, 19, 4
	v_sub_u32_e32 v14, 29, v14
	v_and_b32_e32 v15, 7, v15
	v_cmp_eq_u16_e32 vcc, 0, v12
	v_cndmask_b32_e32 v6, v6, v15, vcc
	v_cndmask_b32_e32 v12, v13, v14, vcc
	v_lshlrev_b32_e32 v13, 8, v3
	v_mov_b32_e32 v14, 0x3b800000
	v_lshlrev_b32_e32 v6, 20, v6
	v_and_b32_e32 v13, 0x80000000, v13
	v_lshl_add_u32 v12, v12, 23, v14
	v_or3_b32 v12, v13, v12, v6
.LBB2_1336:
	s_or_b64 exec, exec, s[6:7]
	s_nop 0
	v_mfma_f32_16x16x4f32 a[0:3], v2, v12, a[0:3]
	s_movk_i32 s4, 0x7f
	v_cmp_gt_i16_sdwa s[6:7], v7, s4 src0_sel:BYTE_3 src1_sel:DWORD
	s_mov_b64 s[4:5], 0
                                        ; implicit-def: $sgpr10
	s_and_saveexec_b64 s[8:9], s[6:7]
	s_xor_b64 s[6:7], exec, s[8:9]
	s_cbranch_execnz .LBB2_3385
; %bb.1337:
	s_or_saveexec_b64 s[6:7], s[6:7]
	v_mov_b32_e32 v2, s10
	s_xor_b64 exec, exec, s[6:7]
	s_cbranch_execnz .LBB2_3388
.LBB2_1338:
	s_or_b64 exec, exec, s[6:7]
	s_and_saveexec_b64 s[6:7], s[4:5]
	s_cbranch_execz .LBB2_1340
.LBB2_1339:
	v_bfe_u32 v2, v7, 24, 3
	v_ffbh_u32_e32 v14, v2
	v_min_u32_e32 v14, 32, v14
	v_lshrrev_b32_e32 v12, 27, v7
	v_subrev_u32_e32 v15, 28, v14
	v_and_b32_e32 v6, 0x80000000, v7
	v_and_b32_e32 v12, 15, v12
	v_bfe_u32 v13, v7, 27, 4
	v_lshlrev_b32_sdwa v7, v15, v7 dst_sel:DWORD dst_unused:UNUSED_PAD src0_sel:DWORD src1_sel:BYTE_3
	v_sub_u32_e32 v14, 29, v14
	v_and_b32_e32 v7, 7, v7
	v_cmp_eq_u16_e32 vcc, 0, v12
	v_cndmask_b32_e32 v2, v2, v7, vcc
	v_cndmask_b32_e32 v7, v13, v14, vcc
	v_mov_b32_e32 v12, 0x3b800000
	v_lshlrev_b32_e32 v2, 20, v2
	v_lshl_add_u32 v7, v7, 23, v12
	v_or3_b32 v2, v6, v7, v2
.LBB2_1340:
	s_or_b64 exec, exec, s[6:7]
	s_movk_i32 s4, 0x7f
	v_cmp_gt_i16_sdwa s[6:7], v3, s4 src0_sel:BYTE_3 src1_sel:DWORD
	s_mov_b64 s[4:5], 0
                                        ; implicit-def: $sgpr10
	s_and_saveexec_b64 s[8:9], s[6:7]
	s_xor_b64 s[6:7], exec, s[8:9]
	s_cbranch_execnz .LBB2_3389
; %bb.1341:
	s_or_saveexec_b64 s[6:7], s[6:7]
	v_mov_b32_e32 v6, s10
	s_xor_b64 exec, exec, s[6:7]
	s_cbranch_execnz .LBB2_3392
.LBB2_1342:
	s_or_b64 exec, exec, s[6:7]
	s_and_saveexec_b64 s[6:7], s[4:5]
	s_cbranch_execz .LBB2_1344
.LBB2_1343:
	v_bfe_u32 v6, v3, 24, 3
	v_ffbh_u32_e32 v14, v6
	v_min_u32_e32 v14, 32, v14
	v_lshrrev_b32_e32 v12, 27, v3
	v_subrev_u32_e32 v15, 28, v14
	v_and_b32_e32 v7, 0x80000000, v3
	v_and_b32_e32 v12, 15, v12
	v_bfe_u32 v13, v3, 27, 4
	v_lshlrev_b32_sdwa v3, v15, v3 dst_sel:DWORD dst_unused:UNUSED_PAD src0_sel:DWORD src1_sel:BYTE_3
	v_sub_u32_e32 v14, 29, v14
	v_and_b32_e32 v3, 7, v3
	v_cmp_eq_u16_e32 vcc, 0, v12
	v_cndmask_b32_e32 v3, v6, v3, vcc
	v_cndmask_b32_e32 v6, v13, v14, vcc
	v_mov_b32_e32 v12, 0x3b800000
	v_lshlrev_b32_e32 v3, 20, v3
	v_lshl_add_u32 v6, v6, 23, v12
	v_or3_b32 v6, v7, v6, v3
.LBB2_1344:
	s_or_b64 exec, exec, s[6:7]
	s_nop 0
	v_mfma_f32_16x16x4f32 a[0:3], v2, v6, a[0:3]
	s_movk_i32 s4, 0x7f
	v_cmp_gt_i16_sdwa s[6:7], v8, s4 src0_sel:BYTE_0 src1_sel:DWORD
	s_mov_b64 s[4:5], 0
                                        ; implicit-def: $sgpr10
	s_and_saveexec_b64 s[8:9], s[6:7]
	s_xor_b64 s[6:7], exec, s[8:9]
	s_cbranch_execnz .LBB2_3393
; %bb.1345:
	s_or_saveexec_b64 s[6:7], s[6:7]
	v_mov_b32_e32 v2, s10
	s_xor_b64 exec, exec, s[6:7]
	s_cbranch_execnz .LBB2_3396
.LBB2_1346:
	s_or_b64 exec, exec, s[6:7]
	s_and_saveexec_b64 s[6:7], s[4:5]
	s_cbranch_execz .LBB2_1348
.LBB2_1347:
	v_and_b32_e32 v2, 7, v8
	v_ffbh_u32_e32 v6, v2
	v_min_u32_e32 v6, 32, v6
	v_lshrrev_b16_e32 v3, 3, v8
	v_subrev_u32_e32 v7, 28, v6
	v_and_b32_e32 v3, 15, v3
	v_lshlrev_b32_e32 v7, v7, v8
	v_sub_u32_e32 v6, 29, v6
	v_and_b32_e32 v7, 7, v7
	v_cmp_eq_u16_e32 vcc, 0, v3
	v_cndmask_b32_e32 v2, v2, v7, vcc
	v_cndmask_b32_e32 v3, v3, v6, vcc
	v_lshlrev_b32_e32 v6, 24, v8
	v_mov_b32_e32 v7, 0x3b800000
	v_lshlrev_b32_e32 v2, 20, v2
	v_and_b32_e32 v6, 0x80000000, v6
	v_lshl_add_u32 v3, v3, 23, v7
	v_or3_b32 v2, v6, v3, v2
.LBB2_1348:
	s_or_b64 exec, exec, s[6:7]
	s_movk_i32 s4, 0x7f
	v_cmp_gt_i16_sdwa s[6:7], v4, s4 src0_sel:BYTE_0 src1_sel:DWORD
	s_mov_b64 s[4:5], 0
                                        ; implicit-def: $sgpr10
	s_and_saveexec_b64 s[8:9], s[6:7]
	s_xor_b64 s[6:7], exec, s[8:9]
	s_cbranch_execnz .LBB2_3397
; %bb.1349:
	s_or_saveexec_b64 s[6:7], s[6:7]
	v_mov_b32_e32 v3, s10
	s_xor_b64 exec, exec, s[6:7]
	s_cbranch_execnz .LBB2_3400
.LBB2_1350:
	s_or_b64 exec, exec, s[6:7]
	s_and_saveexec_b64 s[6:7], s[4:5]
	s_cbranch_execz .LBB2_1352
.LBB2_1351:
	v_and_b32_e32 v3, 7, v4
	v_ffbh_u32_e32 v7, v3
	v_min_u32_e32 v7, 32, v7
	v_lshrrev_b16_e32 v6, 3, v4
	v_subrev_u32_e32 v12, 28, v7
	v_and_b32_e32 v6, 15, v6
	v_lshlrev_b32_e32 v12, v12, v4
	v_sub_u32_e32 v7, 29, v7
	v_and_b32_e32 v12, 7, v12
	v_cmp_eq_u16_e32 vcc, 0, v6
	v_cndmask_b32_e32 v3, v3, v12, vcc
	v_cndmask_b32_e32 v6, v6, v7, vcc
	v_lshlrev_b32_e32 v7, 24, v4
	v_mov_b32_e32 v12, 0x3b800000
	v_lshlrev_b32_e32 v3, 20, v3
	v_and_b32_e32 v7, 0x80000000, v7
	v_lshl_add_u32 v6, v6, 23, v12
	v_or3_b32 v3, v7, v6, v3
.LBB2_1352:
	s_or_b64 exec, exec, s[6:7]
	s_nop 0
	v_mfma_f32_16x16x4f32 a[0:3], v2, v3, a[0:3]
	v_lshrrev_b32_e32 v3, 8, v8
	s_movk_i32 s4, 0x7f
	v_cmp_gt_i16_sdwa s[6:7], v3, s4 src0_sel:BYTE_0 src1_sel:DWORD
	s_mov_b64 s[4:5], 0
                                        ; implicit-def: $sgpr10
	s_and_saveexec_b64 s[8:9], s[6:7]
	s_xor_b64 s[6:7], exec, s[8:9]
	s_cbranch_execnz .LBB2_3401
; %bb.1353:
	s_or_saveexec_b64 s[6:7], s[6:7]
	v_mov_b32_e32 v2, s10
	s_xor_b64 exec, exec, s[6:7]
	s_cbranch_execnz .LBB2_3404
.LBB2_1354:
	s_or_b64 exec, exec, s[6:7]
	s_and_saveexec_b64 s[6:7], s[4:5]
	s_cbranch_execz .LBB2_1356
.LBB2_1355:
	v_bfe_u32 v2, v8, 8, 3
	v_ffbh_u32_e32 v7, v2
	v_min_u32_e32 v7, 32, v7
	v_lshrrev_b16_e32 v6, 3, v3
	v_subrev_u32_e32 v12, 28, v7
	v_and_b32_e32 v6, 15, v6
	v_lshlrev_b32_e32 v3, v12, v3
	v_sub_u32_e32 v7, 29, v7
	v_and_b32_e32 v3, 7, v3
	v_cmp_eq_u16_e32 vcc, 0, v6
	v_cndmask_b32_e32 v2, v2, v3, vcc
	v_cndmask_b32_e32 v3, v6, v7, vcc
	v_lshlrev_b32_e32 v6, 16, v8
	v_mov_b32_e32 v7, 0x3b800000
	v_lshlrev_b32_e32 v2, 20, v2
	v_and_b32_e32 v6, 0x80000000, v6
	v_lshl_add_u32 v3, v3, 23, v7
	v_or3_b32 v2, v6, v3, v2
.LBB2_1356:
	s_or_b64 exec, exec, s[6:7]
	v_lshrrev_b32_e32 v3, 8, v4
	s_movk_i32 s4, 0x7f
	v_cmp_gt_i16_sdwa s[6:7], v3, s4 src0_sel:BYTE_0 src1_sel:DWORD
	s_mov_b64 s[4:5], 0
                                        ; implicit-def: $sgpr10
	s_and_saveexec_b64 s[8:9], s[6:7]
	s_xor_b64 s[6:7], exec, s[8:9]
	s_cbranch_execnz .LBB2_3405
; %bb.1357:
	s_or_saveexec_b64 s[6:7], s[6:7]
	v_mov_b32_e32 v6, s10
	s_xor_b64 exec, exec, s[6:7]
	s_cbranch_execnz .LBB2_3408
.LBB2_1358:
	s_or_b64 exec, exec, s[6:7]
	s_and_saveexec_b64 s[6:7], s[4:5]
	s_cbranch_execz .LBB2_1360
.LBB2_1359:
	v_bfe_u32 v6, v4, 8, 3
	v_ffbh_u32_e32 v12, v6
	v_min_u32_e32 v12, 32, v12
	v_lshrrev_b16_e32 v7, 3, v3
	v_subrev_u32_e32 v13, 28, v12
	v_and_b32_e32 v7, 15, v7
	v_lshlrev_b32_e32 v3, v13, v3
	v_sub_u32_e32 v12, 29, v12
	v_and_b32_e32 v3, 7, v3
	v_cmp_eq_u16_e32 vcc, 0, v7
	v_cndmask_b32_e32 v3, v6, v3, vcc
	v_cndmask_b32_e32 v6, v7, v12, vcc
	v_lshlrev_b32_e32 v7, 16, v4
	v_mov_b32_e32 v12, 0x3b800000
	v_lshlrev_b32_e32 v3, 20, v3
	v_and_b32_e32 v7, 0x80000000, v7
	v_lshl_add_u32 v6, v6, 23, v12
	v_or3_b32 v6, v7, v6, v3
.LBB2_1360:
	s_or_b64 exec, exec, s[6:7]
	s_nop 0
	v_mfma_f32_16x16x4f32 a[0:3], v2, v6, a[0:3]
	s_movk_i32 s4, 0xff
	v_and_b32_sdwa v3, v8, s4 dst_sel:DWORD dst_unused:UNUSED_PAD src0_sel:WORD_1 src1_sel:DWORD
	s_movk_i32 s4, 0x7f
	v_cmp_lt_i16_e32 vcc, s4, v3
	s_mov_b64 s[4:5], 0
                                        ; implicit-def: $sgpr10
	s_and_saveexec_b64 s[6:7], vcc
	s_xor_b64 s[6:7], exec, s[6:7]
	s_cbranch_execnz .LBB2_3409
; %bb.1361:
	s_or_saveexec_b64 s[6:7], s[6:7]
	v_mov_b32_e32 v2, s10
	s_xor_b64 exec, exec, s[6:7]
	s_cbranch_execnz .LBB2_3412
.LBB2_1362:
	s_or_b64 exec, exec, s[6:7]
	s_and_saveexec_b64 s[6:7], s[4:5]
	s_cbranch_execz .LBB2_1364
.LBB2_1363:
	v_bfe_u32 v2, v8, 16, 3
	v_ffbh_u32_e32 v7, v2
	v_min_u32_e32 v7, 32, v7
	v_lshrrev_b32_e32 v3, 19, v8
	v_subrev_u32_e32 v12, 28, v7
	v_and_b32_e32 v3, 15, v3
	v_lshlrev_b32_sdwa v12, v12, v8 dst_sel:DWORD dst_unused:UNUSED_PAD src0_sel:DWORD src1_sel:WORD_1
	v_bfe_u32 v6, v8, 19, 4
	v_sub_u32_e32 v7, 29, v7
	v_and_b32_e32 v12, 7, v12
	v_cmp_eq_u16_e32 vcc, 0, v3
	v_cndmask_b32_e32 v2, v2, v12, vcc
	v_cndmask_b32_e32 v3, v6, v7, vcc
	v_lshlrev_b32_e32 v6, 8, v8
	v_mov_b32_e32 v7, 0x3b800000
	v_lshlrev_b32_e32 v2, 20, v2
	v_and_b32_e32 v6, 0x80000000, v6
	v_lshl_add_u32 v3, v3, 23, v7
	v_or3_b32 v2, v6, v3, v2
.LBB2_1364:
	s_or_b64 exec, exec, s[6:7]
	s_movk_i32 s4, 0xff
	v_and_b32_sdwa v3, v4, s4 dst_sel:DWORD dst_unused:UNUSED_PAD src0_sel:WORD_1 src1_sel:DWORD
	s_movk_i32 s4, 0x7f
	v_cmp_lt_i16_e32 vcc, s4, v3
	s_mov_b64 s[4:5], 0
                                        ; implicit-def: $sgpr10
	s_and_saveexec_b64 s[6:7], vcc
	s_xor_b64 s[6:7], exec, s[6:7]
	s_cbranch_execnz .LBB2_3413
; %bb.1365:
	s_or_saveexec_b64 s[6:7], s[6:7]
	v_mov_b32_e32 v6, s10
	s_xor_b64 exec, exec, s[6:7]
	s_cbranch_execnz .LBB2_3416
.LBB2_1366:
	s_or_b64 exec, exec, s[6:7]
	s_and_saveexec_b64 s[6:7], s[4:5]
	s_cbranch_execz .LBB2_1368
.LBB2_1367:
	v_bfe_u32 v3, v4, 16, 3
	v_ffbh_u32_e32 v12, v3
	v_min_u32_e32 v12, 32, v12
	v_lshrrev_b32_e32 v6, 19, v4
	v_subrev_u32_e32 v13, 28, v12
	v_and_b32_e32 v6, 15, v6
	v_lshlrev_b32_sdwa v13, v13, v4 dst_sel:DWORD dst_unused:UNUSED_PAD src0_sel:DWORD src1_sel:WORD_1
	v_bfe_u32 v7, v4, 19, 4
	v_sub_u32_e32 v12, 29, v12
	v_and_b32_e32 v13, 7, v13
	v_cmp_eq_u16_e32 vcc, 0, v6
	v_cndmask_b32_e32 v3, v3, v13, vcc
	v_cndmask_b32_e32 v6, v7, v12, vcc
	v_lshlrev_b32_e32 v7, 8, v4
	v_mov_b32_e32 v12, 0x3b800000
	v_lshlrev_b32_e32 v3, 20, v3
	v_and_b32_e32 v7, 0x80000000, v7
	v_lshl_add_u32 v6, v6, 23, v12
	v_or3_b32 v6, v7, v6, v3
.LBB2_1368:
	s_or_b64 exec, exec, s[6:7]
	s_nop 0
	v_mfma_f32_16x16x4f32 a[0:3], v2, v6, a[0:3]
	s_movk_i32 s4, 0x7f
	v_cmp_gt_i16_sdwa s[6:7], v8, s4 src0_sel:BYTE_3 src1_sel:DWORD
	s_mov_b64 s[4:5], 0
                                        ; implicit-def: $sgpr10
	s_and_saveexec_b64 s[8:9], s[6:7]
	s_xor_b64 s[6:7], exec, s[8:9]
	s_cbranch_execnz .LBB2_3417
; %bb.1369:
	s_or_saveexec_b64 s[6:7], s[6:7]
	v_mov_b32_e32 v2, s10
	s_xor_b64 exec, exec, s[6:7]
	s_cbranch_execnz .LBB2_3420
.LBB2_1370:
	s_or_b64 exec, exec, s[6:7]
	s_and_saveexec_b64 s[6:7], s[4:5]
	s_cbranch_execz .LBB2_1372
.LBB2_1371:
	v_bfe_u32 v2, v8, 24, 3
	v_ffbh_u32_e32 v12, v2
	v_min_u32_e32 v12, 32, v12
	v_lshrrev_b32_e32 v6, 27, v8
	v_subrev_u32_e32 v13, 28, v12
	v_and_b32_e32 v3, 0x80000000, v8
	v_and_b32_e32 v6, 15, v6
	v_bfe_u32 v7, v8, 27, 4
	v_lshlrev_b32_sdwa v8, v13, v8 dst_sel:DWORD dst_unused:UNUSED_PAD src0_sel:DWORD src1_sel:BYTE_3
	v_sub_u32_e32 v12, 29, v12
	v_and_b32_e32 v8, 7, v8
	v_cmp_eq_u16_e32 vcc, 0, v6
	v_cndmask_b32_e32 v2, v2, v8, vcc
	v_cndmask_b32_e32 v6, v7, v12, vcc
	v_mov_b32_e32 v7, 0x3b800000
	v_lshlrev_b32_e32 v2, 20, v2
	v_lshl_add_u32 v6, v6, 23, v7
	v_or3_b32 v2, v3, v6, v2
.LBB2_1372:
	s_or_b64 exec, exec, s[6:7]
	s_movk_i32 s4, 0x7f
	v_cmp_gt_i16_sdwa s[6:7], v4, s4 src0_sel:BYTE_3 src1_sel:DWORD
	s_mov_b64 s[4:5], 0
                                        ; implicit-def: $sgpr10
	s_and_saveexec_b64 s[8:9], s[6:7]
	s_xor_b64 s[6:7], exec, s[8:9]
	s_cbranch_execnz .LBB2_3421
; %bb.1373:
	s_or_saveexec_b64 s[6:7], s[6:7]
	v_mov_b32_e32 v3, s10
	s_xor_b64 exec, exec, s[6:7]
	s_cbranch_execnz .LBB2_3424
.LBB2_1374:
	s_or_b64 exec, exec, s[6:7]
	s_and_saveexec_b64 s[6:7], s[4:5]
	s_cbranch_execz .LBB2_1376
.LBB2_1375:
	v_bfe_u32 v3, v4, 24, 3
	v_ffbh_u32_e32 v12, v3
	v_min_u32_e32 v12, 32, v12
	v_lshrrev_b32_e32 v7, 27, v4
	v_subrev_u32_e32 v13, 28, v12
	v_and_b32_e32 v6, 0x80000000, v4
	v_and_b32_e32 v7, 15, v7
	v_bfe_u32 v8, v4, 27, 4
	v_lshlrev_b32_sdwa v4, v13, v4 dst_sel:DWORD dst_unused:UNUSED_PAD src0_sel:DWORD src1_sel:BYTE_3
	v_sub_u32_e32 v12, 29, v12
	v_and_b32_e32 v4, 7, v4
	v_cmp_eq_u16_e32 vcc, 0, v7
	v_cndmask_b32_e32 v3, v3, v4, vcc
	v_cndmask_b32_e32 v4, v8, v12, vcc
	v_mov_b32_e32 v7, 0x3b800000
	v_lshlrev_b32_e32 v3, 20, v3
	v_lshl_add_u32 v4, v4, 23, v7
	v_or3_b32 v3, v6, v4, v3
.LBB2_1376:
	s_or_b64 exec, exec, s[6:7]
	s_nop 0
	v_mfma_f32_16x16x4f32 a[0:3], v2, v3, a[0:3]
	s_movk_i32 s4, 0x7f
	v_cmp_gt_i16_sdwa s[6:7], v9, s4 src0_sel:BYTE_0 src1_sel:DWORD
	s_mov_b64 s[4:5], 0
                                        ; implicit-def: $sgpr10
	s_and_saveexec_b64 s[8:9], s[6:7]
	s_xor_b64 s[6:7], exec, s[8:9]
	s_cbranch_execnz .LBB2_3425
; %bb.1377:
	s_or_saveexec_b64 s[6:7], s[6:7]
	v_mov_b32_e32 v2, s10
	s_xor_b64 exec, exec, s[6:7]
	s_cbranch_execnz .LBB2_3428
.LBB2_1378:
	s_or_b64 exec, exec, s[6:7]
	s_and_saveexec_b64 s[6:7], s[4:5]
	s_cbranch_execz .LBB2_1380
.LBB2_1379:
	v_mov_b32_e32 v2, 8
	v_and_b32_e32 v3, 7, v9
	v_lshrrev_b32_sdwa v2, v2, v9 dst_sel:BYTE_1 dst_unused:UNUSED_PAD src0_sel:DWORD src1_sel:DWORD
	v_ffbh_u32_e32 v4, v3
	v_or_b32_sdwa v2, v9, v2 dst_sel:DWORD dst_unused:UNUSED_PAD src0_sel:BYTE_0 src1_sel:DWORD
	v_min_u32_e32 v4, 32, v4
	v_lshrrev_b16_e32 v2, 3, v2
	v_subrev_u32_e32 v6, 28, v4
	v_and_b32_e32 v2, 15, v2
	v_lshlrev_b32_e32 v6, v6, v9
	v_sub_u32_e32 v4, 29, v4
	v_and_b32_e32 v6, 7, v6
	v_cmp_eq_u16_e32 vcc, 0, v2
	v_cndmask_b32_e32 v3, v3, v6, vcc
	v_cndmask_b32_e32 v2, v2, v4, vcc
	v_lshlrev_b32_e32 v4, 24, v9
	v_mov_b32_e32 v6, 0x3b800000
	v_lshlrev_b32_e32 v3, 20, v3
	v_and_b32_e32 v4, 0x80000000, v4
	v_lshl_add_u32 v2, v2, 23, v6
	v_or3_b32 v2, v4, v2, v3
.LBB2_1380:
	s_or_b64 exec, exec, s[6:7]
	s_movk_i32 s4, 0x7f
	v_cmp_gt_i16_sdwa s[6:7], v5, s4 src0_sel:BYTE_0 src1_sel:DWORD
	s_mov_b64 s[4:5], 0
                                        ; implicit-def: $sgpr10
	s_and_saveexec_b64 s[8:9], s[6:7]
	s_xor_b64 s[6:7], exec, s[8:9]
	s_cbranch_execnz .LBB2_3429
; %bb.1381:
	s_or_saveexec_b64 s[6:7], s[6:7]
	v_mov_b32_e32 v3, s10
	s_xor_b64 exec, exec, s[6:7]
	s_cbranch_execnz .LBB2_3432
.LBB2_1382:
	s_or_b64 exec, exec, s[6:7]
	s_and_saveexec_b64 s[6:7], s[4:5]
	s_cbranch_execz .LBB2_1384
.LBB2_1383:
	v_mov_b32_e32 v3, 8
	v_and_b32_e32 v4, 7, v5
	v_lshrrev_b32_sdwa v3, v3, v5 dst_sel:BYTE_1 dst_unused:UNUSED_PAD src0_sel:DWORD src1_sel:DWORD
	v_ffbh_u32_e32 v6, v4
	v_or_b32_sdwa v3, v5, v3 dst_sel:DWORD dst_unused:UNUSED_PAD src0_sel:BYTE_0 src1_sel:DWORD
	v_min_u32_e32 v6, 32, v6
	v_lshrrev_b16_e32 v3, 3, v3
	v_subrev_u32_e32 v7, 28, v6
	v_and_b32_e32 v3, 15, v3
	v_lshlrev_b32_e32 v7, v7, v5
	v_sub_u32_e32 v6, 29, v6
	v_and_b32_e32 v7, 7, v7
	v_cmp_eq_u16_e32 vcc, 0, v3
	v_cndmask_b32_e32 v4, v4, v7, vcc
	v_cndmask_b32_e32 v3, v3, v6, vcc
	v_lshlrev_b32_e32 v6, 24, v5
	v_mov_b32_e32 v7, 0x3b800000
	v_lshlrev_b32_e32 v4, 20, v4
	v_and_b32_e32 v6, 0x80000000, v6
	v_lshl_add_u32 v3, v3, 23, v7
	v_or3_b32 v3, v6, v3, v4
.LBB2_1384:
	s_or_b64 exec, exec, s[6:7]
	s_nop 0
	v_mfma_f32_16x16x4f32 a[0:3], v2, v3, a[0:3]
	v_lshrrev_b32_e32 v3, 8, v9
	s_movk_i32 s4, 0x7f
	v_cmp_gt_i16_sdwa s[6:7], v3, s4 src0_sel:BYTE_0 src1_sel:DWORD
	s_mov_b64 s[4:5], 0
                                        ; implicit-def: $sgpr10
	s_and_saveexec_b64 s[8:9], s[6:7]
	s_xor_b64 s[6:7], exec, s[8:9]
	s_cbranch_execnz .LBB2_3433
; %bb.1385:
	s_or_saveexec_b64 s[6:7], s[6:7]
	v_mov_b32_e32 v2, s10
	s_xor_b64 exec, exec, s[6:7]
	s_cbranch_execnz .LBB2_3436
.LBB2_1386:
	s_or_b64 exec, exec, s[6:7]
	s_and_saveexec_b64 s[6:7], s[4:5]
	s_cbranch_execz .LBB2_1388
.LBB2_1387:
	v_bfe_u32 v2, v9, 8, 3
	v_ffbh_u32_e32 v6, v2
	v_min_u32_e32 v6, 32, v6
	v_lshrrev_b16_e32 v4, 3, v3
	v_subrev_u32_e32 v7, 28, v6
	v_and_b32_e32 v4, 15, v4
	v_lshlrev_b32_e32 v3, v7, v3
	v_sub_u32_e32 v6, 29, v6
	v_and_b32_e32 v3, 7, v3
	v_cmp_eq_u16_e32 vcc, 0, v4
	v_cndmask_b32_e32 v2, v2, v3, vcc
	v_cndmask_b32_e32 v3, v4, v6, vcc
	v_lshlrev_b32_e32 v4, 16, v9
	v_mov_b32_e32 v6, 0x3b800000
	v_lshlrev_b32_e32 v2, 20, v2
	v_and_b32_e32 v4, 0x80000000, v4
	v_lshl_add_u32 v3, v3, 23, v6
	v_or3_b32 v2, v4, v3, v2
.LBB2_1388:
	s_or_b64 exec, exec, s[6:7]
	v_lshrrev_b32_e32 v3, 8, v5
	s_movk_i32 s4, 0x7f
	v_cmp_gt_i16_sdwa s[6:7], v3, s4 src0_sel:BYTE_0 src1_sel:DWORD
	s_mov_b64 s[4:5], 0
                                        ; implicit-def: $sgpr10
	s_and_saveexec_b64 s[8:9], s[6:7]
	s_xor_b64 s[6:7], exec, s[8:9]
	s_cbranch_execnz .LBB2_3437
; %bb.1389:
	s_or_saveexec_b64 s[6:7], s[6:7]
	v_mov_b32_e32 v4, s10
	s_xor_b64 exec, exec, s[6:7]
	s_cbranch_execnz .LBB2_3440
.LBB2_1390:
	s_or_b64 exec, exec, s[6:7]
	s_and_saveexec_b64 s[6:7], s[4:5]
	s_cbranch_execz .LBB2_1392
.LBB2_1391:
	v_bfe_u32 v4, v5, 8, 3
	v_ffbh_u32_e32 v7, v4
	v_min_u32_e32 v7, 32, v7
	v_lshrrev_b16_e32 v6, 3, v3
	v_subrev_u32_e32 v8, 28, v7
	v_and_b32_e32 v6, 15, v6
	v_lshlrev_b32_e32 v3, v8, v3
	v_sub_u32_e32 v7, 29, v7
	v_and_b32_e32 v3, 7, v3
	v_cmp_eq_u16_e32 vcc, 0, v6
	v_cndmask_b32_e32 v3, v4, v3, vcc
	v_cndmask_b32_e32 v4, v6, v7, vcc
	v_lshlrev_b32_e32 v6, 16, v5
	v_mov_b32_e32 v7, 0x3b800000
	v_lshlrev_b32_e32 v3, 20, v3
	v_and_b32_e32 v6, 0x80000000, v6
	v_lshl_add_u32 v4, v4, 23, v7
	v_or3_b32 v4, v6, v4, v3
.LBB2_1392:
	s_or_b64 exec, exec, s[6:7]
	s_nop 0
	v_mfma_f32_16x16x4f32 a[0:3], v2, v4, a[0:3]
	s_movk_i32 s4, 0xff
	v_and_b32_sdwa v3, v9, s4 dst_sel:DWORD dst_unused:UNUSED_PAD src0_sel:WORD_1 src1_sel:DWORD
	s_movk_i32 s4, 0x7f
	v_cmp_lt_i16_e32 vcc, s4, v3
	s_mov_b64 s[4:5], 0
                                        ; implicit-def: $sgpr10
	s_and_saveexec_b64 s[6:7], vcc
	s_xor_b64 s[6:7], exec, s[6:7]
	s_cbranch_execnz .LBB2_3441
; %bb.1393:
	s_or_saveexec_b64 s[6:7], s[6:7]
	v_mov_b32_e32 v2, s10
	s_xor_b64 exec, exec, s[6:7]
	s_cbranch_execnz .LBB2_3444
.LBB2_1394:
	s_or_b64 exec, exec, s[6:7]
	s_and_saveexec_b64 s[6:7], s[4:5]
	s_cbranch_execz .LBB2_1396
.LBB2_1395:
	v_bfe_u32 v2, v9, 16, 3
	v_ffbh_u32_e32 v6, v2
	v_min_u32_e32 v6, 32, v6
	v_lshrrev_b32_e32 v3, 19, v9
	v_subrev_u32_e32 v7, 28, v6
	v_and_b32_e32 v3, 15, v3
	v_lshlrev_b32_sdwa v7, v7, v9 dst_sel:DWORD dst_unused:UNUSED_PAD src0_sel:DWORD src1_sel:WORD_1
	v_bfe_u32 v4, v9, 19, 4
	v_sub_u32_e32 v6, 29, v6
	v_and_b32_e32 v7, 7, v7
	v_cmp_eq_u16_e32 vcc, 0, v3
	v_cndmask_b32_e32 v2, v2, v7, vcc
	v_cndmask_b32_e32 v3, v4, v6, vcc
	v_lshlrev_b32_e32 v4, 8, v9
	v_mov_b32_e32 v6, 0x3b800000
	v_lshlrev_b32_e32 v2, 20, v2
	v_and_b32_e32 v4, 0x80000000, v4
	v_lshl_add_u32 v3, v3, 23, v6
	v_or3_b32 v2, v4, v3, v2
.LBB2_1396:
	s_or_b64 exec, exec, s[6:7]
	s_movk_i32 s4, 0xff
	v_and_b32_sdwa v3, v5, s4 dst_sel:DWORD dst_unused:UNUSED_PAD src0_sel:WORD_1 src1_sel:DWORD
	s_movk_i32 s4, 0x7f
	v_cmp_lt_i16_e32 vcc, s4, v3
	s_mov_b64 s[4:5], 0
                                        ; implicit-def: $sgpr10
	s_and_saveexec_b64 s[6:7], vcc
	s_xor_b64 s[6:7], exec, s[6:7]
	s_cbranch_execnz .LBB2_3445
; %bb.1397:
	s_or_saveexec_b64 s[6:7], s[6:7]
	v_mov_b32_e32 v4, s10
	s_xor_b64 exec, exec, s[6:7]
	s_cbranch_execnz .LBB2_3448
.LBB2_1398:
	s_or_b64 exec, exec, s[6:7]
	s_and_saveexec_b64 s[6:7], s[4:5]
	s_cbranch_execz .LBB2_1400
.LBB2_1399:
	v_bfe_u32 v3, v5, 16, 3
	v_ffbh_u32_e32 v7, v3
	v_min_u32_e32 v7, 32, v7
	v_lshrrev_b32_e32 v4, 19, v5
	v_subrev_u32_e32 v8, 28, v7
	v_and_b32_e32 v4, 15, v4
	v_lshlrev_b32_sdwa v8, v8, v5 dst_sel:DWORD dst_unused:UNUSED_PAD src0_sel:DWORD src1_sel:WORD_1
	v_bfe_u32 v6, v5, 19, 4
	v_sub_u32_e32 v7, 29, v7
	v_and_b32_e32 v8, 7, v8
	v_cmp_eq_u16_e32 vcc, 0, v4
	v_cndmask_b32_e32 v3, v3, v8, vcc
	v_cndmask_b32_e32 v4, v6, v7, vcc
	v_lshlrev_b32_e32 v6, 8, v5
	v_mov_b32_e32 v7, 0x3b800000
	v_lshlrev_b32_e32 v3, 20, v3
	v_and_b32_e32 v6, 0x80000000, v6
	v_lshl_add_u32 v4, v4, 23, v7
	v_or3_b32 v4, v6, v4, v3
.LBB2_1400:
	s_or_b64 exec, exec, s[6:7]
	s_nop 0
	v_mfma_f32_16x16x4f32 a[0:3], v2, v4, a[0:3]
	s_movk_i32 s4, 0x7f
	v_cmp_gt_i16_sdwa s[6:7], v9, s4 src0_sel:BYTE_3 src1_sel:DWORD
	s_mov_b64 s[4:5], 0
                                        ; implicit-def: $sgpr10
	s_and_saveexec_b64 s[8:9], s[6:7]
	s_xor_b64 s[6:7], exec, s[8:9]
	s_cbranch_execnz .LBB2_3449
; %bb.1401:
	s_or_saveexec_b64 s[6:7], s[6:7]
	v_mov_b32_e32 v2, s10
	s_xor_b64 exec, exec, s[6:7]
	s_cbranch_execnz .LBB2_3452
.LBB2_1402:
	s_or_b64 exec, exec, s[6:7]
	s_and_saveexec_b64 s[6:7], s[4:5]
	s_cbranch_execz .LBB2_1404
.LBB2_1403:
	v_bfe_u32 v2, v9, 24, 3
	v_ffbh_u32_e32 v7, v2
	v_min_u32_e32 v7, 32, v7
	v_lshrrev_b32_e32 v4, 27, v9
	v_subrev_u32_e32 v8, 28, v7
	v_and_b32_e32 v4, 15, v4
	v_lshlrev_b32_sdwa v8, v8, v9 dst_sel:DWORD dst_unused:UNUSED_PAD src0_sel:DWORD src1_sel:BYTE_3
	v_bfe_u32 v6, v9, 27, 4
	v_sub_u32_e32 v7, 29, v7
	v_and_b32_e32 v8, 7, v8
	v_cmp_eq_u16_e32 vcc, 0, v4
	v_cndmask_b32_e32 v2, v2, v8, vcc
	v_cndmask_b32_e32 v4, v6, v7, vcc
	v_mov_b32_e32 v6, 0x3b800000
	v_and_b32_e32 v3, 0x80000000, v9
	v_lshlrev_b32_e32 v2, 20, v2
	v_lshl_add_u32 v4, v4, 23, v6
	v_or3_b32 v2, v3, v4, v2
.LBB2_1404:
	s_or_b64 exec, exec, s[6:7]
	s_movk_i32 s4, 0x7f
	v_cmp_gt_i16_sdwa s[6:7], v5, s4 src0_sel:BYTE_3 src1_sel:DWORD
	s_mov_b64 s[4:5], 0
                                        ; implicit-def: $sgpr10
	s_and_saveexec_b64 s[8:9], s[6:7]
	s_xor_b64 s[6:7], exec, s[8:9]
	s_cbranch_execnz .LBB2_3453
; %bb.1405:
	s_or_saveexec_b64 s[6:7], s[6:7]
	v_mov_b32_e32 v3, s10
	s_xor_b64 exec, exec, s[6:7]
	s_cbranch_execnz .LBB2_3456
.LBB2_1406:
	s_or_b64 exec, exec, s[6:7]
	s_and_saveexec_b64 s[6:7], s[4:5]
	s_cbranch_execz .LBB2_1408
.LBB2_1407:
	v_bfe_u32 v3, v5, 24, 3
	v_ffbh_u32_e32 v8, v3
	v_min_u32_e32 v8, 32, v8
	v_lshrrev_b32_e32 v6, 27, v5
	v_subrev_u32_e32 v9, 28, v8
	v_and_b32_e32 v4, 0x80000000, v5
	v_and_b32_e32 v6, 15, v6
	v_bfe_u32 v7, v5, 27, 4
	v_lshlrev_b32_sdwa v5, v9, v5 dst_sel:DWORD dst_unused:UNUSED_PAD src0_sel:DWORD src1_sel:BYTE_3
	v_sub_u32_e32 v8, 29, v8
	v_and_b32_e32 v5, 7, v5
	v_cmp_eq_u16_e32 vcc, 0, v6
	v_cndmask_b32_e32 v3, v3, v5, vcc
	v_cndmask_b32_e32 v5, v7, v8, vcc
	v_mov_b32_e32 v6, 0x3b800000
	v_lshlrev_b32_e32 v3, 20, v3
	v_lshl_add_u32 v5, v5, 23, v6
	v_or3_b32 v3, v4, v5, v3
.LBB2_1408:
	s_or_b64 exec, exec, s[6:7]
	s_nop 0
	v_mfma_f32_16x16x4f32 a[0:3], v2, v3, a[0:3]
	s_movk_i32 s4, 0x7f
                                        ; implicit-def: $sgpr10
	s_nop 7
	s_nop 1
	flat_store_dwordx4 v[10:11], a[0:3] offset:160
	flat_load_dwordx4 v[12:15], v[0:1] offset:8
	s_nop 0
	flat_load_dwordx2 v[10:11], v[0:1] offset:32
	s_waitcnt vmcnt(0) lgkmcnt(0)
	flat_load_dwordx4 v[6:9], v[12:13] offset:80
	flat_load_dwordx4 v[2:5], v[14:15] offset:112
	s_waitcnt vmcnt(0) lgkmcnt(0)
	v_cmp_gt_i16_sdwa s[6:7], v6, s4 src0_sel:BYTE_0 src1_sel:DWORD
	s_mov_b64 s[4:5], 0
	s_and_saveexec_b64 s[8:9], s[6:7]
	s_xor_b64 s[6:7], exec, s[8:9]
	s_cbranch_execnz .LBB2_3457
; %bb.1409:
	s_or_saveexec_b64 s[6:7], s[6:7]
	v_mov_b32_e32 v12, s10
	s_xor_b64 exec, exec, s[6:7]
	s_cbranch_execnz .LBB2_3460
.LBB2_1410:
	s_or_b64 exec, exec, s[6:7]
	s_and_saveexec_b64 s[6:7], s[4:5]
	s_cbranch_execz .LBB2_1412
.LBB2_1411:
	v_and_b32_e32 v12, 7, v6
	v_ffbh_u32_e32 v14, v12
	v_min_u32_e32 v14, 32, v14
	v_lshrrev_b16_e32 v13, 3, v6
	v_subrev_u32_e32 v15, 28, v14
	v_and_b32_e32 v13, 15, v13
	v_lshlrev_b32_e32 v15, v15, v6
	v_sub_u32_e32 v14, 29, v14
	v_and_b32_e32 v15, 7, v15
	v_cmp_eq_u16_e32 vcc, 0, v13
	v_cndmask_b32_e32 v12, v12, v15, vcc
	v_cndmask_b32_e32 v13, v13, v14, vcc
	v_lshlrev_b32_e32 v14, 24, v6
	v_mov_b32_e32 v15, 0x3b800000
	v_lshlrev_b32_e32 v12, 20, v12
	v_and_b32_e32 v14, 0x80000000, v14
	v_lshl_add_u32 v13, v13, 23, v15
	v_or3_b32 v12, v14, v13, v12
.LBB2_1412:
	s_or_b64 exec, exec, s[6:7]
	s_movk_i32 s4, 0x7f
	v_cmp_gt_i16_sdwa s[6:7], v2, s4 src0_sel:BYTE_0 src1_sel:DWORD
	s_mov_b64 s[4:5], 0
                                        ; implicit-def: $sgpr10
	s_and_saveexec_b64 s[8:9], s[6:7]
	s_xor_b64 s[6:7], exec, s[8:9]
	s_cbranch_execnz .LBB2_3461
; %bb.1413:
	s_or_saveexec_b64 s[6:7], s[6:7]
	v_mov_b32_e32 v13, s10
	s_xor_b64 exec, exec, s[6:7]
	s_cbranch_execnz .LBB2_3464
.LBB2_1414:
	s_or_b64 exec, exec, s[6:7]
	s_and_saveexec_b64 s[6:7], s[4:5]
	s_cbranch_execz .LBB2_1416
.LBB2_1415:
	v_and_b32_e32 v13, 7, v2
	v_ffbh_u32_e32 v15, v13
	v_min_u32_e32 v15, 32, v15
	v_lshrrev_b16_e32 v14, 3, v2
	v_subrev_u32_e32 v16, 28, v15
	v_and_b32_e32 v14, 15, v14
	v_lshlrev_b32_e32 v16, v16, v2
	v_sub_u32_e32 v15, 29, v15
	v_and_b32_e32 v16, 7, v16
	v_cmp_eq_u16_e32 vcc, 0, v14
	v_cndmask_b32_e32 v13, v13, v16, vcc
	v_cndmask_b32_e32 v14, v14, v15, vcc
	v_lshlrev_b32_e32 v15, 24, v2
	v_mov_b32_e32 v16, 0x3b800000
	v_lshlrev_b32_e32 v13, 20, v13
	v_and_b32_e32 v15, 0x80000000, v15
	v_lshl_add_u32 v14, v14, 23, v16
	v_or3_b32 v13, v15, v14, v13
.LBB2_1416:
	s_or_b64 exec, exec, s[6:7]
	flat_load_dwordx4 a[0:3], v[10:11] offset:176
	s_movk_i32 s4, 0x7f
                                        ; implicit-def: $sgpr10
	s_waitcnt vmcnt(0) lgkmcnt(0)
	v_mfma_f32_16x16x4f32 a[0:3], v12, v13, a[0:3]
	v_lshrrev_b32_e32 v13, 8, v6
	v_cmp_gt_i16_sdwa s[6:7], v13, s4 src0_sel:BYTE_0 src1_sel:DWORD
	s_mov_b64 s[4:5], 0
	s_and_saveexec_b64 s[8:9], s[6:7]
	s_xor_b64 s[6:7], exec, s[8:9]
	s_cbranch_execnz .LBB2_3465
; %bb.1417:
	s_or_saveexec_b64 s[6:7], s[6:7]
	v_mov_b32_e32 v12, s10
	s_xor_b64 exec, exec, s[6:7]
	s_cbranch_execnz .LBB2_3468
.LBB2_1418:
	s_or_b64 exec, exec, s[6:7]
	s_and_saveexec_b64 s[6:7], s[4:5]
	s_cbranch_execz .LBB2_1420
.LBB2_1419:
	v_bfe_u32 v12, v6, 8, 3
	v_ffbh_u32_e32 v15, v12
	v_min_u32_e32 v15, 32, v15
	v_lshrrev_b16_e32 v14, 3, v13
	v_subrev_u32_e32 v16, 28, v15
	v_and_b32_e32 v14, 15, v14
	v_lshlrev_b32_e32 v13, v16, v13
	v_sub_u32_e32 v15, 29, v15
	v_and_b32_e32 v13, 7, v13
	v_cmp_eq_u16_e32 vcc, 0, v14
	v_cndmask_b32_e32 v12, v12, v13, vcc
	v_cndmask_b32_e32 v13, v14, v15, vcc
	v_lshlrev_b32_e32 v14, 16, v6
	v_mov_b32_e32 v15, 0x3b800000
	v_lshlrev_b32_e32 v12, 20, v12
	v_and_b32_e32 v14, 0x80000000, v14
	v_lshl_add_u32 v13, v13, 23, v15
	v_or3_b32 v12, v14, v13, v12
.LBB2_1420:
	s_or_b64 exec, exec, s[6:7]
	v_lshrrev_b32_e32 v13, 8, v2
	s_movk_i32 s4, 0x7f
	v_cmp_gt_i16_sdwa s[6:7], v13, s4 src0_sel:BYTE_0 src1_sel:DWORD
	s_mov_b64 s[4:5], 0
                                        ; implicit-def: $sgpr10
	s_and_saveexec_b64 s[8:9], s[6:7]
	s_xor_b64 s[6:7], exec, s[8:9]
	s_cbranch_execnz .LBB2_3469
; %bb.1421:
	s_or_saveexec_b64 s[6:7], s[6:7]
	v_mov_b32_e32 v14, s10
	s_xor_b64 exec, exec, s[6:7]
	s_cbranch_execnz .LBB2_3472
.LBB2_1422:
	s_or_b64 exec, exec, s[6:7]
	s_and_saveexec_b64 s[6:7], s[4:5]
	s_cbranch_execz .LBB2_1424
.LBB2_1423:
	v_bfe_u32 v14, v2, 8, 3
	v_ffbh_u32_e32 v16, v14
	v_min_u32_e32 v16, 32, v16
	v_lshrrev_b16_e32 v15, 3, v13
	v_subrev_u32_e32 v17, 28, v16
	v_and_b32_e32 v15, 15, v15
	v_lshlrev_b32_e32 v13, v17, v13
	v_sub_u32_e32 v16, 29, v16
	v_and_b32_e32 v13, 7, v13
	v_cmp_eq_u16_e32 vcc, 0, v15
	v_cndmask_b32_e32 v13, v14, v13, vcc
	v_cndmask_b32_e32 v14, v15, v16, vcc
	v_lshlrev_b32_e32 v15, 16, v2
	v_mov_b32_e32 v16, 0x3b800000
	v_lshlrev_b32_e32 v13, 20, v13
	v_and_b32_e32 v15, 0x80000000, v15
	v_lshl_add_u32 v14, v14, 23, v16
	v_or3_b32 v14, v15, v14, v13
.LBB2_1424:
	s_or_b64 exec, exec, s[6:7]
	s_nop 0
	v_mfma_f32_16x16x4f32 a[0:3], v12, v14, a[0:3]
	s_movk_i32 s4, 0xff
	v_and_b32_sdwa v13, v6, s4 dst_sel:DWORD dst_unused:UNUSED_PAD src0_sel:WORD_1 src1_sel:DWORD
	s_movk_i32 s4, 0x7f
	v_cmp_lt_i16_e32 vcc, s4, v13
	s_mov_b64 s[4:5], 0
                                        ; implicit-def: $sgpr10
	s_and_saveexec_b64 s[6:7], vcc
	s_xor_b64 s[6:7], exec, s[6:7]
	s_cbranch_execnz .LBB2_3473
; %bb.1425:
	s_or_saveexec_b64 s[6:7], s[6:7]
	v_mov_b32_e32 v12, s10
	s_xor_b64 exec, exec, s[6:7]
	s_cbranch_execnz .LBB2_3476
.LBB2_1426:
	s_or_b64 exec, exec, s[6:7]
	s_and_saveexec_b64 s[6:7], s[4:5]
	s_cbranch_execz .LBB2_1428
.LBB2_1427:
	v_bfe_u32 v12, v6, 16, 3
	v_ffbh_u32_e32 v15, v12
	v_min_u32_e32 v15, 32, v15
	v_lshrrev_b32_e32 v13, 19, v6
	v_subrev_u32_e32 v16, 28, v15
	v_and_b32_e32 v13, 15, v13
	v_lshlrev_b32_sdwa v16, v16, v6 dst_sel:DWORD dst_unused:UNUSED_PAD src0_sel:DWORD src1_sel:WORD_1
	v_bfe_u32 v14, v6, 19, 4
	v_sub_u32_e32 v15, 29, v15
	v_and_b32_e32 v16, 7, v16
	v_cmp_eq_u16_e32 vcc, 0, v13
	v_cndmask_b32_e32 v12, v12, v16, vcc
	v_cndmask_b32_e32 v13, v14, v15, vcc
	v_lshlrev_b32_e32 v14, 8, v6
	v_mov_b32_e32 v15, 0x3b800000
	v_lshlrev_b32_e32 v12, 20, v12
	v_and_b32_e32 v14, 0x80000000, v14
	v_lshl_add_u32 v13, v13, 23, v15
	v_or3_b32 v12, v14, v13, v12
.LBB2_1428:
	s_or_b64 exec, exec, s[6:7]
	s_movk_i32 s4, 0xff
	v_and_b32_sdwa v13, v2, s4 dst_sel:DWORD dst_unused:UNUSED_PAD src0_sel:WORD_1 src1_sel:DWORD
	s_movk_i32 s4, 0x7f
	v_cmp_lt_i16_e32 vcc, s4, v13
	s_mov_b64 s[4:5], 0
                                        ; implicit-def: $sgpr10
	s_and_saveexec_b64 s[6:7], vcc
	s_xor_b64 s[6:7], exec, s[6:7]
	s_cbranch_execnz .LBB2_3477
; %bb.1429:
	s_or_saveexec_b64 s[6:7], s[6:7]
	v_mov_b32_e32 v14, s10
	s_xor_b64 exec, exec, s[6:7]
	s_cbranch_execnz .LBB2_3480
.LBB2_1430:
	s_or_b64 exec, exec, s[6:7]
	s_and_saveexec_b64 s[6:7], s[4:5]
	s_cbranch_execz .LBB2_1432
.LBB2_1431:
	v_bfe_u32 v13, v2, 16, 3
	v_ffbh_u32_e32 v16, v13
	v_min_u32_e32 v16, 32, v16
	v_lshrrev_b32_e32 v14, 19, v2
	v_subrev_u32_e32 v17, 28, v16
	v_and_b32_e32 v14, 15, v14
	v_lshlrev_b32_sdwa v17, v17, v2 dst_sel:DWORD dst_unused:UNUSED_PAD src0_sel:DWORD src1_sel:WORD_1
	v_bfe_u32 v15, v2, 19, 4
	v_sub_u32_e32 v16, 29, v16
	v_and_b32_e32 v17, 7, v17
	v_cmp_eq_u16_e32 vcc, 0, v14
	v_cndmask_b32_e32 v13, v13, v17, vcc
	v_cndmask_b32_e32 v14, v15, v16, vcc
	v_lshlrev_b32_e32 v15, 8, v2
	v_mov_b32_e32 v16, 0x3b800000
	v_lshlrev_b32_e32 v13, 20, v13
	v_and_b32_e32 v15, 0x80000000, v15
	v_lshl_add_u32 v14, v14, 23, v16
	v_or3_b32 v14, v15, v14, v13
.LBB2_1432:
	s_or_b64 exec, exec, s[6:7]
	s_nop 0
	v_mfma_f32_16x16x4f32 a[0:3], v12, v14, a[0:3]
	s_movk_i32 s4, 0x7f
	v_cmp_gt_i16_sdwa s[6:7], v6, s4 src0_sel:BYTE_3 src1_sel:DWORD
	s_mov_b64 s[4:5], 0
                                        ; implicit-def: $sgpr10
	s_and_saveexec_b64 s[8:9], s[6:7]
	s_xor_b64 s[6:7], exec, s[8:9]
	s_cbranch_execnz .LBB2_3481
; %bb.1433:
	s_or_saveexec_b64 s[6:7], s[6:7]
	v_mov_b32_e32 v12, s10
	s_xor_b64 exec, exec, s[6:7]
	s_cbranch_execnz .LBB2_3484
.LBB2_1434:
	s_or_b64 exec, exec, s[6:7]
	s_and_saveexec_b64 s[6:7], s[4:5]
	s_cbranch_execz .LBB2_1436
.LBB2_1435:
	v_bfe_u32 v12, v6, 24, 3
	v_ffbh_u32_e32 v16, v12
	v_min_u32_e32 v16, 32, v16
	v_lshrrev_b32_e32 v14, 27, v6
	v_subrev_u32_e32 v17, 28, v16
	v_and_b32_e32 v13, 0x80000000, v6
	v_and_b32_e32 v14, 15, v14
	v_bfe_u32 v15, v6, 27, 4
	v_lshlrev_b32_sdwa v6, v17, v6 dst_sel:DWORD dst_unused:UNUSED_PAD src0_sel:DWORD src1_sel:BYTE_3
	v_sub_u32_e32 v16, 29, v16
	v_and_b32_e32 v6, 7, v6
	v_cmp_eq_u16_e32 vcc, 0, v14
	v_cndmask_b32_e32 v6, v12, v6, vcc
	v_cndmask_b32_e32 v12, v15, v16, vcc
	v_mov_b32_e32 v14, 0x3b800000
	v_lshlrev_b32_e32 v6, 20, v6
	v_lshl_add_u32 v12, v12, 23, v14
	v_or3_b32 v12, v13, v12, v6
.LBB2_1436:
	s_or_b64 exec, exec, s[6:7]
	s_movk_i32 s4, 0x7f
	v_cmp_gt_i16_sdwa s[6:7], v2, s4 src0_sel:BYTE_3 src1_sel:DWORD
	s_mov_b64 s[4:5], 0
                                        ; implicit-def: $sgpr10
	s_and_saveexec_b64 s[8:9], s[6:7]
	s_xor_b64 s[6:7], exec, s[8:9]
	s_cbranch_execnz .LBB2_3485
; %bb.1437:
	s_or_saveexec_b64 s[6:7], s[6:7]
	v_mov_b32_e32 v6, s10
	s_xor_b64 exec, exec, s[6:7]
	s_cbranch_execnz .LBB2_3488
.LBB2_1438:
	s_or_b64 exec, exec, s[6:7]
	s_and_saveexec_b64 s[6:7], s[4:5]
	s_cbranch_execz .LBB2_1440
.LBB2_1439:
	v_bfe_u32 v6, v2, 24, 3
	v_ffbh_u32_e32 v16, v6
	v_min_u32_e32 v16, 32, v16
	v_lshrrev_b32_e32 v14, 27, v2
	v_subrev_u32_e32 v17, 28, v16
	v_and_b32_e32 v13, 0x80000000, v2
	v_and_b32_e32 v14, 15, v14
	v_bfe_u32 v15, v2, 27, 4
	v_lshlrev_b32_sdwa v2, v17, v2 dst_sel:DWORD dst_unused:UNUSED_PAD src0_sel:DWORD src1_sel:BYTE_3
	v_sub_u32_e32 v16, 29, v16
	v_and_b32_e32 v2, 7, v2
	v_cmp_eq_u16_e32 vcc, 0, v14
	v_cndmask_b32_e32 v2, v6, v2, vcc
	v_cndmask_b32_e32 v6, v15, v16, vcc
	v_mov_b32_e32 v14, 0x3b800000
	v_lshlrev_b32_e32 v2, 20, v2
	v_lshl_add_u32 v6, v6, 23, v14
	v_or3_b32 v6, v13, v6, v2
.LBB2_1440:
	s_or_b64 exec, exec, s[6:7]
	s_nop 0
	v_mfma_f32_16x16x4f32 a[0:3], v12, v6, a[0:3]
	s_movk_i32 s4, 0x7f
	v_cmp_gt_i16_sdwa s[6:7], v7, s4 src0_sel:BYTE_0 src1_sel:DWORD
	s_mov_b64 s[4:5], 0
                                        ; implicit-def: $sgpr10
	s_and_saveexec_b64 s[8:9], s[6:7]
	s_xor_b64 s[6:7], exec, s[8:9]
	s_cbranch_execnz .LBB2_3489
; %bb.1441:
	s_or_saveexec_b64 s[6:7], s[6:7]
	v_mov_b32_e32 v2, s10
	s_xor_b64 exec, exec, s[6:7]
	s_cbranch_execnz .LBB2_3492
.LBB2_1442:
	s_or_b64 exec, exec, s[6:7]
	s_and_saveexec_b64 s[6:7], s[4:5]
	s_cbranch_execz .LBB2_1444
.LBB2_1443:
	v_and_b32_e32 v2, 7, v7
	v_ffbh_u32_e32 v12, v2
	v_min_u32_e32 v12, 32, v12
	v_lshrrev_b16_e32 v6, 3, v7
	v_subrev_u32_e32 v13, 28, v12
	v_and_b32_e32 v6, 15, v6
	v_lshlrev_b32_e32 v13, v13, v7
	v_sub_u32_e32 v12, 29, v12
	v_and_b32_e32 v13, 7, v13
	v_cmp_eq_u16_e32 vcc, 0, v6
	v_cndmask_b32_e32 v2, v2, v13, vcc
	v_cndmask_b32_e32 v6, v6, v12, vcc
	v_lshlrev_b32_e32 v12, 24, v7
	v_mov_b32_e32 v13, 0x3b800000
	v_lshlrev_b32_e32 v2, 20, v2
	v_and_b32_e32 v12, 0x80000000, v12
	v_lshl_add_u32 v6, v6, 23, v13
	v_or3_b32 v2, v12, v6, v2
.LBB2_1444:
	s_or_b64 exec, exec, s[6:7]
	s_movk_i32 s4, 0x7f
	v_cmp_gt_i16_sdwa s[6:7], v3, s4 src0_sel:BYTE_0 src1_sel:DWORD
	s_mov_b64 s[4:5], 0
                                        ; implicit-def: $sgpr10
	s_and_saveexec_b64 s[8:9], s[6:7]
	s_xor_b64 s[6:7], exec, s[8:9]
	s_cbranch_execnz .LBB2_3493
; %bb.1445:
	s_or_saveexec_b64 s[6:7], s[6:7]
	v_mov_b32_e32 v6, s10
	s_xor_b64 exec, exec, s[6:7]
	s_cbranch_execnz .LBB2_3496
.LBB2_1446:
	s_or_b64 exec, exec, s[6:7]
	s_and_saveexec_b64 s[6:7], s[4:5]
	s_cbranch_execz .LBB2_1448
.LBB2_1447:
	v_and_b32_e32 v6, 7, v3
	v_ffbh_u32_e32 v13, v6
	v_min_u32_e32 v13, 32, v13
	v_lshrrev_b16_e32 v12, 3, v3
	v_subrev_u32_e32 v14, 28, v13
	v_and_b32_e32 v12, 15, v12
	v_lshlrev_b32_e32 v14, v14, v3
	v_sub_u32_e32 v13, 29, v13
	v_and_b32_e32 v14, 7, v14
	v_cmp_eq_u16_e32 vcc, 0, v12
	v_cndmask_b32_e32 v6, v6, v14, vcc
	v_cndmask_b32_e32 v12, v12, v13, vcc
	v_lshlrev_b32_e32 v13, 24, v3
	v_mov_b32_e32 v14, 0x3b800000
	v_lshlrev_b32_e32 v6, 20, v6
	v_and_b32_e32 v13, 0x80000000, v13
	v_lshl_add_u32 v12, v12, 23, v14
	v_or3_b32 v6, v13, v12, v6
.LBB2_1448:
	s_or_b64 exec, exec, s[6:7]
	s_nop 0
	v_mfma_f32_16x16x4f32 a[0:3], v2, v6, a[0:3]
	v_lshrrev_b32_e32 v6, 8, v7
	s_movk_i32 s4, 0x7f
	v_cmp_gt_i16_sdwa s[6:7], v6, s4 src0_sel:BYTE_0 src1_sel:DWORD
	s_mov_b64 s[4:5], 0
                                        ; implicit-def: $sgpr10
	s_and_saveexec_b64 s[8:9], s[6:7]
	s_xor_b64 s[6:7], exec, s[8:9]
	s_cbranch_execnz .LBB2_3497
; %bb.1449:
	s_or_saveexec_b64 s[6:7], s[6:7]
	v_mov_b32_e32 v2, s10
	s_xor_b64 exec, exec, s[6:7]
	s_cbranch_execnz .LBB2_3500
.LBB2_1450:
	s_or_b64 exec, exec, s[6:7]
	s_and_saveexec_b64 s[6:7], s[4:5]
	s_cbranch_execz .LBB2_1452
.LBB2_1451:
	v_bfe_u32 v2, v7, 8, 3
	v_ffbh_u32_e32 v13, v2
	v_min_u32_e32 v13, 32, v13
	v_lshrrev_b16_e32 v12, 3, v6
	v_subrev_u32_e32 v14, 28, v13
	v_and_b32_e32 v12, 15, v12
	v_lshlrev_b32_e32 v6, v14, v6
	v_sub_u32_e32 v13, 29, v13
	v_and_b32_e32 v6, 7, v6
	v_cmp_eq_u16_e32 vcc, 0, v12
	v_cndmask_b32_e32 v2, v2, v6, vcc
	v_cndmask_b32_e32 v6, v12, v13, vcc
	v_lshlrev_b32_e32 v12, 16, v7
	v_mov_b32_e32 v13, 0x3b800000
	v_lshlrev_b32_e32 v2, 20, v2
	v_and_b32_e32 v12, 0x80000000, v12
	v_lshl_add_u32 v6, v6, 23, v13
	v_or3_b32 v2, v12, v6, v2
.LBB2_1452:
	s_or_b64 exec, exec, s[6:7]
	v_lshrrev_b32_e32 v6, 8, v3
	s_movk_i32 s4, 0x7f
	v_cmp_gt_i16_sdwa s[6:7], v6, s4 src0_sel:BYTE_0 src1_sel:DWORD
	s_mov_b64 s[4:5], 0
                                        ; implicit-def: $sgpr10
	s_and_saveexec_b64 s[8:9], s[6:7]
	s_xor_b64 s[6:7], exec, s[8:9]
	s_cbranch_execnz .LBB2_3501
; %bb.1453:
	s_or_saveexec_b64 s[6:7], s[6:7]
	v_mov_b32_e32 v12, s10
	s_xor_b64 exec, exec, s[6:7]
	s_cbranch_execnz .LBB2_3504
.LBB2_1454:
	s_or_b64 exec, exec, s[6:7]
	s_and_saveexec_b64 s[6:7], s[4:5]
	s_cbranch_execz .LBB2_1456
.LBB2_1455:
	v_bfe_u32 v12, v3, 8, 3
	v_ffbh_u32_e32 v14, v12
	v_min_u32_e32 v14, 32, v14
	v_lshrrev_b16_e32 v13, 3, v6
	v_subrev_u32_e32 v15, 28, v14
	v_and_b32_e32 v13, 15, v13
	v_lshlrev_b32_e32 v6, v15, v6
	v_sub_u32_e32 v14, 29, v14
	v_and_b32_e32 v6, 7, v6
	v_cmp_eq_u16_e32 vcc, 0, v13
	v_cndmask_b32_e32 v6, v12, v6, vcc
	v_cndmask_b32_e32 v12, v13, v14, vcc
	v_lshlrev_b32_e32 v13, 16, v3
	v_mov_b32_e32 v14, 0x3b800000
	v_lshlrev_b32_e32 v6, 20, v6
	v_and_b32_e32 v13, 0x80000000, v13
	v_lshl_add_u32 v12, v12, 23, v14
	v_or3_b32 v12, v13, v12, v6
.LBB2_1456:
	s_or_b64 exec, exec, s[6:7]
	s_nop 0
	v_mfma_f32_16x16x4f32 a[0:3], v2, v12, a[0:3]
	s_movk_i32 s4, 0xff
	v_and_b32_sdwa v6, v7, s4 dst_sel:DWORD dst_unused:UNUSED_PAD src0_sel:WORD_1 src1_sel:DWORD
	s_movk_i32 s4, 0x7f
	v_cmp_lt_i16_e32 vcc, s4, v6
	s_mov_b64 s[4:5], 0
                                        ; implicit-def: $sgpr10
	s_and_saveexec_b64 s[6:7], vcc
	s_xor_b64 s[6:7], exec, s[6:7]
	s_cbranch_execnz .LBB2_3505
; %bb.1457:
	s_or_saveexec_b64 s[6:7], s[6:7]
	v_mov_b32_e32 v2, s10
	s_xor_b64 exec, exec, s[6:7]
	s_cbranch_execnz .LBB2_3508
.LBB2_1458:
	s_or_b64 exec, exec, s[6:7]
	s_and_saveexec_b64 s[6:7], s[4:5]
	s_cbranch_execz .LBB2_1460
.LBB2_1459:
	v_bfe_u32 v2, v7, 16, 3
	v_ffbh_u32_e32 v13, v2
	v_min_u32_e32 v13, 32, v13
	v_lshrrev_b32_e32 v6, 19, v7
	v_subrev_u32_e32 v14, 28, v13
	v_and_b32_e32 v6, 15, v6
	v_lshlrev_b32_sdwa v14, v14, v7 dst_sel:DWORD dst_unused:UNUSED_PAD src0_sel:DWORD src1_sel:WORD_1
	v_bfe_u32 v12, v7, 19, 4
	v_sub_u32_e32 v13, 29, v13
	v_and_b32_e32 v14, 7, v14
	v_cmp_eq_u16_e32 vcc, 0, v6
	v_cndmask_b32_e32 v2, v2, v14, vcc
	v_cndmask_b32_e32 v6, v12, v13, vcc
	v_lshlrev_b32_e32 v12, 8, v7
	v_mov_b32_e32 v13, 0x3b800000
	v_lshlrev_b32_e32 v2, 20, v2
	v_and_b32_e32 v12, 0x80000000, v12
	v_lshl_add_u32 v6, v6, 23, v13
	v_or3_b32 v2, v12, v6, v2
.LBB2_1460:
	s_or_b64 exec, exec, s[6:7]
	s_movk_i32 s4, 0xff
	v_and_b32_sdwa v6, v3, s4 dst_sel:DWORD dst_unused:UNUSED_PAD src0_sel:WORD_1 src1_sel:DWORD
	s_movk_i32 s4, 0x7f
	v_cmp_lt_i16_e32 vcc, s4, v6
	s_mov_b64 s[4:5], 0
                                        ; implicit-def: $sgpr10
	s_and_saveexec_b64 s[6:7], vcc
	s_xor_b64 s[6:7], exec, s[6:7]
	s_cbranch_execnz .LBB2_3509
; %bb.1461:
	s_or_saveexec_b64 s[6:7], s[6:7]
	v_mov_b32_e32 v12, s10
	s_xor_b64 exec, exec, s[6:7]
	s_cbranch_execnz .LBB2_3512
.LBB2_1462:
	s_or_b64 exec, exec, s[6:7]
	s_and_saveexec_b64 s[6:7], s[4:5]
	s_cbranch_execz .LBB2_1464
.LBB2_1463:
	v_bfe_u32 v6, v3, 16, 3
	v_ffbh_u32_e32 v14, v6
	v_min_u32_e32 v14, 32, v14
	v_lshrrev_b32_e32 v12, 19, v3
	v_subrev_u32_e32 v15, 28, v14
	v_and_b32_e32 v12, 15, v12
	v_lshlrev_b32_sdwa v15, v15, v3 dst_sel:DWORD dst_unused:UNUSED_PAD src0_sel:DWORD src1_sel:WORD_1
	v_bfe_u32 v13, v3, 19, 4
	v_sub_u32_e32 v14, 29, v14
	v_and_b32_e32 v15, 7, v15
	v_cmp_eq_u16_e32 vcc, 0, v12
	v_cndmask_b32_e32 v6, v6, v15, vcc
	v_cndmask_b32_e32 v12, v13, v14, vcc
	v_lshlrev_b32_e32 v13, 8, v3
	v_mov_b32_e32 v14, 0x3b800000
	v_lshlrev_b32_e32 v6, 20, v6
	v_and_b32_e32 v13, 0x80000000, v13
	v_lshl_add_u32 v12, v12, 23, v14
	v_or3_b32 v12, v13, v12, v6
.LBB2_1464:
	s_or_b64 exec, exec, s[6:7]
	s_nop 0
	v_mfma_f32_16x16x4f32 a[0:3], v2, v12, a[0:3]
	s_movk_i32 s4, 0x7f
	v_cmp_gt_i16_sdwa s[6:7], v7, s4 src0_sel:BYTE_3 src1_sel:DWORD
	s_mov_b64 s[4:5], 0
                                        ; implicit-def: $sgpr10
	s_and_saveexec_b64 s[8:9], s[6:7]
	s_xor_b64 s[6:7], exec, s[8:9]
	s_cbranch_execnz .LBB2_3513
; %bb.1465:
	s_or_saveexec_b64 s[6:7], s[6:7]
	v_mov_b32_e32 v2, s10
	s_xor_b64 exec, exec, s[6:7]
	s_cbranch_execnz .LBB2_3516
.LBB2_1466:
	s_or_b64 exec, exec, s[6:7]
	s_and_saveexec_b64 s[6:7], s[4:5]
	s_cbranch_execz .LBB2_1468
.LBB2_1467:
	v_bfe_u32 v2, v7, 24, 3
	v_ffbh_u32_e32 v14, v2
	v_min_u32_e32 v14, 32, v14
	v_lshrrev_b32_e32 v12, 27, v7
	v_subrev_u32_e32 v15, 28, v14
	v_and_b32_e32 v6, 0x80000000, v7
	v_and_b32_e32 v12, 15, v12
	v_bfe_u32 v13, v7, 27, 4
	v_lshlrev_b32_sdwa v7, v15, v7 dst_sel:DWORD dst_unused:UNUSED_PAD src0_sel:DWORD src1_sel:BYTE_3
	v_sub_u32_e32 v14, 29, v14
	v_and_b32_e32 v7, 7, v7
	v_cmp_eq_u16_e32 vcc, 0, v12
	v_cndmask_b32_e32 v2, v2, v7, vcc
	v_cndmask_b32_e32 v7, v13, v14, vcc
	v_mov_b32_e32 v12, 0x3b800000
	v_lshlrev_b32_e32 v2, 20, v2
	v_lshl_add_u32 v7, v7, 23, v12
	v_or3_b32 v2, v6, v7, v2
.LBB2_1468:
	s_or_b64 exec, exec, s[6:7]
	s_movk_i32 s4, 0x7f
	v_cmp_gt_i16_sdwa s[6:7], v3, s4 src0_sel:BYTE_3 src1_sel:DWORD
	s_mov_b64 s[4:5], 0
                                        ; implicit-def: $sgpr10
	s_and_saveexec_b64 s[8:9], s[6:7]
	s_xor_b64 s[6:7], exec, s[8:9]
	s_cbranch_execnz .LBB2_3517
; %bb.1469:
	s_or_saveexec_b64 s[6:7], s[6:7]
	v_mov_b32_e32 v6, s10
	s_xor_b64 exec, exec, s[6:7]
	s_cbranch_execnz .LBB2_3520
.LBB2_1470:
	s_or_b64 exec, exec, s[6:7]
	s_and_saveexec_b64 s[6:7], s[4:5]
	s_cbranch_execz .LBB2_1472
.LBB2_1471:
	v_bfe_u32 v6, v3, 24, 3
	v_ffbh_u32_e32 v14, v6
	v_min_u32_e32 v14, 32, v14
	v_lshrrev_b32_e32 v12, 27, v3
	v_subrev_u32_e32 v15, 28, v14
	v_and_b32_e32 v7, 0x80000000, v3
	v_and_b32_e32 v12, 15, v12
	v_bfe_u32 v13, v3, 27, 4
	v_lshlrev_b32_sdwa v3, v15, v3 dst_sel:DWORD dst_unused:UNUSED_PAD src0_sel:DWORD src1_sel:BYTE_3
	v_sub_u32_e32 v14, 29, v14
	v_and_b32_e32 v3, 7, v3
	v_cmp_eq_u16_e32 vcc, 0, v12
	v_cndmask_b32_e32 v3, v6, v3, vcc
	v_cndmask_b32_e32 v6, v13, v14, vcc
	v_mov_b32_e32 v12, 0x3b800000
	v_lshlrev_b32_e32 v3, 20, v3
	v_lshl_add_u32 v6, v6, 23, v12
	v_or3_b32 v6, v7, v6, v3
.LBB2_1472:
	s_or_b64 exec, exec, s[6:7]
	s_nop 0
	v_mfma_f32_16x16x4f32 a[0:3], v2, v6, a[0:3]
	s_movk_i32 s4, 0x7f
	v_cmp_gt_i16_sdwa s[6:7], v8, s4 src0_sel:BYTE_0 src1_sel:DWORD
	s_mov_b64 s[4:5], 0
                                        ; implicit-def: $sgpr10
	s_and_saveexec_b64 s[8:9], s[6:7]
	s_xor_b64 s[6:7], exec, s[8:9]
	s_cbranch_execnz .LBB2_3521
; %bb.1473:
	s_or_saveexec_b64 s[6:7], s[6:7]
	v_mov_b32_e32 v2, s10
	s_xor_b64 exec, exec, s[6:7]
	s_cbranch_execnz .LBB2_3524
.LBB2_1474:
	s_or_b64 exec, exec, s[6:7]
	s_and_saveexec_b64 s[6:7], s[4:5]
	s_cbranch_execz .LBB2_1476
.LBB2_1475:
	v_and_b32_e32 v2, 7, v8
	v_ffbh_u32_e32 v6, v2
	v_min_u32_e32 v6, 32, v6
	v_lshrrev_b16_e32 v3, 3, v8
	v_subrev_u32_e32 v7, 28, v6
	v_and_b32_e32 v3, 15, v3
	v_lshlrev_b32_e32 v7, v7, v8
	v_sub_u32_e32 v6, 29, v6
	v_and_b32_e32 v7, 7, v7
	v_cmp_eq_u16_e32 vcc, 0, v3
	v_cndmask_b32_e32 v2, v2, v7, vcc
	v_cndmask_b32_e32 v3, v3, v6, vcc
	v_lshlrev_b32_e32 v6, 24, v8
	v_mov_b32_e32 v7, 0x3b800000
	v_lshlrev_b32_e32 v2, 20, v2
	v_and_b32_e32 v6, 0x80000000, v6
	v_lshl_add_u32 v3, v3, 23, v7
	v_or3_b32 v2, v6, v3, v2
.LBB2_1476:
	s_or_b64 exec, exec, s[6:7]
	s_movk_i32 s4, 0x7f
	v_cmp_gt_i16_sdwa s[6:7], v4, s4 src0_sel:BYTE_0 src1_sel:DWORD
	s_mov_b64 s[4:5], 0
                                        ; implicit-def: $sgpr10
	s_and_saveexec_b64 s[8:9], s[6:7]
	s_xor_b64 s[6:7], exec, s[8:9]
	s_cbranch_execnz .LBB2_3525
; %bb.1477:
	s_or_saveexec_b64 s[6:7], s[6:7]
	v_mov_b32_e32 v3, s10
	s_xor_b64 exec, exec, s[6:7]
	s_cbranch_execnz .LBB2_3528
.LBB2_1478:
	s_or_b64 exec, exec, s[6:7]
	s_and_saveexec_b64 s[6:7], s[4:5]
	s_cbranch_execz .LBB2_1480
.LBB2_1479:
	v_and_b32_e32 v3, 7, v4
	v_ffbh_u32_e32 v7, v3
	v_min_u32_e32 v7, 32, v7
	v_lshrrev_b16_e32 v6, 3, v4
	v_subrev_u32_e32 v12, 28, v7
	v_and_b32_e32 v6, 15, v6
	v_lshlrev_b32_e32 v12, v12, v4
	v_sub_u32_e32 v7, 29, v7
	v_and_b32_e32 v12, 7, v12
	v_cmp_eq_u16_e32 vcc, 0, v6
	v_cndmask_b32_e32 v3, v3, v12, vcc
	v_cndmask_b32_e32 v6, v6, v7, vcc
	v_lshlrev_b32_e32 v7, 24, v4
	v_mov_b32_e32 v12, 0x3b800000
	v_lshlrev_b32_e32 v3, 20, v3
	v_and_b32_e32 v7, 0x80000000, v7
	v_lshl_add_u32 v6, v6, 23, v12
	v_or3_b32 v3, v7, v6, v3
.LBB2_1480:
	s_or_b64 exec, exec, s[6:7]
	s_nop 0
	v_mfma_f32_16x16x4f32 a[0:3], v2, v3, a[0:3]
	v_lshrrev_b32_e32 v3, 8, v8
	s_movk_i32 s4, 0x7f
	v_cmp_gt_i16_sdwa s[6:7], v3, s4 src0_sel:BYTE_0 src1_sel:DWORD
	s_mov_b64 s[4:5], 0
                                        ; implicit-def: $sgpr10
	s_and_saveexec_b64 s[8:9], s[6:7]
	s_xor_b64 s[6:7], exec, s[8:9]
	s_cbranch_execnz .LBB2_3529
; %bb.1481:
	s_or_saveexec_b64 s[6:7], s[6:7]
	v_mov_b32_e32 v2, s10
	s_xor_b64 exec, exec, s[6:7]
	s_cbranch_execnz .LBB2_3532
.LBB2_1482:
	s_or_b64 exec, exec, s[6:7]
	s_and_saveexec_b64 s[6:7], s[4:5]
	s_cbranch_execz .LBB2_1484
.LBB2_1483:
	v_bfe_u32 v2, v8, 8, 3
	v_ffbh_u32_e32 v7, v2
	v_min_u32_e32 v7, 32, v7
	v_lshrrev_b16_e32 v6, 3, v3
	v_subrev_u32_e32 v12, 28, v7
	v_and_b32_e32 v6, 15, v6
	v_lshlrev_b32_e32 v3, v12, v3
	v_sub_u32_e32 v7, 29, v7
	v_and_b32_e32 v3, 7, v3
	v_cmp_eq_u16_e32 vcc, 0, v6
	v_cndmask_b32_e32 v2, v2, v3, vcc
	v_cndmask_b32_e32 v3, v6, v7, vcc
	v_lshlrev_b32_e32 v6, 16, v8
	v_mov_b32_e32 v7, 0x3b800000
	v_lshlrev_b32_e32 v2, 20, v2
	v_and_b32_e32 v6, 0x80000000, v6
	v_lshl_add_u32 v3, v3, 23, v7
	v_or3_b32 v2, v6, v3, v2
.LBB2_1484:
	s_or_b64 exec, exec, s[6:7]
	v_lshrrev_b32_e32 v3, 8, v4
	s_movk_i32 s4, 0x7f
	v_cmp_gt_i16_sdwa s[6:7], v3, s4 src0_sel:BYTE_0 src1_sel:DWORD
	s_mov_b64 s[4:5], 0
                                        ; implicit-def: $sgpr10
	s_and_saveexec_b64 s[8:9], s[6:7]
	s_xor_b64 s[6:7], exec, s[8:9]
	s_cbranch_execnz .LBB2_3533
; %bb.1485:
	s_or_saveexec_b64 s[6:7], s[6:7]
	v_mov_b32_e32 v6, s10
	s_xor_b64 exec, exec, s[6:7]
	s_cbranch_execnz .LBB2_3536
.LBB2_1486:
	s_or_b64 exec, exec, s[6:7]
	s_and_saveexec_b64 s[6:7], s[4:5]
	s_cbranch_execz .LBB2_1488
.LBB2_1487:
	v_bfe_u32 v6, v4, 8, 3
	v_ffbh_u32_e32 v12, v6
	v_min_u32_e32 v12, 32, v12
	v_lshrrev_b16_e32 v7, 3, v3
	v_subrev_u32_e32 v13, 28, v12
	v_and_b32_e32 v7, 15, v7
	v_lshlrev_b32_e32 v3, v13, v3
	v_sub_u32_e32 v12, 29, v12
	v_and_b32_e32 v3, 7, v3
	v_cmp_eq_u16_e32 vcc, 0, v7
	v_cndmask_b32_e32 v3, v6, v3, vcc
	v_cndmask_b32_e32 v6, v7, v12, vcc
	v_lshlrev_b32_e32 v7, 16, v4
	v_mov_b32_e32 v12, 0x3b800000
	v_lshlrev_b32_e32 v3, 20, v3
	v_and_b32_e32 v7, 0x80000000, v7
	v_lshl_add_u32 v6, v6, 23, v12
	v_or3_b32 v6, v7, v6, v3
.LBB2_1488:
	s_or_b64 exec, exec, s[6:7]
	s_nop 0
	v_mfma_f32_16x16x4f32 a[0:3], v2, v6, a[0:3]
	s_movk_i32 s4, 0xff
	v_and_b32_sdwa v3, v8, s4 dst_sel:DWORD dst_unused:UNUSED_PAD src0_sel:WORD_1 src1_sel:DWORD
	s_movk_i32 s4, 0x7f
	v_cmp_lt_i16_e32 vcc, s4, v3
	s_mov_b64 s[4:5], 0
                                        ; implicit-def: $sgpr10
	s_and_saveexec_b64 s[6:7], vcc
	s_xor_b64 s[6:7], exec, s[6:7]
	s_cbranch_execnz .LBB2_3537
; %bb.1489:
	s_or_saveexec_b64 s[6:7], s[6:7]
	v_mov_b32_e32 v2, s10
	s_xor_b64 exec, exec, s[6:7]
	s_cbranch_execnz .LBB2_3540
.LBB2_1490:
	s_or_b64 exec, exec, s[6:7]
	s_and_saveexec_b64 s[6:7], s[4:5]
	s_cbranch_execz .LBB2_1492
.LBB2_1491:
	v_bfe_u32 v2, v8, 16, 3
	v_ffbh_u32_e32 v7, v2
	v_min_u32_e32 v7, 32, v7
	v_lshrrev_b32_e32 v3, 19, v8
	v_subrev_u32_e32 v12, 28, v7
	v_and_b32_e32 v3, 15, v3
	v_lshlrev_b32_sdwa v12, v12, v8 dst_sel:DWORD dst_unused:UNUSED_PAD src0_sel:DWORD src1_sel:WORD_1
	v_bfe_u32 v6, v8, 19, 4
	v_sub_u32_e32 v7, 29, v7
	v_and_b32_e32 v12, 7, v12
	v_cmp_eq_u16_e32 vcc, 0, v3
	v_cndmask_b32_e32 v2, v2, v12, vcc
	v_cndmask_b32_e32 v3, v6, v7, vcc
	v_lshlrev_b32_e32 v6, 8, v8
	v_mov_b32_e32 v7, 0x3b800000
	v_lshlrev_b32_e32 v2, 20, v2
	v_and_b32_e32 v6, 0x80000000, v6
	v_lshl_add_u32 v3, v3, 23, v7
	v_or3_b32 v2, v6, v3, v2
.LBB2_1492:
	s_or_b64 exec, exec, s[6:7]
	s_movk_i32 s4, 0xff
	v_and_b32_sdwa v3, v4, s4 dst_sel:DWORD dst_unused:UNUSED_PAD src0_sel:WORD_1 src1_sel:DWORD
	s_movk_i32 s4, 0x7f
	v_cmp_lt_i16_e32 vcc, s4, v3
	s_mov_b64 s[4:5], 0
                                        ; implicit-def: $sgpr10
	s_and_saveexec_b64 s[6:7], vcc
	s_xor_b64 s[6:7], exec, s[6:7]
	s_cbranch_execnz .LBB2_3541
; %bb.1493:
	s_or_saveexec_b64 s[6:7], s[6:7]
	v_mov_b32_e32 v6, s10
	s_xor_b64 exec, exec, s[6:7]
	s_cbranch_execnz .LBB2_3544
.LBB2_1494:
	s_or_b64 exec, exec, s[6:7]
	s_and_saveexec_b64 s[6:7], s[4:5]
	s_cbranch_execz .LBB2_1496
.LBB2_1495:
	v_bfe_u32 v3, v4, 16, 3
	v_ffbh_u32_e32 v12, v3
	v_min_u32_e32 v12, 32, v12
	v_lshrrev_b32_e32 v6, 19, v4
	v_subrev_u32_e32 v13, 28, v12
	v_and_b32_e32 v6, 15, v6
	v_lshlrev_b32_sdwa v13, v13, v4 dst_sel:DWORD dst_unused:UNUSED_PAD src0_sel:DWORD src1_sel:WORD_1
	v_bfe_u32 v7, v4, 19, 4
	v_sub_u32_e32 v12, 29, v12
	v_and_b32_e32 v13, 7, v13
	v_cmp_eq_u16_e32 vcc, 0, v6
	v_cndmask_b32_e32 v3, v3, v13, vcc
	v_cndmask_b32_e32 v6, v7, v12, vcc
	v_lshlrev_b32_e32 v7, 8, v4
	v_mov_b32_e32 v12, 0x3b800000
	v_lshlrev_b32_e32 v3, 20, v3
	v_and_b32_e32 v7, 0x80000000, v7
	v_lshl_add_u32 v6, v6, 23, v12
	v_or3_b32 v6, v7, v6, v3
.LBB2_1496:
	s_or_b64 exec, exec, s[6:7]
	s_nop 0
	v_mfma_f32_16x16x4f32 a[0:3], v2, v6, a[0:3]
	s_movk_i32 s4, 0x7f
	v_cmp_gt_i16_sdwa s[6:7], v8, s4 src0_sel:BYTE_3 src1_sel:DWORD
	s_mov_b64 s[4:5], 0
                                        ; implicit-def: $sgpr10
	s_and_saveexec_b64 s[8:9], s[6:7]
	s_xor_b64 s[6:7], exec, s[8:9]
	s_cbranch_execnz .LBB2_3545
; %bb.1497:
	s_or_saveexec_b64 s[6:7], s[6:7]
	v_mov_b32_e32 v2, s10
	s_xor_b64 exec, exec, s[6:7]
	s_cbranch_execnz .LBB2_3548
.LBB2_1498:
	s_or_b64 exec, exec, s[6:7]
	s_and_saveexec_b64 s[6:7], s[4:5]
	s_cbranch_execz .LBB2_1500
.LBB2_1499:
	v_bfe_u32 v2, v8, 24, 3
	v_ffbh_u32_e32 v12, v2
	v_min_u32_e32 v12, 32, v12
	v_lshrrev_b32_e32 v6, 27, v8
	v_subrev_u32_e32 v13, 28, v12
	v_and_b32_e32 v3, 0x80000000, v8
	v_and_b32_e32 v6, 15, v6
	v_bfe_u32 v7, v8, 27, 4
	v_lshlrev_b32_sdwa v8, v13, v8 dst_sel:DWORD dst_unused:UNUSED_PAD src0_sel:DWORD src1_sel:BYTE_3
	v_sub_u32_e32 v12, 29, v12
	v_and_b32_e32 v8, 7, v8
	v_cmp_eq_u16_e32 vcc, 0, v6
	v_cndmask_b32_e32 v2, v2, v8, vcc
	v_cndmask_b32_e32 v6, v7, v12, vcc
	v_mov_b32_e32 v7, 0x3b800000
	v_lshlrev_b32_e32 v2, 20, v2
	v_lshl_add_u32 v6, v6, 23, v7
	v_or3_b32 v2, v3, v6, v2
.LBB2_1500:
	s_or_b64 exec, exec, s[6:7]
	s_movk_i32 s4, 0x7f
	v_cmp_gt_i16_sdwa s[6:7], v4, s4 src0_sel:BYTE_3 src1_sel:DWORD
	s_mov_b64 s[4:5], 0
                                        ; implicit-def: $sgpr10
	s_and_saveexec_b64 s[8:9], s[6:7]
	s_xor_b64 s[6:7], exec, s[8:9]
	s_cbranch_execnz .LBB2_3549
; %bb.1501:
	s_or_saveexec_b64 s[6:7], s[6:7]
	v_mov_b32_e32 v3, s10
	s_xor_b64 exec, exec, s[6:7]
	s_cbranch_execnz .LBB2_3552
.LBB2_1502:
	s_or_b64 exec, exec, s[6:7]
	s_and_saveexec_b64 s[6:7], s[4:5]
	s_cbranch_execz .LBB2_1504
.LBB2_1503:
	v_bfe_u32 v3, v4, 24, 3
	v_ffbh_u32_e32 v12, v3
	v_min_u32_e32 v12, 32, v12
	v_lshrrev_b32_e32 v7, 27, v4
	v_subrev_u32_e32 v13, 28, v12
	v_and_b32_e32 v6, 0x80000000, v4
	v_and_b32_e32 v7, 15, v7
	v_bfe_u32 v8, v4, 27, 4
	v_lshlrev_b32_sdwa v4, v13, v4 dst_sel:DWORD dst_unused:UNUSED_PAD src0_sel:DWORD src1_sel:BYTE_3
	v_sub_u32_e32 v12, 29, v12
	v_and_b32_e32 v4, 7, v4
	v_cmp_eq_u16_e32 vcc, 0, v7
	v_cndmask_b32_e32 v3, v3, v4, vcc
	v_cndmask_b32_e32 v4, v8, v12, vcc
	v_mov_b32_e32 v7, 0x3b800000
	v_lshlrev_b32_e32 v3, 20, v3
	v_lshl_add_u32 v4, v4, 23, v7
	v_or3_b32 v3, v6, v4, v3
.LBB2_1504:
	s_or_b64 exec, exec, s[6:7]
	s_nop 0
	v_mfma_f32_16x16x4f32 a[0:3], v2, v3, a[0:3]
	s_movk_i32 s4, 0x7f
	v_cmp_gt_i16_sdwa s[6:7], v9, s4 src0_sel:BYTE_0 src1_sel:DWORD
	s_mov_b64 s[4:5], 0
                                        ; implicit-def: $sgpr10
	s_and_saveexec_b64 s[8:9], s[6:7]
	s_xor_b64 s[6:7], exec, s[8:9]
	s_cbranch_execnz .LBB2_3553
; %bb.1505:
	s_or_saveexec_b64 s[6:7], s[6:7]
	v_mov_b32_e32 v2, s10
	s_xor_b64 exec, exec, s[6:7]
	s_cbranch_execnz .LBB2_3556
.LBB2_1506:
	s_or_b64 exec, exec, s[6:7]
	s_and_saveexec_b64 s[6:7], s[4:5]
	s_cbranch_execz .LBB2_1508
.LBB2_1507:
	v_mov_b32_e32 v2, 8
	v_and_b32_e32 v3, 7, v9
	v_lshrrev_b32_sdwa v2, v2, v9 dst_sel:BYTE_1 dst_unused:UNUSED_PAD src0_sel:DWORD src1_sel:DWORD
	v_ffbh_u32_e32 v4, v3
	v_or_b32_sdwa v2, v9, v2 dst_sel:DWORD dst_unused:UNUSED_PAD src0_sel:BYTE_0 src1_sel:DWORD
	v_min_u32_e32 v4, 32, v4
	v_lshrrev_b16_e32 v2, 3, v2
	v_subrev_u32_e32 v6, 28, v4
	v_and_b32_e32 v2, 15, v2
	v_lshlrev_b32_e32 v6, v6, v9
	v_sub_u32_e32 v4, 29, v4
	v_and_b32_e32 v6, 7, v6
	v_cmp_eq_u16_e32 vcc, 0, v2
	v_cndmask_b32_e32 v3, v3, v6, vcc
	v_cndmask_b32_e32 v2, v2, v4, vcc
	v_lshlrev_b32_e32 v4, 24, v9
	v_mov_b32_e32 v6, 0x3b800000
	v_lshlrev_b32_e32 v3, 20, v3
	v_and_b32_e32 v4, 0x80000000, v4
	v_lshl_add_u32 v2, v2, 23, v6
	v_or3_b32 v2, v4, v2, v3
.LBB2_1508:
	s_or_b64 exec, exec, s[6:7]
	s_movk_i32 s4, 0x7f
	v_cmp_gt_i16_sdwa s[6:7], v5, s4 src0_sel:BYTE_0 src1_sel:DWORD
	s_mov_b64 s[4:5], 0
                                        ; implicit-def: $sgpr10
	s_and_saveexec_b64 s[8:9], s[6:7]
	s_xor_b64 s[6:7], exec, s[8:9]
	s_cbranch_execnz .LBB2_3557
; %bb.1509:
	s_or_saveexec_b64 s[6:7], s[6:7]
	v_mov_b32_e32 v3, s10
	s_xor_b64 exec, exec, s[6:7]
	s_cbranch_execnz .LBB2_3560
.LBB2_1510:
	s_or_b64 exec, exec, s[6:7]
	s_and_saveexec_b64 s[6:7], s[4:5]
	s_cbranch_execz .LBB2_1512
.LBB2_1511:
	v_mov_b32_e32 v3, 8
	v_and_b32_e32 v4, 7, v5
	v_lshrrev_b32_sdwa v3, v3, v5 dst_sel:BYTE_1 dst_unused:UNUSED_PAD src0_sel:DWORD src1_sel:DWORD
	v_ffbh_u32_e32 v6, v4
	v_or_b32_sdwa v3, v5, v3 dst_sel:DWORD dst_unused:UNUSED_PAD src0_sel:BYTE_0 src1_sel:DWORD
	v_min_u32_e32 v6, 32, v6
	v_lshrrev_b16_e32 v3, 3, v3
	v_subrev_u32_e32 v7, 28, v6
	v_and_b32_e32 v3, 15, v3
	v_lshlrev_b32_e32 v7, v7, v5
	v_sub_u32_e32 v6, 29, v6
	v_and_b32_e32 v7, 7, v7
	v_cmp_eq_u16_e32 vcc, 0, v3
	v_cndmask_b32_e32 v4, v4, v7, vcc
	v_cndmask_b32_e32 v3, v3, v6, vcc
	v_lshlrev_b32_e32 v6, 24, v5
	v_mov_b32_e32 v7, 0x3b800000
	v_lshlrev_b32_e32 v4, 20, v4
	v_and_b32_e32 v6, 0x80000000, v6
	v_lshl_add_u32 v3, v3, 23, v7
	v_or3_b32 v3, v6, v3, v4
.LBB2_1512:
	s_or_b64 exec, exec, s[6:7]
	s_nop 0
	v_mfma_f32_16x16x4f32 a[0:3], v2, v3, a[0:3]
	v_lshrrev_b32_e32 v3, 8, v9
	s_movk_i32 s4, 0x7f
	v_cmp_gt_i16_sdwa s[6:7], v3, s4 src0_sel:BYTE_0 src1_sel:DWORD
	s_mov_b64 s[4:5], 0
                                        ; implicit-def: $sgpr10
	s_and_saveexec_b64 s[8:9], s[6:7]
	s_xor_b64 s[6:7], exec, s[8:9]
	s_cbranch_execnz .LBB2_3561
; %bb.1513:
	s_or_saveexec_b64 s[6:7], s[6:7]
	v_mov_b32_e32 v2, s10
	s_xor_b64 exec, exec, s[6:7]
	s_cbranch_execnz .LBB2_3564
.LBB2_1514:
	s_or_b64 exec, exec, s[6:7]
	s_and_saveexec_b64 s[6:7], s[4:5]
	s_cbranch_execz .LBB2_1516
.LBB2_1515:
	v_bfe_u32 v2, v9, 8, 3
	v_ffbh_u32_e32 v6, v2
	v_min_u32_e32 v6, 32, v6
	v_lshrrev_b16_e32 v4, 3, v3
	v_subrev_u32_e32 v7, 28, v6
	v_and_b32_e32 v4, 15, v4
	v_lshlrev_b32_e32 v3, v7, v3
	v_sub_u32_e32 v6, 29, v6
	v_and_b32_e32 v3, 7, v3
	v_cmp_eq_u16_e32 vcc, 0, v4
	v_cndmask_b32_e32 v2, v2, v3, vcc
	v_cndmask_b32_e32 v3, v4, v6, vcc
	v_lshlrev_b32_e32 v4, 16, v9
	v_mov_b32_e32 v6, 0x3b800000
	v_lshlrev_b32_e32 v2, 20, v2
	v_and_b32_e32 v4, 0x80000000, v4
	v_lshl_add_u32 v3, v3, 23, v6
	v_or3_b32 v2, v4, v3, v2
.LBB2_1516:
	s_or_b64 exec, exec, s[6:7]
	v_lshrrev_b32_e32 v3, 8, v5
	s_movk_i32 s4, 0x7f
	v_cmp_gt_i16_sdwa s[6:7], v3, s4 src0_sel:BYTE_0 src1_sel:DWORD
	s_mov_b64 s[4:5], 0
                                        ; implicit-def: $sgpr10
	s_and_saveexec_b64 s[8:9], s[6:7]
	s_xor_b64 s[6:7], exec, s[8:9]
	s_cbranch_execnz .LBB2_3565
; %bb.1517:
	s_or_saveexec_b64 s[6:7], s[6:7]
	v_mov_b32_e32 v4, s10
	s_xor_b64 exec, exec, s[6:7]
	s_cbranch_execnz .LBB2_3568
.LBB2_1518:
	s_or_b64 exec, exec, s[6:7]
	s_and_saveexec_b64 s[6:7], s[4:5]
	s_cbranch_execz .LBB2_1520
.LBB2_1519:
	v_bfe_u32 v4, v5, 8, 3
	v_ffbh_u32_e32 v7, v4
	v_min_u32_e32 v7, 32, v7
	v_lshrrev_b16_e32 v6, 3, v3
	v_subrev_u32_e32 v8, 28, v7
	v_and_b32_e32 v6, 15, v6
	v_lshlrev_b32_e32 v3, v8, v3
	v_sub_u32_e32 v7, 29, v7
	v_and_b32_e32 v3, 7, v3
	v_cmp_eq_u16_e32 vcc, 0, v6
	v_cndmask_b32_e32 v3, v4, v3, vcc
	v_cndmask_b32_e32 v4, v6, v7, vcc
	v_lshlrev_b32_e32 v6, 16, v5
	v_mov_b32_e32 v7, 0x3b800000
	v_lshlrev_b32_e32 v3, 20, v3
	v_and_b32_e32 v6, 0x80000000, v6
	v_lshl_add_u32 v4, v4, 23, v7
	v_or3_b32 v4, v6, v4, v3
.LBB2_1520:
	s_or_b64 exec, exec, s[6:7]
	s_nop 0
	v_mfma_f32_16x16x4f32 a[0:3], v2, v4, a[0:3]
	s_movk_i32 s4, 0xff
	v_and_b32_sdwa v3, v9, s4 dst_sel:DWORD dst_unused:UNUSED_PAD src0_sel:WORD_1 src1_sel:DWORD
	s_movk_i32 s4, 0x7f
	v_cmp_lt_i16_e32 vcc, s4, v3
	s_mov_b64 s[4:5], 0
                                        ; implicit-def: $sgpr10
	s_and_saveexec_b64 s[6:7], vcc
	s_xor_b64 s[6:7], exec, s[6:7]
	s_cbranch_execnz .LBB2_3569
; %bb.1521:
	s_or_saveexec_b64 s[6:7], s[6:7]
	v_mov_b32_e32 v2, s10
	s_xor_b64 exec, exec, s[6:7]
	s_cbranch_execnz .LBB2_3572
.LBB2_1522:
	s_or_b64 exec, exec, s[6:7]
	s_and_saveexec_b64 s[6:7], s[4:5]
	s_cbranch_execz .LBB2_1524
.LBB2_1523:
	v_bfe_u32 v2, v9, 16, 3
	v_ffbh_u32_e32 v6, v2
	v_min_u32_e32 v6, 32, v6
	v_lshrrev_b32_e32 v3, 19, v9
	v_subrev_u32_e32 v7, 28, v6
	v_and_b32_e32 v3, 15, v3
	v_lshlrev_b32_sdwa v7, v7, v9 dst_sel:DWORD dst_unused:UNUSED_PAD src0_sel:DWORD src1_sel:WORD_1
	v_bfe_u32 v4, v9, 19, 4
	v_sub_u32_e32 v6, 29, v6
	v_and_b32_e32 v7, 7, v7
	v_cmp_eq_u16_e32 vcc, 0, v3
	v_cndmask_b32_e32 v2, v2, v7, vcc
	v_cndmask_b32_e32 v3, v4, v6, vcc
	v_lshlrev_b32_e32 v4, 8, v9
	v_mov_b32_e32 v6, 0x3b800000
	v_lshlrev_b32_e32 v2, 20, v2
	v_and_b32_e32 v4, 0x80000000, v4
	v_lshl_add_u32 v3, v3, 23, v6
	v_or3_b32 v2, v4, v3, v2
.LBB2_1524:
	s_or_b64 exec, exec, s[6:7]
	s_movk_i32 s4, 0xff
	v_and_b32_sdwa v3, v5, s4 dst_sel:DWORD dst_unused:UNUSED_PAD src0_sel:WORD_1 src1_sel:DWORD
	s_movk_i32 s4, 0x7f
	v_cmp_lt_i16_e32 vcc, s4, v3
	s_mov_b64 s[4:5], 0
                                        ; implicit-def: $sgpr10
	s_and_saveexec_b64 s[6:7], vcc
	s_xor_b64 s[6:7], exec, s[6:7]
	s_cbranch_execnz .LBB2_3573
; %bb.1525:
	s_or_saveexec_b64 s[6:7], s[6:7]
	v_mov_b32_e32 v4, s10
	s_xor_b64 exec, exec, s[6:7]
	s_cbranch_execnz .LBB2_3576
.LBB2_1526:
	s_or_b64 exec, exec, s[6:7]
	s_and_saveexec_b64 s[6:7], s[4:5]
	s_cbranch_execz .LBB2_1528
.LBB2_1527:
	v_bfe_u32 v3, v5, 16, 3
	v_ffbh_u32_e32 v7, v3
	v_min_u32_e32 v7, 32, v7
	v_lshrrev_b32_e32 v4, 19, v5
	v_subrev_u32_e32 v8, 28, v7
	v_and_b32_e32 v4, 15, v4
	v_lshlrev_b32_sdwa v8, v8, v5 dst_sel:DWORD dst_unused:UNUSED_PAD src0_sel:DWORD src1_sel:WORD_1
	v_bfe_u32 v6, v5, 19, 4
	v_sub_u32_e32 v7, 29, v7
	v_and_b32_e32 v8, 7, v8
	v_cmp_eq_u16_e32 vcc, 0, v4
	v_cndmask_b32_e32 v3, v3, v8, vcc
	v_cndmask_b32_e32 v4, v6, v7, vcc
	v_lshlrev_b32_e32 v6, 8, v5
	v_mov_b32_e32 v7, 0x3b800000
	v_lshlrev_b32_e32 v3, 20, v3
	v_and_b32_e32 v6, 0x80000000, v6
	v_lshl_add_u32 v4, v4, 23, v7
	v_or3_b32 v4, v6, v4, v3
.LBB2_1528:
	s_or_b64 exec, exec, s[6:7]
	s_nop 0
	v_mfma_f32_16x16x4f32 a[0:3], v2, v4, a[0:3]
	s_movk_i32 s4, 0x7f
	v_cmp_gt_i16_sdwa s[6:7], v9, s4 src0_sel:BYTE_3 src1_sel:DWORD
	s_mov_b64 s[4:5], 0
                                        ; implicit-def: $sgpr10
	s_and_saveexec_b64 s[8:9], s[6:7]
	s_xor_b64 s[6:7], exec, s[8:9]
	s_cbranch_execnz .LBB2_3577
; %bb.1529:
	s_or_saveexec_b64 s[6:7], s[6:7]
	v_mov_b32_e32 v2, s10
	s_xor_b64 exec, exec, s[6:7]
	s_cbranch_execnz .LBB2_3580
.LBB2_1530:
	s_or_b64 exec, exec, s[6:7]
	s_and_saveexec_b64 s[6:7], s[4:5]
	s_cbranch_execz .LBB2_1532
.LBB2_1531:
	v_bfe_u32 v2, v9, 24, 3
	v_ffbh_u32_e32 v7, v2
	v_min_u32_e32 v7, 32, v7
	v_lshrrev_b32_e32 v4, 27, v9
	v_subrev_u32_e32 v8, 28, v7
	v_and_b32_e32 v4, 15, v4
	v_lshlrev_b32_sdwa v8, v8, v9 dst_sel:DWORD dst_unused:UNUSED_PAD src0_sel:DWORD src1_sel:BYTE_3
	v_bfe_u32 v6, v9, 27, 4
	v_sub_u32_e32 v7, 29, v7
	v_and_b32_e32 v8, 7, v8
	v_cmp_eq_u16_e32 vcc, 0, v4
	v_cndmask_b32_e32 v2, v2, v8, vcc
	v_cndmask_b32_e32 v4, v6, v7, vcc
	v_mov_b32_e32 v6, 0x3b800000
	v_and_b32_e32 v3, 0x80000000, v9
	v_lshlrev_b32_e32 v2, 20, v2
	v_lshl_add_u32 v4, v4, 23, v6
	v_or3_b32 v2, v3, v4, v2
.LBB2_1532:
	s_or_b64 exec, exec, s[6:7]
	s_movk_i32 s4, 0x7f
	v_cmp_gt_i16_sdwa s[6:7], v5, s4 src0_sel:BYTE_3 src1_sel:DWORD
	s_mov_b64 s[4:5], 0
                                        ; implicit-def: $sgpr10
	s_and_saveexec_b64 s[8:9], s[6:7]
	s_xor_b64 s[6:7], exec, s[8:9]
	s_cbranch_execnz .LBB2_3581
; %bb.1533:
	s_or_saveexec_b64 s[6:7], s[6:7]
	v_mov_b32_e32 v3, s10
	s_xor_b64 exec, exec, s[6:7]
	s_cbranch_execnz .LBB2_3584
.LBB2_1534:
	s_or_b64 exec, exec, s[6:7]
	s_and_saveexec_b64 s[6:7], s[4:5]
	s_cbranch_execz .LBB2_1536
.LBB2_1535:
	v_bfe_u32 v3, v5, 24, 3
	v_ffbh_u32_e32 v8, v3
	v_min_u32_e32 v8, 32, v8
	v_lshrrev_b32_e32 v6, 27, v5
	v_subrev_u32_e32 v9, 28, v8
	v_and_b32_e32 v4, 0x80000000, v5
	v_and_b32_e32 v6, 15, v6
	v_bfe_u32 v7, v5, 27, 4
	v_lshlrev_b32_sdwa v5, v9, v5 dst_sel:DWORD dst_unused:UNUSED_PAD src0_sel:DWORD src1_sel:BYTE_3
	v_sub_u32_e32 v8, 29, v8
	v_and_b32_e32 v5, 7, v5
	v_cmp_eq_u16_e32 vcc, 0, v6
	v_cndmask_b32_e32 v3, v3, v5, vcc
	v_cndmask_b32_e32 v5, v7, v8, vcc
	v_mov_b32_e32 v6, 0x3b800000
	v_lshlrev_b32_e32 v3, 20, v3
	v_lshl_add_u32 v5, v5, 23, v6
	v_or3_b32 v3, v4, v5, v3
.LBB2_1536:
	s_or_b64 exec, exec, s[6:7]
	s_nop 0
	v_mfma_f32_16x16x4f32 a[0:3], v2, v3, a[0:3]
	s_movk_i32 s4, 0x7f
                                        ; implicit-def: $sgpr10
	s_nop 7
	s_nop 1
	flat_store_dwordx4 v[10:11], a[0:3] offset:176
	flat_load_dwordx4 v[12:15], v[0:1] offset:8
	s_nop 0
	flat_load_dwordx2 v[10:11], v[0:1] offset:32
	s_waitcnt vmcnt(0) lgkmcnt(0)
	flat_load_dwordx4 v[6:9], v[12:13] offset:112
	flat_load_dwordx4 v[2:5], v[14:15] offset:16
	s_waitcnt vmcnt(0) lgkmcnt(0)
	v_cmp_gt_i16_sdwa s[6:7], v6, s4 src0_sel:BYTE_0 src1_sel:DWORD
	s_mov_b64 s[4:5], 0
	s_and_saveexec_b64 s[8:9], s[6:7]
	s_xor_b64 s[6:7], exec, s[8:9]
	s_cbranch_execnz .LBB2_3585
; %bb.1537:
	s_or_saveexec_b64 s[6:7], s[6:7]
	v_mov_b32_e32 v12, s10
	s_xor_b64 exec, exec, s[6:7]
	s_cbranch_execnz .LBB2_3588
.LBB2_1538:
	s_or_b64 exec, exec, s[6:7]
	s_and_saveexec_b64 s[6:7], s[4:5]
	s_cbranch_execz .LBB2_1540
.LBB2_1539:
	v_and_b32_e32 v12, 7, v6
	v_ffbh_u32_e32 v14, v12
	v_min_u32_e32 v14, 32, v14
	v_lshrrev_b16_e32 v13, 3, v6
	v_subrev_u32_e32 v15, 28, v14
	v_and_b32_e32 v13, 15, v13
	v_lshlrev_b32_e32 v15, v15, v6
	v_sub_u32_e32 v14, 29, v14
	v_and_b32_e32 v15, 7, v15
	v_cmp_eq_u16_e32 vcc, 0, v13
	v_cndmask_b32_e32 v12, v12, v15, vcc
	v_cndmask_b32_e32 v13, v13, v14, vcc
	v_lshlrev_b32_e32 v14, 24, v6
	v_mov_b32_e32 v15, 0x3b800000
	v_lshlrev_b32_e32 v12, 20, v12
	v_and_b32_e32 v14, 0x80000000, v14
	v_lshl_add_u32 v13, v13, 23, v15
	v_or3_b32 v12, v14, v13, v12
.LBB2_1540:
	s_or_b64 exec, exec, s[6:7]
	s_movk_i32 s4, 0x7f
	v_cmp_gt_i16_sdwa s[6:7], v2, s4 src0_sel:BYTE_0 src1_sel:DWORD
	s_mov_b64 s[4:5], 0
                                        ; implicit-def: $sgpr10
	s_and_saveexec_b64 s[8:9], s[6:7]
	s_xor_b64 s[6:7], exec, s[8:9]
	s_cbranch_execnz .LBB2_3589
; %bb.1541:
	s_or_saveexec_b64 s[6:7], s[6:7]
	v_mov_b32_e32 v13, s10
	s_xor_b64 exec, exec, s[6:7]
	s_cbranch_execnz .LBB2_3592
.LBB2_1542:
	s_or_b64 exec, exec, s[6:7]
	s_and_saveexec_b64 s[6:7], s[4:5]
	s_cbranch_execz .LBB2_1544
.LBB2_1543:
	v_and_b32_e32 v13, 7, v2
	v_ffbh_u32_e32 v15, v13
	v_min_u32_e32 v15, 32, v15
	v_lshrrev_b16_e32 v14, 3, v2
	v_subrev_u32_e32 v16, 28, v15
	v_and_b32_e32 v14, 15, v14
	v_lshlrev_b32_e32 v16, v16, v2
	v_sub_u32_e32 v15, 29, v15
	v_and_b32_e32 v16, 7, v16
	v_cmp_eq_u16_e32 vcc, 0, v14
	v_cndmask_b32_e32 v13, v13, v16, vcc
	v_cndmask_b32_e32 v14, v14, v15, vcc
	v_lshlrev_b32_e32 v15, 24, v2
	v_mov_b32_e32 v16, 0x3b800000
	v_lshlrev_b32_e32 v13, 20, v13
	v_and_b32_e32 v15, 0x80000000, v15
	v_lshl_add_u32 v14, v14, 23, v16
	v_or3_b32 v13, v15, v14, v13
.LBB2_1544:
	s_or_b64 exec, exec, s[6:7]
	flat_load_dwordx4 a[0:3], v[10:11] offset:192
	s_movk_i32 s4, 0x7f
                                        ; implicit-def: $sgpr10
	s_waitcnt vmcnt(0) lgkmcnt(0)
	v_mfma_f32_16x16x4f32 a[0:3], v12, v13, a[0:3]
	v_lshrrev_b32_e32 v13, 8, v6
	v_cmp_gt_i16_sdwa s[6:7], v13, s4 src0_sel:BYTE_0 src1_sel:DWORD
	s_mov_b64 s[4:5], 0
	s_and_saveexec_b64 s[8:9], s[6:7]
	s_xor_b64 s[6:7], exec, s[8:9]
	s_cbranch_execnz .LBB2_3593
; %bb.1545:
	s_or_saveexec_b64 s[6:7], s[6:7]
	v_mov_b32_e32 v12, s10
	s_xor_b64 exec, exec, s[6:7]
	s_cbranch_execnz .LBB2_3596
.LBB2_1546:
	s_or_b64 exec, exec, s[6:7]
	s_and_saveexec_b64 s[6:7], s[4:5]
	s_cbranch_execz .LBB2_1548
.LBB2_1547:
	v_bfe_u32 v12, v6, 8, 3
	v_ffbh_u32_e32 v15, v12
	v_min_u32_e32 v15, 32, v15
	v_lshrrev_b16_e32 v14, 3, v13
	v_subrev_u32_e32 v16, 28, v15
	v_and_b32_e32 v14, 15, v14
	v_lshlrev_b32_e32 v13, v16, v13
	v_sub_u32_e32 v15, 29, v15
	v_and_b32_e32 v13, 7, v13
	v_cmp_eq_u16_e32 vcc, 0, v14
	v_cndmask_b32_e32 v12, v12, v13, vcc
	v_cndmask_b32_e32 v13, v14, v15, vcc
	v_lshlrev_b32_e32 v14, 16, v6
	v_mov_b32_e32 v15, 0x3b800000
	v_lshlrev_b32_e32 v12, 20, v12
	v_and_b32_e32 v14, 0x80000000, v14
	v_lshl_add_u32 v13, v13, 23, v15
	v_or3_b32 v12, v14, v13, v12
.LBB2_1548:
	s_or_b64 exec, exec, s[6:7]
	v_lshrrev_b32_e32 v13, 8, v2
	s_movk_i32 s4, 0x7f
	v_cmp_gt_i16_sdwa s[6:7], v13, s4 src0_sel:BYTE_0 src1_sel:DWORD
	s_mov_b64 s[4:5], 0
                                        ; implicit-def: $sgpr10
	s_and_saveexec_b64 s[8:9], s[6:7]
	s_xor_b64 s[6:7], exec, s[8:9]
	s_cbranch_execnz .LBB2_3597
; %bb.1549:
	s_or_saveexec_b64 s[6:7], s[6:7]
	v_mov_b32_e32 v14, s10
	s_xor_b64 exec, exec, s[6:7]
	s_cbranch_execnz .LBB2_3600
.LBB2_1550:
	s_or_b64 exec, exec, s[6:7]
	s_and_saveexec_b64 s[6:7], s[4:5]
	s_cbranch_execz .LBB2_1552
.LBB2_1551:
	v_bfe_u32 v14, v2, 8, 3
	v_ffbh_u32_e32 v16, v14
	v_min_u32_e32 v16, 32, v16
	v_lshrrev_b16_e32 v15, 3, v13
	v_subrev_u32_e32 v17, 28, v16
	v_and_b32_e32 v15, 15, v15
	v_lshlrev_b32_e32 v13, v17, v13
	v_sub_u32_e32 v16, 29, v16
	v_and_b32_e32 v13, 7, v13
	v_cmp_eq_u16_e32 vcc, 0, v15
	v_cndmask_b32_e32 v13, v14, v13, vcc
	v_cndmask_b32_e32 v14, v15, v16, vcc
	v_lshlrev_b32_e32 v15, 16, v2
	v_mov_b32_e32 v16, 0x3b800000
	v_lshlrev_b32_e32 v13, 20, v13
	v_and_b32_e32 v15, 0x80000000, v15
	v_lshl_add_u32 v14, v14, 23, v16
	v_or3_b32 v14, v15, v14, v13
.LBB2_1552:
	s_or_b64 exec, exec, s[6:7]
	s_nop 0
	v_mfma_f32_16x16x4f32 a[0:3], v12, v14, a[0:3]
	s_movk_i32 s4, 0xff
	v_and_b32_sdwa v13, v6, s4 dst_sel:DWORD dst_unused:UNUSED_PAD src0_sel:WORD_1 src1_sel:DWORD
	s_movk_i32 s4, 0x7f
	v_cmp_lt_i16_e32 vcc, s4, v13
	s_mov_b64 s[4:5], 0
                                        ; implicit-def: $sgpr10
	s_and_saveexec_b64 s[6:7], vcc
	s_xor_b64 s[6:7], exec, s[6:7]
	s_cbranch_execnz .LBB2_3601
; %bb.1553:
	s_or_saveexec_b64 s[6:7], s[6:7]
	v_mov_b32_e32 v12, s10
	s_xor_b64 exec, exec, s[6:7]
	s_cbranch_execnz .LBB2_3604
.LBB2_1554:
	s_or_b64 exec, exec, s[6:7]
	s_and_saveexec_b64 s[6:7], s[4:5]
	s_cbranch_execz .LBB2_1556
.LBB2_1555:
	v_bfe_u32 v12, v6, 16, 3
	v_ffbh_u32_e32 v15, v12
	v_min_u32_e32 v15, 32, v15
	v_lshrrev_b32_e32 v13, 19, v6
	v_subrev_u32_e32 v16, 28, v15
	v_and_b32_e32 v13, 15, v13
	v_lshlrev_b32_sdwa v16, v16, v6 dst_sel:DWORD dst_unused:UNUSED_PAD src0_sel:DWORD src1_sel:WORD_1
	v_bfe_u32 v14, v6, 19, 4
	v_sub_u32_e32 v15, 29, v15
	v_and_b32_e32 v16, 7, v16
	v_cmp_eq_u16_e32 vcc, 0, v13
	v_cndmask_b32_e32 v12, v12, v16, vcc
	v_cndmask_b32_e32 v13, v14, v15, vcc
	v_lshlrev_b32_e32 v14, 8, v6
	v_mov_b32_e32 v15, 0x3b800000
	v_lshlrev_b32_e32 v12, 20, v12
	v_and_b32_e32 v14, 0x80000000, v14
	v_lshl_add_u32 v13, v13, 23, v15
	v_or3_b32 v12, v14, v13, v12
.LBB2_1556:
	s_or_b64 exec, exec, s[6:7]
	s_movk_i32 s4, 0xff
	v_and_b32_sdwa v13, v2, s4 dst_sel:DWORD dst_unused:UNUSED_PAD src0_sel:WORD_1 src1_sel:DWORD
	s_movk_i32 s4, 0x7f
	v_cmp_lt_i16_e32 vcc, s4, v13
	s_mov_b64 s[4:5], 0
                                        ; implicit-def: $sgpr10
	s_and_saveexec_b64 s[6:7], vcc
	s_xor_b64 s[6:7], exec, s[6:7]
	s_cbranch_execnz .LBB2_3605
; %bb.1557:
	s_or_saveexec_b64 s[6:7], s[6:7]
	v_mov_b32_e32 v14, s10
	s_xor_b64 exec, exec, s[6:7]
	s_cbranch_execnz .LBB2_3608
.LBB2_1558:
	s_or_b64 exec, exec, s[6:7]
	s_and_saveexec_b64 s[6:7], s[4:5]
	s_cbranch_execz .LBB2_1560
.LBB2_1559:
	v_bfe_u32 v13, v2, 16, 3
	v_ffbh_u32_e32 v16, v13
	v_min_u32_e32 v16, 32, v16
	v_lshrrev_b32_e32 v14, 19, v2
	v_subrev_u32_e32 v17, 28, v16
	v_and_b32_e32 v14, 15, v14
	v_lshlrev_b32_sdwa v17, v17, v2 dst_sel:DWORD dst_unused:UNUSED_PAD src0_sel:DWORD src1_sel:WORD_1
	v_bfe_u32 v15, v2, 19, 4
	v_sub_u32_e32 v16, 29, v16
	v_and_b32_e32 v17, 7, v17
	v_cmp_eq_u16_e32 vcc, 0, v14
	v_cndmask_b32_e32 v13, v13, v17, vcc
	v_cndmask_b32_e32 v14, v15, v16, vcc
	v_lshlrev_b32_e32 v15, 8, v2
	v_mov_b32_e32 v16, 0x3b800000
	v_lshlrev_b32_e32 v13, 20, v13
	v_and_b32_e32 v15, 0x80000000, v15
	v_lshl_add_u32 v14, v14, 23, v16
	v_or3_b32 v14, v15, v14, v13
.LBB2_1560:
	s_or_b64 exec, exec, s[6:7]
	s_nop 0
	v_mfma_f32_16x16x4f32 a[0:3], v12, v14, a[0:3]
	s_movk_i32 s4, 0x7f
	v_cmp_gt_i16_sdwa s[6:7], v6, s4 src0_sel:BYTE_3 src1_sel:DWORD
	s_mov_b64 s[4:5], 0
                                        ; implicit-def: $sgpr10
	s_and_saveexec_b64 s[8:9], s[6:7]
	s_xor_b64 s[6:7], exec, s[8:9]
	s_cbranch_execnz .LBB2_3609
; %bb.1561:
	s_or_saveexec_b64 s[6:7], s[6:7]
	v_mov_b32_e32 v12, s10
	s_xor_b64 exec, exec, s[6:7]
	s_cbranch_execnz .LBB2_3612
.LBB2_1562:
	s_or_b64 exec, exec, s[6:7]
	s_and_saveexec_b64 s[6:7], s[4:5]
	s_cbranch_execz .LBB2_1564
.LBB2_1563:
	v_bfe_u32 v12, v6, 24, 3
	v_ffbh_u32_e32 v16, v12
	v_min_u32_e32 v16, 32, v16
	v_lshrrev_b32_e32 v14, 27, v6
	v_subrev_u32_e32 v17, 28, v16
	v_and_b32_e32 v13, 0x80000000, v6
	v_and_b32_e32 v14, 15, v14
	v_bfe_u32 v15, v6, 27, 4
	v_lshlrev_b32_sdwa v6, v17, v6 dst_sel:DWORD dst_unused:UNUSED_PAD src0_sel:DWORD src1_sel:BYTE_3
	v_sub_u32_e32 v16, 29, v16
	v_and_b32_e32 v6, 7, v6
	v_cmp_eq_u16_e32 vcc, 0, v14
	v_cndmask_b32_e32 v6, v12, v6, vcc
	v_cndmask_b32_e32 v12, v15, v16, vcc
	v_mov_b32_e32 v14, 0x3b800000
	v_lshlrev_b32_e32 v6, 20, v6
	v_lshl_add_u32 v12, v12, 23, v14
	v_or3_b32 v12, v13, v12, v6
.LBB2_1564:
	s_or_b64 exec, exec, s[6:7]
	s_movk_i32 s4, 0x7f
	v_cmp_gt_i16_sdwa s[6:7], v2, s4 src0_sel:BYTE_3 src1_sel:DWORD
	s_mov_b64 s[4:5], 0
                                        ; implicit-def: $sgpr10
	s_and_saveexec_b64 s[8:9], s[6:7]
	s_xor_b64 s[6:7], exec, s[8:9]
	s_cbranch_execnz .LBB2_3613
; %bb.1565:
	s_or_saveexec_b64 s[6:7], s[6:7]
	v_mov_b32_e32 v6, s10
	s_xor_b64 exec, exec, s[6:7]
	s_cbranch_execnz .LBB2_3616
.LBB2_1566:
	s_or_b64 exec, exec, s[6:7]
	s_and_saveexec_b64 s[6:7], s[4:5]
	s_cbranch_execz .LBB2_1568
.LBB2_1567:
	v_bfe_u32 v6, v2, 24, 3
	v_ffbh_u32_e32 v16, v6
	v_min_u32_e32 v16, 32, v16
	v_lshrrev_b32_e32 v14, 27, v2
	v_subrev_u32_e32 v17, 28, v16
	v_and_b32_e32 v13, 0x80000000, v2
	v_and_b32_e32 v14, 15, v14
	v_bfe_u32 v15, v2, 27, 4
	v_lshlrev_b32_sdwa v2, v17, v2 dst_sel:DWORD dst_unused:UNUSED_PAD src0_sel:DWORD src1_sel:BYTE_3
	v_sub_u32_e32 v16, 29, v16
	v_and_b32_e32 v2, 7, v2
	v_cmp_eq_u16_e32 vcc, 0, v14
	v_cndmask_b32_e32 v2, v6, v2, vcc
	v_cndmask_b32_e32 v6, v15, v16, vcc
	v_mov_b32_e32 v14, 0x3b800000
	v_lshlrev_b32_e32 v2, 20, v2
	v_lshl_add_u32 v6, v6, 23, v14
	v_or3_b32 v6, v13, v6, v2
.LBB2_1568:
	s_or_b64 exec, exec, s[6:7]
	s_nop 0
	v_mfma_f32_16x16x4f32 a[0:3], v12, v6, a[0:3]
	s_movk_i32 s4, 0x7f
	v_cmp_gt_i16_sdwa s[6:7], v7, s4 src0_sel:BYTE_0 src1_sel:DWORD
	s_mov_b64 s[4:5], 0
                                        ; implicit-def: $sgpr10
	s_and_saveexec_b64 s[8:9], s[6:7]
	s_xor_b64 s[6:7], exec, s[8:9]
	s_cbranch_execnz .LBB2_3617
; %bb.1569:
	s_or_saveexec_b64 s[6:7], s[6:7]
	v_mov_b32_e32 v2, s10
	s_xor_b64 exec, exec, s[6:7]
	s_cbranch_execnz .LBB2_3620
.LBB2_1570:
	s_or_b64 exec, exec, s[6:7]
	s_and_saveexec_b64 s[6:7], s[4:5]
	s_cbranch_execz .LBB2_1572
.LBB2_1571:
	v_and_b32_e32 v2, 7, v7
	v_ffbh_u32_e32 v12, v2
	v_min_u32_e32 v12, 32, v12
	v_lshrrev_b16_e32 v6, 3, v7
	v_subrev_u32_e32 v13, 28, v12
	v_and_b32_e32 v6, 15, v6
	v_lshlrev_b32_e32 v13, v13, v7
	v_sub_u32_e32 v12, 29, v12
	v_and_b32_e32 v13, 7, v13
	v_cmp_eq_u16_e32 vcc, 0, v6
	v_cndmask_b32_e32 v2, v2, v13, vcc
	v_cndmask_b32_e32 v6, v6, v12, vcc
	v_lshlrev_b32_e32 v12, 24, v7
	v_mov_b32_e32 v13, 0x3b800000
	v_lshlrev_b32_e32 v2, 20, v2
	v_and_b32_e32 v12, 0x80000000, v12
	v_lshl_add_u32 v6, v6, 23, v13
	v_or3_b32 v2, v12, v6, v2
.LBB2_1572:
	s_or_b64 exec, exec, s[6:7]
	s_movk_i32 s4, 0x7f
	v_cmp_gt_i16_sdwa s[6:7], v3, s4 src0_sel:BYTE_0 src1_sel:DWORD
	s_mov_b64 s[4:5], 0
                                        ; implicit-def: $sgpr10
	s_and_saveexec_b64 s[8:9], s[6:7]
	s_xor_b64 s[6:7], exec, s[8:9]
	s_cbranch_execnz .LBB2_3621
; %bb.1573:
	s_or_saveexec_b64 s[6:7], s[6:7]
	v_mov_b32_e32 v6, s10
	s_xor_b64 exec, exec, s[6:7]
	s_cbranch_execnz .LBB2_3624
.LBB2_1574:
	s_or_b64 exec, exec, s[6:7]
	s_and_saveexec_b64 s[6:7], s[4:5]
	s_cbranch_execz .LBB2_1576
.LBB2_1575:
	v_and_b32_e32 v6, 7, v3
	v_ffbh_u32_e32 v13, v6
	v_min_u32_e32 v13, 32, v13
	v_lshrrev_b16_e32 v12, 3, v3
	v_subrev_u32_e32 v14, 28, v13
	v_and_b32_e32 v12, 15, v12
	v_lshlrev_b32_e32 v14, v14, v3
	v_sub_u32_e32 v13, 29, v13
	v_and_b32_e32 v14, 7, v14
	v_cmp_eq_u16_e32 vcc, 0, v12
	v_cndmask_b32_e32 v6, v6, v14, vcc
	v_cndmask_b32_e32 v12, v12, v13, vcc
	v_lshlrev_b32_e32 v13, 24, v3
	v_mov_b32_e32 v14, 0x3b800000
	v_lshlrev_b32_e32 v6, 20, v6
	v_and_b32_e32 v13, 0x80000000, v13
	v_lshl_add_u32 v12, v12, 23, v14
	v_or3_b32 v6, v13, v12, v6
.LBB2_1576:
	s_or_b64 exec, exec, s[6:7]
	s_nop 0
	v_mfma_f32_16x16x4f32 a[0:3], v2, v6, a[0:3]
	v_lshrrev_b32_e32 v6, 8, v7
	s_movk_i32 s4, 0x7f
	v_cmp_gt_i16_sdwa s[6:7], v6, s4 src0_sel:BYTE_0 src1_sel:DWORD
	s_mov_b64 s[4:5], 0
                                        ; implicit-def: $sgpr10
	s_and_saveexec_b64 s[8:9], s[6:7]
	s_xor_b64 s[6:7], exec, s[8:9]
	s_cbranch_execnz .LBB2_3625
; %bb.1577:
	s_or_saveexec_b64 s[6:7], s[6:7]
	v_mov_b32_e32 v2, s10
	s_xor_b64 exec, exec, s[6:7]
	s_cbranch_execnz .LBB2_3628
.LBB2_1578:
	s_or_b64 exec, exec, s[6:7]
	s_and_saveexec_b64 s[6:7], s[4:5]
	s_cbranch_execz .LBB2_1580
.LBB2_1579:
	v_bfe_u32 v2, v7, 8, 3
	v_ffbh_u32_e32 v13, v2
	v_min_u32_e32 v13, 32, v13
	v_lshrrev_b16_e32 v12, 3, v6
	v_subrev_u32_e32 v14, 28, v13
	v_and_b32_e32 v12, 15, v12
	v_lshlrev_b32_e32 v6, v14, v6
	v_sub_u32_e32 v13, 29, v13
	v_and_b32_e32 v6, 7, v6
	v_cmp_eq_u16_e32 vcc, 0, v12
	v_cndmask_b32_e32 v2, v2, v6, vcc
	v_cndmask_b32_e32 v6, v12, v13, vcc
	v_lshlrev_b32_e32 v12, 16, v7
	v_mov_b32_e32 v13, 0x3b800000
	v_lshlrev_b32_e32 v2, 20, v2
	v_and_b32_e32 v12, 0x80000000, v12
	v_lshl_add_u32 v6, v6, 23, v13
	v_or3_b32 v2, v12, v6, v2
.LBB2_1580:
	s_or_b64 exec, exec, s[6:7]
	v_lshrrev_b32_e32 v6, 8, v3
	s_movk_i32 s4, 0x7f
	v_cmp_gt_i16_sdwa s[6:7], v6, s4 src0_sel:BYTE_0 src1_sel:DWORD
	s_mov_b64 s[4:5], 0
                                        ; implicit-def: $sgpr10
	s_and_saveexec_b64 s[8:9], s[6:7]
	s_xor_b64 s[6:7], exec, s[8:9]
	s_cbranch_execnz .LBB2_3629
; %bb.1581:
	s_or_saveexec_b64 s[6:7], s[6:7]
	v_mov_b32_e32 v12, s10
	s_xor_b64 exec, exec, s[6:7]
	s_cbranch_execnz .LBB2_3632
.LBB2_1582:
	s_or_b64 exec, exec, s[6:7]
	s_and_saveexec_b64 s[6:7], s[4:5]
	s_cbranch_execz .LBB2_1584
.LBB2_1583:
	v_bfe_u32 v12, v3, 8, 3
	v_ffbh_u32_e32 v14, v12
	v_min_u32_e32 v14, 32, v14
	v_lshrrev_b16_e32 v13, 3, v6
	v_subrev_u32_e32 v15, 28, v14
	v_and_b32_e32 v13, 15, v13
	v_lshlrev_b32_e32 v6, v15, v6
	v_sub_u32_e32 v14, 29, v14
	v_and_b32_e32 v6, 7, v6
	v_cmp_eq_u16_e32 vcc, 0, v13
	v_cndmask_b32_e32 v6, v12, v6, vcc
	v_cndmask_b32_e32 v12, v13, v14, vcc
	v_lshlrev_b32_e32 v13, 16, v3
	v_mov_b32_e32 v14, 0x3b800000
	v_lshlrev_b32_e32 v6, 20, v6
	v_and_b32_e32 v13, 0x80000000, v13
	v_lshl_add_u32 v12, v12, 23, v14
	v_or3_b32 v12, v13, v12, v6
.LBB2_1584:
	s_or_b64 exec, exec, s[6:7]
	s_nop 0
	v_mfma_f32_16x16x4f32 a[0:3], v2, v12, a[0:3]
	s_movk_i32 s4, 0xff
	v_and_b32_sdwa v6, v7, s4 dst_sel:DWORD dst_unused:UNUSED_PAD src0_sel:WORD_1 src1_sel:DWORD
	s_movk_i32 s4, 0x7f
	v_cmp_lt_i16_e32 vcc, s4, v6
	s_mov_b64 s[4:5], 0
                                        ; implicit-def: $sgpr10
	s_and_saveexec_b64 s[6:7], vcc
	s_xor_b64 s[6:7], exec, s[6:7]
	s_cbranch_execnz .LBB2_3633
; %bb.1585:
	s_or_saveexec_b64 s[6:7], s[6:7]
	v_mov_b32_e32 v2, s10
	s_xor_b64 exec, exec, s[6:7]
	s_cbranch_execnz .LBB2_3636
.LBB2_1586:
	s_or_b64 exec, exec, s[6:7]
	s_and_saveexec_b64 s[6:7], s[4:5]
	s_cbranch_execz .LBB2_1588
.LBB2_1587:
	v_bfe_u32 v2, v7, 16, 3
	v_ffbh_u32_e32 v13, v2
	v_min_u32_e32 v13, 32, v13
	v_lshrrev_b32_e32 v6, 19, v7
	v_subrev_u32_e32 v14, 28, v13
	v_and_b32_e32 v6, 15, v6
	v_lshlrev_b32_sdwa v14, v14, v7 dst_sel:DWORD dst_unused:UNUSED_PAD src0_sel:DWORD src1_sel:WORD_1
	v_bfe_u32 v12, v7, 19, 4
	v_sub_u32_e32 v13, 29, v13
	v_and_b32_e32 v14, 7, v14
	v_cmp_eq_u16_e32 vcc, 0, v6
	v_cndmask_b32_e32 v2, v2, v14, vcc
	v_cndmask_b32_e32 v6, v12, v13, vcc
	v_lshlrev_b32_e32 v12, 8, v7
	v_mov_b32_e32 v13, 0x3b800000
	v_lshlrev_b32_e32 v2, 20, v2
	v_and_b32_e32 v12, 0x80000000, v12
	v_lshl_add_u32 v6, v6, 23, v13
	v_or3_b32 v2, v12, v6, v2
.LBB2_1588:
	s_or_b64 exec, exec, s[6:7]
	s_movk_i32 s4, 0xff
	v_and_b32_sdwa v6, v3, s4 dst_sel:DWORD dst_unused:UNUSED_PAD src0_sel:WORD_1 src1_sel:DWORD
	s_movk_i32 s4, 0x7f
	v_cmp_lt_i16_e32 vcc, s4, v6
	s_mov_b64 s[4:5], 0
                                        ; implicit-def: $sgpr10
	s_and_saveexec_b64 s[6:7], vcc
	s_xor_b64 s[6:7], exec, s[6:7]
	s_cbranch_execnz .LBB2_3637
; %bb.1589:
	s_or_saveexec_b64 s[6:7], s[6:7]
	v_mov_b32_e32 v12, s10
	s_xor_b64 exec, exec, s[6:7]
	s_cbranch_execnz .LBB2_3640
.LBB2_1590:
	s_or_b64 exec, exec, s[6:7]
	s_and_saveexec_b64 s[6:7], s[4:5]
	s_cbranch_execz .LBB2_1592
.LBB2_1591:
	v_bfe_u32 v6, v3, 16, 3
	v_ffbh_u32_e32 v14, v6
	v_min_u32_e32 v14, 32, v14
	v_lshrrev_b32_e32 v12, 19, v3
	v_subrev_u32_e32 v15, 28, v14
	v_and_b32_e32 v12, 15, v12
	v_lshlrev_b32_sdwa v15, v15, v3 dst_sel:DWORD dst_unused:UNUSED_PAD src0_sel:DWORD src1_sel:WORD_1
	v_bfe_u32 v13, v3, 19, 4
	v_sub_u32_e32 v14, 29, v14
	v_and_b32_e32 v15, 7, v15
	v_cmp_eq_u16_e32 vcc, 0, v12
	v_cndmask_b32_e32 v6, v6, v15, vcc
	v_cndmask_b32_e32 v12, v13, v14, vcc
	v_lshlrev_b32_e32 v13, 8, v3
	v_mov_b32_e32 v14, 0x3b800000
	v_lshlrev_b32_e32 v6, 20, v6
	v_and_b32_e32 v13, 0x80000000, v13
	v_lshl_add_u32 v12, v12, 23, v14
	v_or3_b32 v12, v13, v12, v6
.LBB2_1592:
	s_or_b64 exec, exec, s[6:7]
	s_nop 0
	v_mfma_f32_16x16x4f32 a[0:3], v2, v12, a[0:3]
	s_movk_i32 s4, 0x7f
	v_cmp_gt_i16_sdwa s[6:7], v7, s4 src0_sel:BYTE_3 src1_sel:DWORD
	s_mov_b64 s[4:5], 0
                                        ; implicit-def: $sgpr10
	s_and_saveexec_b64 s[8:9], s[6:7]
	s_xor_b64 s[6:7], exec, s[8:9]
	s_cbranch_execnz .LBB2_3641
; %bb.1593:
	s_or_saveexec_b64 s[6:7], s[6:7]
	v_mov_b32_e32 v2, s10
	s_xor_b64 exec, exec, s[6:7]
	s_cbranch_execnz .LBB2_3644
.LBB2_1594:
	s_or_b64 exec, exec, s[6:7]
	s_and_saveexec_b64 s[6:7], s[4:5]
	s_cbranch_execz .LBB2_1596
.LBB2_1595:
	v_bfe_u32 v2, v7, 24, 3
	v_ffbh_u32_e32 v14, v2
	v_min_u32_e32 v14, 32, v14
	v_lshrrev_b32_e32 v12, 27, v7
	v_subrev_u32_e32 v15, 28, v14
	v_and_b32_e32 v6, 0x80000000, v7
	v_and_b32_e32 v12, 15, v12
	v_bfe_u32 v13, v7, 27, 4
	v_lshlrev_b32_sdwa v7, v15, v7 dst_sel:DWORD dst_unused:UNUSED_PAD src0_sel:DWORD src1_sel:BYTE_3
	v_sub_u32_e32 v14, 29, v14
	v_and_b32_e32 v7, 7, v7
	v_cmp_eq_u16_e32 vcc, 0, v12
	v_cndmask_b32_e32 v2, v2, v7, vcc
	v_cndmask_b32_e32 v7, v13, v14, vcc
	v_mov_b32_e32 v12, 0x3b800000
	v_lshlrev_b32_e32 v2, 20, v2
	v_lshl_add_u32 v7, v7, 23, v12
	v_or3_b32 v2, v6, v7, v2
.LBB2_1596:
	s_or_b64 exec, exec, s[6:7]
	s_movk_i32 s4, 0x7f
	v_cmp_gt_i16_sdwa s[6:7], v3, s4 src0_sel:BYTE_3 src1_sel:DWORD
	s_mov_b64 s[4:5], 0
                                        ; implicit-def: $sgpr10
	s_and_saveexec_b64 s[8:9], s[6:7]
	s_xor_b64 s[6:7], exec, s[8:9]
	s_cbranch_execnz .LBB2_3645
; %bb.1597:
	s_or_saveexec_b64 s[6:7], s[6:7]
	v_mov_b32_e32 v6, s10
	s_xor_b64 exec, exec, s[6:7]
	s_cbranch_execnz .LBB2_3648
.LBB2_1598:
	s_or_b64 exec, exec, s[6:7]
	s_and_saveexec_b64 s[6:7], s[4:5]
	s_cbranch_execz .LBB2_1600
.LBB2_1599:
	v_bfe_u32 v6, v3, 24, 3
	v_ffbh_u32_e32 v14, v6
	v_min_u32_e32 v14, 32, v14
	v_lshrrev_b32_e32 v12, 27, v3
	v_subrev_u32_e32 v15, 28, v14
	v_and_b32_e32 v7, 0x80000000, v3
	v_and_b32_e32 v12, 15, v12
	v_bfe_u32 v13, v3, 27, 4
	v_lshlrev_b32_sdwa v3, v15, v3 dst_sel:DWORD dst_unused:UNUSED_PAD src0_sel:DWORD src1_sel:BYTE_3
	v_sub_u32_e32 v14, 29, v14
	v_and_b32_e32 v3, 7, v3
	v_cmp_eq_u16_e32 vcc, 0, v12
	v_cndmask_b32_e32 v3, v6, v3, vcc
	v_cndmask_b32_e32 v6, v13, v14, vcc
	v_mov_b32_e32 v12, 0x3b800000
	v_lshlrev_b32_e32 v3, 20, v3
	v_lshl_add_u32 v6, v6, 23, v12
	v_or3_b32 v6, v7, v6, v3
.LBB2_1600:
	s_or_b64 exec, exec, s[6:7]
	s_nop 0
	v_mfma_f32_16x16x4f32 a[0:3], v2, v6, a[0:3]
	s_movk_i32 s4, 0x7f
	v_cmp_gt_i16_sdwa s[6:7], v8, s4 src0_sel:BYTE_0 src1_sel:DWORD
	s_mov_b64 s[4:5], 0
                                        ; implicit-def: $sgpr10
	s_and_saveexec_b64 s[8:9], s[6:7]
	s_xor_b64 s[6:7], exec, s[8:9]
	s_cbranch_execnz .LBB2_3649
; %bb.1601:
	s_or_saveexec_b64 s[6:7], s[6:7]
	v_mov_b32_e32 v2, s10
	s_xor_b64 exec, exec, s[6:7]
	s_cbranch_execnz .LBB2_3652
.LBB2_1602:
	s_or_b64 exec, exec, s[6:7]
	s_and_saveexec_b64 s[6:7], s[4:5]
	s_cbranch_execz .LBB2_1604
.LBB2_1603:
	v_and_b32_e32 v2, 7, v8
	v_ffbh_u32_e32 v6, v2
	v_min_u32_e32 v6, 32, v6
	v_lshrrev_b16_e32 v3, 3, v8
	v_subrev_u32_e32 v7, 28, v6
	v_and_b32_e32 v3, 15, v3
	v_lshlrev_b32_e32 v7, v7, v8
	v_sub_u32_e32 v6, 29, v6
	v_and_b32_e32 v7, 7, v7
	v_cmp_eq_u16_e32 vcc, 0, v3
	v_cndmask_b32_e32 v2, v2, v7, vcc
	v_cndmask_b32_e32 v3, v3, v6, vcc
	v_lshlrev_b32_e32 v6, 24, v8
	v_mov_b32_e32 v7, 0x3b800000
	v_lshlrev_b32_e32 v2, 20, v2
	v_and_b32_e32 v6, 0x80000000, v6
	v_lshl_add_u32 v3, v3, 23, v7
	v_or3_b32 v2, v6, v3, v2
.LBB2_1604:
	s_or_b64 exec, exec, s[6:7]
	s_movk_i32 s4, 0x7f
	v_cmp_gt_i16_sdwa s[6:7], v4, s4 src0_sel:BYTE_0 src1_sel:DWORD
	s_mov_b64 s[4:5], 0
                                        ; implicit-def: $sgpr10
	s_and_saveexec_b64 s[8:9], s[6:7]
	s_xor_b64 s[6:7], exec, s[8:9]
	s_cbranch_execnz .LBB2_3653
; %bb.1605:
	s_or_saveexec_b64 s[6:7], s[6:7]
	v_mov_b32_e32 v3, s10
	s_xor_b64 exec, exec, s[6:7]
	s_cbranch_execnz .LBB2_3656
.LBB2_1606:
	s_or_b64 exec, exec, s[6:7]
	s_and_saveexec_b64 s[6:7], s[4:5]
	s_cbranch_execz .LBB2_1608
.LBB2_1607:
	v_and_b32_e32 v3, 7, v4
	v_ffbh_u32_e32 v7, v3
	v_min_u32_e32 v7, 32, v7
	v_lshrrev_b16_e32 v6, 3, v4
	v_subrev_u32_e32 v12, 28, v7
	v_and_b32_e32 v6, 15, v6
	v_lshlrev_b32_e32 v12, v12, v4
	v_sub_u32_e32 v7, 29, v7
	v_and_b32_e32 v12, 7, v12
	v_cmp_eq_u16_e32 vcc, 0, v6
	v_cndmask_b32_e32 v3, v3, v12, vcc
	v_cndmask_b32_e32 v6, v6, v7, vcc
	v_lshlrev_b32_e32 v7, 24, v4
	v_mov_b32_e32 v12, 0x3b800000
	v_lshlrev_b32_e32 v3, 20, v3
	v_and_b32_e32 v7, 0x80000000, v7
	v_lshl_add_u32 v6, v6, 23, v12
	v_or3_b32 v3, v7, v6, v3
.LBB2_1608:
	s_or_b64 exec, exec, s[6:7]
	s_nop 0
	v_mfma_f32_16x16x4f32 a[0:3], v2, v3, a[0:3]
	v_lshrrev_b32_e32 v3, 8, v8
	s_movk_i32 s4, 0x7f
	v_cmp_gt_i16_sdwa s[6:7], v3, s4 src0_sel:BYTE_0 src1_sel:DWORD
	s_mov_b64 s[4:5], 0
                                        ; implicit-def: $sgpr10
	s_and_saveexec_b64 s[8:9], s[6:7]
	s_xor_b64 s[6:7], exec, s[8:9]
	s_cbranch_execnz .LBB2_3657
; %bb.1609:
	s_or_saveexec_b64 s[6:7], s[6:7]
	v_mov_b32_e32 v2, s10
	s_xor_b64 exec, exec, s[6:7]
	s_cbranch_execnz .LBB2_3660
.LBB2_1610:
	s_or_b64 exec, exec, s[6:7]
	s_and_saveexec_b64 s[6:7], s[4:5]
	s_cbranch_execz .LBB2_1612
.LBB2_1611:
	v_bfe_u32 v2, v8, 8, 3
	v_ffbh_u32_e32 v7, v2
	v_min_u32_e32 v7, 32, v7
	v_lshrrev_b16_e32 v6, 3, v3
	v_subrev_u32_e32 v12, 28, v7
	v_and_b32_e32 v6, 15, v6
	v_lshlrev_b32_e32 v3, v12, v3
	v_sub_u32_e32 v7, 29, v7
	v_and_b32_e32 v3, 7, v3
	v_cmp_eq_u16_e32 vcc, 0, v6
	v_cndmask_b32_e32 v2, v2, v3, vcc
	v_cndmask_b32_e32 v3, v6, v7, vcc
	v_lshlrev_b32_e32 v6, 16, v8
	v_mov_b32_e32 v7, 0x3b800000
	v_lshlrev_b32_e32 v2, 20, v2
	v_and_b32_e32 v6, 0x80000000, v6
	v_lshl_add_u32 v3, v3, 23, v7
	v_or3_b32 v2, v6, v3, v2
.LBB2_1612:
	s_or_b64 exec, exec, s[6:7]
	v_lshrrev_b32_e32 v3, 8, v4
	s_movk_i32 s4, 0x7f
	v_cmp_gt_i16_sdwa s[6:7], v3, s4 src0_sel:BYTE_0 src1_sel:DWORD
	s_mov_b64 s[4:5], 0
                                        ; implicit-def: $sgpr10
	s_and_saveexec_b64 s[8:9], s[6:7]
	s_xor_b64 s[6:7], exec, s[8:9]
	s_cbranch_execnz .LBB2_3661
; %bb.1613:
	s_or_saveexec_b64 s[6:7], s[6:7]
	v_mov_b32_e32 v6, s10
	s_xor_b64 exec, exec, s[6:7]
	s_cbranch_execnz .LBB2_3664
.LBB2_1614:
	s_or_b64 exec, exec, s[6:7]
	s_and_saveexec_b64 s[6:7], s[4:5]
	s_cbranch_execz .LBB2_1616
.LBB2_1615:
	v_bfe_u32 v6, v4, 8, 3
	v_ffbh_u32_e32 v12, v6
	v_min_u32_e32 v12, 32, v12
	v_lshrrev_b16_e32 v7, 3, v3
	v_subrev_u32_e32 v13, 28, v12
	v_and_b32_e32 v7, 15, v7
	v_lshlrev_b32_e32 v3, v13, v3
	v_sub_u32_e32 v12, 29, v12
	v_and_b32_e32 v3, 7, v3
	v_cmp_eq_u16_e32 vcc, 0, v7
	v_cndmask_b32_e32 v3, v6, v3, vcc
	v_cndmask_b32_e32 v6, v7, v12, vcc
	v_lshlrev_b32_e32 v7, 16, v4
	v_mov_b32_e32 v12, 0x3b800000
	v_lshlrev_b32_e32 v3, 20, v3
	v_and_b32_e32 v7, 0x80000000, v7
	v_lshl_add_u32 v6, v6, 23, v12
	v_or3_b32 v6, v7, v6, v3
.LBB2_1616:
	s_or_b64 exec, exec, s[6:7]
	s_nop 0
	v_mfma_f32_16x16x4f32 a[0:3], v2, v6, a[0:3]
	s_movk_i32 s4, 0xff
	v_and_b32_sdwa v3, v8, s4 dst_sel:DWORD dst_unused:UNUSED_PAD src0_sel:WORD_1 src1_sel:DWORD
	s_movk_i32 s4, 0x7f
	v_cmp_lt_i16_e32 vcc, s4, v3
	s_mov_b64 s[4:5], 0
                                        ; implicit-def: $sgpr10
	s_and_saveexec_b64 s[6:7], vcc
	s_xor_b64 s[6:7], exec, s[6:7]
	s_cbranch_execnz .LBB2_3665
; %bb.1617:
	s_or_saveexec_b64 s[6:7], s[6:7]
	v_mov_b32_e32 v2, s10
	s_xor_b64 exec, exec, s[6:7]
	s_cbranch_execnz .LBB2_3668
.LBB2_1618:
	s_or_b64 exec, exec, s[6:7]
	s_and_saveexec_b64 s[6:7], s[4:5]
	s_cbranch_execz .LBB2_1620
.LBB2_1619:
	v_bfe_u32 v2, v8, 16, 3
	v_ffbh_u32_e32 v7, v2
	v_min_u32_e32 v7, 32, v7
	v_lshrrev_b32_e32 v3, 19, v8
	v_subrev_u32_e32 v12, 28, v7
	v_and_b32_e32 v3, 15, v3
	v_lshlrev_b32_sdwa v12, v12, v8 dst_sel:DWORD dst_unused:UNUSED_PAD src0_sel:DWORD src1_sel:WORD_1
	v_bfe_u32 v6, v8, 19, 4
	v_sub_u32_e32 v7, 29, v7
	v_and_b32_e32 v12, 7, v12
	v_cmp_eq_u16_e32 vcc, 0, v3
	v_cndmask_b32_e32 v2, v2, v12, vcc
	v_cndmask_b32_e32 v3, v6, v7, vcc
	v_lshlrev_b32_e32 v6, 8, v8
	v_mov_b32_e32 v7, 0x3b800000
	v_lshlrev_b32_e32 v2, 20, v2
	v_and_b32_e32 v6, 0x80000000, v6
	v_lshl_add_u32 v3, v3, 23, v7
	v_or3_b32 v2, v6, v3, v2
.LBB2_1620:
	s_or_b64 exec, exec, s[6:7]
	s_movk_i32 s4, 0xff
	v_and_b32_sdwa v3, v4, s4 dst_sel:DWORD dst_unused:UNUSED_PAD src0_sel:WORD_1 src1_sel:DWORD
	s_movk_i32 s4, 0x7f
	v_cmp_lt_i16_e32 vcc, s4, v3
	s_mov_b64 s[4:5], 0
                                        ; implicit-def: $sgpr10
	s_and_saveexec_b64 s[6:7], vcc
	s_xor_b64 s[6:7], exec, s[6:7]
	s_cbranch_execnz .LBB2_3669
; %bb.1621:
	s_or_saveexec_b64 s[6:7], s[6:7]
	v_mov_b32_e32 v6, s10
	s_xor_b64 exec, exec, s[6:7]
	s_cbranch_execnz .LBB2_3672
.LBB2_1622:
	s_or_b64 exec, exec, s[6:7]
	s_and_saveexec_b64 s[6:7], s[4:5]
	s_cbranch_execz .LBB2_1624
.LBB2_1623:
	v_bfe_u32 v3, v4, 16, 3
	v_ffbh_u32_e32 v12, v3
	v_min_u32_e32 v12, 32, v12
	v_lshrrev_b32_e32 v6, 19, v4
	v_subrev_u32_e32 v13, 28, v12
	v_and_b32_e32 v6, 15, v6
	v_lshlrev_b32_sdwa v13, v13, v4 dst_sel:DWORD dst_unused:UNUSED_PAD src0_sel:DWORD src1_sel:WORD_1
	v_bfe_u32 v7, v4, 19, 4
	v_sub_u32_e32 v12, 29, v12
	v_and_b32_e32 v13, 7, v13
	v_cmp_eq_u16_e32 vcc, 0, v6
	v_cndmask_b32_e32 v3, v3, v13, vcc
	v_cndmask_b32_e32 v6, v7, v12, vcc
	v_lshlrev_b32_e32 v7, 8, v4
	v_mov_b32_e32 v12, 0x3b800000
	v_lshlrev_b32_e32 v3, 20, v3
	v_and_b32_e32 v7, 0x80000000, v7
	v_lshl_add_u32 v6, v6, 23, v12
	v_or3_b32 v6, v7, v6, v3
.LBB2_1624:
	s_or_b64 exec, exec, s[6:7]
	s_nop 0
	v_mfma_f32_16x16x4f32 a[0:3], v2, v6, a[0:3]
	s_movk_i32 s4, 0x7f
	v_cmp_gt_i16_sdwa s[6:7], v8, s4 src0_sel:BYTE_3 src1_sel:DWORD
	s_mov_b64 s[4:5], 0
                                        ; implicit-def: $sgpr10
	s_and_saveexec_b64 s[8:9], s[6:7]
	s_xor_b64 s[6:7], exec, s[8:9]
	s_cbranch_execnz .LBB2_3673
; %bb.1625:
	s_or_saveexec_b64 s[6:7], s[6:7]
	v_mov_b32_e32 v2, s10
	s_xor_b64 exec, exec, s[6:7]
	s_cbranch_execnz .LBB2_3676
.LBB2_1626:
	s_or_b64 exec, exec, s[6:7]
	s_and_saveexec_b64 s[6:7], s[4:5]
	s_cbranch_execz .LBB2_1628
.LBB2_1627:
	v_bfe_u32 v2, v8, 24, 3
	v_ffbh_u32_e32 v12, v2
	v_min_u32_e32 v12, 32, v12
	v_lshrrev_b32_e32 v6, 27, v8
	v_subrev_u32_e32 v13, 28, v12
	v_and_b32_e32 v3, 0x80000000, v8
	v_and_b32_e32 v6, 15, v6
	v_bfe_u32 v7, v8, 27, 4
	v_lshlrev_b32_sdwa v8, v13, v8 dst_sel:DWORD dst_unused:UNUSED_PAD src0_sel:DWORD src1_sel:BYTE_3
	v_sub_u32_e32 v12, 29, v12
	v_and_b32_e32 v8, 7, v8
	v_cmp_eq_u16_e32 vcc, 0, v6
	v_cndmask_b32_e32 v2, v2, v8, vcc
	v_cndmask_b32_e32 v6, v7, v12, vcc
	v_mov_b32_e32 v7, 0x3b800000
	v_lshlrev_b32_e32 v2, 20, v2
	v_lshl_add_u32 v6, v6, 23, v7
	v_or3_b32 v2, v3, v6, v2
.LBB2_1628:
	s_or_b64 exec, exec, s[6:7]
	s_movk_i32 s4, 0x7f
	v_cmp_gt_i16_sdwa s[6:7], v4, s4 src0_sel:BYTE_3 src1_sel:DWORD
	s_mov_b64 s[4:5], 0
                                        ; implicit-def: $sgpr10
	s_and_saveexec_b64 s[8:9], s[6:7]
	s_xor_b64 s[6:7], exec, s[8:9]
	s_cbranch_execnz .LBB2_3677
; %bb.1629:
	s_or_saveexec_b64 s[6:7], s[6:7]
	v_mov_b32_e32 v3, s10
	s_xor_b64 exec, exec, s[6:7]
	s_cbranch_execnz .LBB2_3680
.LBB2_1630:
	s_or_b64 exec, exec, s[6:7]
	s_and_saveexec_b64 s[6:7], s[4:5]
	s_cbranch_execz .LBB2_1632
.LBB2_1631:
	v_bfe_u32 v3, v4, 24, 3
	v_ffbh_u32_e32 v12, v3
	v_min_u32_e32 v12, 32, v12
	v_lshrrev_b32_e32 v7, 27, v4
	v_subrev_u32_e32 v13, 28, v12
	v_and_b32_e32 v6, 0x80000000, v4
	v_and_b32_e32 v7, 15, v7
	v_bfe_u32 v8, v4, 27, 4
	v_lshlrev_b32_sdwa v4, v13, v4 dst_sel:DWORD dst_unused:UNUSED_PAD src0_sel:DWORD src1_sel:BYTE_3
	v_sub_u32_e32 v12, 29, v12
	v_and_b32_e32 v4, 7, v4
	v_cmp_eq_u16_e32 vcc, 0, v7
	v_cndmask_b32_e32 v3, v3, v4, vcc
	v_cndmask_b32_e32 v4, v8, v12, vcc
	v_mov_b32_e32 v7, 0x3b800000
	v_lshlrev_b32_e32 v3, 20, v3
	v_lshl_add_u32 v4, v4, 23, v7
	v_or3_b32 v3, v6, v4, v3
.LBB2_1632:
	s_or_b64 exec, exec, s[6:7]
	s_nop 0
	v_mfma_f32_16x16x4f32 a[0:3], v2, v3, a[0:3]
	s_movk_i32 s4, 0x7f
	v_cmp_gt_i16_sdwa s[6:7], v9, s4 src0_sel:BYTE_0 src1_sel:DWORD
	s_mov_b64 s[4:5], 0
                                        ; implicit-def: $sgpr10
	s_and_saveexec_b64 s[8:9], s[6:7]
	s_xor_b64 s[6:7], exec, s[8:9]
	s_cbranch_execnz .LBB2_3681
; %bb.1633:
	s_or_saveexec_b64 s[6:7], s[6:7]
	v_mov_b32_e32 v2, s10
	s_xor_b64 exec, exec, s[6:7]
	s_cbranch_execnz .LBB2_3684
.LBB2_1634:
	s_or_b64 exec, exec, s[6:7]
	s_and_saveexec_b64 s[6:7], s[4:5]
	s_cbranch_execz .LBB2_1636
.LBB2_1635:
	v_mov_b32_e32 v2, 8
	v_and_b32_e32 v3, 7, v9
	v_lshrrev_b32_sdwa v2, v2, v9 dst_sel:BYTE_1 dst_unused:UNUSED_PAD src0_sel:DWORD src1_sel:DWORD
	v_ffbh_u32_e32 v4, v3
	v_or_b32_sdwa v2, v9, v2 dst_sel:DWORD dst_unused:UNUSED_PAD src0_sel:BYTE_0 src1_sel:DWORD
	v_min_u32_e32 v4, 32, v4
	v_lshrrev_b16_e32 v2, 3, v2
	v_subrev_u32_e32 v6, 28, v4
	v_and_b32_e32 v2, 15, v2
	v_lshlrev_b32_e32 v6, v6, v9
	v_sub_u32_e32 v4, 29, v4
	v_and_b32_e32 v6, 7, v6
	v_cmp_eq_u16_e32 vcc, 0, v2
	v_cndmask_b32_e32 v3, v3, v6, vcc
	v_cndmask_b32_e32 v2, v2, v4, vcc
	v_lshlrev_b32_e32 v4, 24, v9
	v_mov_b32_e32 v6, 0x3b800000
	v_lshlrev_b32_e32 v3, 20, v3
	v_and_b32_e32 v4, 0x80000000, v4
	v_lshl_add_u32 v2, v2, 23, v6
	v_or3_b32 v2, v4, v2, v3
.LBB2_1636:
	s_or_b64 exec, exec, s[6:7]
	s_movk_i32 s4, 0x7f
	v_cmp_gt_i16_sdwa s[6:7], v5, s4 src0_sel:BYTE_0 src1_sel:DWORD
	s_mov_b64 s[4:5], 0
                                        ; implicit-def: $sgpr10
	s_and_saveexec_b64 s[8:9], s[6:7]
	s_xor_b64 s[6:7], exec, s[8:9]
	s_cbranch_execnz .LBB2_3685
; %bb.1637:
	s_or_saveexec_b64 s[6:7], s[6:7]
	v_mov_b32_e32 v3, s10
	s_xor_b64 exec, exec, s[6:7]
	s_cbranch_execnz .LBB2_3688
.LBB2_1638:
	s_or_b64 exec, exec, s[6:7]
	s_and_saveexec_b64 s[6:7], s[4:5]
	s_cbranch_execz .LBB2_1640
.LBB2_1639:
	v_mov_b32_e32 v3, 8
	v_and_b32_e32 v4, 7, v5
	v_lshrrev_b32_sdwa v3, v3, v5 dst_sel:BYTE_1 dst_unused:UNUSED_PAD src0_sel:DWORD src1_sel:DWORD
	v_ffbh_u32_e32 v6, v4
	v_or_b32_sdwa v3, v5, v3 dst_sel:DWORD dst_unused:UNUSED_PAD src0_sel:BYTE_0 src1_sel:DWORD
	v_min_u32_e32 v6, 32, v6
	v_lshrrev_b16_e32 v3, 3, v3
	v_subrev_u32_e32 v7, 28, v6
	v_and_b32_e32 v3, 15, v3
	v_lshlrev_b32_e32 v7, v7, v5
	v_sub_u32_e32 v6, 29, v6
	v_and_b32_e32 v7, 7, v7
	v_cmp_eq_u16_e32 vcc, 0, v3
	v_cndmask_b32_e32 v4, v4, v7, vcc
	v_cndmask_b32_e32 v3, v3, v6, vcc
	v_lshlrev_b32_e32 v6, 24, v5
	v_mov_b32_e32 v7, 0x3b800000
	v_lshlrev_b32_e32 v4, 20, v4
	v_and_b32_e32 v6, 0x80000000, v6
	v_lshl_add_u32 v3, v3, 23, v7
	v_or3_b32 v3, v6, v3, v4
.LBB2_1640:
	s_or_b64 exec, exec, s[6:7]
	s_nop 0
	v_mfma_f32_16x16x4f32 a[0:3], v2, v3, a[0:3]
	v_lshrrev_b32_e32 v3, 8, v9
	s_movk_i32 s4, 0x7f
	v_cmp_gt_i16_sdwa s[6:7], v3, s4 src0_sel:BYTE_0 src1_sel:DWORD
	s_mov_b64 s[4:5], 0
                                        ; implicit-def: $sgpr10
	s_and_saveexec_b64 s[8:9], s[6:7]
	s_xor_b64 s[6:7], exec, s[8:9]
	s_cbranch_execnz .LBB2_3689
; %bb.1641:
	s_or_saveexec_b64 s[6:7], s[6:7]
	v_mov_b32_e32 v2, s10
	s_xor_b64 exec, exec, s[6:7]
	s_cbranch_execnz .LBB2_3692
.LBB2_1642:
	s_or_b64 exec, exec, s[6:7]
	s_and_saveexec_b64 s[6:7], s[4:5]
	s_cbranch_execz .LBB2_1644
.LBB2_1643:
	v_bfe_u32 v2, v9, 8, 3
	v_ffbh_u32_e32 v6, v2
	v_min_u32_e32 v6, 32, v6
	v_lshrrev_b16_e32 v4, 3, v3
	v_subrev_u32_e32 v7, 28, v6
	v_and_b32_e32 v4, 15, v4
	v_lshlrev_b32_e32 v3, v7, v3
	v_sub_u32_e32 v6, 29, v6
	v_and_b32_e32 v3, 7, v3
	v_cmp_eq_u16_e32 vcc, 0, v4
	v_cndmask_b32_e32 v2, v2, v3, vcc
	v_cndmask_b32_e32 v3, v4, v6, vcc
	v_lshlrev_b32_e32 v4, 16, v9
	v_mov_b32_e32 v6, 0x3b800000
	v_lshlrev_b32_e32 v2, 20, v2
	v_and_b32_e32 v4, 0x80000000, v4
	v_lshl_add_u32 v3, v3, 23, v6
	v_or3_b32 v2, v4, v3, v2
.LBB2_1644:
	s_or_b64 exec, exec, s[6:7]
	v_lshrrev_b32_e32 v3, 8, v5
	s_movk_i32 s4, 0x7f
	v_cmp_gt_i16_sdwa s[6:7], v3, s4 src0_sel:BYTE_0 src1_sel:DWORD
	s_mov_b64 s[4:5], 0
                                        ; implicit-def: $sgpr10
	s_and_saveexec_b64 s[8:9], s[6:7]
	s_xor_b64 s[6:7], exec, s[8:9]
	s_cbranch_execnz .LBB2_3693
; %bb.1645:
	s_or_saveexec_b64 s[6:7], s[6:7]
	v_mov_b32_e32 v4, s10
	s_xor_b64 exec, exec, s[6:7]
	s_cbranch_execnz .LBB2_3696
.LBB2_1646:
	s_or_b64 exec, exec, s[6:7]
	s_and_saveexec_b64 s[6:7], s[4:5]
	s_cbranch_execz .LBB2_1648
.LBB2_1647:
	v_bfe_u32 v4, v5, 8, 3
	v_ffbh_u32_e32 v7, v4
	v_min_u32_e32 v7, 32, v7
	v_lshrrev_b16_e32 v6, 3, v3
	v_subrev_u32_e32 v8, 28, v7
	v_and_b32_e32 v6, 15, v6
	v_lshlrev_b32_e32 v3, v8, v3
	v_sub_u32_e32 v7, 29, v7
	v_and_b32_e32 v3, 7, v3
	v_cmp_eq_u16_e32 vcc, 0, v6
	v_cndmask_b32_e32 v3, v4, v3, vcc
	v_cndmask_b32_e32 v4, v6, v7, vcc
	v_lshlrev_b32_e32 v6, 16, v5
	v_mov_b32_e32 v7, 0x3b800000
	v_lshlrev_b32_e32 v3, 20, v3
	v_and_b32_e32 v6, 0x80000000, v6
	v_lshl_add_u32 v4, v4, 23, v7
	v_or3_b32 v4, v6, v4, v3
.LBB2_1648:
	s_or_b64 exec, exec, s[6:7]
	s_nop 0
	v_mfma_f32_16x16x4f32 a[0:3], v2, v4, a[0:3]
	s_movk_i32 s4, 0xff
	v_and_b32_sdwa v3, v9, s4 dst_sel:DWORD dst_unused:UNUSED_PAD src0_sel:WORD_1 src1_sel:DWORD
	s_movk_i32 s4, 0x7f
	v_cmp_lt_i16_e32 vcc, s4, v3
	s_mov_b64 s[4:5], 0
                                        ; implicit-def: $sgpr10
	s_and_saveexec_b64 s[6:7], vcc
	s_xor_b64 s[6:7], exec, s[6:7]
	s_cbranch_execnz .LBB2_3697
; %bb.1649:
	s_or_saveexec_b64 s[6:7], s[6:7]
	v_mov_b32_e32 v2, s10
	s_xor_b64 exec, exec, s[6:7]
	s_cbranch_execnz .LBB2_3700
.LBB2_1650:
	s_or_b64 exec, exec, s[6:7]
	s_and_saveexec_b64 s[6:7], s[4:5]
	s_cbranch_execz .LBB2_1652
.LBB2_1651:
	v_bfe_u32 v2, v9, 16, 3
	v_ffbh_u32_e32 v6, v2
	v_min_u32_e32 v6, 32, v6
	v_lshrrev_b32_e32 v3, 19, v9
	v_subrev_u32_e32 v7, 28, v6
	v_and_b32_e32 v3, 15, v3
	v_lshlrev_b32_sdwa v7, v7, v9 dst_sel:DWORD dst_unused:UNUSED_PAD src0_sel:DWORD src1_sel:WORD_1
	v_bfe_u32 v4, v9, 19, 4
	v_sub_u32_e32 v6, 29, v6
	v_and_b32_e32 v7, 7, v7
	v_cmp_eq_u16_e32 vcc, 0, v3
	v_cndmask_b32_e32 v2, v2, v7, vcc
	v_cndmask_b32_e32 v3, v4, v6, vcc
	v_lshlrev_b32_e32 v4, 8, v9
	v_mov_b32_e32 v6, 0x3b800000
	v_lshlrev_b32_e32 v2, 20, v2
	v_and_b32_e32 v4, 0x80000000, v4
	v_lshl_add_u32 v3, v3, 23, v6
	v_or3_b32 v2, v4, v3, v2
.LBB2_1652:
	s_or_b64 exec, exec, s[6:7]
	s_movk_i32 s4, 0xff
	v_and_b32_sdwa v3, v5, s4 dst_sel:DWORD dst_unused:UNUSED_PAD src0_sel:WORD_1 src1_sel:DWORD
	s_movk_i32 s4, 0x7f
	v_cmp_lt_i16_e32 vcc, s4, v3
	s_mov_b64 s[4:5], 0
                                        ; implicit-def: $sgpr10
	s_and_saveexec_b64 s[6:7], vcc
	s_xor_b64 s[6:7], exec, s[6:7]
	s_cbranch_execnz .LBB2_3701
; %bb.1653:
	s_or_saveexec_b64 s[6:7], s[6:7]
	v_mov_b32_e32 v4, s10
	s_xor_b64 exec, exec, s[6:7]
	s_cbranch_execnz .LBB2_3704
.LBB2_1654:
	s_or_b64 exec, exec, s[6:7]
	s_and_saveexec_b64 s[6:7], s[4:5]
	s_cbranch_execz .LBB2_1656
.LBB2_1655:
	v_bfe_u32 v3, v5, 16, 3
	v_ffbh_u32_e32 v7, v3
	v_min_u32_e32 v7, 32, v7
	v_lshrrev_b32_e32 v4, 19, v5
	v_subrev_u32_e32 v8, 28, v7
	v_and_b32_e32 v4, 15, v4
	v_lshlrev_b32_sdwa v8, v8, v5 dst_sel:DWORD dst_unused:UNUSED_PAD src0_sel:DWORD src1_sel:WORD_1
	v_bfe_u32 v6, v5, 19, 4
	v_sub_u32_e32 v7, 29, v7
	v_and_b32_e32 v8, 7, v8
	v_cmp_eq_u16_e32 vcc, 0, v4
	v_cndmask_b32_e32 v3, v3, v8, vcc
	v_cndmask_b32_e32 v4, v6, v7, vcc
	v_lshlrev_b32_e32 v6, 8, v5
	v_mov_b32_e32 v7, 0x3b800000
	v_lshlrev_b32_e32 v3, 20, v3
	v_and_b32_e32 v6, 0x80000000, v6
	v_lshl_add_u32 v4, v4, 23, v7
	v_or3_b32 v4, v6, v4, v3
.LBB2_1656:
	s_or_b64 exec, exec, s[6:7]
	s_nop 0
	v_mfma_f32_16x16x4f32 a[0:3], v2, v4, a[0:3]
	s_movk_i32 s4, 0x7f
	v_cmp_gt_i16_sdwa s[6:7], v9, s4 src0_sel:BYTE_3 src1_sel:DWORD
	s_mov_b64 s[4:5], 0
                                        ; implicit-def: $sgpr10
	s_and_saveexec_b64 s[8:9], s[6:7]
	s_xor_b64 s[6:7], exec, s[8:9]
	s_cbranch_execnz .LBB2_3705
; %bb.1657:
	s_or_saveexec_b64 s[6:7], s[6:7]
	v_mov_b32_e32 v2, s10
	s_xor_b64 exec, exec, s[6:7]
	s_cbranch_execnz .LBB2_3708
.LBB2_1658:
	s_or_b64 exec, exec, s[6:7]
	s_and_saveexec_b64 s[6:7], s[4:5]
	s_cbranch_execz .LBB2_1660
.LBB2_1659:
	v_bfe_u32 v2, v9, 24, 3
	v_ffbh_u32_e32 v7, v2
	v_min_u32_e32 v7, 32, v7
	v_lshrrev_b32_e32 v4, 27, v9
	v_subrev_u32_e32 v8, 28, v7
	v_and_b32_e32 v4, 15, v4
	v_lshlrev_b32_sdwa v8, v8, v9 dst_sel:DWORD dst_unused:UNUSED_PAD src0_sel:DWORD src1_sel:BYTE_3
	v_bfe_u32 v6, v9, 27, 4
	v_sub_u32_e32 v7, 29, v7
	v_and_b32_e32 v8, 7, v8
	v_cmp_eq_u16_e32 vcc, 0, v4
	v_cndmask_b32_e32 v2, v2, v8, vcc
	v_cndmask_b32_e32 v4, v6, v7, vcc
	v_mov_b32_e32 v6, 0x3b800000
	v_and_b32_e32 v3, 0x80000000, v9
	v_lshlrev_b32_e32 v2, 20, v2
	v_lshl_add_u32 v4, v4, 23, v6
	v_or3_b32 v2, v3, v4, v2
.LBB2_1660:
	s_or_b64 exec, exec, s[6:7]
	s_movk_i32 s4, 0x7f
	v_cmp_gt_i16_sdwa s[6:7], v5, s4 src0_sel:BYTE_3 src1_sel:DWORD
	s_mov_b64 s[4:5], 0
                                        ; implicit-def: $sgpr10
	s_and_saveexec_b64 s[8:9], s[6:7]
	s_xor_b64 s[6:7], exec, s[8:9]
	s_cbranch_execnz .LBB2_3709
; %bb.1661:
	s_or_saveexec_b64 s[6:7], s[6:7]
	v_mov_b32_e32 v3, s10
	s_xor_b64 exec, exec, s[6:7]
	s_cbranch_execnz .LBB2_3712
.LBB2_1662:
	s_or_b64 exec, exec, s[6:7]
	s_and_saveexec_b64 s[6:7], s[4:5]
	s_cbranch_execz .LBB2_1664
.LBB2_1663:
	v_bfe_u32 v3, v5, 24, 3
	v_ffbh_u32_e32 v8, v3
	v_min_u32_e32 v8, 32, v8
	v_lshrrev_b32_e32 v6, 27, v5
	v_subrev_u32_e32 v9, 28, v8
	v_and_b32_e32 v4, 0x80000000, v5
	v_and_b32_e32 v6, 15, v6
	v_bfe_u32 v7, v5, 27, 4
	v_lshlrev_b32_sdwa v5, v9, v5 dst_sel:DWORD dst_unused:UNUSED_PAD src0_sel:DWORD src1_sel:BYTE_3
	v_sub_u32_e32 v8, 29, v8
	v_and_b32_e32 v5, 7, v5
	v_cmp_eq_u16_e32 vcc, 0, v6
	v_cndmask_b32_e32 v3, v3, v5, vcc
	v_cndmask_b32_e32 v5, v7, v8, vcc
	v_mov_b32_e32 v6, 0x3b800000
	v_lshlrev_b32_e32 v3, 20, v3
	v_lshl_add_u32 v5, v5, 23, v6
	v_or3_b32 v3, v4, v5, v3
.LBB2_1664:
	s_or_b64 exec, exec, s[6:7]
	s_nop 0
	v_mfma_f32_16x16x4f32 a[0:3], v2, v3, a[0:3]
	s_movk_i32 s4, 0x7f
                                        ; implicit-def: $sgpr10
	s_nop 7
	s_nop 1
	flat_store_dwordx4 v[10:11], a[0:3] offset:192
	flat_load_dwordx4 v[12:15], v[0:1] offset:8
	s_nop 0
	flat_load_dwordx2 v[10:11], v[0:1] offset:32
	s_waitcnt vmcnt(0) lgkmcnt(0)
	flat_load_dwordx4 v[6:9], v[12:13] offset:112
	flat_load_dwordx4 v[2:5], v[14:15] offset:48
	s_waitcnt vmcnt(0) lgkmcnt(0)
	v_cmp_gt_i16_sdwa s[6:7], v6, s4 src0_sel:BYTE_0 src1_sel:DWORD
	s_mov_b64 s[4:5], 0
	s_and_saveexec_b64 s[8:9], s[6:7]
	s_xor_b64 s[6:7], exec, s[8:9]
	s_cbranch_execnz .LBB2_3713
; %bb.1665:
	s_or_saveexec_b64 s[6:7], s[6:7]
	v_mov_b32_e32 v12, s10
	s_xor_b64 exec, exec, s[6:7]
	s_cbranch_execnz .LBB2_3716
.LBB2_1666:
	s_or_b64 exec, exec, s[6:7]
	s_and_saveexec_b64 s[6:7], s[4:5]
	s_cbranch_execz .LBB2_1668
.LBB2_1667:
	v_and_b32_e32 v12, 7, v6
	v_ffbh_u32_e32 v14, v12
	v_min_u32_e32 v14, 32, v14
	v_lshrrev_b16_e32 v13, 3, v6
	v_subrev_u32_e32 v15, 28, v14
	v_and_b32_e32 v13, 15, v13
	v_lshlrev_b32_e32 v15, v15, v6
	v_sub_u32_e32 v14, 29, v14
	v_and_b32_e32 v15, 7, v15
	v_cmp_eq_u16_e32 vcc, 0, v13
	v_cndmask_b32_e32 v12, v12, v15, vcc
	v_cndmask_b32_e32 v13, v13, v14, vcc
	v_lshlrev_b32_e32 v14, 24, v6
	v_mov_b32_e32 v15, 0x3b800000
	v_lshlrev_b32_e32 v12, 20, v12
	v_and_b32_e32 v14, 0x80000000, v14
	v_lshl_add_u32 v13, v13, 23, v15
	v_or3_b32 v12, v14, v13, v12
.LBB2_1668:
	s_or_b64 exec, exec, s[6:7]
	s_movk_i32 s4, 0x7f
	v_cmp_gt_i16_sdwa s[6:7], v2, s4 src0_sel:BYTE_0 src1_sel:DWORD
	s_mov_b64 s[4:5], 0
                                        ; implicit-def: $sgpr10
	s_and_saveexec_b64 s[8:9], s[6:7]
	s_xor_b64 s[6:7], exec, s[8:9]
	s_cbranch_execnz .LBB2_3717
; %bb.1669:
	s_or_saveexec_b64 s[6:7], s[6:7]
	v_mov_b32_e32 v13, s10
	s_xor_b64 exec, exec, s[6:7]
	s_cbranch_execnz .LBB2_3720
.LBB2_1670:
	s_or_b64 exec, exec, s[6:7]
	s_and_saveexec_b64 s[6:7], s[4:5]
	s_cbranch_execz .LBB2_1672
.LBB2_1671:
	v_and_b32_e32 v13, 7, v2
	v_ffbh_u32_e32 v15, v13
	v_min_u32_e32 v15, 32, v15
	v_lshrrev_b16_e32 v14, 3, v2
	v_subrev_u32_e32 v16, 28, v15
	v_and_b32_e32 v14, 15, v14
	v_lshlrev_b32_e32 v16, v16, v2
	v_sub_u32_e32 v15, 29, v15
	v_and_b32_e32 v16, 7, v16
	v_cmp_eq_u16_e32 vcc, 0, v14
	v_cndmask_b32_e32 v13, v13, v16, vcc
	v_cndmask_b32_e32 v14, v14, v15, vcc
	v_lshlrev_b32_e32 v15, 24, v2
	v_mov_b32_e32 v16, 0x3b800000
	v_lshlrev_b32_e32 v13, 20, v13
	v_and_b32_e32 v15, 0x80000000, v15
	v_lshl_add_u32 v14, v14, 23, v16
	v_or3_b32 v13, v15, v14, v13
.LBB2_1672:
	s_or_b64 exec, exec, s[6:7]
	flat_load_dwordx4 a[0:3], v[10:11] offset:208
	s_movk_i32 s4, 0x7f
                                        ; implicit-def: $sgpr10
	s_waitcnt vmcnt(0) lgkmcnt(0)
	v_mfma_f32_16x16x4f32 a[0:3], v12, v13, a[0:3]
	v_lshrrev_b32_e32 v13, 8, v6
	v_cmp_gt_i16_sdwa s[6:7], v13, s4 src0_sel:BYTE_0 src1_sel:DWORD
	s_mov_b64 s[4:5], 0
	s_and_saveexec_b64 s[8:9], s[6:7]
	s_xor_b64 s[6:7], exec, s[8:9]
	s_cbranch_execnz .LBB2_3721
; %bb.1673:
	s_or_saveexec_b64 s[6:7], s[6:7]
	v_mov_b32_e32 v12, s10
	s_xor_b64 exec, exec, s[6:7]
	s_cbranch_execnz .LBB2_3724
.LBB2_1674:
	s_or_b64 exec, exec, s[6:7]
	s_and_saveexec_b64 s[6:7], s[4:5]
	s_cbranch_execz .LBB2_1676
.LBB2_1675:
	v_bfe_u32 v12, v6, 8, 3
	v_ffbh_u32_e32 v15, v12
	v_min_u32_e32 v15, 32, v15
	v_lshrrev_b16_e32 v14, 3, v13
	v_subrev_u32_e32 v16, 28, v15
	v_and_b32_e32 v14, 15, v14
	v_lshlrev_b32_e32 v13, v16, v13
	v_sub_u32_e32 v15, 29, v15
	v_and_b32_e32 v13, 7, v13
	v_cmp_eq_u16_e32 vcc, 0, v14
	v_cndmask_b32_e32 v12, v12, v13, vcc
	v_cndmask_b32_e32 v13, v14, v15, vcc
	v_lshlrev_b32_e32 v14, 16, v6
	v_mov_b32_e32 v15, 0x3b800000
	v_lshlrev_b32_e32 v12, 20, v12
	v_and_b32_e32 v14, 0x80000000, v14
	v_lshl_add_u32 v13, v13, 23, v15
	v_or3_b32 v12, v14, v13, v12
.LBB2_1676:
	s_or_b64 exec, exec, s[6:7]
	v_lshrrev_b32_e32 v13, 8, v2
	s_movk_i32 s4, 0x7f
	v_cmp_gt_i16_sdwa s[6:7], v13, s4 src0_sel:BYTE_0 src1_sel:DWORD
	s_mov_b64 s[4:5], 0
                                        ; implicit-def: $sgpr10
	s_and_saveexec_b64 s[8:9], s[6:7]
	s_xor_b64 s[6:7], exec, s[8:9]
	s_cbranch_execnz .LBB2_3725
; %bb.1677:
	s_or_saveexec_b64 s[6:7], s[6:7]
	v_mov_b32_e32 v14, s10
	s_xor_b64 exec, exec, s[6:7]
	s_cbranch_execnz .LBB2_3728
.LBB2_1678:
	s_or_b64 exec, exec, s[6:7]
	s_and_saveexec_b64 s[6:7], s[4:5]
	s_cbranch_execz .LBB2_1680
.LBB2_1679:
	v_bfe_u32 v14, v2, 8, 3
	v_ffbh_u32_e32 v16, v14
	v_min_u32_e32 v16, 32, v16
	v_lshrrev_b16_e32 v15, 3, v13
	v_subrev_u32_e32 v17, 28, v16
	v_and_b32_e32 v15, 15, v15
	v_lshlrev_b32_e32 v13, v17, v13
	v_sub_u32_e32 v16, 29, v16
	v_and_b32_e32 v13, 7, v13
	v_cmp_eq_u16_e32 vcc, 0, v15
	v_cndmask_b32_e32 v13, v14, v13, vcc
	v_cndmask_b32_e32 v14, v15, v16, vcc
	v_lshlrev_b32_e32 v15, 16, v2
	v_mov_b32_e32 v16, 0x3b800000
	v_lshlrev_b32_e32 v13, 20, v13
	v_and_b32_e32 v15, 0x80000000, v15
	v_lshl_add_u32 v14, v14, 23, v16
	v_or3_b32 v14, v15, v14, v13
.LBB2_1680:
	s_or_b64 exec, exec, s[6:7]
	s_nop 0
	v_mfma_f32_16x16x4f32 a[0:3], v12, v14, a[0:3]
	s_movk_i32 s4, 0xff
	v_and_b32_sdwa v13, v6, s4 dst_sel:DWORD dst_unused:UNUSED_PAD src0_sel:WORD_1 src1_sel:DWORD
	s_movk_i32 s4, 0x7f
	v_cmp_lt_i16_e32 vcc, s4, v13
	s_mov_b64 s[4:5], 0
                                        ; implicit-def: $sgpr10
	s_and_saveexec_b64 s[6:7], vcc
	s_xor_b64 s[6:7], exec, s[6:7]
	s_cbranch_execnz .LBB2_3729
; %bb.1681:
	s_or_saveexec_b64 s[6:7], s[6:7]
	v_mov_b32_e32 v12, s10
	s_xor_b64 exec, exec, s[6:7]
	s_cbranch_execnz .LBB2_3732
.LBB2_1682:
	s_or_b64 exec, exec, s[6:7]
	s_and_saveexec_b64 s[6:7], s[4:5]
	s_cbranch_execz .LBB2_1684
.LBB2_1683:
	v_bfe_u32 v12, v6, 16, 3
	v_ffbh_u32_e32 v15, v12
	v_min_u32_e32 v15, 32, v15
	v_lshrrev_b32_e32 v13, 19, v6
	v_subrev_u32_e32 v16, 28, v15
	v_and_b32_e32 v13, 15, v13
	v_lshlrev_b32_sdwa v16, v16, v6 dst_sel:DWORD dst_unused:UNUSED_PAD src0_sel:DWORD src1_sel:WORD_1
	v_bfe_u32 v14, v6, 19, 4
	v_sub_u32_e32 v15, 29, v15
	v_and_b32_e32 v16, 7, v16
	v_cmp_eq_u16_e32 vcc, 0, v13
	v_cndmask_b32_e32 v12, v12, v16, vcc
	v_cndmask_b32_e32 v13, v14, v15, vcc
	v_lshlrev_b32_e32 v14, 8, v6
	v_mov_b32_e32 v15, 0x3b800000
	v_lshlrev_b32_e32 v12, 20, v12
	v_and_b32_e32 v14, 0x80000000, v14
	v_lshl_add_u32 v13, v13, 23, v15
	v_or3_b32 v12, v14, v13, v12
.LBB2_1684:
	s_or_b64 exec, exec, s[6:7]
	s_movk_i32 s4, 0xff
	v_and_b32_sdwa v13, v2, s4 dst_sel:DWORD dst_unused:UNUSED_PAD src0_sel:WORD_1 src1_sel:DWORD
	s_movk_i32 s4, 0x7f
	v_cmp_lt_i16_e32 vcc, s4, v13
	s_mov_b64 s[4:5], 0
                                        ; implicit-def: $sgpr10
	s_and_saveexec_b64 s[6:7], vcc
	s_xor_b64 s[6:7], exec, s[6:7]
	s_cbranch_execnz .LBB2_3733
; %bb.1685:
	s_or_saveexec_b64 s[6:7], s[6:7]
	v_mov_b32_e32 v14, s10
	s_xor_b64 exec, exec, s[6:7]
	s_cbranch_execnz .LBB2_3736
.LBB2_1686:
	s_or_b64 exec, exec, s[6:7]
	s_and_saveexec_b64 s[6:7], s[4:5]
	s_cbranch_execz .LBB2_1688
.LBB2_1687:
	v_bfe_u32 v13, v2, 16, 3
	v_ffbh_u32_e32 v16, v13
	v_min_u32_e32 v16, 32, v16
	v_lshrrev_b32_e32 v14, 19, v2
	v_subrev_u32_e32 v17, 28, v16
	v_and_b32_e32 v14, 15, v14
	v_lshlrev_b32_sdwa v17, v17, v2 dst_sel:DWORD dst_unused:UNUSED_PAD src0_sel:DWORD src1_sel:WORD_1
	v_bfe_u32 v15, v2, 19, 4
	v_sub_u32_e32 v16, 29, v16
	v_and_b32_e32 v17, 7, v17
	v_cmp_eq_u16_e32 vcc, 0, v14
	v_cndmask_b32_e32 v13, v13, v17, vcc
	v_cndmask_b32_e32 v14, v15, v16, vcc
	v_lshlrev_b32_e32 v15, 8, v2
	v_mov_b32_e32 v16, 0x3b800000
	v_lshlrev_b32_e32 v13, 20, v13
	v_and_b32_e32 v15, 0x80000000, v15
	v_lshl_add_u32 v14, v14, 23, v16
	v_or3_b32 v14, v15, v14, v13
.LBB2_1688:
	s_or_b64 exec, exec, s[6:7]
	s_nop 0
	v_mfma_f32_16x16x4f32 a[0:3], v12, v14, a[0:3]
	s_movk_i32 s4, 0x7f
	v_cmp_gt_i16_sdwa s[6:7], v6, s4 src0_sel:BYTE_3 src1_sel:DWORD
	s_mov_b64 s[4:5], 0
                                        ; implicit-def: $sgpr10
	s_and_saveexec_b64 s[8:9], s[6:7]
	s_xor_b64 s[6:7], exec, s[8:9]
	s_cbranch_execnz .LBB2_3737
; %bb.1689:
	s_or_saveexec_b64 s[6:7], s[6:7]
	v_mov_b32_e32 v12, s10
	s_xor_b64 exec, exec, s[6:7]
	s_cbranch_execnz .LBB2_3740
.LBB2_1690:
	s_or_b64 exec, exec, s[6:7]
	s_and_saveexec_b64 s[6:7], s[4:5]
	s_cbranch_execz .LBB2_1692
.LBB2_1691:
	v_bfe_u32 v12, v6, 24, 3
	v_ffbh_u32_e32 v16, v12
	v_min_u32_e32 v16, 32, v16
	v_lshrrev_b32_e32 v14, 27, v6
	v_subrev_u32_e32 v17, 28, v16
	v_and_b32_e32 v13, 0x80000000, v6
	v_and_b32_e32 v14, 15, v14
	v_bfe_u32 v15, v6, 27, 4
	v_lshlrev_b32_sdwa v6, v17, v6 dst_sel:DWORD dst_unused:UNUSED_PAD src0_sel:DWORD src1_sel:BYTE_3
	v_sub_u32_e32 v16, 29, v16
	v_and_b32_e32 v6, 7, v6
	v_cmp_eq_u16_e32 vcc, 0, v14
	v_cndmask_b32_e32 v6, v12, v6, vcc
	v_cndmask_b32_e32 v12, v15, v16, vcc
	v_mov_b32_e32 v14, 0x3b800000
	v_lshlrev_b32_e32 v6, 20, v6
	v_lshl_add_u32 v12, v12, 23, v14
	v_or3_b32 v12, v13, v12, v6
.LBB2_1692:
	s_or_b64 exec, exec, s[6:7]
	s_movk_i32 s4, 0x7f
	v_cmp_gt_i16_sdwa s[6:7], v2, s4 src0_sel:BYTE_3 src1_sel:DWORD
	s_mov_b64 s[4:5], 0
                                        ; implicit-def: $sgpr10
	s_and_saveexec_b64 s[8:9], s[6:7]
	s_xor_b64 s[6:7], exec, s[8:9]
	s_cbranch_execnz .LBB2_3741
; %bb.1693:
	s_or_saveexec_b64 s[6:7], s[6:7]
	v_mov_b32_e32 v6, s10
	s_xor_b64 exec, exec, s[6:7]
	s_cbranch_execnz .LBB2_3744
.LBB2_1694:
	s_or_b64 exec, exec, s[6:7]
	s_and_saveexec_b64 s[6:7], s[4:5]
	s_cbranch_execz .LBB2_1696
.LBB2_1695:
	v_bfe_u32 v6, v2, 24, 3
	v_ffbh_u32_e32 v16, v6
	v_min_u32_e32 v16, 32, v16
	v_lshrrev_b32_e32 v14, 27, v2
	v_subrev_u32_e32 v17, 28, v16
	v_and_b32_e32 v13, 0x80000000, v2
	v_and_b32_e32 v14, 15, v14
	v_bfe_u32 v15, v2, 27, 4
	v_lshlrev_b32_sdwa v2, v17, v2 dst_sel:DWORD dst_unused:UNUSED_PAD src0_sel:DWORD src1_sel:BYTE_3
	v_sub_u32_e32 v16, 29, v16
	v_and_b32_e32 v2, 7, v2
	v_cmp_eq_u16_e32 vcc, 0, v14
	v_cndmask_b32_e32 v2, v6, v2, vcc
	v_cndmask_b32_e32 v6, v15, v16, vcc
	v_mov_b32_e32 v14, 0x3b800000
	v_lshlrev_b32_e32 v2, 20, v2
	v_lshl_add_u32 v6, v6, 23, v14
	v_or3_b32 v6, v13, v6, v2
.LBB2_1696:
	s_or_b64 exec, exec, s[6:7]
	s_nop 0
	v_mfma_f32_16x16x4f32 a[0:3], v12, v6, a[0:3]
	s_movk_i32 s4, 0x7f
	v_cmp_gt_i16_sdwa s[6:7], v7, s4 src0_sel:BYTE_0 src1_sel:DWORD
	s_mov_b64 s[4:5], 0
                                        ; implicit-def: $sgpr10
	s_and_saveexec_b64 s[8:9], s[6:7]
	s_xor_b64 s[6:7], exec, s[8:9]
	s_cbranch_execnz .LBB2_3745
; %bb.1697:
	s_or_saveexec_b64 s[6:7], s[6:7]
	v_mov_b32_e32 v2, s10
	s_xor_b64 exec, exec, s[6:7]
	s_cbranch_execnz .LBB2_3748
.LBB2_1698:
	s_or_b64 exec, exec, s[6:7]
	s_and_saveexec_b64 s[6:7], s[4:5]
	s_cbranch_execz .LBB2_1700
.LBB2_1699:
	v_and_b32_e32 v2, 7, v7
	v_ffbh_u32_e32 v12, v2
	v_min_u32_e32 v12, 32, v12
	v_lshrrev_b16_e32 v6, 3, v7
	v_subrev_u32_e32 v13, 28, v12
	v_and_b32_e32 v6, 15, v6
	v_lshlrev_b32_e32 v13, v13, v7
	v_sub_u32_e32 v12, 29, v12
	v_and_b32_e32 v13, 7, v13
	v_cmp_eq_u16_e32 vcc, 0, v6
	v_cndmask_b32_e32 v2, v2, v13, vcc
	v_cndmask_b32_e32 v6, v6, v12, vcc
	v_lshlrev_b32_e32 v12, 24, v7
	v_mov_b32_e32 v13, 0x3b800000
	v_lshlrev_b32_e32 v2, 20, v2
	v_and_b32_e32 v12, 0x80000000, v12
	v_lshl_add_u32 v6, v6, 23, v13
	v_or3_b32 v2, v12, v6, v2
.LBB2_1700:
	s_or_b64 exec, exec, s[6:7]
	s_movk_i32 s4, 0x7f
	v_cmp_gt_i16_sdwa s[6:7], v3, s4 src0_sel:BYTE_0 src1_sel:DWORD
	s_mov_b64 s[4:5], 0
                                        ; implicit-def: $sgpr10
	s_and_saveexec_b64 s[8:9], s[6:7]
	s_xor_b64 s[6:7], exec, s[8:9]
	s_cbranch_execnz .LBB2_3749
; %bb.1701:
	s_or_saveexec_b64 s[6:7], s[6:7]
	v_mov_b32_e32 v6, s10
	s_xor_b64 exec, exec, s[6:7]
	s_cbranch_execnz .LBB2_3752
.LBB2_1702:
	s_or_b64 exec, exec, s[6:7]
	s_and_saveexec_b64 s[6:7], s[4:5]
	s_cbranch_execz .LBB2_1704
.LBB2_1703:
	v_and_b32_e32 v6, 7, v3
	v_ffbh_u32_e32 v13, v6
	v_min_u32_e32 v13, 32, v13
	v_lshrrev_b16_e32 v12, 3, v3
	v_subrev_u32_e32 v14, 28, v13
	v_and_b32_e32 v12, 15, v12
	v_lshlrev_b32_e32 v14, v14, v3
	v_sub_u32_e32 v13, 29, v13
	v_and_b32_e32 v14, 7, v14
	v_cmp_eq_u16_e32 vcc, 0, v12
	v_cndmask_b32_e32 v6, v6, v14, vcc
	v_cndmask_b32_e32 v12, v12, v13, vcc
	v_lshlrev_b32_e32 v13, 24, v3
	v_mov_b32_e32 v14, 0x3b800000
	v_lshlrev_b32_e32 v6, 20, v6
	v_and_b32_e32 v13, 0x80000000, v13
	v_lshl_add_u32 v12, v12, 23, v14
	v_or3_b32 v6, v13, v12, v6
.LBB2_1704:
	s_or_b64 exec, exec, s[6:7]
	s_nop 0
	v_mfma_f32_16x16x4f32 a[0:3], v2, v6, a[0:3]
	v_lshrrev_b32_e32 v6, 8, v7
	s_movk_i32 s4, 0x7f
	v_cmp_gt_i16_sdwa s[6:7], v6, s4 src0_sel:BYTE_0 src1_sel:DWORD
	s_mov_b64 s[4:5], 0
                                        ; implicit-def: $sgpr10
	s_and_saveexec_b64 s[8:9], s[6:7]
	s_xor_b64 s[6:7], exec, s[8:9]
	s_cbranch_execnz .LBB2_3753
; %bb.1705:
	s_or_saveexec_b64 s[6:7], s[6:7]
	v_mov_b32_e32 v2, s10
	s_xor_b64 exec, exec, s[6:7]
	s_cbranch_execnz .LBB2_3756
.LBB2_1706:
	s_or_b64 exec, exec, s[6:7]
	s_and_saveexec_b64 s[6:7], s[4:5]
	s_cbranch_execz .LBB2_1708
.LBB2_1707:
	v_bfe_u32 v2, v7, 8, 3
	v_ffbh_u32_e32 v13, v2
	v_min_u32_e32 v13, 32, v13
	v_lshrrev_b16_e32 v12, 3, v6
	v_subrev_u32_e32 v14, 28, v13
	v_and_b32_e32 v12, 15, v12
	v_lshlrev_b32_e32 v6, v14, v6
	v_sub_u32_e32 v13, 29, v13
	v_and_b32_e32 v6, 7, v6
	v_cmp_eq_u16_e32 vcc, 0, v12
	v_cndmask_b32_e32 v2, v2, v6, vcc
	v_cndmask_b32_e32 v6, v12, v13, vcc
	v_lshlrev_b32_e32 v12, 16, v7
	v_mov_b32_e32 v13, 0x3b800000
	v_lshlrev_b32_e32 v2, 20, v2
	v_and_b32_e32 v12, 0x80000000, v12
	v_lshl_add_u32 v6, v6, 23, v13
	v_or3_b32 v2, v12, v6, v2
.LBB2_1708:
	s_or_b64 exec, exec, s[6:7]
	v_lshrrev_b32_e32 v6, 8, v3
	s_movk_i32 s4, 0x7f
	v_cmp_gt_i16_sdwa s[6:7], v6, s4 src0_sel:BYTE_0 src1_sel:DWORD
	s_mov_b64 s[4:5], 0
                                        ; implicit-def: $sgpr10
	s_and_saveexec_b64 s[8:9], s[6:7]
	s_xor_b64 s[6:7], exec, s[8:9]
	s_cbranch_execnz .LBB2_3757
; %bb.1709:
	s_or_saveexec_b64 s[6:7], s[6:7]
	v_mov_b32_e32 v12, s10
	s_xor_b64 exec, exec, s[6:7]
	s_cbranch_execnz .LBB2_3760
.LBB2_1710:
	s_or_b64 exec, exec, s[6:7]
	s_and_saveexec_b64 s[6:7], s[4:5]
	s_cbranch_execz .LBB2_1712
.LBB2_1711:
	v_bfe_u32 v12, v3, 8, 3
	v_ffbh_u32_e32 v14, v12
	v_min_u32_e32 v14, 32, v14
	v_lshrrev_b16_e32 v13, 3, v6
	v_subrev_u32_e32 v15, 28, v14
	v_and_b32_e32 v13, 15, v13
	v_lshlrev_b32_e32 v6, v15, v6
	v_sub_u32_e32 v14, 29, v14
	v_and_b32_e32 v6, 7, v6
	v_cmp_eq_u16_e32 vcc, 0, v13
	v_cndmask_b32_e32 v6, v12, v6, vcc
	v_cndmask_b32_e32 v12, v13, v14, vcc
	v_lshlrev_b32_e32 v13, 16, v3
	v_mov_b32_e32 v14, 0x3b800000
	v_lshlrev_b32_e32 v6, 20, v6
	v_and_b32_e32 v13, 0x80000000, v13
	v_lshl_add_u32 v12, v12, 23, v14
	v_or3_b32 v12, v13, v12, v6
.LBB2_1712:
	s_or_b64 exec, exec, s[6:7]
	s_nop 0
	v_mfma_f32_16x16x4f32 a[0:3], v2, v12, a[0:3]
	s_movk_i32 s4, 0xff
	v_and_b32_sdwa v6, v7, s4 dst_sel:DWORD dst_unused:UNUSED_PAD src0_sel:WORD_1 src1_sel:DWORD
	s_movk_i32 s4, 0x7f
	v_cmp_lt_i16_e32 vcc, s4, v6
	s_mov_b64 s[4:5], 0
                                        ; implicit-def: $sgpr10
	s_and_saveexec_b64 s[6:7], vcc
	s_xor_b64 s[6:7], exec, s[6:7]
	s_cbranch_execnz .LBB2_3761
; %bb.1713:
	s_or_saveexec_b64 s[6:7], s[6:7]
	v_mov_b32_e32 v2, s10
	s_xor_b64 exec, exec, s[6:7]
	s_cbranch_execnz .LBB2_3764
.LBB2_1714:
	s_or_b64 exec, exec, s[6:7]
	s_and_saveexec_b64 s[6:7], s[4:5]
	s_cbranch_execz .LBB2_1716
.LBB2_1715:
	v_bfe_u32 v2, v7, 16, 3
	v_ffbh_u32_e32 v13, v2
	v_min_u32_e32 v13, 32, v13
	v_lshrrev_b32_e32 v6, 19, v7
	v_subrev_u32_e32 v14, 28, v13
	v_and_b32_e32 v6, 15, v6
	v_lshlrev_b32_sdwa v14, v14, v7 dst_sel:DWORD dst_unused:UNUSED_PAD src0_sel:DWORD src1_sel:WORD_1
	v_bfe_u32 v12, v7, 19, 4
	v_sub_u32_e32 v13, 29, v13
	v_and_b32_e32 v14, 7, v14
	v_cmp_eq_u16_e32 vcc, 0, v6
	v_cndmask_b32_e32 v2, v2, v14, vcc
	v_cndmask_b32_e32 v6, v12, v13, vcc
	v_lshlrev_b32_e32 v12, 8, v7
	v_mov_b32_e32 v13, 0x3b800000
	v_lshlrev_b32_e32 v2, 20, v2
	v_and_b32_e32 v12, 0x80000000, v12
	v_lshl_add_u32 v6, v6, 23, v13
	v_or3_b32 v2, v12, v6, v2
.LBB2_1716:
	s_or_b64 exec, exec, s[6:7]
	s_movk_i32 s4, 0xff
	v_and_b32_sdwa v6, v3, s4 dst_sel:DWORD dst_unused:UNUSED_PAD src0_sel:WORD_1 src1_sel:DWORD
	s_movk_i32 s4, 0x7f
	v_cmp_lt_i16_e32 vcc, s4, v6
	s_mov_b64 s[4:5], 0
                                        ; implicit-def: $sgpr10
	s_and_saveexec_b64 s[6:7], vcc
	s_xor_b64 s[6:7], exec, s[6:7]
	s_cbranch_execnz .LBB2_3765
; %bb.1717:
	s_or_saveexec_b64 s[6:7], s[6:7]
	v_mov_b32_e32 v12, s10
	s_xor_b64 exec, exec, s[6:7]
	s_cbranch_execnz .LBB2_3768
.LBB2_1718:
	s_or_b64 exec, exec, s[6:7]
	s_and_saveexec_b64 s[6:7], s[4:5]
	s_cbranch_execz .LBB2_1720
.LBB2_1719:
	v_bfe_u32 v6, v3, 16, 3
	v_ffbh_u32_e32 v14, v6
	v_min_u32_e32 v14, 32, v14
	v_lshrrev_b32_e32 v12, 19, v3
	v_subrev_u32_e32 v15, 28, v14
	v_and_b32_e32 v12, 15, v12
	v_lshlrev_b32_sdwa v15, v15, v3 dst_sel:DWORD dst_unused:UNUSED_PAD src0_sel:DWORD src1_sel:WORD_1
	v_bfe_u32 v13, v3, 19, 4
	v_sub_u32_e32 v14, 29, v14
	v_and_b32_e32 v15, 7, v15
	v_cmp_eq_u16_e32 vcc, 0, v12
	v_cndmask_b32_e32 v6, v6, v15, vcc
	v_cndmask_b32_e32 v12, v13, v14, vcc
	v_lshlrev_b32_e32 v13, 8, v3
	v_mov_b32_e32 v14, 0x3b800000
	v_lshlrev_b32_e32 v6, 20, v6
	v_and_b32_e32 v13, 0x80000000, v13
	v_lshl_add_u32 v12, v12, 23, v14
	v_or3_b32 v12, v13, v12, v6
.LBB2_1720:
	s_or_b64 exec, exec, s[6:7]
	s_nop 0
	v_mfma_f32_16x16x4f32 a[0:3], v2, v12, a[0:3]
	s_movk_i32 s4, 0x7f
	v_cmp_gt_i16_sdwa s[6:7], v7, s4 src0_sel:BYTE_3 src1_sel:DWORD
	s_mov_b64 s[4:5], 0
                                        ; implicit-def: $sgpr10
	s_and_saveexec_b64 s[8:9], s[6:7]
	s_xor_b64 s[6:7], exec, s[8:9]
	s_cbranch_execnz .LBB2_3769
; %bb.1721:
	s_or_saveexec_b64 s[6:7], s[6:7]
	v_mov_b32_e32 v2, s10
	s_xor_b64 exec, exec, s[6:7]
	s_cbranch_execnz .LBB2_3772
.LBB2_1722:
	s_or_b64 exec, exec, s[6:7]
	s_and_saveexec_b64 s[6:7], s[4:5]
	s_cbranch_execz .LBB2_1724
.LBB2_1723:
	v_bfe_u32 v2, v7, 24, 3
	v_ffbh_u32_e32 v14, v2
	v_min_u32_e32 v14, 32, v14
	v_lshrrev_b32_e32 v12, 27, v7
	v_subrev_u32_e32 v15, 28, v14
	v_and_b32_e32 v6, 0x80000000, v7
	v_and_b32_e32 v12, 15, v12
	v_bfe_u32 v13, v7, 27, 4
	v_lshlrev_b32_sdwa v7, v15, v7 dst_sel:DWORD dst_unused:UNUSED_PAD src0_sel:DWORD src1_sel:BYTE_3
	v_sub_u32_e32 v14, 29, v14
	v_and_b32_e32 v7, 7, v7
	v_cmp_eq_u16_e32 vcc, 0, v12
	v_cndmask_b32_e32 v2, v2, v7, vcc
	v_cndmask_b32_e32 v7, v13, v14, vcc
	v_mov_b32_e32 v12, 0x3b800000
	v_lshlrev_b32_e32 v2, 20, v2
	v_lshl_add_u32 v7, v7, 23, v12
	v_or3_b32 v2, v6, v7, v2
.LBB2_1724:
	s_or_b64 exec, exec, s[6:7]
	s_movk_i32 s4, 0x7f
	v_cmp_gt_i16_sdwa s[6:7], v3, s4 src0_sel:BYTE_3 src1_sel:DWORD
	s_mov_b64 s[4:5], 0
                                        ; implicit-def: $sgpr10
	s_and_saveexec_b64 s[8:9], s[6:7]
	s_xor_b64 s[6:7], exec, s[8:9]
	s_cbranch_execnz .LBB2_3773
; %bb.1725:
	s_or_saveexec_b64 s[6:7], s[6:7]
	v_mov_b32_e32 v6, s10
	s_xor_b64 exec, exec, s[6:7]
	s_cbranch_execnz .LBB2_3776
.LBB2_1726:
	s_or_b64 exec, exec, s[6:7]
	s_and_saveexec_b64 s[6:7], s[4:5]
	s_cbranch_execz .LBB2_1728
.LBB2_1727:
	v_bfe_u32 v6, v3, 24, 3
	v_ffbh_u32_e32 v14, v6
	v_min_u32_e32 v14, 32, v14
	v_lshrrev_b32_e32 v12, 27, v3
	v_subrev_u32_e32 v15, 28, v14
	v_and_b32_e32 v7, 0x80000000, v3
	v_and_b32_e32 v12, 15, v12
	v_bfe_u32 v13, v3, 27, 4
	v_lshlrev_b32_sdwa v3, v15, v3 dst_sel:DWORD dst_unused:UNUSED_PAD src0_sel:DWORD src1_sel:BYTE_3
	v_sub_u32_e32 v14, 29, v14
	v_and_b32_e32 v3, 7, v3
	v_cmp_eq_u16_e32 vcc, 0, v12
	v_cndmask_b32_e32 v3, v6, v3, vcc
	v_cndmask_b32_e32 v6, v13, v14, vcc
	v_mov_b32_e32 v12, 0x3b800000
	v_lshlrev_b32_e32 v3, 20, v3
	v_lshl_add_u32 v6, v6, 23, v12
	v_or3_b32 v6, v7, v6, v3
.LBB2_1728:
	s_or_b64 exec, exec, s[6:7]
	s_nop 0
	v_mfma_f32_16x16x4f32 a[0:3], v2, v6, a[0:3]
	s_movk_i32 s4, 0x7f
	v_cmp_gt_i16_sdwa s[6:7], v8, s4 src0_sel:BYTE_0 src1_sel:DWORD
	s_mov_b64 s[4:5], 0
                                        ; implicit-def: $sgpr10
	s_and_saveexec_b64 s[8:9], s[6:7]
	s_xor_b64 s[6:7], exec, s[8:9]
	s_cbranch_execnz .LBB2_3777
; %bb.1729:
	s_or_saveexec_b64 s[6:7], s[6:7]
	v_mov_b32_e32 v2, s10
	s_xor_b64 exec, exec, s[6:7]
	s_cbranch_execnz .LBB2_3780
.LBB2_1730:
	s_or_b64 exec, exec, s[6:7]
	s_and_saveexec_b64 s[6:7], s[4:5]
	s_cbranch_execz .LBB2_1732
.LBB2_1731:
	v_and_b32_e32 v2, 7, v8
	v_ffbh_u32_e32 v6, v2
	v_min_u32_e32 v6, 32, v6
	v_lshrrev_b16_e32 v3, 3, v8
	v_subrev_u32_e32 v7, 28, v6
	v_and_b32_e32 v3, 15, v3
	v_lshlrev_b32_e32 v7, v7, v8
	v_sub_u32_e32 v6, 29, v6
	v_and_b32_e32 v7, 7, v7
	v_cmp_eq_u16_e32 vcc, 0, v3
	v_cndmask_b32_e32 v2, v2, v7, vcc
	v_cndmask_b32_e32 v3, v3, v6, vcc
	v_lshlrev_b32_e32 v6, 24, v8
	v_mov_b32_e32 v7, 0x3b800000
	v_lshlrev_b32_e32 v2, 20, v2
	v_and_b32_e32 v6, 0x80000000, v6
	v_lshl_add_u32 v3, v3, 23, v7
	v_or3_b32 v2, v6, v3, v2
.LBB2_1732:
	s_or_b64 exec, exec, s[6:7]
	s_movk_i32 s4, 0x7f
	v_cmp_gt_i16_sdwa s[6:7], v4, s4 src0_sel:BYTE_0 src1_sel:DWORD
	s_mov_b64 s[4:5], 0
                                        ; implicit-def: $sgpr10
	s_and_saveexec_b64 s[8:9], s[6:7]
	s_xor_b64 s[6:7], exec, s[8:9]
	s_cbranch_execnz .LBB2_3781
; %bb.1733:
	s_or_saveexec_b64 s[6:7], s[6:7]
	v_mov_b32_e32 v3, s10
	s_xor_b64 exec, exec, s[6:7]
	s_cbranch_execnz .LBB2_3784
.LBB2_1734:
	s_or_b64 exec, exec, s[6:7]
	s_and_saveexec_b64 s[6:7], s[4:5]
	s_cbranch_execz .LBB2_1736
.LBB2_1735:
	v_and_b32_e32 v3, 7, v4
	v_ffbh_u32_e32 v7, v3
	v_min_u32_e32 v7, 32, v7
	v_lshrrev_b16_e32 v6, 3, v4
	v_subrev_u32_e32 v12, 28, v7
	v_and_b32_e32 v6, 15, v6
	v_lshlrev_b32_e32 v12, v12, v4
	v_sub_u32_e32 v7, 29, v7
	v_and_b32_e32 v12, 7, v12
	v_cmp_eq_u16_e32 vcc, 0, v6
	v_cndmask_b32_e32 v3, v3, v12, vcc
	v_cndmask_b32_e32 v6, v6, v7, vcc
	v_lshlrev_b32_e32 v7, 24, v4
	v_mov_b32_e32 v12, 0x3b800000
	v_lshlrev_b32_e32 v3, 20, v3
	v_and_b32_e32 v7, 0x80000000, v7
	v_lshl_add_u32 v6, v6, 23, v12
	v_or3_b32 v3, v7, v6, v3
.LBB2_1736:
	s_or_b64 exec, exec, s[6:7]
	s_nop 0
	v_mfma_f32_16x16x4f32 a[0:3], v2, v3, a[0:3]
	v_lshrrev_b32_e32 v3, 8, v8
	s_movk_i32 s4, 0x7f
	v_cmp_gt_i16_sdwa s[6:7], v3, s4 src0_sel:BYTE_0 src1_sel:DWORD
	s_mov_b64 s[4:5], 0
                                        ; implicit-def: $sgpr10
	s_and_saveexec_b64 s[8:9], s[6:7]
	s_xor_b64 s[6:7], exec, s[8:9]
	s_cbranch_execnz .LBB2_3785
; %bb.1737:
	s_or_saveexec_b64 s[6:7], s[6:7]
	v_mov_b32_e32 v2, s10
	s_xor_b64 exec, exec, s[6:7]
	s_cbranch_execnz .LBB2_3788
.LBB2_1738:
	s_or_b64 exec, exec, s[6:7]
	s_and_saveexec_b64 s[6:7], s[4:5]
	s_cbranch_execz .LBB2_1740
.LBB2_1739:
	v_bfe_u32 v2, v8, 8, 3
	v_ffbh_u32_e32 v7, v2
	v_min_u32_e32 v7, 32, v7
	v_lshrrev_b16_e32 v6, 3, v3
	v_subrev_u32_e32 v12, 28, v7
	v_and_b32_e32 v6, 15, v6
	v_lshlrev_b32_e32 v3, v12, v3
	v_sub_u32_e32 v7, 29, v7
	v_and_b32_e32 v3, 7, v3
	v_cmp_eq_u16_e32 vcc, 0, v6
	v_cndmask_b32_e32 v2, v2, v3, vcc
	v_cndmask_b32_e32 v3, v6, v7, vcc
	v_lshlrev_b32_e32 v6, 16, v8
	v_mov_b32_e32 v7, 0x3b800000
	v_lshlrev_b32_e32 v2, 20, v2
	v_and_b32_e32 v6, 0x80000000, v6
	v_lshl_add_u32 v3, v3, 23, v7
	v_or3_b32 v2, v6, v3, v2
.LBB2_1740:
	s_or_b64 exec, exec, s[6:7]
	v_lshrrev_b32_e32 v3, 8, v4
	s_movk_i32 s4, 0x7f
	v_cmp_gt_i16_sdwa s[6:7], v3, s4 src0_sel:BYTE_0 src1_sel:DWORD
	s_mov_b64 s[4:5], 0
                                        ; implicit-def: $sgpr10
	s_and_saveexec_b64 s[8:9], s[6:7]
	s_xor_b64 s[6:7], exec, s[8:9]
	s_cbranch_execnz .LBB2_3789
; %bb.1741:
	s_or_saveexec_b64 s[6:7], s[6:7]
	v_mov_b32_e32 v6, s10
	s_xor_b64 exec, exec, s[6:7]
	s_cbranch_execnz .LBB2_3792
.LBB2_1742:
	s_or_b64 exec, exec, s[6:7]
	s_and_saveexec_b64 s[6:7], s[4:5]
	s_cbranch_execz .LBB2_1744
.LBB2_1743:
	v_bfe_u32 v6, v4, 8, 3
	v_ffbh_u32_e32 v12, v6
	v_min_u32_e32 v12, 32, v12
	v_lshrrev_b16_e32 v7, 3, v3
	v_subrev_u32_e32 v13, 28, v12
	v_and_b32_e32 v7, 15, v7
	v_lshlrev_b32_e32 v3, v13, v3
	v_sub_u32_e32 v12, 29, v12
	v_and_b32_e32 v3, 7, v3
	v_cmp_eq_u16_e32 vcc, 0, v7
	v_cndmask_b32_e32 v3, v6, v3, vcc
	v_cndmask_b32_e32 v6, v7, v12, vcc
	v_lshlrev_b32_e32 v7, 16, v4
	v_mov_b32_e32 v12, 0x3b800000
	v_lshlrev_b32_e32 v3, 20, v3
	v_and_b32_e32 v7, 0x80000000, v7
	v_lshl_add_u32 v6, v6, 23, v12
	v_or3_b32 v6, v7, v6, v3
.LBB2_1744:
	s_or_b64 exec, exec, s[6:7]
	s_nop 0
	v_mfma_f32_16x16x4f32 a[0:3], v2, v6, a[0:3]
	s_movk_i32 s4, 0xff
	v_and_b32_sdwa v3, v8, s4 dst_sel:DWORD dst_unused:UNUSED_PAD src0_sel:WORD_1 src1_sel:DWORD
	s_movk_i32 s4, 0x7f
	v_cmp_lt_i16_e32 vcc, s4, v3
	s_mov_b64 s[4:5], 0
                                        ; implicit-def: $sgpr10
	s_and_saveexec_b64 s[6:7], vcc
	s_xor_b64 s[6:7], exec, s[6:7]
	s_cbranch_execnz .LBB2_3793
; %bb.1745:
	s_or_saveexec_b64 s[6:7], s[6:7]
	v_mov_b32_e32 v2, s10
	s_xor_b64 exec, exec, s[6:7]
	s_cbranch_execnz .LBB2_3796
.LBB2_1746:
	s_or_b64 exec, exec, s[6:7]
	s_and_saveexec_b64 s[6:7], s[4:5]
	s_cbranch_execz .LBB2_1748
.LBB2_1747:
	v_bfe_u32 v2, v8, 16, 3
	v_ffbh_u32_e32 v7, v2
	v_min_u32_e32 v7, 32, v7
	v_lshrrev_b32_e32 v3, 19, v8
	v_subrev_u32_e32 v12, 28, v7
	v_and_b32_e32 v3, 15, v3
	v_lshlrev_b32_sdwa v12, v12, v8 dst_sel:DWORD dst_unused:UNUSED_PAD src0_sel:DWORD src1_sel:WORD_1
	v_bfe_u32 v6, v8, 19, 4
	v_sub_u32_e32 v7, 29, v7
	v_and_b32_e32 v12, 7, v12
	v_cmp_eq_u16_e32 vcc, 0, v3
	v_cndmask_b32_e32 v2, v2, v12, vcc
	v_cndmask_b32_e32 v3, v6, v7, vcc
	v_lshlrev_b32_e32 v6, 8, v8
	v_mov_b32_e32 v7, 0x3b800000
	v_lshlrev_b32_e32 v2, 20, v2
	v_and_b32_e32 v6, 0x80000000, v6
	v_lshl_add_u32 v3, v3, 23, v7
	v_or3_b32 v2, v6, v3, v2
.LBB2_1748:
	s_or_b64 exec, exec, s[6:7]
	s_movk_i32 s4, 0xff
	v_and_b32_sdwa v3, v4, s4 dst_sel:DWORD dst_unused:UNUSED_PAD src0_sel:WORD_1 src1_sel:DWORD
	s_movk_i32 s4, 0x7f
	v_cmp_lt_i16_e32 vcc, s4, v3
	s_mov_b64 s[4:5], 0
                                        ; implicit-def: $sgpr10
	s_and_saveexec_b64 s[6:7], vcc
	s_xor_b64 s[6:7], exec, s[6:7]
	s_cbranch_execnz .LBB2_3797
; %bb.1749:
	s_or_saveexec_b64 s[6:7], s[6:7]
	v_mov_b32_e32 v6, s10
	s_xor_b64 exec, exec, s[6:7]
	s_cbranch_execnz .LBB2_3800
.LBB2_1750:
	s_or_b64 exec, exec, s[6:7]
	s_and_saveexec_b64 s[6:7], s[4:5]
	s_cbranch_execz .LBB2_1752
.LBB2_1751:
	v_bfe_u32 v3, v4, 16, 3
	v_ffbh_u32_e32 v12, v3
	v_min_u32_e32 v12, 32, v12
	v_lshrrev_b32_e32 v6, 19, v4
	v_subrev_u32_e32 v13, 28, v12
	v_and_b32_e32 v6, 15, v6
	v_lshlrev_b32_sdwa v13, v13, v4 dst_sel:DWORD dst_unused:UNUSED_PAD src0_sel:DWORD src1_sel:WORD_1
	v_bfe_u32 v7, v4, 19, 4
	v_sub_u32_e32 v12, 29, v12
	v_and_b32_e32 v13, 7, v13
	v_cmp_eq_u16_e32 vcc, 0, v6
	v_cndmask_b32_e32 v3, v3, v13, vcc
	v_cndmask_b32_e32 v6, v7, v12, vcc
	v_lshlrev_b32_e32 v7, 8, v4
	v_mov_b32_e32 v12, 0x3b800000
	v_lshlrev_b32_e32 v3, 20, v3
	v_and_b32_e32 v7, 0x80000000, v7
	v_lshl_add_u32 v6, v6, 23, v12
	v_or3_b32 v6, v7, v6, v3
.LBB2_1752:
	s_or_b64 exec, exec, s[6:7]
	s_nop 0
	v_mfma_f32_16x16x4f32 a[0:3], v2, v6, a[0:3]
	s_movk_i32 s4, 0x7f
	v_cmp_gt_i16_sdwa s[6:7], v8, s4 src0_sel:BYTE_3 src1_sel:DWORD
	s_mov_b64 s[4:5], 0
                                        ; implicit-def: $sgpr10
	s_and_saveexec_b64 s[8:9], s[6:7]
	s_xor_b64 s[6:7], exec, s[8:9]
	s_cbranch_execnz .LBB2_3801
; %bb.1753:
	s_or_saveexec_b64 s[6:7], s[6:7]
	v_mov_b32_e32 v2, s10
	s_xor_b64 exec, exec, s[6:7]
	s_cbranch_execnz .LBB2_3804
.LBB2_1754:
	s_or_b64 exec, exec, s[6:7]
	s_and_saveexec_b64 s[6:7], s[4:5]
	s_cbranch_execz .LBB2_1756
.LBB2_1755:
	v_bfe_u32 v2, v8, 24, 3
	v_ffbh_u32_e32 v12, v2
	v_min_u32_e32 v12, 32, v12
	v_lshrrev_b32_e32 v6, 27, v8
	v_subrev_u32_e32 v13, 28, v12
	v_and_b32_e32 v3, 0x80000000, v8
	v_and_b32_e32 v6, 15, v6
	v_bfe_u32 v7, v8, 27, 4
	v_lshlrev_b32_sdwa v8, v13, v8 dst_sel:DWORD dst_unused:UNUSED_PAD src0_sel:DWORD src1_sel:BYTE_3
	v_sub_u32_e32 v12, 29, v12
	v_and_b32_e32 v8, 7, v8
	v_cmp_eq_u16_e32 vcc, 0, v6
	v_cndmask_b32_e32 v2, v2, v8, vcc
	v_cndmask_b32_e32 v6, v7, v12, vcc
	v_mov_b32_e32 v7, 0x3b800000
	v_lshlrev_b32_e32 v2, 20, v2
	v_lshl_add_u32 v6, v6, 23, v7
	v_or3_b32 v2, v3, v6, v2
.LBB2_1756:
	s_or_b64 exec, exec, s[6:7]
	s_movk_i32 s4, 0x7f
	v_cmp_gt_i16_sdwa s[6:7], v4, s4 src0_sel:BYTE_3 src1_sel:DWORD
	s_mov_b64 s[4:5], 0
                                        ; implicit-def: $sgpr10
	s_and_saveexec_b64 s[8:9], s[6:7]
	s_xor_b64 s[6:7], exec, s[8:9]
	s_cbranch_execnz .LBB2_3805
; %bb.1757:
	s_or_saveexec_b64 s[6:7], s[6:7]
	v_mov_b32_e32 v3, s10
	s_xor_b64 exec, exec, s[6:7]
	s_cbranch_execnz .LBB2_3808
.LBB2_1758:
	s_or_b64 exec, exec, s[6:7]
	s_and_saveexec_b64 s[6:7], s[4:5]
	s_cbranch_execz .LBB2_1760
.LBB2_1759:
	v_bfe_u32 v3, v4, 24, 3
	v_ffbh_u32_e32 v12, v3
	v_min_u32_e32 v12, 32, v12
	v_lshrrev_b32_e32 v7, 27, v4
	v_subrev_u32_e32 v13, 28, v12
	v_and_b32_e32 v6, 0x80000000, v4
	v_and_b32_e32 v7, 15, v7
	v_bfe_u32 v8, v4, 27, 4
	v_lshlrev_b32_sdwa v4, v13, v4 dst_sel:DWORD dst_unused:UNUSED_PAD src0_sel:DWORD src1_sel:BYTE_3
	v_sub_u32_e32 v12, 29, v12
	v_and_b32_e32 v4, 7, v4
	v_cmp_eq_u16_e32 vcc, 0, v7
	v_cndmask_b32_e32 v3, v3, v4, vcc
	v_cndmask_b32_e32 v4, v8, v12, vcc
	v_mov_b32_e32 v7, 0x3b800000
	v_lshlrev_b32_e32 v3, 20, v3
	v_lshl_add_u32 v4, v4, 23, v7
	v_or3_b32 v3, v6, v4, v3
.LBB2_1760:
	s_or_b64 exec, exec, s[6:7]
	s_nop 0
	v_mfma_f32_16x16x4f32 a[0:3], v2, v3, a[0:3]
	s_movk_i32 s4, 0x7f
	v_cmp_gt_i16_sdwa s[6:7], v9, s4 src0_sel:BYTE_0 src1_sel:DWORD
	s_mov_b64 s[4:5], 0
                                        ; implicit-def: $sgpr10
	s_and_saveexec_b64 s[8:9], s[6:7]
	s_xor_b64 s[6:7], exec, s[8:9]
	s_cbranch_execnz .LBB2_3809
; %bb.1761:
	s_or_saveexec_b64 s[6:7], s[6:7]
	v_mov_b32_e32 v2, s10
	s_xor_b64 exec, exec, s[6:7]
	s_cbranch_execnz .LBB2_3812
.LBB2_1762:
	s_or_b64 exec, exec, s[6:7]
	s_and_saveexec_b64 s[6:7], s[4:5]
	s_cbranch_execz .LBB2_1764
.LBB2_1763:
	v_mov_b32_e32 v2, 8
	v_and_b32_e32 v3, 7, v9
	v_lshrrev_b32_sdwa v2, v2, v9 dst_sel:BYTE_1 dst_unused:UNUSED_PAD src0_sel:DWORD src1_sel:DWORD
	v_ffbh_u32_e32 v4, v3
	v_or_b32_sdwa v2, v9, v2 dst_sel:DWORD dst_unused:UNUSED_PAD src0_sel:BYTE_0 src1_sel:DWORD
	v_min_u32_e32 v4, 32, v4
	v_lshrrev_b16_e32 v2, 3, v2
	v_subrev_u32_e32 v6, 28, v4
	v_and_b32_e32 v2, 15, v2
	v_lshlrev_b32_e32 v6, v6, v9
	v_sub_u32_e32 v4, 29, v4
	v_and_b32_e32 v6, 7, v6
	v_cmp_eq_u16_e32 vcc, 0, v2
	v_cndmask_b32_e32 v3, v3, v6, vcc
	v_cndmask_b32_e32 v2, v2, v4, vcc
	v_lshlrev_b32_e32 v4, 24, v9
	v_mov_b32_e32 v6, 0x3b800000
	v_lshlrev_b32_e32 v3, 20, v3
	v_and_b32_e32 v4, 0x80000000, v4
	v_lshl_add_u32 v2, v2, 23, v6
	v_or3_b32 v2, v4, v2, v3
.LBB2_1764:
	s_or_b64 exec, exec, s[6:7]
	s_movk_i32 s4, 0x7f
	v_cmp_gt_i16_sdwa s[6:7], v5, s4 src0_sel:BYTE_0 src1_sel:DWORD
	s_mov_b64 s[4:5], 0
                                        ; implicit-def: $sgpr10
	s_and_saveexec_b64 s[8:9], s[6:7]
	s_xor_b64 s[6:7], exec, s[8:9]
	s_cbranch_execnz .LBB2_3813
; %bb.1765:
	s_or_saveexec_b64 s[6:7], s[6:7]
	v_mov_b32_e32 v3, s10
	s_xor_b64 exec, exec, s[6:7]
	s_cbranch_execnz .LBB2_3816
.LBB2_1766:
	s_or_b64 exec, exec, s[6:7]
	s_and_saveexec_b64 s[6:7], s[4:5]
	s_cbranch_execz .LBB2_1768
.LBB2_1767:
	v_mov_b32_e32 v3, 8
	v_and_b32_e32 v4, 7, v5
	v_lshrrev_b32_sdwa v3, v3, v5 dst_sel:BYTE_1 dst_unused:UNUSED_PAD src0_sel:DWORD src1_sel:DWORD
	v_ffbh_u32_e32 v6, v4
	v_or_b32_sdwa v3, v5, v3 dst_sel:DWORD dst_unused:UNUSED_PAD src0_sel:BYTE_0 src1_sel:DWORD
	v_min_u32_e32 v6, 32, v6
	v_lshrrev_b16_e32 v3, 3, v3
	v_subrev_u32_e32 v7, 28, v6
	v_and_b32_e32 v3, 15, v3
	v_lshlrev_b32_e32 v7, v7, v5
	v_sub_u32_e32 v6, 29, v6
	v_and_b32_e32 v7, 7, v7
	v_cmp_eq_u16_e32 vcc, 0, v3
	v_cndmask_b32_e32 v4, v4, v7, vcc
	v_cndmask_b32_e32 v3, v3, v6, vcc
	v_lshlrev_b32_e32 v6, 24, v5
	v_mov_b32_e32 v7, 0x3b800000
	v_lshlrev_b32_e32 v4, 20, v4
	v_and_b32_e32 v6, 0x80000000, v6
	v_lshl_add_u32 v3, v3, 23, v7
	v_or3_b32 v3, v6, v3, v4
.LBB2_1768:
	s_or_b64 exec, exec, s[6:7]
	s_nop 0
	v_mfma_f32_16x16x4f32 a[0:3], v2, v3, a[0:3]
	v_lshrrev_b32_e32 v3, 8, v9
	s_movk_i32 s4, 0x7f
	v_cmp_gt_i16_sdwa s[6:7], v3, s4 src0_sel:BYTE_0 src1_sel:DWORD
	s_mov_b64 s[4:5], 0
                                        ; implicit-def: $sgpr10
	s_and_saveexec_b64 s[8:9], s[6:7]
	s_xor_b64 s[6:7], exec, s[8:9]
	s_cbranch_execnz .LBB2_3817
; %bb.1769:
	s_or_saveexec_b64 s[6:7], s[6:7]
	v_mov_b32_e32 v2, s10
	s_xor_b64 exec, exec, s[6:7]
	s_cbranch_execnz .LBB2_3820
.LBB2_1770:
	s_or_b64 exec, exec, s[6:7]
	s_and_saveexec_b64 s[6:7], s[4:5]
	s_cbranch_execz .LBB2_1772
.LBB2_1771:
	v_bfe_u32 v2, v9, 8, 3
	v_ffbh_u32_e32 v6, v2
	v_min_u32_e32 v6, 32, v6
	v_lshrrev_b16_e32 v4, 3, v3
	v_subrev_u32_e32 v7, 28, v6
	v_and_b32_e32 v4, 15, v4
	v_lshlrev_b32_e32 v3, v7, v3
	v_sub_u32_e32 v6, 29, v6
	v_and_b32_e32 v3, 7, v3
	v_cmp_eq_u16_e32 vcc, 0, v4
	v_cndmask_b32_e32 v2, v2, v3, vcc
	v_cndmask_b32_e32 v3, v4, v6, vcc
	v_lshlrev_b32_e32 v4, 16, v9
	v_mov_b32_e32 v6, 0x3b800000
	v_lshlrev_b32_e32 v2, 20, v2
	v_and_b32_e32 v4, 0x80000000, v4
	v_lshl_add_u32 v3, v3, 23, v6
	v_or3_b32 v2, v4, v3, v2
.LBB2_1772:
	s_or_b64 exec, exec, s[6:7]
	v_lshrrev_b32_e32 v3, 8, v5
	s_movk_i32 s4, 0x7f
	v_cmp_gt_i16_sdwa s[6:7], v3, s4 src0_sel:BYTE_0 src1_sel:DWORD
	s_mov_b64 s[4:5], 0
                                        ; implicit-def: $sgpr10
	s_and_saveexec_b64 s[8:9], s[6:7]
	s_xor_b64 s[6:7], exec, s[8:9]
	s_cbranch_execnz .LBB2_3821
; %bb.1773:
	s_or_saveexec_b64 s[6:7], s[6:7]
	v_mov_b32_e32 v4, s10
	s_xor_b64 exec, exec, s[6:7]
	s_cbranch_execnz .LBB2_3824
.LBB2_1774:
	s_or_b64 exec, exec, s[6:7]
	s_and_saveexec_b64 s[6:7], s[4:5]
	s_cbranch_execz .LBB2_1776
.LBB2_1775:
	v_bfe_u32 v4, v5, 8, 3
	v_ffbh_u32_e32 v7, v4
	v_min_u32_e32 v7, 32, v7
	v_lshrrev_b16_e32 v6, 3, v3
	v_subrev_u32_e32 v8, 28, v7
	v_and_b32_e32 v6, 15, v6
	v_lshlrev_b32_e32 v3, v8, v3
	v_sub_u32_e32 v7, 29, v7
	v_and_b32_e32 v3, 7, v3
	v_cmp_eq_u16_e32 vcc, 0, v6
	v_cndmask_b32_e32 v3, v4, v3, vcc
	v_cndmask_b32_e32 v4, v6, v7, vcc
	v_lshlrev_b32_e32 v6, 16, v5
	v_mov_b32_e32 v7, 0x3b800000
	v_lshlrev_b32_e32 v3, 20, v3
	v_and_b32_e32 v6, 0x80000000, v6
	v_lshl_add_u32 v4, v4, 23, v7
	v_or3_b32 v4, v6, v4, v3
.LBB2_1776:
	s_or_b64 exec, exec, s[6:7]
	s_nop 0
	v_mfma_f32_16x16x4f32 a[0:3], v2, v4, a[0:3]
	s_movk_i32 s4, 0xff
	v_and_b32_sdwa v3, v9, s4 dst_sel:DWORD dst_unused:UNUSED_PAD src0_sel:WORD_1 src1_sel:DWORD
	s_movk_i32 s4, 0x7f
	v_cmp_lt_i16_e32 vcc, s4, v3
	s_mov_b64 s[4:5], 0
                                        ; implicit-def: $sgpr10
	s_and_saveexec_b64 s[6:7], vcc
	s_xor_b64 s[6:7], exec, s[6:7]
	s_cbranch_execnz .LBB2_3825
; %bb.1777:
	s_or_saveexec_b64 s[6:7], s[6:7]
	v_mov_b32_e32 v2, s10
	s_xor_b64 exec, exec, s[6:7]
	s_cbranch_execnz .LBB2_3828
.LBB2_1778:
	s_or_b64 exec, exec, s[6:7]
	s_and_saveexec_b64 s[6:7], s[4:5]
	s_cbranch_execz .LBB2_1780
.LBB2_1779:
	v_bfe_u32 v2, v9, 16, 3
	v_ffbh_u32_e32 v6, v2
	v_min_u32_e32 v6, 32, v6
	v_lshrrev_b32_e32 v3, 19, v9
	v_subrev_u32_e32 v7, 28, v6
	v_and_b32_e32 v3, 15, v3
	v_lshlrev_b32_sdwa v7, v7, v9 dst_sel:DWORD dst_unused:UNUSED_PAD src0_sel:DWORD src1_sel:WORD_1
	v_bfe_u32 v4, v9, 19, 4
	v_sub_u32_e32 v6, 29, v6
	v_and_b32_e32 v7, 7, v7
	v_cmp_eq_u16_e32 vcc, 0, v3
	v_cndmask_b32_e32 v2, v2, v7, vcc
	v_cndmask_b32_e32 v3, v4, v6, vcc
	v_lshlrev_b32_e32 v4, 8, v9
	v_mov_b32_e32 v6, 0x3b800000
	v_lshlrev_b32_e32 v2, 20, v2
	v_and_b32_e32 v4, 0x80000000, v4
	v_lshl_add_u32 v3, v3, 23, v6
	v_or3_b32 v2, v4, v3, v2
.LBB2_1780:
	s_or_b64 exec, exec, s[6:7]
	s_movk_i32 s4, 0xff
	v_and_b32_sdwa v3, v5, s4 dst_sel:DWORD dst_unused:UNUSED_PAD src0_sel:WORD_1 src1_sel:DWORD
	s_movk_i32 s4, 0x7f
	v_cmp_lt_i16_e32 vcc, s4, v3
	s_mov_b64 s[4:5], 0
                                        ; implicit-def: $sgpr10
	s_and_saveexec_b64 s[6:7], vcc
	s_xor_b64 s[6:7], exec, s[6:7]
	s_cbranch_execnz .LBB2_3829
; %bb.1781:
	s_or_saveexec_b64 s[6:7], s[6:7]
	v_mov_b32_e32 v4, s10
	s_xor_b64 exec, exec, s[6:7]
	s_cbranch_execnz .LBB2_3832
.LBB2_1782:
	s_or_b64 exec, exec, s[6:7]
	s_and_saveexec_b64 s[6:7], s[4:5]
	s_cbranch_execz .LBB2_1784
.LBB2_1783:
	v_bfe_u32 v3, v5, 16, 3
	v_ffbh_u32_e32 v7, v3
	v_min_u32_e32 v7, 32, v7
	v_lshrrev_b32_e32 v4, 19, v5
	v_subrev_u32_e32 v8, 28, v7
	v_and_b32_e32 v4, 15, v4
	v_lshlrev_b32_sdwa v8, v8, v5 dst_sel:DWORD dst_unused:UNUSED_PAD src0_sel:DWORD src1_sel:WORD_1
	v_bfe_u32 v6, v5, 19, 4
	v_sub_u32_e32 v7, 29, v7
	v_and_b32_e32 v8, 7, v8
	v_cmp_eq_u16_e32 vcc, 0, v4
	v_cndmask_b32_e32 v3, v3, v8, vcc
	v_cndmask_b32_e32 v4, v6, v7, vcc
	v_lshlrev_b32_e32 v6, 8, v5
	v_mov_b32_e32 v7, 0x3b800000
	v_lshlrev_b32_e32 v3, 20, v3
	v_and_b32_e32 v6, 0x80000000, v6
	v_lshl_add_u32 v4, v4, 23, v7
	v_or3_b32 v4, v6, v4, v3
.LBB2_1784:
	s_or_b64 exec, exec, s[6:7]
	s_nop 0
	v_mfma_f32_16x16x4f32 a[0:3], v2, v4, a[0:3]
	s_movk_i32 s4, 0x7f
	v_cmp_gt_i16_sdwa s[6:7], v9, s4 src0_sel:BYTE_3 src1_sel:DWORD
	s_mov_b64 s[4:5], 0
                                        ; implicit-def: $sgpr10
	s_and_saveexec_b64 s[8:9], s[6:7]
	s_xor_b64 s[6:7], exec, s[8:9]
	s_cbranch_execnz .LBB2_3833
; %bb.1785:
	s_or_saveexec_b64 s[6:7], s[6:7]
	v_mov_b32_e32 v2, s10
	s_xor_b64 exec, exec, s[6:7]
	s_cbranch_execnz .LBB2_3836
.LBB2_1786:
	s_or_b64 exec, exec, s[6:7]
	s_and_saveexec_b64 s[6:7], s[4:5]
	s_cbranch_execz .LBB2_1788
.LBB2_1787:
	v_bfe_u32 v2, v9, 24, 3
	v_ffbh_u32_e32 v7, v2
	v_min_u32_e32 v7, 32, v7
	v_lshrrev_b32_e32 v4, 27, v9
	v_subrev_u32_e32 v8, 28, v7
	v_and_b32_e32 v4, 15, v4
	v_lshlrev_b32_sdwa v8, v8, v9 dst_sel:DWORD dst_unused:UNUSED_PAD src0_sel:DWORD src1_sel:BYTE_3
	v_bfe_u32 v6, v9, 27, 4
	v_sub_u32_e32 v7, 29, v7
	v_and_b32_e32 v8, 7, v8
	v_cmp_eq_u16_e32 vcc, 0, v4
	v_cndmask_b32_e32 v2, v2, v8, vcc
	v_cndmask_b32_e32 v4, v6, v7, vcc
	v_mov_b32_e32 v6, 0x3b800000
	v_and_b32_e32 v3, 0x80000000, v9
	v_lshlrev_b32_e32 v2, 20, v2
	v_lshl_add_u32 v4, v4, 23, v6
	v_or3_b32 v2, v3, v4, v2
.LBB2_1788:
	s_or_b64 exec, exec, s[6:7]
	s_movk_i32 s4, 0x7f
	v_cmp_gt_i16_sdwa s[6:7], v5, s4 src0_sel:BYTE_3 src1_sel:DWORD
	s_mov_b64 s[4:5], 0
                                        ; implicit-def: $sgpr10
	s_and_saveexec_b64 s[8:9], s[6:7]
	s_xor_b64 s[6:7], exec, s[8:9]
	s_cbranch_execnz .LBB2_3837
; %bb.1789:
	s_or_saveexec_b64 s[6:7], s[6:7]
	v_mov_b32_e32 v3, s10
	s_xor_b64 exec, exec, s[6:7]
	s_cbranch_execnz .LBB2_3840
.LBB2_1790:
	s_or_b64 exec, exec, s[6:7]
	s_and_saveexec_b64 s[6:7], s[4:5]
	s_cbranch_execz .LBB2_1792
.LBB2_1791:
	v_bfe_u32 v3, v5, 24, 3
	v_ffbh_u32_e32 v8, v3
	v_min_u32_e32 v8, 32, v8
	v_lshrrev_b32_e32 v6, 27, v5
	v_subrev_u32_e32 v9, 28, v8
	v_and_b32_e32 v4, 0x80000000, v5
	v_and_b32_e32 v6, 15, v6
	v_bfe_u32 v7, v5, 27, 4
	v_lshlrev_b32_sdwa v5, v9, v5 dst_sel:DWORD dst_unused:UNUSED_PAD src0_sel:DWORD src1_sel:BYTE_3
	v_sub_u32_e32 v8, 29, v8
	v_and_b32_e32 v5, 7, v5
	v_cmp_eq_u16_e32 vcc, 0, v6
	v_cndmask_b32_e32 v3, v3, v5, vcc
	v_cndmask_b32_e32 v5, v7, v8, vcc
	v_mov_b32_e32 v6, 0x3b800000
	v_lshlrev_b32_e32 v3, 20, v3
	v_lshl_add_u32 v5, v5, 23, v6
	v_or3_b32 v3, v4, v5, v3
.LBB2_1792:
	s_or_b64 exec, exec, s[6:7]
	s_nop 0
	v_mfma_f32_16x16x4f32 a[0:3], v2, v3, a[0:3]
	s_movk_i32 s4, 0x7f
                                        ; implicit-def: $sgpr10
	s_nop 7
	s_nop 1
	flat_store_dwordx4 v[10:11], a[0:3] offset:208
	flat_load_dwordx4 v[12:15], v[0:1] offset:8
	s_nop 0
	flat_load_dwordx2 v[10:11], v[0:1] offset:32
	s_waitcnt vmcnt(0) lgkmcnt(0)
	flat_load_dwordx4 v[6:9], v[12:13] offset:112
	flat_load_dwordx4 v[2:5], v[14:15] offset:80
	s_waitcnt vmcnt(0) lgkmcnt(0)
	v_cmp_gt_i16_sdwa s[6:7], v6, s4 src0_sel:BYTE_0 src1_sel:DWORD
	s_mov_b64 s[4:5], 0
	s_and_saveexec_b64 s[8:9], s[6:7]
	s_xor_b64 s[6:7], exec, s[8:9]
	s_cbranch_execnz .LBB2_3841
; %bb.1793:
	s_or_saveexec_b64 s[6:7], s[6:7]
	v_mov_b32_e32 v12, s10
	s_xor_b64 exec, exec, s[6:7]
	s_cbranch_execnz .LBB2_3844
.LBB2_1794:
	s_or_b64 exec, exec, s[6:7]
	s_and_saveexec_b64 s[6:7], s[4:5]
	s_cbranch_execz .LBB2_1796
.LBB2_1795:
	v_and_b32_e32 v12, 7, v6
	v_ffbh_u32_e32 v14, v12
	v_min_u32_e32 v14, 32, v14
	v_lshrrev_b16_e32 v13, 3, v6
	v_subrev_u32_e32 v15, 28, v14
	v_and_b32_e32 v13, 15, v13
	v_lshlrev_b32_e32 v15, v15, v6
	v_sub_u32_e32 v14, 29, v14
	v_and_b32_e32 v15, 7, v15
	v_cmp_eq_u16_e32 vcc, 0, v13
	v_cndmask_b32_e32 v12, v12, v15, vcc
	v_cndmask_b32_e32 v13, v13, v14, vcc
	v_lshlrev_b32_e32 v14, 24, v6
	v_mov_b32_e32 v15, 0x3b800000
	v_lshlrev_b32_e32 v12, 20, v12
	v_and_b32_e32 v14, 0x80000000, v14
	v_lshl_add_u32 v13, v13, 23, v15
	v_or3_b32 v12, v14, v13, v12
.LBB2_1796:
	s_or_b64 exec, exec, s[6:7]
	s_movk_i32 s4, 0x7f
	v_cmp_gt_i16_sdwa s[6:7], v2, s4 src0_sel:BYTE_0 src1_sel:DWORD
	s_mov_b64 s[4:5], 0
                                        ; implicit-def: $sgpr10
	s_and_saveexec_b64 s[8:9], s[6:7]
	s_xor_b64 s[6:7], exec, s[8:9]
	s_cbranch_execnz .LBB2_3845
; %bb.1797:
	s_or_saveexec_b64 s[6:7], s[6:7]
	v_mov_b32_e32 v13, s10
	s_xor_b64 exec, exec, s[6:7]
	s_cbranch_execnz .LBB2_3848
.LBB2_1798:
	s_or_b64 exec, exec, s[6:7]
	s_and_saveexec_b64 s[6:7], s[4:5]
	s_cbranch_execz .LBB2_1800
.LBB2_1799:
	v_and_b32_e32 v13, 7, v2
	v_ffbh_u32_e32 v15, v13
	v_min_u32_e32 v15, 32, v15
	v_lshrrev_b16_e32 v14, 3, v2
	v_subrev_u32_e32 v16, 28, v15
	v_and_b32_e32 v14, 15, v14
	v_lshlrev_b32_e32 v16, v16, v2
	v_sub_u32_e32 v15, 29, v15
	v_and_b32_e32 v16, 7, v16
	v_cmp_eq_u16_e32 vcc, 0, v14
	v_cndmask_b32_e32 v13, v13, v16, vcc
	v_cndmask_b32_e32 v14, v14, v15, vcc
	v_lshlrev_b32_e32 v15, 24, v2
	v_mov_b32_e32 v16, 0x3b800000
	v_lshlrev_b32_e32 v13, 20, v13
	v_and_b32_e32 v15, 0x80000000, v15
	v_lshl_add_u32 v14, v14, 23, v16
	v_or3_b32 v13, v15, v14, v13
.LBB2_1800:
	s_or_b64 exec, exec, s[6:7]
	flat_load_dwordx4 a[0:3], v[10:11] offset:224
	s_movk_i32 s4, 0x7f
                                        ; implicit-def: $sgpr10
	s_waitcnt vmcnt(0) lgkmcnt(0)
	v_mfma_f32_16x16x4f32 a[0:3], v12, v13, a[0:3]
	v_lshrrev_b32_e32 v13, 8, v6
	v_cmp_gt_i16_sdwa s[6:7], v13, s4 src0_sel:BYTE_0 src1_sel:DWORD
	s_mov_b64 s[4:5], 0
	s_and_saveexec_b64 s[8:9], s[6:7]
	s_xor_b64 s[6:7], exec, s[8:9]
	s_cbranch_execnz .LBB2_3849
; %bb.1801:
	s_or_saveexec_b64 s[6:7], s[6:7]
	v_mov_b32_e32 v12, s10
	s_xor_b64 exec, exec, s[6:7]
	s_cbranch_execnz .LBB2_3852
.LBB2_1802:
	s_or_b64 exec, exec, s[6:7]
	s_and_saveexec_b64 s[6:7], s[4:5]
	s_cbranch_execz .LBB2_1804
.LBB2_1803:
	v_bfe_u32 v12, v6, 8, 3
	v_ffbh_u32_e32 v15, v12
	v_min_u32_e32 v15, 32, v15
	v_lshrrev_b16_e32 v14, 3, v13
	v_subrev_u32_e32 v16, 28, v15
	v_and_b32_e32 v14, 15, v14
	v_lshlrev_b32_e32 v13, v16, v13
	v_sub_u32_e32 v15, 29, v15
	v_and_b32_e32 v13, 7, v13
	v_cmp_eq_u16_e32 vcc, 0, v14
	v_cndmask_b32_e32 v12, v12, v13, vcc
	v_cndmask_b32_e32 v13, v14, v15, vcc
	v_lshlrev_b32_e32 v14, 16, v6
	v_mov_b32_e32 v15, 0x3b800000
	v_lshlrev_b32_e32 v12, 20, v12
	v_and_b32_e32 v14, 0x80000000, v14
	v_lshl_add_u32 v13, v13, 23, v15
	v_or3_b32 v12, v14, v13, v12
.LBB2_1804:
	s_or_b64 exec, exec, s[6:7]
	v_lshrrev_b32_e32 v13, 8, v2
	s_movk_i32 s4, 0x7f
	v_cmp_gt_i16_sdwa s[6:7], v13, s4 src0_sel:BYTE_0 src1_sel:DWORD
	s_mov_b64 s[4:5], 0
                                        ; implicit-def: $sgpr10
	s_and_saveexec_b64 s[8:9], s[6:7]
	s_xor_b64 s[6:7], exec, s[8:9]
	s_cbranch_execnz .LBB2_3853
; %bb.1805:
	s_or_saveexec_b64 s[6:7], s[6:7]
	v_mov_b32_e32 v14, s10
	s_xor_b64 exec, exec, s[6:7]
	s_cbranch_execnz .LBB2_3856
.LBB2_1806:
	s_or_b64 exec, exec, s[6:7]
	s_and_saveexec_b64 s[6:7], s[4:5]
	s_cbranch_execz .LBB2_1808
.LBB2_1807:
	v_bfe_u32 v14, v2, 8, 3
	v_ffbh_u32_e32 v16, v14
	v_min_u32_e32 v16, 32, v16
	v_lshrrev_b16_e32 v15, 3, v13
	v_subrev_u32_e32 v17, 28, v16
	v_and_b32_e32 v15, 15, v15
	v_lshlrev_b32_e32 v13, v17, v13
	v_sub_u32_e32 v16, 29, v16
	v_and_b32_e32 v13, 7, v13
	v_cmp_eq_u16_e32 vcc, 0, v15
	v_cndmask_b32_e32 v13, v14, v13, vcc
	v_cndmask_b32_e32 v14, v15, v16, vcc
	v_lshlrev_b32_e32 v15, 16, v2
	v_mov_b32_e32 v16, 0x3b800000
	v_lshlrev_b32_e32 v13, 20, v13
	v_and_b32_e32 v15, 0x80000000, v15
	v_lshl_add_u32 v14, v14, 23, v16
	v_or3_b32 v14, v15, v14, v13
.LBB2_1808:
	s_or_b64 exec, exec, s[6:7]
	s_nop 0
	v_mfma_f32_16x16x4f32 a[0:3], v12, v14, a[0:3]
	s_movk_i32 s4, 0xff
	v_and_b32_sdwa v13, v6, s4 dst_sel:DWORD dst_unused:UNUSED_PAD src0_sel:WORD_1 src1_sel:DWORD
	s_movk_i32 s4, 0x7f
	v_cmp_lt_i16_e32 vcc, s4, v13
	s_mov_b64 s[4:5], 0
                                        ; implicit-def: $sgpr10
	s_and_saveexec_b64 s[6:7], vcc
	s_xor_b64 s[6:7], exec, s[6:7]
	s_cbranch_execnz .LBB2_3857
; %bb.1809:
	s_or_saveexec_b64 s[6:7], s[6:7]
	v_mov_b32_e32 v12, s10
	s_xor_b64 exec, exec, s[6:7]
	s_cbranch_execnz .LBB2_3860
.LBB2_1810:
	s_or_b64 exec, exec, s[6:7]
	s_and_saveexec_b64 s[6:7], s[4:5]
	s_cbranch_execz .LBB2_1812
.LBB2_1811:
	v_bfe_u32 v12, v6, 16, 3
	v_ffbh_u32_e32 v15, v12
	v_min_u32_e32 v15, 32, v15
	v_lshrrev_b32_e32 v13, 19, v6
	v_subrev_u32_e32 v16, 28, v15
	v_and_b32_e32 v13, 15, v13
	v_lshlrev_b32_sdwa v16, v16, v6 dst_sel:DWORD dst_unused:UNUSED_PAD src0_sel:DWORD src1_sel:WORD_1
	v_bfe_u32 v14, v6, 19, 4
	v_sub_u32_e32 v15, 29, v15
	v_and_b32_e32 v16, 7, v16
	v_cmp_eq_u16_e32 vcc, 0, v13
	v_cndmask_b32_e32 v12, v12, v16, vcc
	v_cndmask_b32_e32 v13, v14, v15, vcc
	v_lshlrev_b32_e32 v14, 8, v6
	v_mov_b32_e32 v15, 0x3b800000
	v_lshlrev_b32_e32 v12, 20, v12
	v_and_b32_e32 v14, 0x80000000, v14
	v_lshl_add_u32 v13, v13, 23, v15
	v_or3_b32 v12, v14, v13, v12
.LBB2_1812:
	s_or_b64 exec, exec, s[6:7]
	s_movk_i32 s4, 0xff
	v_and_b32_sdwa v13, v2, s4 dst_sel:DWORD dst_unused:UNUSED_PAD src0_sel:WORD_1 src1_sel:DWORD
	s_movk_i32 s4, 0x7f
	v_cmp_lt_i16_e32 vcc, s4, v13
	s_mov_b64 s[4:5], 0
                                        ; implicit-def: $sgpr10
	s_and_saveexec_b64 s[6:7], vcc
	s_xor_b64 s[6:7], exec, s[6:7]
	s_cbranch_execnz .LBB2_3861
; %bb.1813:
	s_or_saveexec_b64 s[6:7], s[6:7]
	v_mov_b32_e32 v14, s10
	s_xor_b64 exec, exec, s[6:7]
	s_cbranch_execnz .LBB2_3864
.LBB2_1814:
	s_or_b64 exec, exec, s[6:7]
	s_and_saveexec_b64 s[6:7], s[4:5]
	s_cbranch_execz .LBB2_1816
.LBB2_1815:
	v_bfe_u32 v13, v2, 16, 3
	v_ffbh_u32_e32 v16, v13
	v_min_u32_e32 v16, 32, v16
	v_lshrrev_b32_e32 v14, 19, v2
	v_subrev_u32_e32 v17, 28, v16
	v_and_b32_e32 v14, 15, v14
	v_lshlrev_b32_sdwa v17, v17, v2 dst_sel:DWORD dst_unused:UNUSED_PAD src0_sel:DWORD src1_sel:WORD_1
	v_bfe_u32 v15, v2, 19, 4
	v_sub_u32_e32 v16, 29, v16
	v_and_b32_e32 v17, 7, v17
	v_cmp_eq_u16_e32 vcc, 0, v14
	v_cndmask_b32_e32 v13, v13, v17, vcc
	v_cndmask_b32_e32 v14, v15, v16, vcc
	v_lshlrev_b32_e32 v15, 8, v2
	v_mov_b32_e32 v16, 0x3b800000
	v_lshlrev_b32_e32 v13, 20, v13
	v_and_b32_e32 v15, 0x80000000, v15
	v_lshl_add_u32 v14, v14, 23, v16
	v_or3_b32 v14, v15, v14, v13
.LBB2_1816:
	s_or_b64 exec, exec, s[6:7]
	s_nop 0
	v_mfma_f32_16x16x4f32 a[0:3], v12, v14, a[0:3]
	s_movk_i32 s4, 0x7f
	v_cmp_gt_i16_sdwa s[6:7], v6, s4 src0_sel:BYTE_3 src1_sel:DWORD
	s_mov_b64 s[4:5], 0
                                        ; implicit-def: $sgpr10
	s_and_saveexec_b64 s[8:9], s[6:7]
	s_xor_b64 s[6:7], exec, s[8:9]
	s_cbranch_execnz .LBB2_3865
; %bb.1817:
	s_or_saveexec_b64 s[6:7], s[6:7]
	v_mov_b32_e32 v12, s10
	s_xor_b64 exec, exec, s[6:7]
	s_cbranch_execnz .LBB2_3868
.LBB2_1818:
	s_or_b64 exec, exec, s[6:7]
	s_and_saveexec_b64 s[6:7], s[4:5]
	s_cbranch_execz .LBB2_1820
.LBB2_1819:
	v_bfe_u32 v12, v6, 24, 3
	v_ffbh_u32_e32 v16, v12
	v_min_u32_e32 v16, 32, v16
	v_lshrrev_b32_e32 v14, 27, v6
	v_subrev_u32_e32 v17, 28, v16
	v_and_b32_e32 v13, 0x80000000, v6
	v_and_b32_e32 v14, 15, v14
	v_bfe_u32 v15, v6, 27, 4
	v_lshlrev_b32_sdwa v6, v17, v6 dst_sel:DWORD dst_unused:UNUSED_PAD src0_sel:DWORD src1_sel:BYTE_3
	v_sub_u32_e32 v16, 29, v16
	v_and_b32_e32 v6, 7, v6
	v_cmp_eq_u16_e32 vcc, 0, v14
	v_cndmask_b32_e32 v6, v12, v6, vcc
	v_cndmask_b32_e32 v12, v15, v16, vcc
	v_mov_b32_e32 v14, 0x3b800000
	v_lshlrev_b32_e32 v6, 20, v6
	v_lshl_add_u32 v12, v12, 23, v14
	v_or3_b32 v12, v13, v12, v6
.LBB2_1820:
	s_or_b64 exec, exec, s[6:7]
	s_movk_i32 s4, 0x7f
	v_cmp_gt_i16_sdwa s[6:7], v2, s4 src0_sel:BYTE_3 src1_sel:DWORD
	s_mov_b64 s[4:5], 0
                                        ; implicit-def: $sgpr10
	s_and_saveexec_b64 s[8:9], s[6:7]
	s_xor_b64 s[6:7], exec, s[8:9]
	s_cbranch_execnz .LBB2_3869
; %bb.1821:
	s_or_saveexec_b64 s[6:7], s[6:7]
	v_mov_b32_e32 v6, s10
	s_xor_b64 exec, exec, s[6:7]
	s_cbranch_execnz .LBB2_3872
.LBB2_1822:
	s_or_b64 exec, exec, s[6:7]
	s_and_saveexec_b64 s[6:7], s[4:5]
	s_cbranch_execz .LBB2_1824
.LBB2_1823:
	v_bfe_u32 v6, v2, 24, 3
	v_ffbh_u32_e32 v16, v6
	v_min_u32_e32 v16, 32, v16
	v_lshrrev_b32_e32 v14, 27, v2
	v_subrev_u32_e32 v17, 28, v16
	v_and_b32_e32 v13, 0x80000000, v2
	v_and_b32_e32 v14, 15, v14
	v_bfe_u32 v15, v2, 27, 4
	v_lshlrev_b32_sdwa v2, v17, v2 dst_sel:DWORD dst_unused:UNUSED_PAD src0_sel:DWORD src1_sel:BYTE_3
	v_sub_u32_e32 v16, 29, v16
	v_and_b32_e32 v2, 7, v2
	v_cmp_eq_u16_e32 vcc, 0, v14
	v_cndmask_b32_e32 v2, v6, v2, vcc
	v_cndmask_b32_e32 v6, v15, v16, vcc
	v_mov_b32_e32 v14, 0x3b800000
	v_lshlrev_b32_e32 v2, 20, v2
	v_lshl_add_u32 v6, v6, 23, v14
	v_or3_b32 v6, v13, v6, v2
.LBB2_1824:
	s_or_b64 exec, exec, s[6:7]
	s_nop 0
	v_mfma_f32_16x16x4f32 a[0:3], v12, v6, a[0:3]
	s_movk_i32 s4, 0x7f
	v_cmp_gt_i16_sdwa s[6:7], v7, s4 src0_sel:BYTE_0 src1_sel:DWORD
	s_mov_b64 s[4:5], 0
                                        ; implicit-def: $sgpr10
	s_and_saveexec_b64 s[8:9], s[6:7]
	s_xor_b64 s[6:7], exec, s[8:9]
	s_cbranch_execnz .LBB2_3873
; %bb.1825:
	s_or_saveexec_b64 s[6:7], s[6:7]
	v_mov_b32_e32 v2, s10
	s_xor_b64 exec, exec, s[6:7]
	s_cbranch_execnz .LBB2_3876
.LBB2_1826:
	s_or_b64 exec, exec, s[6:7]
	s_and_saveexec_b64 s[6:7], s[4:5]
	s_cbranch_execz .LBB2_1828
.LBB2_1827:
	v_and_b32_e32 v2, 7, v7
	v_ffbh_u32_e32 v12, v2
	v_min_u32_e32 v12, 32, v12
	v_lshrrev_b16_e32 v6, 3, v7
	v_subrev_u32_e32 v13, 28, v12
	v_and_b32_e32 v6, 15, v6
	v_lshlrev_b32_e32 v13, v13, v7
	v_sub_u32_e32 v12, 29, v12
	v_and_b32_e32 v13, 7, v13
	v_cmp_eq_u16_e32 vcc, 0, v6
	v_cndmask_b32_e32 v2, v2, v13, vcc
	v_cndmask_b32_e32 v6, v6, v12, vcc
	v_lshlrev_b32_e32 v12, 24, v7
	v_mov_b32_e32 v13, 0x3b800000
	v_lshlrev_b32_e32 v2, 20, v2
	v_and_b32_e32 v12, 0x80000000, v12
	v_lshl_add_u32 v6, v6, 23, v13
	v_or3_b32 v2, v12, v6, v2
.LBB2_1828:
	s_or_b64 exec, exec, s[6:7]
	s_movk_i32 s4, 0x7f
	v_cmp_gt_i16_sdwa s[6:7], v3, s4 src0_sel:BYTE_0 src1_sel:DWORD
	s_mov_b64 s[4:5], 0
                                        ; implicit-def: $sgpr10
	s_and_saveexec_b64 s[8:9], s[6:7]
	s_xor_b64 s[6:7], exec, s[8:9]
	s_cbranch_execnz .LBB2_3877
; %bb.1829:
	s_or_saveexec_b64 s[6:7], s[6:7]
	v_mov_b32_e32 v6, s10
	s_xor_b64 exec, exec, s[6:7]
	s_cbranch_execnz .LBB2_3880
.LBB2_1830:
	s_or_b64 exec, exec, s[6:7]
	s_and_saveexec_b64 s[6:7], s[4:5]
	s_cbranch_execz .LBB2_1832
.LBB2_1831:
	v_and_b32_e32 v6, 7, v3
	v_ffbh_u32_e32 v13, v6
	v_min_u32_e32 v13, 32, v13
	v_lshrrev_b16_e32 v12, 3, v3
	v_subrev_u32_e32 v14, 28, v13
	v_and_b32_e32 v12, 15, v12
	v_lshlrev_b32_e32 v14, v14, v3
	v_sub_u32_e32 v13, 29, v13
	v_and_b32_e32 v14, 7, v14
	v_cmp_eq_u16_e32 vcc, 0, v12
	v_cndmask_b32_e32 v6, v6, v14, vcc
	v_cndmask_b32_e32 v12, v12, v13, vcc
	v_lshlrev_b32_e32 v13, 24, v3
	v_mov_b32_e32 v14, 0x3b800000
	v_lshlrev_b32_e32 v6, 20, v6
	v_and_b32_e32 v13, 0x80000000, v13
	v_lshl_add_u32 v12, v12, 23, v14
	v_or3_b32 v6, v13, v12, v6
.LBB2_1832:
	s_or_b64 exec, exec, s[6:7]
	s_nop 0
	v_mfma_f32_16x16x4f32 a[0:3], v2, v6, a[0:3]
	v_lshrrev_b32_e32 v6, 8, v7
	s_movk_i32 s4, 0x7f
	v_cmp_gt_i16_sdwa s[6:7], v6, s4 src0_sel:BYTE_0 src1_sel:DWORD
	s_mov_b64 s[4:5], 0
                                        ; implicit-def: $sgpr10
	s_and_saveexec_b64 s[8:9], s[6:7]
	s_xor_b64 s[6:7], exec, s[8:9]
	s_cbranch_execnz .LBB2_3881
; %bb.1833:
	s_or_saveexec_b64 s[6:7], s[6:7]
	v_mov_b32_e32 v2, s10
	s_xor_b64 exec, exec, s[6:7]
	s_cbranch_execnz .LBB2_3884
.LBB2_1834:
	s_or_b64 exec, exec, s[6:7]
	s_and_saveexec_b64 s[6:7], s[4:5]
	s_cbranch_execz .LBB2_1836
.LBB2_1835:
	v_bfe_u32 v2, v7, 8, 3
	v_ffbh_u32_e32 v13, v2
	v_min_u32_e32 v13, 32, v13
	v_lshrrev_b16_e32 v12, 3, v6
	v_subrev_u32_e32 v14, 28, v13
	v_and_b32_e32 v12, 15, v12
	v_lshlrev_b32_e32 v6, v14, v6
	v_sub_u32_e32 v13, 29, v13
	v_and_b32_e32 v6, 7, v6
	v_cmp_eq_u16_e32 vcc, 0, v12
	v_cndmask_b32_e32 v2, v2, v6, vcc
	v_cndmask_b32_e32 v6, v12, v13, vcc
	v_lshlrev_b32_e32 v12, 16, v7
	v_mov_b32_e32 v13, 0x3b800000
	v_lshlrev_b32_e32 v2, 20, v2
	v_and_b32_e32 v12, 0x80000000, v12
	v_lshl_add_u32 v6, v6, 23, v13
	v_or3_b32 v2, v12, v6, v2
.LBB2_1836:
	s_or_b64 exec, exec, s[6:7]
	v_lshrrev_b32_e32 v6, 8, v3
	s_movk_i32 s4, 0x7f
	v_cmp_gt_i16_sdwa s[6:7], v6, s4 src0_sel:BYTE_0 src1_sel:DWORD
	s_mov_b64 s[4:5], 0
                                        ; implicit-def: $sgpr10
	s_and_saveexec_b64 s[8:9], s[6:7]
	s_xor_b64 s[6:7], exec, s[8:9]
	s_cbranch_execnz .LBB2_3885
; %bb.1837:
	s_or_saveexec_b64 s[6:7], s[6:7]
	v_mov_b32_e32 v12, s10
	s_xor_b64 exec, exec, s[6:7]
	s_cbranch_execnz .LBB2_3888
.LBB2_1838:
	s_or_b64 exec, exec, s[6:7]
	s_and_saveexec_b64 s[6:7], s[4:5]
	s_cbranch_execz .LBB2_1840
.LBB2_1839:
	v_bfe_u32 v12, v3, 8, 3
	v_ffbh_u32_e32 v14, v12
	v_min_u32_e32 v14, 32, v14
	v_lshrrev_b16_e32 v13, 3, v6
	v_subrev_u32_e32 v15, 28, v14
	v_and_b32_e32 v13, 15, v13
	v_lshlrev_b32_e32 v6, v15, v6
	v_sub_u32_e32 v14, 29, v14
	v_and_b32_e32 v6, 7, v6
	v_cmp_eq_u16_e32 vcc, 0, v13
	v_cndmask_b32_e32 v6, v12, v6, vcc
	v_cndmask_b32_e32 v12, v13, v14, vcc
	v_lshlrev_b32_e32 v13, 16, v3
	v_mov_b32_e32 v14, 0x3b800000
	v_lshlrev_b32_e32 v6, 20, v6
	v_and_b32_e32 v13, 0x80000000, v13
	v_lshl_add_u32 v12, v12, 23, v14
	v_or3_b32 v12, v13, v12, v6
.LBB2_1840:
	s_or_b64 exec, exec, s[6:7]
	s_nop 0
	v_mfma_f32_16x16x4f32 a[0:3], v2, v12, a[0:3]
	s_movk_i32 s4, 0xff
	v_and_b32_sdwa v6, v7, s4 dst_sel:DWORD dst_unused:UNUSED_PAD src0_sel:WORD_1 src1_sel:DWORD
	s_movk_i32 s4, 0x7f
	v_cmp_lt_i16_e32 vcc, s4, v6
	s_mov_b64 s[4:5], 0
                                        ; implicit-def: $sgpr10
	s_and_saveexec_b64 s[6:7], vcc
	s_xor_b64 s[6:7], exec, s[6:7]
	s_cbranch_execnz .LBB2_3889
; %bb.1841:
	s_or_saveexec_b64 s[6:7], s[6:7]
	v_mov_b32_e32 v2, s10
	s_xor_b64 exec, exec, s[6:7]
	s_cbranch_execnz .LBB2_3892
.LBB2_1842:
	s_or_b64 exec, exec, s[6:7]
	s_and_saveexec_b64 s[6:7], s[4:5]
	s_cbranch_execz .LBB2_1844
.LBB2_1843:
	v_bfe_u32 v2, v7, 16, 3
	v_ffbh_u32_e32 v13, v2
	v_min_u32_e32 v13, 32, v13
	v_lshrrev_b32_e32 v6, 19, v7
	v_subrev_u32_e32 v14, 28, v13
	v_and_b32_e32 v6, 15, v6
	v_lshlrev_b32_sdwa v14, v14, v7 dst_sel:DWORD dst_unused:UNUSED_PAD src0_sel:DWORD src1_sel:WORD_1
	v_bfe_u32 v12, v7, 19, 4
	v_sub_u32_e32 v13, 29, v13
	v_and_b32_e32 v14, 7, v14
	v_cmp_eq_u16_e32 vcc, 0, v6
	v_cndmask_b32_e32 v2, v2, v14, vcc
	v_cndmask_b32_e32 v6, v12, v13, vcc
	v_lshlrev_b32_e32 v12, 8, v7
	v_mov_b32_e32 v13, 0x3b800000
	v_lshlrev_b32_e32 v2, 20, v2
	v_and_b32_e32 v12, 0x80000000, v12
	v_lshl_add_u32 v6, v6, 23, v13
	v_or3_b32 v2, v12, v6, v2
.LBB2_1844:
	s_or_b64 exec, exec, s[6:7]
	s_movk_i32 s4, 0xff
	v_and_b32_sdwa v6, v3, s4 dst_sel:DWORD dst_unused:UNUSED_PAD src0_sel:WORD_1 src1_sel:DWORD
	s_movk_i32 s4, 0x7f
	v_cmp_lt_i16_e32 vcc, s4, v6
	s_mov_b64 s[4:5], 0
                                        ; implicit-def: $sgpr10
	s_and_saveexec_b64 s[6:7], vcc
	s_xor_b64 s[6:7], exec, s[6:7]
	s_cbranch_execnz .LBB2_3893
; %bb.1845:
	s_or_saveexec_b64 s[6:7], s[6:7]
	v_mov_b32_e32 v12, s10
	s_xor_b64 exec, exec, s[6:7]
	s_cbranch_execnz .LBB2_3896
.LBB2_1846:
	s_or_b64 exec, exec, s[6:7]
	s_and_saveexec_b64 s[6:7], s[4:5]
	s_cbranch_execz .LBB2_1848
.LBB2_1847:
	v_bfe_u32 v6, v3, 16, 3
	v_ffbh_u32_e32 v14, v6
	v_min_u32_e32 v14, 32, v14
	v_lshrrev_b32_e32 v12, 19, v3
	v_subrev_u32_e32 v15, 28, v14
	v_and_b32_e32 v12, 15, v12
	v_lshlrev_b32_sdwa v15, v15, v3 dst_sel:DWORD dst_unused:UNUSED_PAD src0_sel:DWORD src1_sel:WORD_1
	v_bfe_u32 v13, v3, 19, 4
	v_sub_u32_e32 v14, 29, v14
	v_and_b32_e32 v15, 7, v15
	v_cmp_eq_u16_e32 vcc, 0, v12
	v_cndmask_b32_e32 v6, v6, v15, vcc
	v_cndmask_b32_e32 v12, v13, v14, vcc
	v_lshlrev_b32_e32 v13, 8, v3
	v_mov_b32_e32 v14, 0x3b800000
	v_lshlrev_b32_e32 v6, 20, v6
	v_and_b32_e32 v13, 0x80000000, v13
	v_lshl_add_u32 v12, v12, 23, v14
	v_or3_b32 v12, v13, v12, v6
.LBB2_1848:
	s_or_b64 exec, exec, s[6:7]
	s_nop 0
	v_mfma_f32_16x16x4f32 a[0:3], v2, v12, a[0:3]
	s_movk_i32 s4, 0x7f
	v_cmp_gt_i16_sdwa s[6:7], v7, s4 src0_sel:BYTE_3 src1_sel:DWORD
	s_mov_b64 s[4:5], 0
                                        ; implicit-def: $sgpr10
	s_and_saveexec_b64 s[8:9], s[6:7]
	s_xor_b64 s[6:7], exec, s[8:9]
	s_cbranch_execnz .LBB2_3897
; %bb.1849:
	s_or_saveexec_b64 s[6:7], s[6:7]
	v_mov_b32_e32 v2, s10
	s_xor_b64 exec, exec, s[6:7]
	s_cbranch_execnz .LBB2_3900
.LBB2_1850:
	s_or_b64 exec, exec, s[6:7]
	s_and_saveexec_b64 s[6:7], s[4:5]
	s_cbranch_execz .LBB2_1852
.LBB2_1851:
	v_bfe_u32 v2, v7, 24, 3
	v_ffbh_u32_e32 v14, v2
	v_min_u32_e32 v14, 32, v14
	v_lshrrev_b32_e32 v12, 27, v7
	v_subrev_u32_e32 v15, 28, v14
	v_and_b32_e32 v6, 0x80000000, v7
	v_and_b32_e32 v12, 15, v12
	v_bfe_u32 v13, v7, 27, 4
	v_lshlrev_b32_sdwa v7, v15, v7 dst_sel:DWORD dst_unused:UNUSED_PAD src0_sel:DWORD src1_sel:BYTE_3
	v_sub_u32_e32 v14, 29, v14
	v_and_b32_e32 v7, 7, v7
	v_cmp_eq_u16_e32 vcc, 0, v12
	v_cndmask_b32_e32 v2, v2, v7, vcc
	v_cndmask_b32_e32 v7, v13, v14, vcc
	v_mov_b32_e32 v12, 0x3b800000
	v_lshlrev_b32_e32 v2, 20, v2
	v_lshl_add_u32 v7, v7, 23, v12
	v_or3_b32 v2, v6, v7, v2
.LBB2_1852:
	s_or_b64 exec, exec, s[6:7]
	s_movk_i32 s4, 0x7f
	v_cmp_gt_i16_sdwa s[6:7], v3, s4 src0_sel:BYTE_3 src1_sel:DWORD
	s_mov_b64 s[4:5], 0
                                        ; implicit-def: $sgpr10
	s_and_saveexec_b64 s[8:9], s[6:7]
	s_xor_b64 s[6:7], exec, s[8:9]
	s_cbranch_execnz .LBB2_3901
; %bb.1853:
	s_or_saveexec_b64 s[6:7], s[6:7]
	v_mov_b32_e32 v6, s10
	s_xor_b64 exec, exec, s[6:7]
	s_cbranch_execnz .LBB2_3904
.LBB2_1854:
	s_or_b64 exec, exec, s[6:7]
	s_and_saveexec_b64 s[6:7], s[4:5]
	s_cbranch_execz .LBB2_1856
.LBB2_1855:
	v_bfe_u32 v6, v3, 24, 3
	v_ffbh_u32_e32 v14, v6
	v_min_u32_e32 v14, 32, v14
	v_lshrrev_b32_e32 v12, 27, v3
	v_subrev_u32_e32 v15, 28, v14
	v_and_b32_e32 v7, 0x80000000, v3
	v_and_b32_e32 v12, 15, v12
	v_bfe_u32 v13, v3, 27, 4
	v_lshlrev_b32_sdwa v3, v15, v3 dst_sel:DWORD dst_unused:UNUSED_PAD src0_sel:DWORD src1_sel:BYTE_3
	v_sub_u32_e32 v14, 29, v14
	v_and_b32_e32 v3, 7, v3
	v_cmp_eq_u16_e32 vcc, 0, v12
	v_cndmask_b32_e32 v3, v6, v3, vcc
	v_cndmask_b32_e32 v6, v13, v14, vcc
	v_mov_b32_e32 v12, 0x3b800000
	v_lshlrev_b32_e32 v3, 20, v3
	v_lshl_add_u32 v6, v6, 23, v12
	v_or3_b32 v6, v7, v6, v3
.LBB2_1856:
	s_or_b64 exec, exec, s[6:7]
	s_nop 0
	v_mfma_f32_16x16x4f32 a[0:3], v2, v6, a[0:3]
	s_movk_i32 s4, 0x7f
	v_cmp_gt_i16_sdwa s[6:7], v8, s4 src0_sel:BYTE_0 src1_sel:DWORD
	s_mov_b64 s[4:5], 0
                                        ; implicit-def: $sgpr10
	s_and_saveexec_b64 s[8:9], s[6:7]
	s_xor_b64 s[6:7], exec, s[8:9]
	s_cbranch_execnz .LBB2_3905
; %bb.1857:
	s_or_saveexec_b64 s[6:7], s[6:7]
	v_mov_b32_e32 v2, s10
	s_xor_b64 exec, exec, s[6:7]
	s_cbranch_execnz .LBB2_3908
.LBB2_1858:
	s_or_b64 exec, exec, s[6:7]
	s_and_saveexec_b64 s[6:7], s[4:5]
	s_cbranch_execz .LBB2_1860
.LBB2_1859:
	v_and_b32_e32 v2, 7, v8
	v_ffbh_u32_e32 v6, v2
	v_min_u32_e32 v6, 32, v6
	v_lshrrev_b16_e32 v3, 3, v8
	v_subrev_u32_e32 v7, 28, v6
	v_and_b32_e32 v3, 15, v3
	v_lshlrev_b32_e32 v7, v7, v8
	v_sub_u32_e32 v6, 29, v6
	v_and_b32_e32 v7, 7, v7
	v_cmp_eq_u16_e32 vcc, 0, v3
	v_cndmask_b32_e32 v2, v2, v7, vcc
	v_cndmask_b32_e32 v3, v3, v6, vcc
	v_lshlrev_b32_e32 v6, 24, v8
	v_mov_b32_e32 v7, 0x3b800000
	v_lshlrev_b32_e32 v2, 20, v2
	v_and_b32_e32 v6, 0x80000000, v6
	v_lshl_add_u32 v3, v3, 23, v7
	v_or3_b32 v2, v6, v3, v2
.LBB2_1860:
	s_or_b64 exec, exec, s[6:7]
	s_movk_i32 s4, 0x7f
	v_cmp_gt_i16_sdwa s[6:7], v4, s4 src0_sel:BYTE_0 src1_sel:DWORD
	s_mov_b64 s[4:5], 0
                                        ; implicit-def: $sgpr10
	s_and_saveexec_b64 s[8:9], s[6:7]
	s_xor_b64 s[6:7], exec, s[8:9]
	s_cbranch_execnz .LBB2_3909
; %bb.1861:
	s_or_saveexec_b64 s[6:7], s[6:7]
	v_mov_b32_e32 v3, s10
	s_xor_b64 exec, exec, s[6:7]
	s_cbranch_execnz .LBB2_3912
.LBB2_1862:
	s_or_b64 exec, exec, s[6:7]
	s_and_saveexec_b64 s[6:7], s[4:5]
	s_cbranch_execz .LBB2_1864
.LBB2_1863:
	v_and_b32_e32 v3, 7, v4
	v_ffbh_u32_e32 v7, v3
	v_min_u32_e32 v7, 32, v7
	v_lshrrev_b16_e32 v6, 3, v4
	v_subrev_u32_e32 v12, 28, v7
	v_and_b32_e32 v6, 15, v6
	v_lshlrev_b32_e32 v12, v12, v4
	v_sub_u32_e32 v7, 29, v7
	v_and_b32_e32 v12, 7, v12
	v_cmp_eq_u16_e32 vcc, 0, v6
	v_cndmask_b32_e32 v3, v3, v12, vcc
	v_cndmask_b32_e32 v6, v6, v7, vcc
	v_lshlrev_b32_e32 v7, 24, v4
	v_mov_b32_e32 v12, 0x3b800000
	v_lshlrev_b32_e32 v3, 20, v3
	v_and_b32_e32 v7, 0x80000000, v7
	v_lshl_add_u32 v6, v6, 23, v12
	v_or3_b32 v3, v7, v6, v3
.LBB2_1864:
	s_or_b64 exec, exec, s[6:7]
	s_nop 0
	v_mfma_f32_16x16x4f32 a[0:3], v2, v3, a[0:3]
	v_lshrrev_b32_e32 v3, 8, v8
	s_movk_i32 s4, 0x7f
	v_cmp_gt_i16_sdwa s[6:7], v3, s4 src0_sel:BYTE_0 src1_sel:DWORD
	s_mov_b64 s[4:5], 0
                                        ; implicit-def: $sgpr10
	s_and_saveexec_b64 s[8:9], s[6:7]
	s_xor_b64 s[6:7], exec, s[8:9]
	s_cbranch_execnz .LBB2_3913
; %bb.1865:
	s_or_saveexec_b64 s[6:7], s[6:7]
	v_mov_b32_e32 v2, s10
	s_xor_b64 exec, exec, s[6:7]
	s_cbranch_execnz .LBB2_3916
.LBB2_1866:
	s_or_b64 exec, exec, s[6:7]
	s_and_saveexec_b64 s[6:7], s[4:5]
	s_cbranch_execz .LBB2_1868
.LBB2_1867:
	v_bfe_u32 v2, v8, 8, 3
	v_ffbh_u32_e32 v7, v2
	v_min_u32_e32 v7, 32, v7
	v_lshrrev_b16_e32 v6, 3, v3
	v_subrev_u32_e32 v12, 28, v7
	v_and_b32_e32 v6, 15, v6
	v_lshlrev_b32_e32 v3, v12, v3
	v_sub_u32_e32 v7, 29, v7
	v_and_b32_e32 v3, 7, v3
	v_cmp_eq_u16_e32 vcc, 0, v6
	v_cndmask_b32_e32 v2, v2, v3, vcc
	v_cndmask_b32_e32 v3, v6, v7, vcc
	v_lshlrev_b32_e32 v6, 16, v8
	v_mov_b32_e32 v7, 0x3b800000
	v_lshlrev_b32_e32 v2, 20, v2
	v_and_b32_e32 v6, 0x80000000, v6
	v_lshl_add_u32 v3, v3, 23, v7
	v_or3_b32 v2, v6, v3, v2
.LBB2_1868:
	s_or_b64 exec, exec, s[6:7]
	v_lshrrev_b32_e32 v3, 8, v4
	s_movk_i32 s4, 0x7f
	v_cmp_gt_i16_sdwa s[6:7], v3, s4 src0_sel:BYTE_0 src1_sel:DWORD
	s_mov_b64 s[4:5], 0
                                        ; implicit-def: $sgpr10
	s_and_saveexec_b64 s[8:9], s[6:7]
	s_xor_b64 s[6:7], exec, s[8:9]
	s_cbranch_execnz .LBB2_3917
; %bb.1869:
	s_or_saveexec_b64 s[6:7], s[6:7]
	v_mov_b32_e32 v6, s10
	s_xor_b64 exec, exec, s[6:7]
	s_cbranch_execnz .LBB2_3920
.LBB2_1870:
	s_or_b64 exec, exec, s[6:7]
	s_and_saveexec_b64 s[6:7], s[4:5]
	s_cbranch_execz .LBB2_1872
.LBB2_1871:
	v_bfe_u32 v6, v4, 8, 3
	v_ffbh_u32_e32 v12, v6
	v_min_u32_e32 v12, 32, v12
	v_lshrrev_b16_e32 v7, 3, v3
	v_subrev_u32_e32 v13, 28, v12
	v_and_b32_e32 v7, 15, v7
	v_lshlrev_b32_e32 v3, v13, v3
	v_sub_u32_e32 v12, 29, v12
	v_and_b32_e32 v3, 7, v3
	v_cmp_eq_u16_e32 vcc, 0, v7
	v_cndmask_b32_e32 v3, v6, v3, vcc
	v_cndmask_b32_e32 v6, v7, v12, vcc
	v_lshlrev_b32_e32 v7, 16, v4
	v_mov_b32_e32 v12, 0x3b800000
	v_lshlrev_b32_e32 v3, 20, v3
	v_and_b32_e32 v7, 0x80000000, v7
	v_lshl_add_u32 v6, v6, 23, v12
	v_or3_b32 v6, v7, v6, v3
.LBB2_1872:
	s_or_b64 exec, exec, s[6:7]
	s_nop 0
	v_mfma_f32_16x16x4f32 a[0:3], v2, v6, a[0:3]
	s_movk_i32 s4, 0xff
	v_and_b32_sdwa v3, v8, s4 dst_sel:DWORD dst_unused:UNUSED_PAD src0_sel:WORD_1 src1_sel:DWORD
	s_movk_i32 s4, 0x7f
	v_cmp_lt_i16_e32 vcc, s4, v3
	s_mov_b64 s[4:5], 0
                                        ; implicit-def: $sgpr10
	s_and_saveexec_b64 s[6:7], vcc
	s_xor_b64 s[6:7], exec, s[6:7]
	s_cbranch_execnz .LBB2_3921
; %bb.1873:
	s_or_saveexec_b64 s[6:7], s[6:7]
	v_mov_b32_e32 v2, s10
	s_xor_b64 exec, exec, s[6:7]
	s_cbranch_execnz .LBB2_3924
.LBB2_1874:
	s_or_b64 exec, exec, s[6:7]
	s_and_saveexec_b64 s[6:7], s[4:5]
	s_cbranch_execz .LBB2_1876
.LBB2_1875:
	v_bfe_u32 v2, v8, 16, 3
	v_ffbh_u32_e32 v7, v2
	v_min_u32_e32 v7, 32, v7
	v_lshrrev_b32_e32 v3, 19, v8
	v_subrev_u32_e32 v12, 28, v7
	v_and_b32_e32 v3, 15, v3
	v_lshlrev_b32_sdwa v12, v12, v8 dst_sel:DWORD dst_unused:UNUSED_PAD src0_sel:DWORD src1_sel:WORD_1
	v_bfe_u32 v6, v8, 19, 4
	v_sub_u32_e32 v7, 29, v7
	v_and_b32_e32 v12, 7, v12
	v_cmp_eq_u16_e32 vcc, 0, v3
	v_cndmask_b32_e32 v2, v2, v12, vcc
	v_cndmask_b32_e32 v3, v6, v7, vcc
	v_lshlrev_b32_e32 v6, 8, v8
	v_mov_b32_e32 v7, 0x3b800000
	v_lshlrev_b32_e32 v2, 20, v2
	v_and_b32_e32 v6, 0x80000000, v6
	v_lshl_add_u32 v3, v3, 23, v7
	v_or3_b32 v2, v6, v3, v2
.LBB2_1876:
	s_or_b64 exec, exec, s[6:7]
	s_movk_i32 s4, 0xff
	v_and_b32_sdwa v3, v4, s4 dst_sel:DWORD dst_unused:UNUSED_PAD src0_sel:WORD_1 src1_sel:DWORD
	s_movk_i32 s4, 0x7f
	v_cmp_lt_i16_e32 vcc, s4, v3
	s_mov_b64 s[4:5], 0
                                        ; implicit-def: $sgpr10
	s_and_saveexec_b64 s[6:7], vcc
	s_xor_b64 s[6:7], exec, s[6:7]
	s_cbranch_execnz .LBB2_3925
; %bb.1877:
	s_or_saveexec_b64 s[6:7], s[6:7]
	v_mov_b32_e32 v6, s10
	s_xor_b64 exec, exec, s[6:7]
	s_cbranch_execnz .LBB2_3928
.LBB2_1878:
	s_or_b64 exec, exec, s[6:7]
	s_and_saveexec_b64 s[6:7], s[4:5]
	s_cbranch_execz .LBB2_1880
.LBB2_1879:
	v_bfe_u32 v3, v4, 16, 3
	v_ffbh_u32_e32 v12, v3
	v_min_u32_e32 v12, 32, v12
	v_lshrrev_b32_e32 v6, 19, v4
	v_subrev_u32_e32 v13, 28, v12
	v_and_b32_e32 v6, 15, v6
	v_lshlrev_b32_sdwa v13, v13, v4 dst_sel:DWORD dst_unused:UNUSED_PAD src0_sel:DWORD src1_sel:WORD_1
	v_bfe_u32 v7, v4, 19, 4
	v_sub_u32_e32 v12, 29, v12
	v_and_b32_e32 v13, 7, v13
	v_cmp_eq_u16_e32 vcc, 0, v6
	v_cndmask_b32_e32 v3, v3, v13, vcc
	v_cndmask_b32_e32 v6, v7, v12, vcc
	v_lshlrev_b32_e32 v7, 8, v4
	v_mov_b32_e32 v12, 0x3b800000
	v_lshlrev_b32_e32 v3, 20, v3
	v_and_b32_e32 v7, 0x80000000, v7
	v_lshl_add_u32 v6, v6, 23, v12
	v_or3_b32 v6, v7, v6, v3
.LBB2_1880:
	s_or_b64 exec, exec, s[6:7]
	s_nop 0
	v_mfma_f32_16x16x4f32 a[0:3], v2, v6, a[0:3]
	s_movk_i32 s4, 0x7f
	v_cmp_gt_i16_sdwa s[6:7], v8, s4 src0_sel:BYTE_3 src1_sel:DWORD
	s_mov_b64 s[4:5], 0
                                        ; implicit-def: $sgpr10
	s_and_saveexec_b64 s[8:9], s[6:7]
	s_xor_b64 s[6:7], exec, s[8:9]
	s_cbranch_execnz .LBB2_3929
; %bb.1881:
	s_or_saveexec_b64 s[6:7], s[6:7]
	v_mov_b32_e32 v2, s10
	s_xor_b64 exec, exec, s[6:7]
	s_cbranch_execnz .LBB2_3932
.LBB2_1882:
	s_or_b64 exec, exec, s[6:7]
	s_and_saveexec_b64 s[6:7], s[4:5]
	s_cbranch_execz .LBB2_1884
.LBB2_1883:
	v_bfe_u32 v2, v8, 24, 3
	v_ffbh_u32_e32 v12, v2
	v_min_u32_e32 v12, 32, v12
	v_lshrrev_b32_e32 v6, 27, v8
	v_subrev_u32_e32 v13, 28, v12
	v_and_b32_e32 v3, 0x80000000, v8
	v_and_b32_e32 v6, 15, v6
	v_bfe_u32 v7, v8, 27, 4
	v_lshlrev_b32_sdwa v8, v13, v8 dst_sel:DWORD dst_unused:UNUSED_PAD src0_sel:DWORD src1_sel:BYTE_3
	v_sub_u32_e32 v12, 29, v12
	v_and_b32_e32 v8, 7, v8
	v_cmp_eq_u16_e32 vcc, 0, v6
	v_cndmask_b32_e32 v2, v2, v8, vcc
	v_cndmask_b32_e32 v6, v7, v12, vcc
	v_mov_b32_e32 v7, 0x3b800000
	v_lshlrev_b32_e32 v2, 20, v2
	v_lshl_add_u32 v6, v6, 23, v7
	v_or3_b32 v2, v3, v6, v2
.LBB2_1884:
	s_or_b64 exec, exec, s[6:7]
	s_movk_i32 s4, 0x7f
	v_cmp_gt_i16_sdwa s[6:7], v4, s4 src0_sel:BYTE_3 src1_sel:DWORD
	s_mov_b64 s[4:5], 0
                                        ; implicit-def: $sgpr10
	s_and_saveexec_b64 s[8:9], s[6:7]
	s_xor_b64 s[6:7], exec, s[8:9]
	s_cbranch_execnz .LBB2_3933
; %bb.1885:
	s_or_saveexec_b64 s[6:7], s[6:7]
	v_mov_b32_e32 v3, s10
	s_xor_b64 exec, exec, s[6:7]
	s_cbranch_execnz .LBB2_3936
.LBB2_1886:
	s_or_b64 exec, exec, s[6:7]
	s_and_saveexec_b64 s[6:7], s[4:5]
	s_cbranch_execz .LBB2_1888
.LBB2_1887:
	v_bfe_u32 v3, v4, 24, 3
	v_ffbh_u32_e32 v12, v3
	v_min_u32_e32 v12, 32, v12
	v_lshrrev_b32_e32 v7, 27, v4
	v_subrev_u32_e32 v13, 28, v12
	v_and_b32_e32 v6, 0x80000000, v4
	v_and_b32_e32 v7, 15, v7
	v_bfe_u32 v8, v4, 27, 4
	v_lshlrev_b32_sdwa v4, v13, v4 dst_sel:DWORD dst_unused:UNUSED_PAD src0_sel:DWORD src1_sel:BYTE_3
	v_sub_u32_e32 v12, 29, v12
	v_and_b32_e32 v4, 7, v4
	v_cmp_eq_u16_e32 vcc, 0, v7
	v_cndmask_b32_e32 v3, v3, v4, vcc
	v_cndmask_b32_e32 v4, v8, v12, vcc
	v_mov_b32_e32 v7, 0x3b800000
	v_lshlrev_b32_e32 v3, 20, v3
	v_lshl_add_u32 v4, v4, 23, v7
	v_or3_b32 v3, v6, v4, v3
.LBB2_1888:
	s_or_b64 exec, exec, s[6:7]
	s_nop 0
	v_mfma_f32_16x16x4f32 a[0:3], v2, v3, a[0:3]
	s_movk_i32 s4, 0x7f
	v_cmp_gt_i16_sdwa s[6:7], v9, s4 src0_sel:BYTE_0 src1_sel:DWORD
	s_mov_b64 s[4:5], 0
                                        ; implicit-def: $sgpr10
	s_and_saveexec_b64 s[8:9], s[6:7]
	s_xor_b64 s[6:7], exec, s[8:9]
	s_cbranch_execnz .LBB2_3937
; %bb.1889:
	s_or_saveexec_b64 s[6:7], s[6:7]
	v_mov_b32_e32 v2, s10
	s_xor_b64 exec, exec, s[6:7]
	s_cbranch_execnz .LBB2_3940
.LBB2_1890:
	s_or_b64 exec, exec, s[6:7]
	s_and_saveexec_b64 s[6:7], s[4:5]
	s_cbranch_execz .LBB2_1892
.LBB2_1891:
	v_mov_b32_e32 v2, 8
	v_and_b32_e32 v3, 7, v9
	v_lshrrev_b32_sdwa v2, v2, v9 dst_sel:BYTE_1 dst_unused:UNUSED_PAD src0_sel:DWORD src1_sel:DWORD
	v_ffbh_u32_e32 v4, v3
	v_or_b32_sdwa v2, v9, v2 dst_sel:DWORD dst_unused:UNUSED_PAD src0_sel:BYTE_0 src1_sel:DWORD
	v_min_u32_e32 v4, 32, v4
	v_lshrrev_b16_e32 v2, 3, v2
	v_subrev_u32_e32 v6, 28, v4
	v_and_b32_e32 v2, 15, v2
	v_lshlrev_b32_e32 v6, v6, v9
	v_sub_u32_e32 v4, 29, v4
	v_and_b32_e32 v6, 7, v6
	v_cmp_eq_u16_e32 vcc, 0, v2
	v_cndmask_b32_e32 v3, v3, v6, vcc
	v_cndmask_b32_e32 v2, v2, v4, vcc
	v_lshlrev_b32_e32 v4, 24, v9
	v_mov_b32_e32 v6, 0x3b800000
	v_lshlrev_b32_e32 v3, 20, v3
	v_and_b32_e32 v4, 0x80000000, v4
	v_lshl_add_u32 v2, v2, 23, v6
	v_or3_b32 v2, v4, v2, v3
.LBB2_1892:
	s_or_b64 exec, exec, s[6:7]
	s_movk_i32 s4, 0x7f
	v_cmp_gt_i16_sdwa s[6:7], v5, s4 src0_sel:BYTE_0 src1_sel:DWORD
	s_mov_b64 s[4:5], 0
                                        ; implicit-def: $sgpr10
	s_and_saveexec_b64 s[8:9], s[6:7]
	s_xor_b64 s[6:7], exec, s[8:9]
	s_cbranch_execnz .LBB2_3941
; %bb.1893:
	s_or_saveexec_b64 s[6:7], s[6:7]
	v_mov_b32_e32 v3, s10
	s_xor_b64 exec, exec, s[6:7]
	s_cbranch_execnz .LBB2_3944
.LBB2_1894:
	s_or_b64 exec, exec, s[6:7]
	s_and_saveexec_b64 s[6:7], s[4:5]
	s_cbranch_execz .LBB2_1896
.LBB2_1895:
	v_mov_b32_e32 v3, 8
	v_and_b32_e32 v4, 7, v5
	v_lshrrev_b32_sdwa v3, v3, v5 dst_sel:BYTE_1 dst_unused:UNUSED_PAD src0_sel:DWORD src1_sel:DWORD
	v_ffbh_u32_e32 v6, v4
	v_or_b32_sdwa v3, v5, v3 dst_sel:DWORD dst_unused:UNUSED_PAD src0_sel:BYTE_0 src1_sel:DWORD
	v_min_u32_e32 v6, 32, v6
	v_lshrrev_b16_e32 v3, 3, v3
	v_subrev_u32_e32 v7, 28, v6
	v_and_b32_e32 v3, 15, v3
	v_lshlrev_b32_e32 v7, v7, v5
	v_sub_u32_e32 v6, 29, v6
	v_and_b32_e32 v7, 7, v7
	v_cmp_eq_u16_e32 vcc, 0, v3
	v_cndmask_b32_e32 v4, v4, v7, vcc
	v_cndmask_b32_e32 v3, v3, v6, vcc
	v_lshlrev_b32_e32 v6, 24, v5
	v_mov_b32_e32 v7, 0x3b800000
	v_lshlrev_b32_e32 v4, 20, v4
	v_and_b32_e32 v6, 0x80000000, v6
	v_lshl_add_u32 v3, v3, 23, v7
	v_or3_b32 v3, v6, v3, v4
.LBB2_1896:
	s_or_b64 exec, exec, s[6:7]
	s_nop 0
	v_mfma_f32_16x16x4f32 a[0:3], v2, v3, a[0:3]
	v_lshrrev_b32_e32 v3, 8, v9
	s_movk_i32 s4, 0x7f
	v_cmp_gt_i16_sdwa s[6:7], v3, s4 src0_sel:BYTE_0 src1_sel:DWORD
	s_mov_b64 s[4:5], 0
                                        ; implicit-def: $sgpr10
	s_and_saveexec_b64 s[8:9], s[6:7]
	s_xor_b64 s[6:7], exec, s[8:9]
	s_cbranch_execnz .LBB2_3945
; %bb.1897:
	s_or_saveexec_b64 s[6:7], s[6:7]
	v_mov_b32_e32 v2, s10
	s_xor_b64 exec, exec, s[6:7]
	s_cbranch_execnz .LBB2_3948
.LBB2_1898:
	s_or_b64 exec, exec, s[6:7]
	s_and_saveexec_b64 s[6:7], s[4:5]
	s_cbranch_execz .LBB2_1900
.LBB2_1899:
	v_bfe_u32 v2, v9, 8, 3
	v_ffbh_u32_e32 v6, v2
	v_min_u32_e32 v6, 32, v6
	v_lshrrev_b16_e32 v4, 3, v3
	v_subrev_u32_e32 v7, 28, v6
	v_and_b32_e32 v4, 15, v4
	v_lshlrev_b32_e32 v3, v7, v3
	v_sub_u32_e32 v6, 29, v6
	v_and_b32_e32 v3, 7, v3
	v_cmp_eq_u16_e32 vcc, 0, v4
	v_cndmask_b32_e32 v2, v2, v3, vcc
	v_cndmask_b32_e32 v3, v4, v6, vcc
	v_lshlrev_b32_e32 v4, 16, v9
	v_mov_b32_e32 v6, 0x3b800000
	v_lshlrev_b32_e32 v2, 20, v2
	v_and_b32_e32 v4, 0x80000000, v4
	v_lshl_add_u32 v3, v3, 23, v6
	v_or3_b32 v2, v4, v3, v2
.LBB2_1900:
	s_or_b64 exec, exec, s[6:7]
	v_lshrrev_b32_e32 v3, 8, v5
	s_movk_i32 s4, 0x7f
	v_cmp_gt_i16_sdwa s[6:7], v3, s4 src0_sel:BYTE_0 src1_sel:DWORD
	s_mov_b64 s[4:5], 0
                                        ; implicit-def: $sgpr10
	s_and_saveexec_b64 s[8:9], s[6:7]
	s_xor_b64 s[6:7], exec, s[8:9]
	s_cbranch_execnz .LBB2_3949
; %bb.1901:
	s_or_saveexec_b64 s[6:7], s[6:7]
	v_mov_b32_e32 v4, s10
	s_xor_b64 exec, exec, s[6:7]
	s_cbranch_execnz .LBB2_3952
.LBB2_1902:
	s_or_b64 exec, exec, s[6:7]
	s_and_saveexec_b64 s[6:7], s[4:5]
	s_cbranch_execz .LBB2_1904
.LBB2_1903:
	v_bfe_u32 v4, v5, 8, 3
	v_ffbh_u32_e32 v7, v4
	v_min_u32_e32 v7, 32, v7
	v_lshrrev_b16_e32 v6, 3, v3
	v_subrev_u32_e32 v8, 28, v7
	v_and_b32_e32 v6, 15, v6
	v_lshlrev_b32_e32 v3, v8, v3
	v_sub_u32_e32 v7, 29, v7
	v_and_b32_e32 v3, 7, v3
	v_cmp_eq_u16_e32 vcc, 0, v6
	v_cndmask_b32_e32 v3, v4, v3, vcc
	v_cndmask_b32_e32 v4, v6, v7, vcc
	v_lshlrev_b32_e32 v6, 16, v5
	v_mov_b32_e32 v7, 0x3b800000
	v_lshlrev_b32_e32 v3, 20, v3
	v_and_b32_e32 v6, 0x80000000, v6
	v_lshl_add_u32 v4, v4, 23, v7
	v_or3_b32 v4, v6, v4, v3
.LBB2_1904:
	s_or_b64 exec, exec, s[6:7]
	s_nop 0
	v_mfma_f32_16x16x4f32 a[0:3], v2, v4, a[0:3]
	s_movk_i32 s4, 0xff
	v_and_b32_sdwa v3, v9, s4 dst_sel:DWORD dst_unused:UNUSED_PAD src0_sel:WORD_1 src1_sel:DWORD
	s_movk_i32 s4, 0x7f
	v_cmp_lt_i16_e32 vcc, s4, v3
	s_mov_b64 s[4:5], 0
                                        ; implicit-def: $sgpr10
	s_and_saveexec_b64 s[6:7], vcc
	s_xor_b64 s[6:7], exec, s[6:7]
	s_cbranch_execnz .LBB2_3953
; %bb.1905:
	s_or_saveexec_b64 s[6:7], s[6:7]
	v_mov_b32_e32 v2, s10
	s_xor_b64 exec, exec, s[6:7]
	s_cbranch_execnz .LBB2_3956
.LBB2_1906:
	s_or_b64 exec, exec, s[6:7]
	s_and_saveexec_b64 s[6:7], s[4:5]
	s_cbranch_execz .LBB2_1908
.LBB2_1907:
	v_bfe_u32 v2, v9, 16, 3
	v_ffbh_u32_e32 v6, v2
	v_min_u32_e32 v6, 32, v6
	v_lshrrev_b32_e32 v3, 19, v9
	v_subrev_u32_e32 v7, 28, v6
	v_and_b32_e32 v3, 15, v3
	v_lshlrev_b32_sdwa v7, v7, v9 dst_sel:DWORD dst_unused:UNUSED_PAD src0_sel:DWORD src1_sel:WORD_1
	v_bfe_u32 v4, v9, 19, 4
	v_sub_u32_e32 v6, 29, v6
	v_and_b32_e32 v7, 7, v7
	v_cmp_eq_u16_e32 vcc, 0, v3
	v_cndmask_b32_e32 v2, v2, v7, vcc
	v_cndmask_b32_e32 v3, v4, v6, vcc
	v_lshlrev_b32_e32 v4, 8, v9
	v_mov_b32_e32 v6, 0x3b800000
	v_lshlrev_b32_e32 v2, 20, v2
	v_and_b32_e32 v4, 0x80000000, v4
	v_lshl_add_u32 v3, v3, 23, v6
	v_or3_b32 v2, v4, v3, v2
.LBB2_1908:
	s_or_b64 exec, exec, s[6:7]
	s_movk_i32 s4, 0xff
	v_and_b32_sdwa v3, v5, s4 dst_sel:DWORD dst_unused:UNUSED_PAD src0_sel:WORD_1 src1_sel:DWORD
	s_movk_i32 s4, 0x7f
	v_cmp_lt_i16_e32 vcc, s4, v3
	s_mov_b64 s[4:5], 0
                                        ; implicit-def: $sgpr10
	s_and_saveexec_b64 s[6:7], vcc
	s_xor_b64 s[6:7], exec, s[6:7]
	s_cbranch_execnz .LBB2_3957
; %bb.1909:
	s_or_saveexec_b64 s[6:7], s[6:7]
	v_mov_b32_e32 v4, s10
	s_xor_b64 exec, exec, s[6:7]
	s_cbranch_execnz .LBB2_3960
.LBB2_1910:
	s_or_b64 exec, exec, s[6:7]
	s_and_saveexec_b64 s[6:7], s[4:5]
	s_cbranch_execz .LBB2_1912
.LBB2_1911:
	v_bfe_u32 v3, v5, 16, 3
	v_ffbh_u32_e32 v7, v3
	v_min_u32_e32 v7, 32, v7
	v_lshrrev_b32_e32 v4, 19, v5
	v_subrev_u32_e32 v8, 28, v7
	v_and_b32_e32 v4, 15, v4
	v_lshlrev_b32_sdwa v8, v8, v5 dst_sel:DWORD dst_unused:UNUSED_PAD src0_sel:DWORD src1_sel:WORD_1
	v_bfe_u32 v6, v5, 19, 4
	v_sub_u32_e32 v7, 29, v7
	v_and_b32_e32 v8, 7, v8
	v_cmp_eq_u16_e32 vcc, 0, v4
	v_cndmask_b32_e32 v3, v3, v8, vcc
	v_cndmask_b32_e32 v4, v6, v7, vcc
	v_lshlrev_b32_e32 v6, 8, v5
	v_mov_b32_e32 v7, 0x3b800000
	v_lshlrev_b32_e32 v3, 20, v3
	v_and_b32_e32 v6, 0x80000000, v6
	v_lshl_add_u32 v4, v4, 23, v7
	v_or3_b32 v4, v6, v4, v3
.LBB2_1912:
	s_or_b64 exec, exec, s[6:7]
	s_nop 0
	v_mfma_f32_16x16x4f32 a[0:3], v2, v4, a[0:3]
	s_movk_i32 s4, 0x7f
	v_cmp_gt_i16_sdwa s[6:7], v9, s4 src0_sel:BYTE_3 src1_sel:DWORD
	s_mov_b64 s[4:5], 0
                                        ; implicit-def: $sgpr10
	s_and_saveexec_b64 s[8:9], s[6:7]
	s_xor_b64 s[6:7], exec, s[8:9]
	s_cbranch_execnz .LBB2_3961
; %bb.1913:
	s_or_saveexec_b64 s[6:7], s[6:7]
	v_mov_b32_e32 v2, s10
	s_xor_b64 exec, exec, s[6:7]
	s_cbranch_execnz .LBB2_3964
.LBB2_1914:
	s_or_b64 exec, exec, s[6:7]
	s_and_saveexec_b64 s[6:7], s[4:5]
	s_cbranch_execz .LBB2_1916
.LBB2_1915:
	v_bfe_u32 v2, v9, 24, 3
	v_ffbh_u32_e32 v7, v2
	v_min_u32_e32 v7, 32, v7
	v_lshrrev_b32_e32 v4, 27, v9
	v_subrev_u32_e32 v8, 28, v7
	v_and_b32_e32 v4, 15, v4
	v_lshlrev_b32_sdwa v8, v8, v9 dst_sel:DWORD dst_unused:UNUSED_PAD src0_sel:DWORD src1_sel:BYTE_3
	v_bfe_u32 v6, v9, 27, 4
	v_sub_u32_e32 v7, 29, v7
	v_and_b32_e32 v8, 7, v8
	v_cmp_eq_u16_e32 vcc, 0, v4
	v_cndmask_b32_e32 v2, v2, v8, vcc
	v_cndmask_b32_e32 v4, v6, v7, vcc
	v_mov_b32_e32 v6, 0x3b800000
	v_and_b32_e32 v3, 0x80000000, v9
	v_lshlrev_b32_e32 v2, 20, v2
	v_lshl_add_u32 v4, v4, 23, v6
	v_or3_b32 v2, v3, v4, v2
.LBB2_1916:
	s_or_b64 exec, exec, s[6:7]
	s_movk_i32 s4, 0x7f
	v_cmp_gt_i16_sdwa s[6:7], v5, s4 src0_sel:BYTE_3 src1_sel:DWORD
	s_mov_b64 s[4:5], 0
                                        ; implicit-def: $sgpr10
	s_and_saveexec_b64 s[8:9], s[6:7]
	s_xor_b64 s[6:7], exec, s[8:9]
	s_cbranch_execnz .LBB2_3965
; %bb.1917:
	s_or_saveexec_b64 s[6:7], s[6:7]
	v_mov_b32_e32 v3, s10
	s_xor_b64 exec, exec, s[6:7]
	s_cbranch_execnz .LBB2_3968
.LBB2_1918:
	s_or_b64 exec, exec, s[6:7]
	s_and_saveexec_b64 s[6:7], s[4:5]
	s_cbranch_execz .LBB2_1920
.LBB2_1919:
	v_bfe_u32 v3, v5, 24, 3
	v_ffbh_u32_e32 v8, v3
	v_min_u32_e32 v8, 32, v8
	v_lshrrev_b32_e32 v6, 27, v5
	v_subrev_u32_e32 v9, 28, v8
	v_and_b32_e32 v4, 0x80000000, v5
	v_and_b32_e32 v6, 15, v6
	v_bfe_u32 v7, v5, 27, 4
	v_lshlrev_b32_sdwa v5, v9, v5 dst_sel:DWORD dst_unused:UNUSED_PAD src0_sel:DWORD src1_sel:BYTE_3
	v_sub_u32_e32 v8, 29, v8
	v_and_b32_e32 v5, 7, v5
	v_cmp_eq_u16_e32 vcc, 0, v6
	v_cndmask_b32_e32 v3, v3, v5, vcc
	v_cndmask_b32_e32 v5, v7, v8, vcc
	v_mov_b32_e32 v6, 0x3b800000
	v_lshlrev_b32_e32 v3, 20, v3
	v_lshl_add_u32 v5, v5, 23, v6
	v_or3_b32 v3, v4, v5, v3
.LBB2_1920:
	s_or_b64 exec, exec, s[6:7]
	s_nop 0
	v_mfma_f32_16x16x4f32 a[0:3], v2, v3, a[0:3]
	s_nop 7
	s_nop 2
	flat_store_dwordx4 v[10:11], a[0:3] offset:224
	flat_load_dwordx4 v[10:13], v[0:1] offset:8
	s_waitcnt vmcnt(0) lgkmcnt(0)
	flat_load_dwordx4 v[6:9], v[10:11] offset:112
	flat_load_dwordx4 v[2:5], v[12:13] offset:112
	; sched_barrier mask(0x00000000)
	s_waitcnt lgkmcnt(0)
	s_barrier
	; sched_barrier mask(0x00000000)
	flat_load_dwordx2 v[0:1], v[0:1] offset:32
	s_movk_i32 s4, 0x7f
	s_waitcnt vmcnt(0)
	v_cmp_gt_i16_sdwa s[6:7], v6, s4 src0_sel:BYTE_0 src1_sel:DWORD
	s_mov_b64 s[4:5], 0
                                        ; implicit-def: $sgpr10
	s_and_saveexec_b64 s[8:9], s[6:7]
	s_xor_b64 s[6:7], exec, s[8:9]
	s_cbranch_execnz .LBB2_3969
; %bb.1921:
	s_or_saveexec_b64 s[6:7], s[6:7]
	v_mov_b32_e32 v10, s10
	s_xor_b64 exec, exec, s[6:7]
	s_cbranch_execnz .LBB2_3972
.LBB2_1922:
	s_or_b64 exec, exec, s[6:7]
	s_and_saveexec_b64 s[6:7], s[4:5]
	s_cbranch_execz .LBB2_1924
.LBB2_1923:
	v_and_b32_e32 v10, 7, v6
	v_ffbh_u32_e32 v12, v10
	v_min_u32_e32 v12, 32, v12
	v_lshrrev_b16_e32 v11, 3, v6
	v_subrev_u32_e32 v13, 28, v12
	v_and_b32_e32 v11, 15, v11
	v_lshlrev_b32_e32 v13, v13, v6
	v_sub_u32_e32 v12, 29, v12
	v_and_b32_e32 v13, 7, v13
	v_cmp_eq_u16_e32 vcc, 0, v11
	v_cndmask_b32_e32 v10, v10, v13, vcc
	v_cndmask_b32_e32 v11, v11, v12, vcc
	v_lshlrev_b32_e32 v12, 24, v6
	v_mov_b32_e32 v13, 0x3b800000
	v_lshlrev_b32_e32 v10, 20, v10
	v_and_b32_e32 v12, 0x80000000, v12
	v_lshl_add_u32 v11, v11, 23, v13
	v_or3_b32 v10, v12, v11, v10
.LBB2_1924:
	s_or_b64 exec, exec, s[6:7]
	s_movk_i32 s4, 0x7f
	v_cmp_gt_i16_sdwa s[6:7], v2, s4 src0_sel:BYTE_0 src1_sel:DWORD
	s_mov_b64 s[4:5], 0
                                        ; implicit-def: $sgpr10
	s_and_saveexec_b64 s[8:9], s[6:7]
	s_xor_b64 s[6:7], exec, s[8:9]
	s_cbranch_execnz .LBB2_3973
; %bb.1925:
	s_or_saveexec_b64 s[6:7], s[6:7]
	v_mov_b32_e32 v11, s10
	s_xor_b64 exec, exec, s[6:7]
	s_cbranch_execnz .LBB2_3976
.LBB2_1926:
	s_or_b64 exec, exec, s[6:7]
	s_and_saveexec_b64 s[6:7], s[4:5]
	s_cbranch_execz .LBB2_1928
.LBB2_1927:
	v_and_b32_e32 v11, 7, v2
	v_ffbh_u32_e32 v13, v11
	v_min_u32_e32 v13, 32, v13
	v_lshrrev_b16_e32 v12, 3, v2
	v_subrev_u32_e32 v14, 28, v13
	v_and_b32_e32 v12, 15, v12
	v_lshlrev_b32_e32 v14, v14, v2
	v_sub_u32_e32 v13, 29, v13
	v_and_b32_e32 v14, 7, v14
	v_cmp_eq_u16_e32 vcc, 0, v12
	v_cndmask_b32_e32 v11, v11, v14, vcc
	v_cndmask_b32_e32 v12, v12, v13, vcc
	v_lshlrev_b32_e32 v13, 24, v2
	v_mov_b32_e32 v14, 0x3b800000
	v_lshlrev_b32_e32 v11, 20, v11
	v_and_b32_e32 v13, 0x80000000, v13
	v_lshl_add_u32 v12, v12, 23, v14
	v_or3_b32 v11, v13, v12, v11
.LBB2_1928:
	s_or_b64 exec, exec, s[6:7]
	s_waitcnt lgkmcnt(0)
	flat_load_dwordx4 a[0:3], v[0:1] offset:240
	s_movk_i32 s4, 0x7f
                                        ; implicit-def: $sgpr10
	s_waitcnt vmcnt(0) lgkmcnt(0)
	v_mfma_f32_16x16x4f32 a[0:3], v10, v11, a[0:3]
	v_lshrrev_b32_e32 v11, 8, v6
	v_cmp_gt_i16_sdwa s[6:7], v11, s4 src0_sel:BYTE_0 src1_sel:DWORD
	s_mov_b64 s[4:5], 0
	s_and_saveexec_b64 s[8:9], s[6:7]
	s_xor_b64 s[6:7], exec, s[8:9]
	s_cbranch_execnz .LBB2_3977
; %bb.1929:
	s_or_saveexec_b64 s[6:7], s[6:7]
	v_mov_b32_e32 v10, s10
	s_xor_b64 exec, exec, s[6:7]
	s_cbranch_execnz .LBB2_3980
.LBB2_1930:
	s_or_b64 exec, exec, s[6:7]
	s_and_saveexec_b64 s[6:7], s[4:5]
	s_cbranch_execz .LBB2_1932
.LBB2_1931:
	v_bfe_u32 v10, v6, 8, 3
	v_ffbh_u32_e32 v13, v10
	v_min_u32_e32 v13, 32, v13
	v_lshrrev_b16_e32 v12, 3, v11
	v_subrev_u32_e32 v14, 28, v13
	v_and_b32_e32 v12, 15, v12
	v_lshlrev_b32_e32 v11, v14, v11
	v_sub_u32_e32 v13, 29, v13
	v_and_b32_e32 v11, 7, v11
	v_cmp_eq_u16_e32 vcc, 0, v12
	v_cndmask_b32_e32 v10, v10, v11, vcc
	v_cndmask_b32_e32 v11, v12, v13, vcc
	v_lshlrev_b32_e32 v12, 16, v6
	v_mov_b32_e32 v13, 0x3b800000
	v_lshlrev_b32_e32 v10, 20, v10
	v_and_b32_e32 v12, 0x80000000, v12
	v_lshl_add_u32 v11, v11, 23, v13
	v_or3_b32 v10, v12, v11, v10
.LBB2_1932:
	s_or_b64 exec, exec, s[6:7]
	v_lshrrev_b32_e32 v11, 8, v2
	s_movk_i32 s4, 0x7f
	v_cmp_gt_i16_sdwa s[6:7], v11, s4 src0_sel:BYTE_0 src1_sel:DWORD
	s_mov_b64 s[4:5], 0
                                        ; implicit-def: $sgpr10
	s_and_saveexec_b64 s[8:9], s[6:7]
	s_xor_b64 s[6:7], exec, s[8:9]
	s_cbranch_execnz .LBB2_3981
; %bb.1933:
	s_or_saveexec_b64 s[6:7], s[6:7]
	v_mov_b32_e32 v12, s10
	s_xor_b64 exec, exec, s[6:7]
	s_cbranch_execnz .LBB2_3984
.LBB2_1934:
	s_or_b64 exec, exec, s[6:7]
	s_and_saveexec_b64 s[6:7], s[4:5]
	s_cbranch_execz .LBB2_1936
.LBB2_1935:
	v_bfe_u32 v12, v2, 8, 3
	v_ffbh_u32_e32 v14, v12
	v_min_u32_e32 v14, 32, v14
	v_lshrrev_b16_e32 v13, 3, v11
	v_subrev_u32_e32 v15, 28, v14
	v_and_b32_e32 v13, 15, v13
	v_lshlrev_b32_e32 v11, v15, v11
	v_sub_u32_e32 v14, 29, v14
	v_and_b32_e32 v11, 7, v11
	v_cmp_eq_u16_e32 vcc, 0, v13
	v_cndmask_b32_e32 v11, v12, v11, vcc
	v_cndmask_b32_e32 v12, v13, v14, vcc
	v_lshlrev_b32_e32 v13, 16, v2
	v_mov_b32_e32 v14, 0x3b800000
	v_lshlrev_b32_e32 v11, 20, v11
	v_and_b32_e32 v13, 0x80000000, v13
	v_lshl_add_u32 v12, v12, 23, v14
	v_or3_b32 v12, v13, v12, v11
.LBB2_1936:
	s_or_b64 exec, exec, s[6:7]
	s_nop 0
	v_mfma_f32_16x16x4f32 a[0:3], v10, v12, a[0:3]
	s_movk_i32 s4, 0xff
	v_and_b32_sdwa v11, v6, s4 dst_sel:DWORD dst_unused:UNUSED_PAD src0_sel:WORD_1 src1_sel:DWORD
	s_movk_i32 s4, 0x7f
	v_cmp_lt_i16_e32 vcc, s4, v11
	s_mov_b64 s[4:5], 0
                                        ; implicit-def: $sgpr10
	s_and_saveexec_b64 s[6:7], vcc
	s_xor_b64 s[6:7], exec, s[6:7]
	s_cbranch_execnz .LBB2_3985
; %bb.1937:
	s_or_saveexec_b64 s[6:7], s[6:7]
	v_mov_b32_e32 v10, s10
	s_xor_b64 exec, exec, s[6:7]
	s_cbranch_execnz .LBB2_3988
.LBB2_1938:
	s_or_b64 exec, exec, s[6:7]
	s_and_saveexec_b64 s[6:7], s[4:5]
	s_cbranch_execz .LBB2_1940
.LBB2_1939:
	v_bfe_u32 v10, v6, 16, 3
	v_ffbh_u32_e32 v13, v10
	v_min_u32_e32 v13, 32, v13
	v_lshrrev_b32_e32 v11, 19, v6
	v_subrev_u32_e32 v14, 28, v13
	v_and_b32_e32 v11, 15, v11
	v_lshlrev_b32_sdwa v14, v14, v6 dst_sel:DWORD dst_unused:UNUSED_PAD src0_sel:DWORD src1_sel:WORD_1
	v_bfe_u32 v12, v6, 19, 4
	v_sub_u32_e32 v13, 29, v13
	v_and_b32_e32 v14, 7, v14
	v_cmp_eq_u16_e32 vcc, 0, v11
	v_cndmask_b32_e32 v10, v10, v14, vcc
	v_cndmask_b32_e32 v11, v12, v13, vcc
	v_lshlrev_b32_e32 v12, 8, v6
	v_mov_b32_e32 v13, 0x3b800000
	v_lshlrev_b32_e32 v10, 20, v10
	v_and_b32_e32 v12, 0x80000000, v12
	v_lshl_add_u32 v11, v11, 23, v13
	v_or3_b32 v10, v12, v11, v10
.LBB2_1940:
	s_or_b64 exec, exec, s[6:7]
	s_movk_i32 s4, 0xff
	v_and_b32_sdwa v11, v2, s4 dst_sel:DWORD dst_unused:UNUSED_PAD src0_sel:WORD_1 src1_sel:DWORD
	s_movk_i32 s4, 0x7f
	v_cmp_lt_i16_e32 vcc, s4, v11
	s_mov_b64 s[4:5], 0
                                        ; implicit-def: $sgpr10
	s_and_saveexec_b64 s[6:7], vcc
	s_xor_b64 s[6:7], exec, s[6:7]
	s_cbranch_execnz .LBB2_3989
; %bb.1941:
	s_or_saveexec_b64 s[6:7], s[6:7]
	v_mov_b32_e32 v12, s10
	s_xor_b64 exec, exec, s[6:7]
	s_cbranch_execnz .LBB2_3992
.LBB2_1942:
	s_or_b64 exec, exec, s[6:7]
	s_and_saveexec_b64 s[6:7], s[4:5]
	s_cbranch_execz .LBB2_1944
.LBB2_1943:
	v_bfe_u32 v11, v2, 16, 3
	v_ffbh_u32_e32 v14, v11
	v_min_u32_e32 v14, 32, v14
	v_lshrrev_b32_e32 v12, 19, v2
	v_subrev_u32_e32 v15, 28, v14
	v_and_b32_e32 v12, 15, v12
	v_lshlrev_b32_sdwa v15, v15, v2 dst_sel:DWORD dst_unused:UNUSED_PAD src0_sel:DWORD src1_sel:WORD_1
	v_bfe_u32 v13, v2, 19, 4
	v_sub_u32_e32 v14, 29, v14
	v_and_b32_e32 v15, 7, v15
	v_cmp_eq_u16_e32 vcc, 0, v12
	v_cndmask_b32_e32 v11, v11, v15, vcc
	v_cndmask_b32_e32 v12, v13, v14, vcc
	v_lshlrev_b32_e32 v13, 8, v2
	v_mov_b32_e32 v14, 0x3b800000
	v_lshlrev_b32_e32 v11, 20, v11
	v_and_b32_e32 v13, 0x80000000, v13
	v_lshl_add_u32 v12, v12, 23, v14
	v_or3_b32 v12, v13, v12, v11
.LBB2_1944:
	s_or_b64 exec, exec, s[6:7]
	s_nop 0
	v_mfma_f32_16x16x4f32 a[0:3], v10, v12, a[0:3]
	s_movk_i32 s4, 0x7f
	v_cmp_gt_i16_sdwa s[6:7], v6, s4 src0_sel:BYTE_3 src1_sel:DWORD
	s_mov_b64 s[4:5], 0
                                        ; implicit-def: $sgpr10
	s_and_saveexec_b64 s[8:9], s[6:7]
	s_xor_b64 s[6:7], exec, s[8:9]
	s_cbranch_execnz .LBB2_3993
; %bb.1945:
	s_or_saveexec_b64 s[6:7], s[6:7]
	v_mov_b32_e32 v10, s10
	s_xor_b64 exec, exec, s[6:7]
	s_cbranch_execnz .LBB2_3996
.LBB2_1946:
	s_or_b64 exec, exec, s[6:7]
	s_and_saveexec_b64 s[6:7], s[4:5]
	s_cbranch_execz .LBB2_1948
.LBB2_1947:
	v_bfe_u32 v10, v6, 24, 3
	v_ffbh_u32_e32 v14, v10
	v_min_u32_e32 v14, 32, v14
	v_lshrrev_b32_e32 v12, 27, v6
	v_subrev_u32_e32 v15, 28, v14
	v_and_b32_e32 v11, 0x80000000, v6
	v_and_b32_e32 v12, 15, v12
	v_bfe_u32 v13, v6, 27, 4
	v_lshlrev_b32_sdwa v6, v15, v6 dst_sel:DWORD dst_unused:UNUSED_PAD src0_sel:DWORD src1_sel:BYTE_3
	v_sub_u32_e32 v14, 29, v14
	v_and_b32_e32 v6, 7, v6
	v_cmp_eq_u16_e32 vcc, 0, v12
	v_cndmask_b32_e32 v6, v10, v6, vcc
	v_cndmask_b32_e32 v10, v13, v14, vcc
	v_mov_b32_e32 v12, 0x3b800000
	v_lshlrev_b32_e32 v6, 20, v6
	v_lshl_add_u32 v10, v10, 23, v12
	v_or3_b32 v10, v11, v10, v6
.LBB2_1948:
	s_or_b64 exec, exec, s[6:7]
	s_movk_i32 s4, 0x7f
	v_cmp_gt_i16_sdwa s[6:7], v2, s4 src0_sel:BYTE_3 src1_sel:DWORD
	s_mov_b64 s[4:5], 0
                                        ; implicit-def: $sgpr10
	s_and_saveexec_b64 s[8:9], s[6:7]
	s_xor_b64 s[6:7], exec, s[8:9]
	s_cbranch_execnz .LBB2_3997
; %bb.1949:
	s_or_saveexec_b64 s[6:7], s[6:7]
	v_mov_b32_e32 v6, s10
	s_xor_b64 exec, exec, s[6:7]
	s_cbranch_execnz .LBB2_4000
.LBB2_1950:
	s_or_b64 exec, exec, s[6:7]
	s_and_saveexec_b64 s[6:7], s[4:5]
	s_cbranch_execz .LBB2_1952
.LBB2_1951:
	v_bfe_u32 v6, v2, 24, 3
	v_ffbh_u32_e32 v14, v6
	v_min_u32_e32 v14, 32, v14
	v_lshrrev_b32_e32 v12, 27, v2
	v_subrev_u32_e32 v15, 28, v14
	v_and_b32_e32 v11, 0x80000000, v2
	v_and_b32_e32 v12, 15, v12
	v_bfe_u32 v13, v2, 27, 4
	v_lshlrev_b32_sdwa v2, v15, v2 dst_sel:DWORD dst_unused:UNUSED_PAD src0_sel:DWORD src1_sel:BYTE_3
	v_sub_u32_e32 v14, 29, v14
	v_and_b32_e32 v2, 7, v2
	v_cmp_eq_u16_e32 vcc, 0, v12
	v_cndmask_b32_e32 v2, v6, v2, vcc
	v_cndmask_b32_e32 v6, v13, v14, vcc
	v_mov_b32_e32 v12, 0x3b800000
	v_lshlrev_b32_e32 v2, 20, v2
	v_lshl_add_u32 v6, v6, 23, v12
	v_or3_b32 v6, v11, v6, v2
.LBB2_1952:
	s_or_b64 exec, exec, s[6:7]
	s_nop 0
	v_mfma_f32_16x16x4f32 a[0:3], v10, v6, a[0:3]
	s_movk_i32 s4, 0x7f
	v_cmp_gt_i16_sdwa s[6:7], v7, s4 src0_sel:BYTE_0 src1_sel:DWORD
	s_mov_b64 s[4:5], 0
                                        ; implicit-def: $sgpr10
	s_and_saveexec_b64 s[8:9], s[6:7]
	s_xor_b64 s[6:7], exec, s[8:9]
	s_cbranch_execnz .LBB2_4001
; %bb.1953:
	s_or_saveexec_b64 s[6:7], s[6:7]
	v_mov_b32_e32 v2, s10
	s_xor_b64 exec, exec, s[6:7]
	s_cbranch_execnz .LBB2_4004
.LBB2_1954:
	s_or_b64 exec, exec, s[6:7]
	s_and_saveexec_b64 s[6:7], s[4:5]
	s_cbranch_execz .LBB2_1956
.LBB2_1955:
	v_and_b32_e32 v2, 7, v7
	v_ffbh_u32_e32 v10, v2
	v_min_u32_e32 v10, 32, v10
	v_lshrrev_b16_e32 v6, 3, v7
	v_subrev_u32_e32 v11, 28, v10
	v_and_b32_e32 v6, 15, v6
	v_lshlrev_b32_e32 v11, v11, v7
	v_sub_u32_e32 v10, 29, v10
	v_and_b32_e32 v11, 7, v11
	v_cmp_eq_u16_e32 vcc, 0, v6
	v_cndmask_b32_e32 v2, v2, v11, vcc
	v_cndmask_b32_e32 v6, v6, v10, vcc
	v_lshlrev_b32_e32 v10, 24, v7
	v_mov_b32_e32 v11, 0x3b800000
	v_lshlrev_b32_e32 v2, 20, v2
	v_and_b32_e32 v10, 0x80000000, v10
	v_lshl_add_u32 v6, v6, 23, v11
	v_or3_b32 v2, v10, v6, v2
.LBB2_1956:
	s_or_b64 exec, exec, s[6:7]
	s_movk_i32 s4, 0x7f
	v_cmp_gt_i16_sdwa s[6:7], v3, s4 src0_sel:BYTE_0 src1_sel:DWORD
	s_mov_b64 s[4:5], 0
                                        ; implicit-def: $sgpr10
	s_and_saveexec_b64 s[8:9], s[6:7]
	s_xor_b64 s[6:7], exec, s[8:9]
	s_cbranch_execnz .LBB2_4005
; %bb.1957:
	s_or_saveexec_b64 s[6:7], s[6:7]
	v_mov_b32_e32 v6, s10
	s_xor_b64 exec, exec, s[6:7]
	s_cbranch_execnz .LBB2_4008
.LBB2_1958:
	s_or_b64 exec, exec, s[6:7]
	s_and_saveexec_b64 s[6:7], s[4:5]
	s_cbranch_execz .LBB2_1960
.LBB2_1959:
	v_and_b32_e32 v6, 7, v3
	v_ffbh_u32_e32 v11, v6
	v_min_u32_e32 v11, 32, v11
	v_lshrrev_b16_e32 v10, 3, v3
	v_subrev_u32_e32 v12, 28, v11
	v_and_b32_e32 v10, 15, v10
	v_lshlrev_b32_e32 v12, v12, v3
	v_sub_u32_e32 v11, 29, v11
	v_and_b32_e32 v12, 7, v12
	v_cmp_eq_u16_e32 vcc, 0, v10
	v_cndmask_b32_e32 v6, v6, v12, vcc
	v_cndmask_b32_e32 v10, v10, v11, vcc
	v_lshlrev_b32_e32 v11, 24, v3
	v_mov_b32_e32 v12, 0x3b800000
	v_lshlrev_b32_e32 v6, 20, v6
	v_and_b32_e32 v11, 0x80000000, v11
	v_lshl_add_u32 v10, v10, 23, v12
	v_or3_b32 v6, v11, v10, v6
.LBB2_1960:
	s_or_b64 exec, exec, s[6:7]
	s_nop 0
	v_mfma_f32_16x16x4f32 a[0:3], v2, v6, a[0:3]
	v_lshrrev_b32_e32 v6, 8, v7
	s_movk_i32 s4, 0x7f
	v_cmp_gt_i16_sdwa s[6:7], v6, s4 src0_sel:BYTE_0 src1_sel:DWORD
	s_mov_b64 s[4:5], 0
                                        ; implicit-def: $sgpr10
	s_and_saveexec_b64 s[8:9], s[6:7]
	s_xor_b64 s[6:7], exec, s[8:9]
	s_cbranch_execnz .LBB2_4009
; %bb.1961:
	s_or_saveexec_b64 s[6:7], s[6:7]
	v_mov_b32_e32 v2, s10
	s_xor_b64 exec, exec, s[6:7]
	s_cbranch_execnz .LBB2_4012
.LBB2_1962:
	s_or_b64 exec, exec, s[6:7]
	s_and_saveexec_b64 s[6:7], s[4:5]
	s_cbranch_execz .LBB2_1964
.LBB2_1963:
	v_bfe_u32 v2, v7, 8, 3
	v_ffbh_u32_e32 v11, v2
	v_min_u32_e32 v11, 32, v11
	v_lshrrev_b16_e32 v10, 3, v6
	v_subrev_u32_e32 v12, 28, v11
	v_and_b32_e32 v10, 15, v10
	v_lshlrev_b32_e32 v6, v12, v6
	v_sub_u32_e32 v11, 29, v11
	v_and_b32_e32 v6, 7, v6
	v_cmp_eq_u16_e32 vcc, 0, v10
	v_cndmask_b32_e32 v2, v2, v6, vcc
	v_cndmask_b32_e32 v6, v10, v11, vcc
	v_lshlrev_b32_e32 v10, 16, v7
	v_mov_b32_e32 v11, 0x3b800000
	v_lshlrev_b32_e32 v2, 20, v2
	v_and_b32_e32 v10, 0x80000000, v10
	v_lshl_add_u32 v6, v6, 23, v11
	v_or3_b32 v2, v10, v6, v2
.LBB2_1964:
	s_or_b64 exec, exec, s[6:7]
	v_lshrrev_b32_e32 v6, 8, v3
	s_movk_i32 s4, 0x7f
	v_cmp_gt_i16_sdwa s[6:7], v6, s4 src0_sel:BYTE_0 src1_sel:DWORD
	s_mov_b64 s[4:5], 0
                                        ; implicit-def: $sgpr10
	s_and_saveexec_b64 s[8:9], s[6:7]
	s_xor_b64 s[6:7], exec, s[8:9]
	s_cbranch_execnz .LBB2_4013
; %bb.1965:
	s_or_saveexec_b64 s[6:7], s[6:7]
	v_mov_b32_e32 v10, s10
	s_xor_b64 exec, exec, s[6:7]
	s_cbranch_execnz .LBB2_4016
.LBB2_1966:
	s_or_b64 exec, exec, s[6:7]
	s_and_saveexec_b64 s[6:7], s[4:5]
	s_cbranch_execz .LBB2_1968
.LBB2_1967:
	v_bfe_u32 v10, v3, 8, 3
	v_ffbh_u32_e32 v12, v10
	v_min_u32_e32 v12, 32, v12
	v_lshrrev_b16_e32 v11, 3, v6
	v_subrev_u32_e32 v13, 28, v12
	v_and_b32_e32 v11, 15, v11
	v_lshlrev_b32_e32 v6, v13, v6
	v_sub_u32_e32 v12, 29, v12
	v_and_b32_e32 v6, 7, v6
	v_cmp_eq_u16_e32 vcc, 0, v11
	v_cndmask_b32_e32 v6, v10, v6, vcc
	v_cndmask_b32_e32 v10, v11, v12, vcc
	v_lshlrev_b32_e32 v11, 16, v3
	v_mov_b32_e32 v12, 0x3b800000
	v_lshlrev_b32_e32 v6, 20, v6
	v_and_b32_e32 v11, 0x80000000, v11
	v_lshl_add_u32 v10, v10, 23, v12
	v_or3_b32 v10, v11, v10, v6
.LBB2_1968:
	s_or_b64 exec, exec, s[6:7]
	s_nop 0
	v_mfma_f32_16x16x4f32 a[0:3], v2, v10, a[0:3]
	s_movk_i32 s4, 0xff
	v_and_b32_sdwa v6, v7, s4 dst_sel:DWORD dst_unused:UNUSED_PAD src0_sel:WORD_1 src1_sel:DWORD
	s_movk_i32 s4, 0x7f
	v_cmp_lt_i16_e32 vcc, s4, v6
	s_mov_b64 s[4:5], 0
                                        ; implicit-def: $sgpr10
	s_and_saveexec_b64 s[6:7], vcc
	s_xor_b64 s[6:7], exec, s[6:7]
	s_cbranch_execnz .LBB2_4017
; %bb.1969:
	s_or_saveexec_b64 s[6:7], s[6:7]
	v_mov_b32_e32 v2, s10
	s_xor_b64 exec, exec, s[6:7]
	s_cbranch_execnz .LBB2_4020
.LBB2_1970:
	s_or_b64 exec, exec, s[6:7]
	s_and_saveexec_b64 s[6:7], s[4:5]
	s_cbranch_execz .LBB2_1972
.LBB2_1971:
	v_bfe_u32 v2, v7, 16, 3
	v_ffbh_u32_e32 v11, v2
	v_min_u32_e32 v11, 32, v11
	v_lshrrev_b32_e32 v6, 19, v7
	v_subrev_u32_e32 v12, 28, v11
	v_and_b32_e32 v6, 15, v6
	v_lshlrev_b32_sdwa v12, v12, v7 dst_sel:DWORD dst_unused:UNUSED_PAD src0_sel:DWORD src1_sel:WORD_1
	v_bfe_u32 v10, v7, 19, 4
	v_sub_u32_e32 v11, 29, v11
	v_and_b32_e32 v12, 7, v12
	v_cmp_eq_u16_e32 vcc, 0, v6
	v_cndmask_b32_e32 v2, v2, v12, vcc
	v_cndmask_b32_e32 v6, v10, v11, vcc
	v_lshlrev_b32_e32 v10, 8, v7
	v_mov_b32_e32 v11, 0x3b800000
	v_lshlrev_b32_e32 v2, 20, v2
	v_and_b32_e32 v10, 0x80000000, v10
	v_lshl_add_u32 v6, v6, 23, v11
	v_or3_b32 v2, v10, v6, v2
.LBB2_1972:
	s_or_b64 exec, exec, s[6:7]
	s_movk_i32 s4, 0xff
	v_and_b32_sdwa v6, v3, s4 dst_sel:DWORD dst_unused:UNUSED_PAD src0_sel:WORD_1 src1_sel:DWORD
	s_movk_i32 s4, 0x7f
	v_cmp_lt_i16_e32 vcc, s4, v6
	s_mov_b64 s[4:5], 0
                                        ; implicit-def: $sgpr10
	s_and_saveexec_b64 s[6:7], vcc
	s_xor_b64 s[6:7], exec, s[6:7]
	s_cbranch_execnz .LBB2_4021
; %bb.1973:
	s_or_saveexec_b64 s[6:7], s[6:7]
	v_mov_b32_e32 v10, s10
	s_xor_b64 exec, exec, s[6:7]
	s_cbranch_execnz .LBB2_4024
.LBB2_1974:
	s_or_b64 exec, exec, s[6:7]
	s_and_saveexec_b64 s[6:7], s[4:5]
	s_cbranch_execz .LBB2_1976
.LBB2_1975:
	v_bfe_u32 v6, v3, 16, 3
	v_ffbh_u32_e32 v12, v6
	v_min_u32_e32 v12, 32, v12
	v_lshrrev_b32_e32 v10, 19, v3
	v_subrev_u32_e32 v13, 28, v12
	v_and_b32_e32 v10, 15, v10
	v_lshlrev_b32_sdwa v13, v13, v3 dst_sel:DWORD dst_unused:UNUSED_PAD src0_sel:DWORD src1_sel:WORD_1
	v_bfe_u32 v11, v3, 19, 4
	v_sub_u32_e32 v12, 29, v12
	v_and_b32_e32 v13, 7, v13
	v_cmp_eq_u16_e32 vcc, 0, v10
	v_cndmask_b32_e32 v6, v6, v13, vcc
	v_cndmask_b32_e32 v10, v11, v12, vcc
	v_lshlrev_b32_e32 v11, 8, v3
	v_mov_b32_e32 v12, 0x3b800000
	v_lshlrev_b32_e32 v6, 20, v6
	v_and_b32_e32 v11, 0x80000000, v11
	v_lshl_add_u32 v10, v10, 23, v12
	v_or3_b32 v10, v11, v10, v6
.LBB2_1976:
	s_or_b64 exec, exec, s[6:7]
	s_nop 0
	v_mfma_f32_16x16x4f32 a[0:3], v2, v10, a[0:3]
	s_movk_i32 s4, 0x7f
	v_cmp_gt_i16_sdwa s[6:7], v7, s4 src0_sel:BYTE_3 src1_sel:DWORD
	s_mov_b64 s[4:5], 0
                                        ; implicit-def: $sgpr10
	s_and_saveexec_b64 s[8:9], s[6:7]
	s_xor_b64 s[6:7], exec, s[8:9]
	s_cbranch_execnz .LBB2_4025
; %bb.1977:
	s_or_saveexec_b64 s[6:7], s[6:7]
	v_mov_b32_e32 v2, s10
	s_xor_b64 exec, exec, s[6:7]
	s_cbranch_execnz .LBB2_4028
.LBB2_1978:
	s_or_b64 exec, exec, s[6:7]
	s_and_saveexec_b64 s[6:7], s[4:5]
	s_cbranch_execz .LBB2_1980
.LBB2_1979:
	v_bfe_u32 v2, v7, 24, 3
	v_ffbh_u32_e32 v12, v2
	v_min_u32_e32 v12, 32, v12
	v_lshrrev_b32_e32 v10, 27, v7
	v_subrev_u32_e32 v13, 28, v12
	v_and_b32_e32 v6, 0x80000000, v7
	v_and_b32_e32 v10, 15, v10
	v_bfe_u32 v11, v7, 27, 4
	v_lshlrev_b32_sdwa v7, v13, v7 dst_sel:DWORD dst_unused:UNUSED_PAD src0_sel:DWORD src1_sel:BYTE_3
	v_sub_u32_e32 v12, 29, v12
	v_and_b32_e32 v7, 7, v7
	v_cmp_eq_u16_e32 vcc, 0, v10
	v_cndmask_b32_e32 v2, v2, v7, vcc
	v_cndmask_b32_e32 v7, v11, v12, vcc
	v_mov_b32_e32 v10, 0x3b800000
	v_lshlrev_b32_e32 v2, 20, v2
	v_lshl_add_u32 v7, v7, 23, v10
	v_or3_b32 v2, v6, v7, v2
.LBB2_1980:
	s_or_b64 exec, exec, s[6:7]
	s_movk_i32 s4, 0x7f
	v_cmp_gt_i16_sdwa s[6:7], v3, s4 src0_sel:BYTE_3 src1_sel:DWORD
	s_mov_b64 s[4:5], 0
                                        ; implicit-def: $sgpr10
	s_and_saveexec_b64 s[8:9], s[6:7]
	s_xor_b64 s[6:7], exec, s[8:9]
	s_cbranch_execnz .LBB2_4029
; %bb.1981:
	s_or_saveexec_b64 s[6:7], s[6:7]
	v_mov_b32_e32 v6, s10
	s_xor_b64 exec, exec, s[6:7]
	s_cbranch_execnz .LBB2_4032
.LBB2_1982:
	s_or_b64 exec, exec, s[6:7]
	s_and_saveexec_b64 s[6:7], s[4:5]
	s_cbranch_execz .LBB2_1984
.LBB2_1983:
	v_bfe_u32 v6, v3, 24, 3
	v_ffbh_u32_e32 v12, v6
	v_min_u32_e32 v12, 32, v12
	v_lshrrev_b32_e32 v10, 27, v3
	v_subrev_u32_e32 v13, 28, v12
	v_and_b32_e32 v7, 0x80000000, v3
	v_and_b32_e32 v10, 15, v10
	v_bfe_u32 v11, v3, 27, 4
	v_lshlrev_b32_sdwa v3, v13, v3 dst_sel:DWORD dst_unused:UNUSED_PAD src0_sel:DWORD src1_sel:BYTE_3
	v_sub_u32_e32 v12, 29, v12
	v_and_b32_e32 v3, 7, v3
	v_cmp_eq_u16_e32 vcc, 0, v10
	v_cndmask_b32_e32 v3, v6, v3, vcc
	v_cndmask_b32_e32 v6, v11, v12, vcc
	v_mov_b32_e32 v10, 0x3b800000
	v_lshlrev_b32_e32 v3, 20, v3
	v_lshl_add_u32 v6, v6, 23, v10
	v_or3_b32 v6, v7, v6, v3
.LBB2_1984:
	s_or_b64 exec, exec, s[6:7]
	s_nop 0
	v_mfma_f32_16x16x4f32 a[0:3], v2, v6, a[0:3]
	s_movk_i32 s4, 0x7f
	v_cmp_gt_i16_sdwa s[6:7], v8, s4 src0_sel:BYTE_0 src1_sel:DWORD
	s_mov_b64 s[4:5], 0
                                        ; implicit-def: $sgpr10
	s_and_saveexec_b64 s[8:9], s[6:7]
	s_xor_b64 s[6:7], exec, s[8:9]
	s_cbranch_execnz .LBB2_4033
; %bb.1985:
	s_or_saveexec_b64 s[6:7], s[6:7]
	v_mov_b32_e32 v2, s10
	s_xor_b64 exec, exec, s[6:7]
	s_cbranch_execnz .LBB2_4036
.LBB2_1986:
	s_or_b64 exec, exec, s[6:7]
	s_and_saveexec_b64 s[6:7], s[4:5]
	s_cbranch_execz .LBB2_1988
.LBB2_1987:
	v_and_b32_e32 v2, 7, v8
	v_ffbh_u32_e32 v6, v2
	v_min_u32_e32 v6, 32, v6
	v_lshrrev_b16_e32 v3, 3, v8
	v_subrev_u32_e32 v7, 28, v6
	v_and_b32_e32 v3, 15, v3
	v_lshlrev_b32_e32 v7, v7, v8
	v_sub_u32_e32 v6, 29, v6
	v_and_b32_e32 v7, 7, v7
	v_cmp_eq_u16_e32 vcc, 0, v3
	v_cndmask_b32_e32 v2, v2, v7, vcc
	v_cndmask_b32_e32 v3, v3, v6, vcc
	v_lshlrev_b32_e32 v6, 24, v8
	v_mov_b32_e32 v7, 0x3b800000
	v_lshlrev_b32_e32 v2, 20, v2
	v_and_b32_e32 v6, 0x80000000, v6
	v_lshl_add_u32 v3, v3, 23, v7
	v_or3_b32 v2, v6, v3, v2
.LBB2_1988:
	s_or_b64 exec, exec, s[6:7]
	s_movk_i32 s4, 0x7f
	v_cmp_gt_i16_sdwa s[6:7], v4, s4 src0_sel:BYTE_0 src1_sel:DWORD
	s_mov_b64 s[4:5], 0
                                        ; implicit-def: $sgpr10
	s_and_saveexec_b64 s[8:9], s[6:7]
	s_xor_b64 s[6:7], exec, s[8:9]
	s_cbranch_execnz .LBB2_4037
; %bb.1989:
	s_or_saveexec_b64 s[6:7], s[6:7]
	v_mov_b32_e32 v3, s10
	s_xor_b64 exec, exec, s[6:7]
	s_cbranch_execnz .LBB2_4040
.LBB2_1990:
	s_or_b64 exec, exec, s[6:7]
	s_and_saveexec_b64 s[6:7], s[4:5]
	s_cbranch_execz .LBB2_1992
.LBB2_1991:
	v_and_b32_e32 v3, 7, v4
	v_ffbh_u32_e32 v7, v3
	v_min_u32_e32 v7, 32, v7
	v_lshrrev_b16_e32 v6, 3, v4
	v_subrev_u32_e32 v10, 28, v7
	v_and_b32_e32 v6, 15, v6
	v_lshlrev_b32_e32 v10, v10, v4
	v_sub_u32_e32 v7, 29, v7
	v_and_b32_e32 v10, 7, v10
	v_cmp_eq_u16_e32 vcc, 0, v6
	v_cndmask_b32_e32 v3, v3, v10, vcc
	v_cndmask_b32_e32 v6, v6, v7, vcc
	v_lshlrev_b32_e32 v7, 24, v4
	v_mov_b32_e32 v10, 0x3b800000
	v_lshlrev_b32_e32 v3, 20, v3
	v_and_b32_e32 v7, 0x80000000, v7
	v_lshl_add_u32 v6, v6, 23, v10
	v_or3_b32 v3, v7, v6, v3
.LBB2_1992:
	s_or_b64 exec, exec, s[6:7]
	s_nop 0
	v_mfma_f32_16x16x4f32 a[0:3], v2, v3, a[0:3]
	v_lshrrev_b32_e32 v3, 8, v8
	s_movk_i32 s4, 0x7f
	v_cmp_gt_i16_sdwa s[6:7], v3, s4 src0_sel:BYTE_0 src1_sel:DWORD
	s_mov_b64 s[4:5], 0
                                        ; implicit-def: $sgpr10
	s_and_saveexec_b64 s[8:9], s[6:7]
	s_xor_b64 s[6:7], exec, s[8:9]
	s_cbranch_execnz .LBB2_4041
; %bb.1993:
	s_or_saveexec_b64 s[6:7], s[6:7]
	v_mov_b32_e32 v2, s10
	s_xor_b64 exec, exec, s[6:7]
	s_cbranch_execnz .LBB2_4044
.LBB2_1994:
	s_or_b64 exec, exec, s[6:7]
	s_and_saveexec_b64 s[6:7], s[4:5]
	s_cbranch_execz .LBB2_1996
.LBB2_1995:
	v_bfe_u32 v2, v8, 8, 3
	v_ffbh_u32_e32 v7, v2
	v_min_u32_e32 v7, 32, v7
	v_lshrrev_b16_e32 v6, 3, v3
	v_subrev_u32_e32 v10, 28, v7
	v_and_b32_e32 v6, 15, v6
	v_lshlrev_b32_e32 v3, v10, v3
	v_sub_u32_e32 v7, 29, v7
	v_and_b32_e32 v3, 7, v3
	v_cmp_eq_u16_e32 vcc, 0, v6
	v_cndmask_b32_e32 v2, v2, v3, vcc
	v_cndmask_b32_e32 v3, v6, v7, vcc
	v_lshlrev_b32_e32 v6, 16, v8
	v_mov_b32_e32 v7, 0x3b800000
	v_lshlrev_b32_e32 v2, 20, v2
	v_and_b32_e32 v6, 0x80000000, v6
	v_lshl_add_u32 v3, v3, 23, v7
	v_or3_b32 v2, v6, v3, v2
.LBB2_1996:
	s_or_b64 exec, exec, s[6:7]
	v_lshrrev_b32_e32 v3, 8, v4
	s_movk_i32 s4, 0x7f
	v_cmp_gt_i16_sdwa s[6:7], v3, s4 src0_sel:BYTE_0 src1_sel:DWORD
	s_mov_b64 s[4:5], 0
                                        ; implicit-def: $sgpr10
	s_and_saveexec_b64 s[8:9], s[6:7]
	s_xor_b64 s[6:7], exec, s[8:9]
	s_cbranch_execnz .LBB2_4045
; %bb.1997:
	s_or_saveexec_b64 s[6:7], s[6:7]
	v_mov_b32_e32 v6, s10
	s_xor_b64 exec, exec, s[6:7]
	s_cbranch_execnz .LBB2_4048
.LBB2_1998:
	s_or_b64 exec, exec, s[6:7]
	s_and_saveexec_b64 s[6:7], s[4:5]
	s_cbranch_execz .LBB2_2000
.LBB2_1999:
	v_bfe_u32 v6, v4, 8, 3
	v_ffbh_u32_e32 v10, v6
	v_min_u32_e32 v10, 32, v10
	v_lshrrev_b16_e32 v7, 3, v3
	v_subrev_u32_e32 v11, 28, v10
	v_and_b32_e32 v7, 15, v7
	v_lshlrev_b32_e32 v3, v11, v3
	v_sub_u32_e32 v10, 29, v10
	v_and_b32_e32 v3, 7, v3
	v_cmp_eq_u16_e32 vcc, 0, v7
	v_cndmask_b32_e32 v3, v6, v3, vcc
	v_cndmask_b32_e32 v6, v7, v10, vcc
	v_lshlrev_b32_e32 v7, 16, v4
	v_mov_b32_e32 v10, 0x3b800000
	v_lshlrev_b32_e32 v3, 20, v3
	v_and_b32_e32 v7, 0x80000000, v7
	v_lshl_add_u32 v6, v6, 23, v10
	v_or3_b32 v6, v7, v6, v3
.LBB2_2000:
	s_or_b64 exec, exec, s[6:7]
	s_nop 0
	v_mfma_f32_16x16x4f32 a[0:3], v2, v6, a[0:3]
	s_movk_i32 s4, 0xff
	v_and_b32_sdwa v3, v8, s4 dst_sel:DWORD dst_unused:UNUSED_PAD src0_sel:WORD_1 src1_sel:DWORD
	s_movk_i32 s4, 0x7f
	v_cmp_lt_i16_e32 vcc, s4, v3
	s_mov_b64 s[4:5], 0
                                        ; implicit-def: $sgpr10
	s_and_saveexec_b64 s[6:7], vcc
	s_xor_b64 s[6:7], exec, s[6:7]
	s_cbranch_execnz .LBB2_4049
; %bb.2001:
	s_or_saveexec_b64 s[6:7], s[6:7]
	v_mov_b32_e32 v2, s10
	s_xor_b64 exec, exec, s[6:7]
	s_cbranch_execnz .LBB2_4052
.LBB2_2002:
	s_or_b64 exec, exec, s[6:7]
	s_and_saveexec_b64 s[6:7], s[4:5]
	s_cbranch_execz .LBB2_2004
.LBB2_2003:
	v_bfe_u32 v2, v8, 16, 3
	v_ffbh_u32_e32 v7, v2
	v_min_u32_e32 v7, 32, v7
	v_lshrrev_b32_e32 v3, 19, v8
	v_subrev_u32_e32 v10, 28, v7
	v_and_b32_e32 v3, 15, v3
	v_lshlrev_b32_sdwa v10, v10, v8 dst_sel:DWORD dst_unused:UNUSED_PAD src0_sel:DWORD src1_sel:WORD_1
	v_bfe_u32 v6, v8, 19, 4
	v_sub_u32_e32 v7, 29, v7
	v_and_b32_e32 v10, 7, v10
	v_cmp_eq_u16_e32 vcc, 0, v3
	v_cndmask_b32_e32 v2, v2, v10, vcc
	v_cndmask_b32_e32 v3, v6, v7, vcc
	v_lshlrev_b32_e32 v6, 8, v8
	v_mov_b32_e32 v7, 0x3b800000
	v_lshlrev_b32_e32 v2, 20, v2
	v_and_b32_e32 v6, 0x80000000, v6
	v_lshl_add_u32 v3, v3, 23, v7
	v_or3_b32 v2, v6, v3, v2
.LBB2_2004:
	s_or_b64 exec, exec, s[6:7]
	s_movk_i32 s4, 0xff
	v_and_b32_sdwa v3, v4, s4 dst_sel:DWORD dst_unused:UNUSED_PAD src0_sel:WORD_1 src1_sel:DWORD
	s_movk_i32 s4, 0x7f
	v_cmp_lt_i16_e32 vcc, s4, v3
	s_mov_b64 s[4:5], 0
                                        ; implicit-def: $sgpr10
	s_and_saveexec_b64 s[6:7], vcc
	s_xor_b64 s[6:7], exec, s[6:7]
	s_cbranch_execnz .LBB2_4053
; %bb.2005:
	s_or_saveexec_b64 s[6:7], s[6:7]
	v_mov_b32_e32 v6, s10
	s_xor_b64 exec, exec, s[6:7]
	s_cbranch_execnz .LBB2_4056
.LBB2_2006:
	s_or_b64 exec, exec, s[6:7]
	s_and_saveexec_b64 s[6:7], s[4:5]
	s_cbranch_execz .LBB2_2008
.LBB2_2007:
	v_bfe_u32 v3, v4, 16, 3
	v_ffbh_u32_e32 v10, v3
	v_min_u32_e32 v10, 32, v10
	v_lshrrev_b32_e32 v6, 19, v4
	v_subrev_u32_e32 v11, 28, v10
	v_and_b32_e32 v6, 15, v6
	v_lshlrev_b32_sdwa v11, v11, v4 dst_sel:DWORD dst_unused:UNUSED_PAD src0_sel:DWORD src1_sel:WORD_1
	v_bfe_u32 v7, v4, 19, 4
	v_sub_u32_e32 v10, 29, v10
	v_and_b32_e32 v11, 7, v11
	v_cmp_eq_u16_e32 vcc, 0, v6
	v_cndmask_b32_e32 v3, v3, v11, vcc
	v_cndmask_b32_e32 v6, v7, v10, vcc
	v_lshlrev_b32_e32 v7, 8, v4
	v_mov_b32_e32 v10, 0x3b800000
	v_lshlrev_b32_e32 v3, 20, v3
	v_and_b32_e32 v7, 0x80000000, v7
	v_lshl_add_u32 v6, v6, 23, v10
	v_or3_b32 v6, v7, v6, v3
.LBB2_2008:
	s_or_b64 exec, exec, s[6:7]
	s_nop 0
	v_mfma_f32_16x16x4f32 a[0:3], v2, v6, a[0:3]
	s_movk_i32 s4, 0x7f
	v_cmp_gt_i16_sdwa s[6:7], v8, s4 src0_sel:BYTE_3 src1_sel:DWORD
	s_mov_b64 s[4:5], 0
                                        ; implicit-def: $sgpr10
	s_and_saveexec_b64 s[8:9], s[6:7]
	s_xor_b64 s[6:7], exec, s[8:9]
	s_cbranch_execnz .LBB2_4057
; %bb.2009:
	s_or_saveexec_b64 s[6:7], s[6:7]
	v_mov_b32_e32 v2, s10
	s_xor_b64 exec, exec, s[6:7]
	s_cbranch_execnz .LBB2_4060
.LBB2_2010:
	s_or_b64 exec, exec, s[6:7]
	s_and_saveexec_b64 s[6:7], s[4:5]
	s_cbranch_execz .LBB2_2012
.LBB2_2011:
	v_bfe_u32 v2, v8, 24, 3
	v_ffbh_u32_e32 v10, v2
	v_min_u32_e32 v10, 32, v10
	v_lshrrev_b32_e32 v6, 27, v8
	v_subrev_u32_e32 v11, 28, v10
	v_and_b32_e32 v3, 0x80000000, v8
	v_and_b32_e32 v6, 15, v6
	v_bfe_u32 v7, v8, 27, 4
	v_lshlrev_b32_sdwa v8, v11, v8 dst_sel:DWORD dst_unused:UNUSED_PAD src0_sel:DWORD src1_sel:BYTE_3
	v_sub_u32_e32 v10, 29, v10
	v_and_b32_e32 v8, 7, v8
	v_cmp_eq_u16_e32 vcc, 0, v6
	v_cndmask_b32_e32 v2, v2, v8, vcc
	v_cndmask_b32_e32 v6, v7, v10, vcc
	v_mov_b32_e32 v7, 0x3b800000
	v_lshlrev_b32_e32 v2, 20, v2
	v_lshl_add_u32 v6, v6, 23, v7
	v_or3_b32 v2, v3, v6, v2
.LBB2_2012:
	s_or_b64 exec, exec, s[6:7]
	s_movk_i32 s4, 0x7f
	v_cmp_gt_i16_sdwa s[6:7], v4, s4 src0_sel:BYTE_3 src1_sel:DWORD
	s_mov_b64 s[4:5], 0
                                        ; implicit-def: $sgpr10
	s_and_saveexec_b64 s[8:9], s[6:7]
	s_xor_b64 s[6:7], exec, s[8:9]
	s_cbranch_execnz .LBB2_4061
; %bb.2013:
	s_or_saveexec_b64 s[6:7], s[6:7]
	v_mov_b32_e32 v3, s10
	s_xor_b64 exec, exec, s[6:7]
	s_cbranch_execnz .LBB2_4064
.LBB2_2014:
	s_or_b64 exec, exec, s[6:7]
	s_and_saveexec_b64 s[6:7], s[4:5]
	s_cbranch_execz .LBB2_2016
.LBB2_2015:
	v_bfe_u32 v3, v4, 24, 3
	v_ffbh_u32_e32 v10, v3
	v_min_u32_e32 v10, 32, v10
	v_lshrrev_b32_e32 v7, 27, v4
	v_subrev_u32_e32 v11, 28, v10
	v_and_b32_e32 v6, 0x80000000, v4
	v_and_b32_e32 v7, 15, v7
	v_bfe_u32 v8, v4, 27, 4
	v_lshlrev_b32_sdwa v4, v11, v4 dst_sel:DWORD dst_unused:UNUSED_PAD src0_sel:DWORD src1_sel:BYTE_3
	v_sub_u32_e32 v10, 29, v10
	v_and_b32_e32 v4, 7, v4
	v_cmp_eq_u16_e32 vcc, 0, v7
	v_cndmask_b32_e32 v3, v3, v4, vcc
	v_cndmask_b32_e32 v4, v8, v10, vcc
	v_mov_b32_e32 v7, 0x3b800000
	v_lshlrev_b32_e32 v3, 20, v3
	v_lshl_add_u32 v4, v4, 23, v7
	v_or3_b32 v3, v6, v4, v3
.LBB2_2016:
	s_or_b64 exec, exec, s[6:7]
	s_nop 0
	v_mfma_f32_16x16x4f32 a[0:3], v2, v3, a[0:3]
	s_movk_i32 s4, 0x7f
	v_cmp_gt_i16_sdwa s[6:7], v9, s4 src0_sel:BYTE_0 src1_sel:DWORD
	s_mov_b64 s[4:5], 0
                                        ; implicit-def: $sgpr10
	s_and_saveexec_b64 s[8:9], s[6:7]
	s_xor_b64 s[6:7], exec, s[8:9]
	s_cbranch_execnz .LBB2_4065
; %bb.2017:
	s_or_saveexec_b64 s[6:7], s[6:7]
	v_mov_b32_e32 v2, s10
	s_xor_b64 exec, exec, s[6:7]
	s_cbranch_execnz .LBB2_4068
.LBB2_2018:
	s_or_b64 exec, exec, s[6:7]
	s_and_saveexec_b64 s[6:7], s[4:5]
	s_cbranch_execz .LBB2_2020
.LBB2_2019:
	v_mov_b32_e32 v2, 8
	v_and_b32_e32 v3, 7, v9
	v_lshrrev_b32_sdwa v2, v2, v9 dst_sel:BYTE_1 dst_unused:UNUSED_PAD src0_sel:DWORD src1_sel:DWORD
	v_ffbh_u32_e32 v4, v3
	v_or_b32_sdwa v2, v9, v2 dst_sel:DWORD dst_unused:UNUSED_PAD src0_sel:BYTE_0 src1_sel:DWORD
	v_min_u32_e32 v4, 32, v4
	v_lshrrev_b16_e32 v2, 3, v2
	v_subrev_u32_e32 v6, 28, v4
	v_and_b32_e32 v2, 15, v2
	v_lshlrev_b32_e32 v6, v6, v9
	v_sub_u32_e32 v4, 29, v4
	v_and_b32_e32 v6, 7, v6
	v_cmp_eq_u16_e32 vcc, 0, v2
	v_cndmask_b32_e32 v3, v3, v6, vcc
	v_cndmask_b32_e32 v2, v2, v4, vcc
	v_lshlrev_b32_e32 v4, 24, v9
	v_mov_b32_e32 v6, 0x3b800000
	v_lshlrev_b32_e32 v3, 20, v3
	v_and_b32_e32 v4, 0x80000000, v4
	v_lshl_add_u32 v2, v2, 23, v6
	v_or3_b32 v2, v4, v2, v3
.LBB2_2020:
	s_or_b64 exec, exec, s[6:7]
	s_movk_i32 s4, 0x7f
	v_cmp_gt_i16_sdwa s[6:7], v5, s4 src0_sel:BYTE_0 src1_sel:DWORD
	s_mov_b64 s[4:5], 0
                                        ; implicit-def: $sgpr10
	s_and_saveexec_b64 s[8:9], s[6:7]
	s_xor_b64 s[6:7], exec, s[8:9]
	s_cbranch_execnz .LBB2_4069
; %bb.2021:
	s_or_saveexec_b64 s[6:7], s[6:7]
	v_mov_b32_e32 v3, s10
	s_xor_b64 exec, exec, s[6:7]
	s_cbranch_execnz .LBB2_4072
.LBB2_2022:
	s_or_b64 exec, exec, s[6:7]
	s_and_saveexec_b64 s[6:7], s[4:5]
	s_cbranch_execz .LBB2_2024
.LBB2_2023:
	v_mov_b32_e32 v3, 8
	v_and_b32_e32 v4, 7, v5
	v_lshrrev_b32_sdwa v3, v3, v5 dst_sel:BYTE_1 dst_unused:UNUSED_PAD src0_sel:DWORD src1_sel:DWORD
	v_ffbh_u32_e32 v6, v4
	v_or_b32_sdwa v3, v5, v3 dst_sel:DWORD dst_unused:UNUSED_PAD src0_sel:BYTE_0 src1_sel:DWORD
	v_min_u32_e32 v6, 32, v6
	v_lshrrev_b16_e32 v3, 3, v3
	v_subrev_u32_e32 v7, 28, v6
	v_and_b32_e32 v3, 15, v3
	v_lshlrev_b32_e32 v7, v7, v5
	v_sub_u32_e32 v6, 29, v6
	v_and_b32_e32 v7, 7, v7
	v_cmp_eq_u16_e32 vcc, 0, v3
	v_cndmask_b32_e32 v4, v4, v7, vcc
	v_cndmask_b32_e32 v3, v3, v6, vcc
	v_lshlrev_b32_e32 v6, 24, v5
	v_mov_b32_e32 v7, 0x3b800000
	v_lshlrev_b32_e32 v4, 20, v4
	v_and_b32_e32 v6, 0x80000000, v6
	v_lshl_add_u32 v3, v3, 23, v7
	v_or3_b32 v3, v6, v3, v4
.LBB2_2024:
	s_or_b64 exec, exec, s[6:7]
	s_nop 0
	v_mfma_f32_16x16x4f32 a[0:3], v2, v3, a[0:3]
	v_lshrrev_b32_e32 v3, 8, v9
	s_movk_i32 s4, 0x7f
	v_cmp_gt_i16_sdwa s[6:7], v3, s4 src0_sel:BYTE_0 src1_sel:DWORD
	s_mov_b64 s[4:5], 0
                                        ; implicit-def: $sgpr10
	s_and_saveexec_b64 s[8:9], s[6:7]
	s_xor_b64 s[6:7], exec, s[8:9]
	s_cbranch_execnz .LBB2_4073
; %bb.2025:
	s_or_saveexec_b64 s[6:7], s[6:7]
	v_mov_b32_e32 v2, s10
	s_xor_b64 exec, exec, s[6:7]
	s_cbranch_execnz .LBB2_4076
.LBB2_2026:
	s_or_b64 exec, exec, s[6:7]
	s_and_saveexec_b64 s[6:7], s[4:5]
	s_cbranch_execz .LBB2_2028
.LBB2_2027:
	v_bfe_u32 v2, v9, 8, 3
	v_ffbh_u32_e32 v6, v2
	v_min_u32_e32 v6, 32, v6
	v_lshrrev_b16_e32 v4, 3, v3
	v_subrev_u32_e32 v7, 28, v6
	v_and_b32_e32 v4, 15, v4
	v_lshlrev_b32_e32 v3, v7, v3
	v_sub_u32_e32 v6, 29, v6
	v_and_b32_e32 v3, 7, v3
	v_cmp_eq_u16_e32 vcc, 0, v4
	v_cndmask_b32_e32 v2, v2, v3, vcc
	v_cndmask_b32_e32 v3, v4, v6, vcc
	v_lshlrev_b32_e32 v4, 16, v9
	v_mov_b32_e32 v6, 0x3b800000
	v_lshlrev_b32_e32 v2, 20, v2
	v_and_b32_e32 v4, 0x80000000, v4
	v_lshl_add_u32 v3, v3, 23, v6
	v_or3_b32 v2, v4, v3, v2
.LBB2_2028:
	s_or_b64 exec, exec, s[6:7]
	v_lshrrev_b32_e32 v3, 8, v5
	s_movk_i32 s4, 0x7f
	v_cmp_gt_i16_sdwa s[6:7], v3, s4 src0_sel:BYTE_0 src1_sel:DWORD
	s_mov_b64 s[4:5], 0
                                        ; implicit-def: $sgpr10
	s_and_saveexec_b64 s[8:9], s[6:7]
	s_xor_b64 s[6:7], exec, s[8:9]
	s_cbranch_execnz .LBB2_4077
; %bb.2029:
	s_or_saveexec_b64 s[6:7], s[6:7]
	v_mov_b32_e32 v4, s10
	s_xor_b64 exec, exec, s[6:7]
	s_cbranch_execnz .LBB2_4080
.LBB2_2030:
	s_or_b64 exec, exec, s[6:7]
	s_and_saveexec_b64 s[6:7], s[4:5]
	s_cbranch_execz .LBB2_2032
.LBB2_2031:
	v_bfe_u32 v4, v5, 8, 3
	v_ffbh_u32_e32 v7, v4
	v_min_u32_e32 v7, 32, v7
	v_lshrrev_b16_e32 v6, 3, v3
	v_subrev_u32_e32 v8, 28, v7
	v_and_b32_e32 v6, 15, v6
	v_lshlrev_b32_e32 v3, v8, v3
	v_sub_u32_e32 v7, 29, v7
	v_and_b32_e32 v3, 7, v3
	v_cmp_eq_u16_e32 vcc, 0, v6
	v_cndmask_b32_e32 v3, v4, v3, vcc
	v_cndmask_b32_e32 v4, v6, v7, vcc
	v_lshlrev_b32_e32 v6, 16, v5
	v_mov_b32_e32 v7, 0x3b800000
	v_lshlrev_b32_e32 v3, 20, v3
	v_and_b32_e32 v6, 0x80000000, v6
	v_lshl_add_u32 v4, v4, 23, v7
	v_or3_b32 v4, v6, v4, v3
.LBB2_2032:
	s_or_b64 exec, exec, s[6:7]
	s_nop 0
	v_mfma_f32_16x16x4f32 a[0:3], v2, v4, a[0:3]
	s_movk_i32 s4, 0xff
	v_and_b32_sdwa v3, v9, s4 dst_sel:DWORD dst_unused:UNUSED_PAD src0_sel:WORD_1 src1_sel:DWORD
	s_movk_i32 s4, 0x7f
	v_cmp_lt_i16_e32 vcc, s4, v3
	s_mov_b64 s[4:5], 0
                                        ; implicit-def: $sgpr10
	s_and_saveexec_b64 s[6:7], vcc
	s_xor_b64 s[6:7], exec, s[6:7]
	s_cbranch_execnz .LBB2_4081
; %bb.2033:
	s_or_saveexec_b64 s[6:7], s[6:7]
	v_mov_b32_e32 v2, s10
	s_xor_b64 exec, exec, s[6:7]
	s_cbranch_execnz .LBB2_4084
.LBB2_2034:
	s_or_b64 exec, exec, s[6:7]
	s_and_saveexec_b64 s[6:7], s[4:5]
	s_cbranch_execz .LBB2_2036
.LBB2_2035:
	v_bfe_u32 v2, v9, 16, 3
	v_ffbh_u32_e32 v6, v2
	v_min_u32_e32 v6, 32, v6
	v_lshrrev_b32_e32 v3, 19, v9
	v_subrev_u32_e32 v7, 28, v6
	v_and_b32_e32 v3, 15, v3
	v_lshlrev_b32_sdwa v7, v7, v9 dst_sel:DWORD dst_unused:UNUSED_PAD src0_sel:DWORD src1_sel:WORD_1
	v_bfe_u32 v4, v9, 19, 4
	v_sub_u32_e32 v6, 29, v6
	v_and_b32_e32 v7, 7, v7
	v_cmp_eq_u16_e32 vcc, 0, v3
	v_cndmask_b32_e32 v2, v2, v7, vcc
	v_cndmask_b32_e32 v3, v4, v6, vcc
	v_lshlrev_b32_e32 v4, 8, v9
	v_mov_b32_e32 v6, 0x3b800000
	v_lshlrev_b32_e32 v2, 20, v2
	v_and_b32_e32 v4, 0x80000000, v4
	v_lshl_add_u32 v3, v3, 23, v6
	v_or3_b32 v2, v4, v3, v2
.LBB2_2036:
	s_or_b64 exec, exec, s[6:7]
	s_movk_i32 s4, 0xff
	v_and_b32_sdwa v3, v5, s4 dst_sel:DWORD dst_unused:UNUSED_PAD src0_sel:WORD_1 src1_sel:DWORD
	s_movk_i32 s4, 0x7f
	v_cmp_lt_i16_e32 vcc, s4, v3
	s_mov_b64 s[4:5], 0
                                        ; implicit-def: $sgpr10
	s_and_saveexec_b64 s[6:7], vcc
	s_xor_b64 s[6:7], exec, s[6:7]
	s_cbranch_execnz .LBB2_4085
; %bb.2037:
	s_or_saveexec_b64 s[6:7], s[6:7]
	v_mov_b32_e32 v4, s10
	s_xor_b64 exec, exec, s[6:7]
	s_cbranch_execnz .LBB2_4088
.LBB2_2038:
	s_or_b64 exec, exec, s[6:7]
	s_and_saveexec_b64 s[6:7], s[4:5]
	s_cbranch_execz .LBB2_2040
.LBB2_2039:
	v_bfe_u32 v3, v5, 16, 3
	v_ffbh_u32_e32 v7, v3
	v_min_u32_e32 v7, 32, v7
	v_lshrrev_b32_e32 v4, 19, v5
	v_subrev_u32_e32 v8, 28, v7
	v_and_b32_e32 v4, 15, v4
	v_lshlrev_b32_sdwa v8, v8, v5 dst_sel:DWORD dst_unused:UNUSED_PAD src0_sel:DWORD src1_sel:WORD_1
	v_bfe_u32 v6, v5, 19, 4
	v_sub_u32_e32 v7, 29, v7
	v_and_b32_e32 v8, 7, v8
	v_cmp_eq_u16_e32 vcc, 0, v4
	v_cndmask_b32_e32 v3, v3, v8, vcc
	v_cndmask_b32_e32 v4, v6, v7, vcc
	v_lshlrev_b32_e32 v6, 8, v5
	v_mov_b32_e32 v7, 0x3b800000
	v_lshlrev_b32_e32 v3, 20, v3
	v_and_b32_e32 v6, 0x80000000, v6
	v_lshl_add_u32 v4, v4, 23, v7
	v_or3_b32 v4, v6, v4, v3
.LBB2_2040:
	s_or_b64 exec, exec, s[6:7]
	s_nop 0
	v_mfma_f32_16x16x4f32 a[0:3], v2, v4, a[0:3]
	s_movk_i32 s4, 0x7f
	v_cmp_gt_i16_sdwa s[6:7], v9, s4 src0_sel:BYTE_3 src1_sel:DWORD
	s_mov_b64 s[4:5], 0
                                        ; implicit-def: $sgpr10
	s_and_saveexec_b64 s[8:9], s[6:7]
	s_xor_b64 s[6:7], exec, s[8:9]
	s_cbranch_execnz .LBB2_4089
; %bb.2041:
	s_or_saveexec_b64 s[6:7], s[6:7]
	v_mov_b32_e32 v2, s10
	s_xor_b64 exec, exec, s[6:7]
	s_cbranch_execnz .LBB2_4092
.LBB2_2042:
	s_or_b64 exec, exec, s[6:7]
	s_and_saveexec_b64 s[6:7], s[4:5]
	s_cbranch_execz .LBB2_2044
.LBB2_2043:
	v_bfe_u32 v2, v9, 24, 3
	v_ffbh_u32_e32 v7, v2
	v_min_u32_e32 v7, 32, v7
	v_lshrrev_b32_e32 v4, 27, v9
	v_subrev_u32_e32 v8, 28, v7
	v_and_b32_e32 v4, 15, v4
	v_lshlrev_b32_sdwa v8, v8, v9 dst_sel:DWORD dst_unused:UNUSED_PAD src0_sel:DWORD src1_sel:BYTE_3
	v_bfe_u32 v6, v9, 27, 4
	v_sub_u32_e32 v7, 29, v7
	v_and_b32_e32 v8, 7, v8
	v_cmp_eq_u16_e32 vcc, 0, v4
	v_cndmask_b32_e32 v2, v2, v8, vcc
	v_cndmask_b32_e32 v4, v6, v7, vcc
	v_mov_b32_e32 v6, 0x3b800000
	v_and_b32_e32 v3, 0x80000000, v9
	v_lshlrev_b32_e32 v2, 20, v2
	v_lshl_add_u32 v4, v4, 23, v6
	v_or3_b32 v2, v3, v4, v2
.LBB2_2044:
	s_or_b64 exec, exec, s[6:7]
	s_movk_i32 s4, 0x7f
	v_cmp_gt_i16_sdwa s[6:7], v5, s4 src0_sel:BYTE_3 src1_sel:DWORD
	s_mov_b64 s[4:5], 0
                                        ; implicit-def: $sgpr10
	s_and_saveexec_b64 s[8:9], s[6:7]
	s_xor_b64 s[6:7], exec, s[8:9]
	s_cbranch_execnz .LBB2_4093
; %bb.2045:
	s_or_saveexec_b64 s[6:7], s[6:7]
	v_mov_b32_e32 v3, s10
	s_xor_b64 exec, exec, s[6:7]
	s_cbranch_execnz .LBB2_4096
.LBB2_2046:
	s_or_b64 exec, exec, s[6:7]
	s_and_saveexec_b64 s[6:7], s[4:5]
	s_cbranch_execz .LBB2_2048
.LBB2_2047:
	v_bfe_u32 v3, v5, 24, 3
	v_ffbh_u32_e32 v8, v3
	v_min_u32_e32 v8, 32, v8
	v_lshrrev_b32_e32 v6, 27, v5
	v_subrev_u32_e32 v9, 28, v8
	v_and_b32_e32 v4, 0x80000000, v5
	v_and_b32_e32 v6, 15, v6
	v_bfe_u32 v7, v5, 27, 4
	v_lshlrev_b32_sdwa v5, v9, v5 dst_sel:DWORD dst_unused:UNUSED_PAD src0_sel:DWORD src1_sel:BYTE_3
	v_sub_u32_e32 v8, 29, v8
	v_and_b32_e32 v5, 7, v5
	v_cmp_eq_u16_e32 vcc, 0, v6
	v_cndmask_b32_e32 v3, v3, v5, vcc
	v_cndmask_b32_e32 v5, v7, v8, vcc
	v_mov_b32_e32 v6, 0x3b800000
	v_lshlrev_b32_e32 v3, 20, v3
	v_lshl_add_u32 v5, v5, 23, v6
	v_or3_b32 v3, v4, v5, v3
.LBB2_2048:
	s_or_b64 exec, exec, s[6:7]
	s_nop 0
	v_mfma_f32_16x16x4f32 a[0:3], v2, v3, a[0:3]
	s_nop 7
	s_nop 2
	flat_store_dwordx4 v[0:1], a[0:3] offset:240
	s_waitcnt vmcnt(0) lgkmcnt(0)
	s_setpc_b64 s[30:31]
.LBB2_2049:
	s_movk_i32 s4, 0x80
	v_cmp_eq_u16_sdwa s[12:13], v6, s4 src0_sel:BYTE_0 src1_sel:DWORD
	s_mov_b64 s[4:5], -1
                                        ; implicit-def: $sgpr10
	s_and_saveexec_b64 s[8:9], s[12:13]
; %bb.2050:
	s_mov_b32 s10, 0x7f800001
	s_xor_b64 s[4:5], exec, -1
; %bb.2051:
	s_or_b64 exec, exec, s[8:9]
	s_and_b64 s[4:5], s[4:5], exec
	s_or_saveexec_b64 s[6:7], s[6:7]
	v_mov_b32_e32 v12, s10
	s_xor_b64 exec, exec, s[6:7]
	s_cbranch_execz .LBB2_2
.LBB2_2052:
	v_mov_b32_e32 v12, 0
	v_cmp_ne_u16_sdwa s[8:9], v6, v12 src0_sel:BYTE_0 src1_sel:DWORD
	s_andn2_b64 s[4:5], s[4:5], exec
	s_and_b64 s[8:9], s[8:9], exec
	s_or_b64 s[4:5], s[4:5], s[8:9]
	s_or_b64 exec, exec, s[6:7]
	s_and_saveexec_b64 s[6:7], s[4:5]
	s_cbranch_execnz .LBB2_3
	s_branch .LBB2_4
.LBB2_2053:
	s_movk_i32 s4, 0x80
	v_cmp_eq_u16_sdwa s[12:13], v2, s4 src0_sel:BYTE_0 src1_sel:DWORD
	s_mov_b64 s[4:5], -1
                                        ; implicit-def: $sgpr10
	s_and_saveexec_b64 s[8:9], s[12:13]
; %bb.2054:
	s_mov_b32 s10, 0x7f800001
	s_xor_b64 s[4:5], exec, -1
; %bb.2055:
	s_or_b64 exec, exec, s[8:9]
	s_and_b64 s[4:5], s[4:5], exec
	s_or_saveexec_b64 s[6:7], s[6:7]
	v_mov_b32_e32 v13, s10
	s_xor_b64 exec, exec, s[6:7]
	s_cbranch_execz .LBB2_6
.LBB2_2056:
	v_mov_b32_e32 v13, 0
	v_cmp_ne_u16_sdwa s[8:9], v2, v13 src0_sel:BYTE_0 src1_sel:DWORD
	s_andn2_b64 s[4:5], s[4:5], exec
	s_and_b64 s[8:9], s[8:9], exec
	s_or_b64 s[4:5], s[4:5], s[8:9]
	s_or_b64 exec, exec, s[6:7]
	s_and_saveexec_b64 s[6:7], s[4:5]
	s_cbranch_execnz .LBB2_7
	s_branch .LBB2_8
.LBB2_2057:
	s_movk_i32 s4, 0x80
	v_cmp_eq_u16_sdwa s[12:13], v13, s4 src0_sel:BYTE_0 src1_sel:DWORD
	s_mov_b64 s[4:5], -1
                                        ; implicit-def: $sgpr10
	s_and_saveexec_b64 s[8:9], s[12:13]
; %bb.2058:
	s_mov_b32 s10, 0x7f800001
	s_xor_b64 s[4:5], exec, -1
; %bb.2059:
	s_or_b64 exec, exec, s[8:9]
	s_and_b64 s[4:5], s[4:5], exec
	s_or_saveexec_b64 s[6:7], s[6:7]
	v_mov_b32_e32 v12, s10
	s_xor_b64 exec, exec, s[6:7]
	s_cbranch_execz .LBB2_10
.LBB2_2060:
	v_mov_b32_e32 v12, 0
	v_cmp_ne_u16_sdwa s[8:9], v13, v12 src0_sel:BYTE_0 src1_sel:DWORD
	s_andn2_b64 s[4:5], s[4:5], exec
	s_and_b64 s[8:9], s[8:9], exec
	s_or_b64 s[4:5], s[4:5], s[8:9]
	s_or_b64 exec, exec, s[6:7]
	s_and_saveexec_b64 s[6:7], s[4:5]
	s_cbranch_execnz .LBB2_11
	s_branch .LBB2_12
.LBB2_2061:
	s_movk_i32 s4, 0x80
	v_cmp_eq_u16_sdwa s[12:13], v13, s4 src0_sel:BYTE_0 src1_sel:DWORD
	s_mov_b64 s[4:5], -1
                                        ; implicit-def: $sgpr10
	s_and_saveexec_b64 s[8:9], s[12:13]
; %bb.2062:
	s_mov_b32 s10, 0x7f800001
	s_xor_b64 s[4:5], exec, -1
; %bb.2063:
	s_or_b64 exec, exec, s[8:9]
	s_and_b64 s[4:5], s[4:5], exec
	s_or_saveexec_b64 s[6:7], s[6:7]
	v_mov_b32_e32 v14, s10
	s_xor_b64 exec, exec, s[6:7]
	s_cbranch_execz .LBB2_14
.LBB2_2064:
	v_mov_b32_e32 v14, 0
	v_cmp_ne_u16_sdwa s[8:9], v13, v14 src0_sel:BYTE_0 src1_sel:DWORD
	s_andn2_b64 s[4:5], s[4:5], exec
	s_and_b64 s[8:9], s[8:9], exec
	s_or_b64 s[4:5], s[4:5], s[8:9]
	s_or_b64 exec, exec, s[6:7]
	s_and_saveexec_b64 s[6:7], s[4:5]
	s_cbranch_execnz .LBB2_15
	s_branch .LBB2_16
.LBB2_2065:
	s_movk_i32 s4, 0x80
	v_cmp_eq_u16_e32 vcc, s4, v13
	s_mov_b64 s[4:5], -1
                                        ; implicit-def: $sgpr10
	s_and_saveexec_b64 s[8:9], vcc
; %bb.2066:
	s_mov_b32 s10, 0x7f800001
	s_xor_b64 s[4:5], exec, -1
; %bb.2067:
	s_or_b64 exec, exec, s[8:9]
	s_and_b64 s[4:5], s[4:5], exec
                                        ; implicit-def: $vgpr13
	s_or_saveexec_b64 s[6:7], s[6:7]
	v_mov_b32_e32 v12, s10
	s_xor_b64 exec, exec, s[6:7]
	s_cbranch_execz .LBB2_18
.LBB2_2068:
	v_cmp_ne_u16_e32 vcc, 0, v13
	s_andn2_b64 s[4:5], s[4:5], exec
	s_and_b64 s[8:9], vcc, exec
	v_mov_b32_e32 v12, 0
	s_or_b64 s[4:5], s[4:5], s[8:9]
	s_or_b64 exec, exec, s[6:7]
	s_and_saveexec_b64 s[6:7], s[4:5]
	s_cbranch_execnz .LBB2_19
	s_branch .LBB2_20
.LBB2_2069:
	s_movk_i32 s4, 0x80
	v_cmp_eq_u16_e32 vcc, s4, v13
	s_mov_b64 s[4:5], -1
                                        ; implicit-def: $sgpr10
	s_and_saveexec_b64 s[8:9], vcc
; %bb.2070:
	s_mov_b32 s10, 0x7f800001
	s_xor_b64 s[4:5], exec, -1
; %bb.2071:
	s_or_b64 exec, exec, s[8:9]
	s_and_b64 s[4:5], s[4:5], exec
                                        ; implicit-def: $vgpr13
	s_or_saveexec_b64 s[6:7], s[6:7]
	v_mov_b32_e32 v14, s10
	s_xor_b64 exec, exec, s[6:7]
	s_cbranch_execz .LBB2_22
.LBB2_2072:
	v_cmp_ne_u16_e32 vcc, 0, v13
	s_andn2_b64 s[4:5], s[4:5], exec
	s_and_b64 s[8:9], vcc, exec
	v_mov_b32_e32 v14, 0
	s_or_b64 s[4:5], s[4:5], s[8:9]
	s_or_b64 exec, exec, s[6:7]
	s_and_saveexec_b64 s[6:7], s[4:5]
	s_cbranch_execnz .LBB2_23
	s_branch .LBB2_24
.LBB2_2073:
	s_movk_i32 s4, 0x80
	v_cmp_eq_u16_sdwa s[12:13], v6, s4 src0_sel:BYTE_3 src1_sel:DWORD
	s_mov_b64 s[4:5], -1
                                        ; implicit-def: $sgpr10
	s_and_saveexec_b64 s[8:9], s[12:13]
; %bb.2074:
	s_mov_b32 s10, 0x7f800001
	s_xor_b64 s[4:5], exec, -1
; %bb.2075:
	s_or_b64 exec, exec, s[8:9]
	s_and_b64 s[4:5], s[4:5], exec
	s_or_saveexec_b64 s[6:7], s[6:7]
	v_mov_b32_e32 v12, s10
	s_xor_b64 exec, exec, s[6:7]
	s_cbranch_execz .LBB2_26
.LBB2_2076:
	v_mov_b32_e32 v12, 0
	v_cmp_ne_u16_sdwa s[8:9], v6, v12 src0_sel:BYTE_3 src1_sel:DWORD
	s_andn2_b64 s[4:5], s[4:5], exec
	s_and_b64 s[8:9], s[8:9], exec
	s_or_b64 s[4:5], s[4:5], s[8:9]
	s_or_b64 exec, exec, s[6:7]
	s_and_saveexec_b64 s[6:7], s[4:5]
	s_cbranch_execnz .LBB2_27
	s_branch .LBB2_28
.LBB2_2077:
	s_movk_i32 s4, 0x80
	v_cmp_eq_u16_sdwa s[12:13], v2, s4 src0_sel:BYTE_3 src1_sel:DWORD
	s_mov_b64 s[4:5], -1
                                        ; implicit-def: $sgpr10
	s_and_saveexec_b64 s[8:9], s[12:13]
; %bb.2078:
	s_mov_b32 s10, 0x7f800001
	s_xor_b64 s[4:5], exec, -1
; %bb.2079:
	s_or_b64 exec, exec, s[8:9]
	s_and_b64 s[4:5], s[4:5], exec
	s_or_saveexec_b64 s[6:7], s[6:7]
	v_mov_b32_e32 v6, s10
	s_xor_b64 exec, exec, s[6:7]
	s_cbranch_execz .LBB2_30
.LBB2_2080:
	v_mov_b32_e32 v6, 0
	v_cmp_ne_u16_sdwa s[8:9], v2, v6 src0_sel:BYTE_3 src1_sel:DWORD
	s_andn2_b64 s[4:5], s[4:5], exec
	s_and_b64 s[8:9], s[8:9], exec
	s_or_b64 s[4:5], s[4:5], s[8:9]
	s_or_b64 exec, exec, s[6:7]
	s_and_saveexec_b64 s[6:7], s[4:5]
	s_cbranch_execnz .LBB2_31
	s_branch .LBB2_32
.LBB2_2081:
	s_movk_i32 s4, 0x80
	v_cmp_eq_u16_sdwa s[12:13], v7, s4 src0_sel:BYTE_0 src1_sel:DWORD
	s_mov_b64 s[4:5], -1
                                        ; implicit-def: $sgpr10
	s_and_saveexec_b64 s[8:9], s[12:13]
; %bb.2082:
	s_mov_b32 s10, 0x7f800001
	s_xor_b64 s[4:5], exec, -1
; %bb.2083:
	s_or_b64 exec, exec, s[8:9]
	s_and_b64 s[4:5], s[4:5], exec
	s_or_saveexec_b64 s[6:7], s[6:7]
	v_mov_b32_e32 v2, s10
	s_xor_b64 exec, exec, s[6:7]
	s_cbranch_execz .LBB2_34
.LBB2_2084:
	v_mov_b32_e32 v2, 0
	v_cmp_ne_u16_sdwa s[8:9], v7, v2 src0_sel:BYTE_0 src1_sel:DWORD
	s_andn2_b64 s[4:5], s[4:5], exec
	s_and_b64 s[8:9], s[8:9], exec
	s_or_b64 s[4:5], s[4:5], s[8:9]
	s_or_b64 exec, exec, s[6:7]
	s_and_saveexec_b64 s[6:7], s[4:5]
	s_cbranch_execnz .LBB2_35
	s_branch .LBB2_36
.LBB2_2085:
	s_movk_i32 s4, 0x80
	v_cmp_eq_u16_sdwa s[12:13], v3, s4 src0_sel:BYTE_0 src1_sel:DWORD
	s_mov_b64 s[4:5], -1
                                        ; implicit-def: $sgpr10
	s_and_saveexec_b64 s[8:9], s[12:13]
; %bb.2086:
	s_mov_b32 s10, 0x7f800001
	s_xor_b64 s[4:5], exec, -1
; %bb.2087:
	s_or_b64 exec, exec, s[8:9]
	s_and_b64 s[4:5], s[4:5], exec
	s_or_saveexec_b64 s[6:7], s[6:7]
	v_mov_b32_e32 v6, s10
	s_xor_b64 exec, exec, s[6:7]
	s_cbranch_execz .LBB2_38
.LBB2_2088:
	v_mov_b32_e32 v6, 0
	v_cmp_ne_u16_sdwa s[8:9], v3, v6 src0_sel:BYTE_0 src1_sel:DWORD
	s_andn2_b64 s[4:5], s[4:5], exec
	s_and_b64 s[8:9], s[8:9], exec
	s_or_b64 s[4:5], s[4:5], s[8:9]
	s_or_b64 exec, exec, s[6:7]
	s_and_saveexec_b64 s[6:7], s[4:5]
	s_cbranch_execnz .LBB2_39
	s_branch .LBB2_40
.LBB2_2089:
	s_movk_i32 s4, 0x80
	v_cmp_eq_u16_sdwa s[12:13], v6, s4 src0_sel:BYTE_0 src1_sel:DWORD
	s_mov_b64 s[4:5], -1
                                        ; implicit-def: $sgpr10
	s_and_saveexec_b64 s[8:9], s[12:13]
; %bb.2090:
	s_mov_b32 s10, 0x7f800001
	s_xor_b64 s[4:5], exec, -1
; %bb.2091:
	s_or_b64 exec, exec, s[8:9]
	s_and_b64 s[4:5], s[4:5], exec
	s_or_saveexec_b64 s[6:7], s[6:7]
	v_mov_b32_e32 v2, s10
	s_xor_b64 exec, exec, s[6:7]
	s_cbranch_execz .LBB2_42
.LBB2_2092:
	v_mov_b32_e32 v2, 0
	v_cmp_ne_u16_sdwa s[8:9], v6, v2 src0_sel:BYTE_0 src1_sel:DWORD
	s_andn2_b64 s[4:5], s[4:5], exec
	s_and_b64 s[8:9], s[8:9], exec
	s_or_b64 s[4:5], s[4:5], s[8:9]
	s_or_b64 exec, exec, s[6:7]
	s_and_saveexec_b64 s[6:7], s[4:5]
	s_cbranch_execnz .LBB2_43
	s_branch .LBB2_44
.LBB2_2093:
	s_movk_i32 s4, 0x80
	v_cmp_eq_u16_sdwa s[12:13], v6, s4 src0_sel:BYTE_0 src1_sel:DWORD
	s_mov_b64 s[4:5], -1
                                        ; implicit-def: $sgpr10
	s_and_saveexec_b64 s[8:9], s[12:13]
; %bb.2094:
	s_mov_b32 s10, 0x7f800001
	s_xor_b64 s[4:5], exec, -1
; %bb.2095:
	s_or_b64 exec, exec, s[8:9]
	s_and_b64 s[4:5], s[4:5], exec
	s_or_saveexec_b64 s[6:7], s[6:7]
	v_mov_b32_e32 v12, s10
	s_xor_b64 exec, exec, s[6:7]
	s_cbranch_execz .LBB2_46
.LBB2_2096:
	v_mov_b32_e32 v12, 0
	v_cmp_ne_u16_sdwa s[8:9], v6, v12 src0_sel:BYTE_0 src1_sel:DWORD
	s_andn2_b64 s[4:5], s[4:5], exec
	s_and_b64 s[8:9], s[8:9], exec
	s_or_b64 s[4:5], s[4:5], s[8:9]
	s_or_b64 exec, exec, s[6:7]
	s_and_saveexec_b64 s[6:7], s[4:5]
	s_cbranch_execnz .LBB2_47
	s_branch .LBB2_48
.LBB2_2097:
	s_movk_i32 s4, 0x80
	v_cmp_eq_u16_e32 vcc, s4, v6
	s_mov_b64 s[4:5], -1
                                        ; implicit-def: $sgpr10
	s_and_saveexec_b64 s[8:9], vcc
; %bb.2098:
	s_mov_b32 s10, 0x7f800001
	s_xor_b64 s[4:5], exec, -1
; %bb.2099:
	s_or_b64 exec, exec, s[8:9]
	s_and_b64 s[4:5], s[4:5], exec
                                        ; implicit-def: $vgpr6
	s_or_saveexec_b64 s[6:7], s[6:7]
	v_mov_b32_e32 v2, s10
	s_xor_b64 exec, exec, s[6:7]
	s_cbranch_execz .LBB2_50
.LBB2_2100:
	v_cmp_ne_u16_e32 vcc, 0, v6
	s_andn2_b64 s[4:5], s[4:5], exec
	s_and_b64 s[8:9], vcc, exec
	v_mov_b32_e32 v2, 0
	s_or_b64 s[4:5], s[4:5], s[8:9]
	s_or_b64 exec, exec, s[6:7]
	s_and_saveexec_b64 s[6:7], s[4:5]
	s_cbranch_execnz .LBB2_51
	s_branch .LBB2_52
.LBB2_2101:
	s_movk_i32 s4, 0x80
	v_cmp_eq_u16_e32 vcc, s4, v6
	s_mov_b64 s[4:5], -1
                                        ; implicit-def: $sgpr10
	s_and_saveexec_b64 s[8:9], vcc
; %bb.2102:
	s_mov_b32 s10, 0x7f800001
	s_xor_b64 s[4:5], exec, -1
; %bb.2103:
	s_or_b64 exec, exec, s[8:9]
	s_and_b64 s[4:5], s[4:5], exec
                                        ; implicit-def: $vgpr6
	s_or_saveexec_b64 s[6:7], s[6:7]
	v_mov_b32_e32 v12, s10
	s_xor_b64 exec, exec, s[6:7]
	s_cbranch_execz .LBB2_54
.LBB2_2104:
	v_cmp_ne_u16_e32 vcc, 0, v6
	s_andn2_b64 s[4:5], s[4:5], exec
	s_and_b64 s[8:9], vcc, exec
	v_mov_b32_e32 v12, 0
	s_or_b64 s[4:5], s[4:5], s[8:9]
	s_or_b64 exec, exec, s[6:7]
	s_and_saveexec_b64 s[6:7], s[4:5]
	s_cbranch_execnz .LBB2_55
	s_branch .LBB2_56
.LBB2_2105:
	s_movk_i32 s4, 0x80
	v_cmp_eq_u16_sdwa s[12:13], v7, s4 src0_sel:BYTE_3 src1_sel:DWORD
	s_mov_b64 s[4:5], -1
                                        ; implicit-def: $sgpr10
	s_and_saveexec_b64 s[8:9], s[12:13]
; %bb.2106:
	s_mov_b32 s10, 0x7f800001
	s_xor_b64 s[4:5], exec, -1
; %bb.2107:
	s_or_b64 exec, exec, s[8:9]
	s_and_b64 s[4:5], s[4:5], exec
	s_or_saveexec_b64 s[6:7], s[6:7]
	v_mov_b32_e32 v2, s10
	s_xor_b64 exec, exec, s[6:7]
	s_cbranch_execz .LBB2_58
.LBB2_2108:
	v_mov_b32_e32 v2, 0
	v_cmp_ne_u16_sdwa s[8:9], v7, v2 src0_sel:BYTE_3 src1_sel:DWORD
	s_andn2_b64 s[4:5], s[4:5], exec
	s_and_b64 s[8:9], s[8:9], exec
	s_or_b64 s[4:5], s[4:5], s[8:9]
	s_or_b64 exec, exec, s[6:7]
	s_and_saveexec_b64 s[6:7], s[4:5]
	s_cbranch_execnz .LBB2_59
	s_branch .LBB2_60
.LBB2_2109:
	s_movk_i32 s4, 0x80
	v_cmp_eq_u16_sdwa s[12:13], v3, s4 src0_sel:BYTE_3 src1_sel:DWORD
	s_mov_b64 s[4:5], -1
                                        ; implicit-def: $sgpr10
	s_and_saveexec_b64 s[8:9], s[12:13]
; %bb.2110:
	s_mov_b32 s10, 0x7f800001
	s_xor_b64 s[4:5], exec, -1
; %bb.2111:
	s_or_b64 exec, exec, s[8:9]
	s_and_b64 s[4:5], s[4:5], exec
	s_or_saveexec_b64 s[6:7], s[6:7]
	v_mov_b32_e32 v6, s10
	s_xor_b64 exec, exec, s[6:7]
	s_cbranch_execz .LBB2_62
.LBB2_2112:
	v_mov_b32_e32 v6, 0
	v_cmp_ne_u16_sdwa s[8:9], v3, v6 src0_sel:BYTE_3 src1_sel:DWORD
	s_andn2_b64 s[4:5], s[4:5], exec
	s_and_b64 s[8:9], s[8:9], exec
	s_or_b64 s[4:5], s[4:5], s[8:9]
	s_or_b64 exec, exec, s[6:7]
	s_and_saveexec_b64 s[6:7], s[4:5]
	s_cbranch_execnz .LBB2_63
	s_branch .LBB2_64
.LBB2_2113:
	s_movk_i32 s4, 0x80
	v_cmp_eq_u16_sdwa s[12:13], v8, s4 src0_sel:BYTE_0 src1_sel:DWORD
	s_mov_b64 s[4:5], -1
                                        ; implicit-def: $sgpr10
	s_and_saveexec_b64 s[8:9], s[12:13]
; %bb.2114:
	s_mov_b32 s10, 0x7f800001
	s_xor_b64 s[4:5], exec, -1
; %bb.2115:
	s_or_b64 exec, exec, s[8:9]
	s_and_b64 s[4:5], s[4:5], exec
	s_or_saveexec_b64 s[6:7], s[6:7]
	v_mov_b32_e32 v2, s10
	s_xor_b64 exec, exec, s[6:7]
	s_cbranch_execz .LBB2_66
.LBB2_2116:
	v_mov_b32_e32 v2, 0
	v_cmp_ne_u16_sdwa s[8:9], v8, v2 src0_sel:BYTE_0 src1_sel:DWORD
	s_andn2_b64 s[4:5], s[4:5], exec
	s_and_b64 s[8:9], s[8:9], exec
	s_or_b64 s[4:5], s[4:5], s[8:9]
	s_or_b64 exec, exec, s[6:7]
	s_and_saveexec_b64 s[6:7], s[4:5]
	s_cbranch_execnz .LBB2_67
	s_branch .LBB2_68
.LBB2_2117:
	s_movk_i32 s4, 0x80
	v_cmp_eq_u16_sdwa s[12:13], v4, s4 src0_sel:BYTE_0 src1_sel:DWORD
	s_mov_b64 s[4:5], -1
                                        ; implicit-def: $sgpr10
	s_and_saveexec_b64 s[8:9], s[12:13]
; %bb.2118:
	s_mov_b32 s10, 0x7f800001
	s_xor_b64 s[4:5], exec, -1
; %bb.2119:
	s_or_b64 exec, exec, s[8:9]
	s_and_b64 s[4:5], s[4:5], exec
	s_or_saveexec_b64 s[6:7], s[6:7]
	v_mov_b32_e32 v3, s10
	s_xor_b64 exec, exec, s[6:7]
	s_cbranch_execz .LBB2_70
.LBB2_2120:
	v_mov_b32_e32 v3, 0
	v_cmp_ne_u16_sdwa s[8:9], v4, v3 src0_sel:BYTE_0 src1_sel:DWORD
	s_andn2_b64 s[4:5], s[4:5], exec
	s_and_b64 s[8:9], s[8:9], exec
	s_or_b64 s[4:5], s[4:5], s[8:9]
	s_or_b64 exec, exec, s[6:7]
	s_and_saveexec_b64 s[6:7], s[4:5]
	s_cbranch_execnz .LBB2_71
	s_branch .LBB2_72
.LBB2_2121:
	s_movk_i32 s4, 0x80
	v_cmp_eq_u16_sdwa s[12:13], v3, s4 src0_sel:BYTE_0 src1_sel:DWORD
	s_mov_b64 s[4:5], -1
                                        ; implicit-def: $sgpr10
	s_and_saveexec_b64 s[8:9], s[12:13]
; %bb.2122:
	s_mov_b32 s10, 0x7f800001
	s_xor_b64 s[4:5], exec, -1
; %bb.2123:
	s_or_b64 exec, exec, s[8:9]
	s_and_b64 s[4:5], s[4:5], exec
	s_or_saveexec_b64 s[6:7], s[6:7]
	v_mov_b32_e32 v2, s10
	s_xor_b64 exec, exec, s[6:7]
	s_cbranch_execz .LBB2_74
.LBB2_2124:
	v_mov_b32_e32 v2, 0
	v_cmp_ne_u16_sdwa s[8:9], v3, v2 src0_sel:BYTE_0 src1_sel:DWORD
	s_andn2_b64 s[4:5], s[4:5], exec
	s_and_b64 s[8:9], s[8:9], exec
	s_or_b64 s[4:5], s[4:5], s[8:9]
	s_or_b64 exec, exec, s[6:7]
	s_and_saveexec_b64 s[6:7], s[4:5]
	s_cbranch_execnz .LBB2_75
	s_branch .LBB2_76
.LBB2_2125:
	s_movk_i32 s4, 0x80
	v_cmp_eq_u16_sdwa s[12:13], v3, s4 src0_sel:BYTE_0 src1_sel:DWORD
	s_mov_b64 s[4:5], -1
                                        ; implicit-def: $sgpr10
	s_and_saveexec_b64 s[8:9], s[12:13]
; %bb.2126:
	s_mov_b32 s10, 0x7f800001
	s_xor_b64 s[4:5], exec, -1
; %bb.2127:
	s_or_b64 exec, exec, s[8:9]
	s_and_b64 s[4:5], s[4:5], exec
	s_or_saveexec_b64 s[6:7], s[6:7]
	v_mov_b32_e32 v6, s10
	s_xor_b64 exec, exec, s[6:7]
	s_cbranch_execz .LBB2_78
.LBB2_2128:
	v_mov_b32_e32 v6, 0
	v_cmp_ne_u16_sdwa s[8:9], v3, v6 src0_sel:BYTE_0 src1_sel:DWORD
	s_andn2_b64 s[4:5], s[4:5], exec
	s_and_b64 s[8:9], s[8:9], exec
	s_or_b64 s[4:5], s[4:5], s[8:9]
	s_or_b64 exec, exec, s[6:7]
	s_and_saveexec_b64 s[6:7], s[4:5]
	s_cbranch_execnz .LBB2_79
	s_branch .LBB2_80
.LBB2_2129:
	s_movk_i32 s4, 0x80
	v_cmp_eq_u16_e32 vcc, s4, v3
	s_mov_b64 s[4:5], -1
                                        ; implicit-def: $sgpr10
	s_and_saveexec_b64 s[8:9], vcc
; %bb.2130:
	s_mov_b32 s10, 0x7f800001
	s_xor_b64 s[4:5], exec, -1
; %bb.2131:
	s_or_b64 exec, exec, s[8:9]
	s_and_b64 s[4:5], s[4:5], exec
                                        ; implicit-def: $vgpr3
	s_or_saveexec_b64 s[6:7], s[6:7]
	v_mov_b32_e32 v2, s10
	s_xor_b64 exec, exec, s[6:7]
	s_cbranch_execz .LBB2_82
.LBB2_2132:
	v_cmp_ne_u16_e32 vcc, 0, v3
	s_andn2_b64 s[4:5], s[4:5], exec
	s_and_b64 s[8:9], vcc, exec
	v_mov_b32_e32 v2, 0
	s_or_b64 s[4:5], s[4:5], s[8:9]
	s_or_b64 exec, exec, s[6:7]
	s_and_saveexec_b64 s[6:7], s[4:5]
	s_cbranch_execnz .LBB2_83
	s_branch .LBB2_84
.LBB2_2133:
	s_movk_i32 s4, 0x80
	v_cmp_eq_u16_e32 vcc, s4, v3
	s_mov_b64 s[4:5], -1
                                        ; implicit-def: $sgpr10
	s_and_saveexec_b64 s[8:9], vcc
; %bb.2134:
	s_mov_b32 s10, 0x7f800001
	s_xor_b64 s[4:5], exec, -1
; %bb.2135:
	s_or_b64 exec, exec, s[8:9]
	s_and_b64 s[4:5], s[4:5], exec
                                        ; implicit-def: $vgpr3
	s_or_saveexec_b64 s[6:7], s[6:7]
	v_mov_b32_e32 v6, s10
	s_xor_b64 exec, exec, s[6:7]
	s_cbranch_execz .LBB2_86
.LBB2_2136:
	v_cmp_ne_u16_e32 vcc, 0, v3
	s_andn2_b64 s[4:5], s[4:5], exec
	s_and_b64 s[8:9], vcc, exec
	v_mov_b32_e32 v6, 0
	s_or_b64 s[4:5], s[4:5], s[8:9]
	s_or_b64 exec, exec, s[6:7]
	s_and_saveexec_b64 s[6:7], s[4:5]
	s_cbranch_execnz .LBB2_87
	s_branch .LBB2_88
.LBB2_2137:
	s_movk_i32 s4, 0x80
	v_cmp_eq_u16_sdwa s[12:13], v8, s4 src0_sel:BYTE_3 src1_sel:DWORD
	s_mov_b64 s[4:5], -1
                                        ; implicit-def: $sgpr10
	s_and_saveexec_b64 s[8:9], s[12:13]
; %bb.2138:
	s_mov_b32 s10, 0x7f800001
	s_xor_b64 s[4:5], exec, -1
; %bb.2139:
	s_or_b64 exec, exec, s[8:9]
	s_and_b64 s[4:5], s[4:5], exec
	s_or_saveexec_b64 s[6:7], s[6:7]
	v_mov_b32_e32 v2, s10
	s_xor_b64 exec, exec, s[6:7]
	s_cbranch_execz .LBB2_90
.LBB2_2140:
	v_mov_b32_e32 v2, 0
	v_cmp_ne_u16_sdwa s[8:9], v8, v2 src0_sel:BYTE_3 src1_sel:DWORD
	s_andn2_b64 s[4:5], s[4:5], exec
	s_and_b64 s[8:9], s[8:9], exec
	s_or_b64 s[4:5], s[4:5], s[8:9]
	s_or_b64 exec, exec, s[6:7]
	s_and_saveexec_b64 s[6:7], s[4:5]
	s_cbranch_execnz .LBB2_91
	s_branch .LBB2_92
.LBB2_2141:
	s_movk_i32 s4, 0x80
	v_cmp_eq_u16_sdwa s[12:13], v4, s4 src0_sel:BYTE_3 src1_sel:DWORD
	s_mov_b64 s[4:5], -1
                                        ; implicit-def: $sgpr10
	s_and_saveexec_b64 s[8:9], s[12:13]
; %bb.2142:
	s_mov_b32 s10, 0x7f800001
	s_xor_b64 s[4:5], exec, -1
; %bb.2143:
	s_or_b64 exec, exec, s[8:9]
	s_and_b64 s[4:5], s[4:5], exec
	s_or_saveexec_b64 s[6:7], s[6:7]
	v_mov_b32_e32 v3, s10
	s_xor_b64 exec, exec, s[6:7]
	s_cbranch_execz .LBB2_94
.LBB2_2144:
	v_mov_b32_e32 v3, 0
	v_cmp_ne_u16_sdwa s[8:9], v4, v3 src0_sel:BYTE_3 src1_sel:DWORD
	s_andn2_b64 s[4:5], s[4:5], exec
	s_and_b64 s[8:9], s[8:9], exec
	s_or_b64 s[4:5], s[4:5], s[8:9]
	s_or_b64 exec, exec, s[6:7]
	s_and_saveexec_b64 s[6:7], s[4:5]
	s_cbranch_execnz .LBB2_95
	s_branch .LBB2_96
.LBB2_2145:
	s_movk_i32 s4, 0x80
	v_cmp_eq_u16_sdwa s[12:13], v9, s4 src0_sel:BYTE_0 src1_sel:DWORD
	s_mov_b64 s[4:5], -1
                                        ; implicit-def: $sgpr10
	s_and_saveexec_b64 s[8:9], s[12:13]
; %bb.2146:
	s_mov_b32 s10, 0x7f800001
	s_xor_b64 s[4:5], exec, -1
; %bb.2147:
	s_or_b64 exec, exec, s[8:9]
	s_and_b64 s[4:5], s[4:5], exec
	s_or_saveexec_b64 s[6:7], s[6:7]
	v_mov_b32_e32 v2, s10
	s_xor_b64 exec, exec, s[6:7]
	s_cbranch_execz .LBB2_98
.LBB2_2148:
	v_mov_b32_e32 v2, 0
	v_cmp_ne_u16_sdwa s[8:9], v9, v2 src0_sel:BYTE_0 src1_sel:DWORD
	s_andn2_b64 s[4:5], s[4:5], exec
	s_and_b64 s[8:9], s[8:9], exec
	s_or_b64 s[4:5], s[4:5], s[8:9]
	s_or_b64 exec, exec, s[6:7]
	s_and_saveexec_b64 s[6:7], s[4:5]
	s_cbranch_execnz .LBB2_99
	s_branch .LBB2_100
.LBB2_2149:
	s_movk_i32 s4, 0x80
	v_cmp_eq_u16_sdwa s[12:13], v5, s4 src0_sel:BYTE_0 src1_sel:DWORD
	s_mov_b64 s[4:5], -1
                                        ; implicit-def: $sgpr10
	s_and_saveexec_b64 s[8:9], s[12:13]
; %bb.2150:
	s_mov_b32 s10, 0x7f800001
	s_xor_b64 s[4:5], exec, -1
; %bb.2151:
	s_or_b64 exec, exec, s[8:9]
	s_and_b64 s[4:5], s[4:5], exec
	s_or_saveexec_b64 s[6:7], s[6:7]
	v_mov_b32_e32 v3, s10
	s_xor_b64 exec, exec, s[6:7]
	s_cbranch_execz .LBB2_102
.LBB2_2152:
	v_mov_b32_e32 v3, 0
	v_cmp_ne_u16_sdwa s[8:9], v5, v3 src0_sel:BYTE_0 src1_sel:DWORD
	s_andn2_b64 s[4:5], s[4:5], exec
	s_and_b64 s[8:9], s[8:9], exec
	s_or_b64 s[4:5], s[4:5], s[8:9]
	s_or_b64 exec, exec, s[6:7]
	s_and_saveexec_b64 s[6:7], s[4:5]
	s_cbranch_execnz .LBB2_103
	s_branch .LBB2_104
.LBB2_2153:
	s_movk_i32 s4, 0x80
	v_cmp_eq_u16_sdwa s[12:13], v3, s4 src0_sel:BYTE_0 src1_sel:DWORD
	s_mov_b64 s[4:5], -1
                                        ; implicit-def: $sgpr10
	s_and_saveexec_b64 s[8:9], s[12:13]
; %bb.2154:
	s_mov_b32 s10, 0x7f800001
	s_xor_b64 s[4:5], exec, -1
; %bb.2155:
	s_or_b64 exec, exec, s[8:9]
	s_and_b64 s[4:5], s[4:5], exec
	s_or_saveexec_b64 s[6:7], s[6:7]
	v_mov_b32_e32 v2, s10
	s_xor_b64 exec, exec, s[6:7]
	s_cbranch_execz .LBB2_106
.LBB2_2156:
	v_mov_b32_e32 v2, 0
	v_cmp_ne_u16_sdwa s[8:9], v3, v2 src0_sel:BYTE_0 src1_sel:DWORD
	s_andn2_b64 s[4:5], s[4:5], exec
	s_and_b64 s[8:9], s[8:9], exec
	s_or_b64 s[4:5], s[4:5], s[8:9]
	s_or_b64 exec, exec, s[6:7]
	s_and_saveexec_b64 s[6:7], s[4:5]
	s_cbranch_execnz .LBB2_107
	s_branch .LBB2_108
.LBB2_2157:
	s_movk_i32 s4, 0x80
	v_cmp_eq_u16_sdwa s[12:13], v3, s4 src0_sel:BYTE_0 src1_sel:DWORD
	s_mov_b64 s[4:5], -1
                                        ; implicit-def: $sgpr10
	s_and_saveexec_b64 s[8:9], s[12:13]
; %bb.2158:
	s_mov_b32 s10, 0x7f800001
	s_xor_b64 s[4:5], exec, -1
; %bb.2159:
	s_or_b64 exec, exec, s[8:9]
	s_and_b64 s[4:5], s[4:5], exec
	s_or_saveexec_b64 s[6:7], s[6:7]
	v_mov_b32_e32 v4, s10
	s_xor_b64 exec, exec, s[6:7]
	s_cbranch_execz .LBB2_110
.LBB2_2160:
	v_mov_b32_e32 v4, 0
	v_cmp_ne_u16_sdwa s[8:9], v3, v4 src0_sel:BYTE_0 src1_sel:DWORD
	s_andn2_b64 s[4:5], s[4:5], exec
	s_and_b64 s[8:9], s[8:9], exec
	s_or_b64 s[4:5], s[4:5], s[8:9]
	s_or_b64 exec, exec, s[6:7]
	s_and_saveexec_b64 s[6:7], s[4:5]
	s_cbranch_execnz .LBB2_111
	s_branch .LBB2_112
.LBB2_2161:
	s_movk_i32 s4, 0x80
	v_cmp_eq_u16_e32 vcc, s4, v3
	s_mov_b64 s[4:5], -1
                                        ; implicit-def: $sgpr10
	s_and_saveexec_b64 s[8:9], vcc
; %bb.2162:
	s_mov_b32 s10, 0x7f800001
	s_xor_b64 s[4:5], exec, -1
; %bb.2163:
	s_or_b64 exec, exec, s[8:9]
	s_and_b64 s[4:5], s[4:5], exec
                                        ; implicit-def: $vgpr3
	s_or_saveexec_b64 s[6:7], s[6:7]
	v_mov_b32_e32 v2, s10
	s_xor_b64 exec, exec, s[6:7]
	s_cbranch_execz .LBB2_114
.LBB2_2164:
	v_cmp_ne_u16_e32 vcc, 0, v3
	s_andn2_b64 s[4:5], s[4:5], exec
	s_and_b64 s[8:9], vcc, exec
	v_mov_b32_e32 v2, 0
	s_or_b64 s[4:5], s[4:5], s[8:9]
	s_or_b64 exec, exec, s[6:7]
	s_and_saveexec_b64 s[6:7], s[4:5]
	s_cbranch_execnz .LBB2_115
	s_branch .LBB2_116
.LBB2_2165:
	s_movk_i32 s4, 0x80
	v_cmp_eq_u16_e32 vcc, s4, v3
	s_mov_b64 s[4:5], -1
                                        ; implicit-def: $sgpr10
	s_and_saveexec_b64 s[8:9], vcc
; %bb.2166:
	s_mov_b32 s10, 0x7f800001
	s_xor_b64 s[4:5], exec, -1
; %bb.2167:
	s_or_b64 exec, exec, s[8:9]
	s_and_b64 s[4:5], s[4:5], exec
                                        ; implicit-def: $vgpr3
	s_or_saveexec_b64 s[6:7], s[6:7]
	v_mov_b32_e32 v4, s10
	s_xor_b64 exec, exec, s[6:7]
	s_cbranch_execz .LBB2_118
.LBB2_2168:
	v_cmp_ne_u16_e32 vcc, 0, v3
	s_andn2_b64 s[4:5], s[4:5], exec
	s_and_b64 s[8:9], vcc, exec
	v_mov_b32_e32 v4, 0
	s_or_b64 s[4:5], s[4:5], s[8:9]
	s_or_b64 exec, exec, s[6:7]
	s_and_saveexec_b64 s[6:7], s[4:5]
	s_cbranch_execnz .LBB2_119
	s_branch .LBB2_120
.LBB2_2169:
	s_movk_i32 s4, 0x80
	v_cmp_eq_u16_sdwa s[12:13], v9, s4 src0_sel:BYTE_3 src1_sel:DWORD
	s_mov_b64 s[4:5], -1
                                        ; implicit-def: $sgpr10
	s_and_saveexec_b64 s[8:9], s[12:13]
; %bb.2170:
	s_mov_b32 s10, 0x7f800001
	s_xor_b64 s[4:5], exec, -1
; %bb.2171:
	s_or_b64 exec, exec, s[8:9]
	s_and_b64 s[4:5], s[4:5], exec
	s_or_saveexec_b64 s[6:7], s[6:7]
	v_mov_b32_e32 v2, s10
	s_xor_b64 exec, exec, s[6:7]
	s_cbranch_execz .LBB2_122
.LBB2_2172:
	v_mov_b32_e32 v2, 0
	v_cmp_ne_u16_sdwa s[8:9], v9, v2 src0_sel:BYTE_3 src1_sel:DWORD
	s_andn2_b64 s[4:5], s[4:5], exec
	s_and_b64 s[8:9], s[8:9], exec
	s_or_b64 s[4:5], s[4:5], s[8:9]
	s_or_b64 exec, exec, s[6:7]
	s_and_saveexec_b64 s[6:7], s[4:5]
	s_cbranch_execnz .LBB2_123
	s_branch .LBB2_124
.LBB2_2173:
	s_movk_i32 s4, 0x80
	v_cmp_eq_u16_sdwa s[12:13], v5, s4 src0_sel:BYTE_3 src1_sel:DWORD
	s_mov_b64 s[4:5], -1
                                        ; implicit-def: $sgpr10
	s_and_saveexec_b64 s[8:9], s[12:13]
; %bb.2174:
	s_mov_b32 s10, 0x7f800001
	s_xor_b64 s[4:5], exec, -1
; %bb.2175:
	s_or_b64 exec, exec, s[8:9]
	s_and_b64 s[4:5], s[4:5], exec
	s_or_saveexec_b64 s[6:7], s[6:7]
	v_mov_b32_e32 v3, s10
	s_xor_b64 exec, exec, s[6:7]
	s_cbranch_execz .LBB2_126
.LBB2_2176:
	v_mov_b32_e32 v3, 0
	v_cmp_ne_u16_sdwa s[8:9], v5, v3 src0_sel:BYTE_3 src1_sel:DWORD
	s_andn2_b64 s[4:5], s[4:5], exec
	s_and_b64 s[8:9], s[8:9], exec
	s_or_b64 s[4:5], s[4:5], s[8:9]
	s_or_b64 exec, exec, s[6:7]
	s_and_saveexec_b64 s[6:7], s[4:5]
	s_cbranch_execnz .LBB2_127
	s_branch .LBB2_128
.LBB2_2177:
	s_movk_i32 s4, 0x80
	v_cmp_eq_u16_sdwa s[12:13], v6, s4 src0_sel:BYTE_0 src1_sel:DWORD
	s_mov_b64 s[4:5], -1
                                        ; implicit-def: $sgpr10
	s_and_saveexec_b64 s[8:9], s[12:13]
; %bb.2178:
	s_mov_b32 s10, 0x7f800001
	s_xor_b64 s[4:5], exec, -1
; %bb.2179:
	s_or_b64 exec, exec, s[8:9]
	s_and_b64 s[4:5], s[4:5], exec
	s_or_saveexec_b64 s[6:7], s[6:7]
	v_mov_b32_e32 v12, s10
	s_xor_b64 exec, exec, s[6:7]
	s_cbranch_execz .LBB2_130
.LBB2_2180:
	v_mov_b32_e32 v12, 0
	v_cmp_ne_u16_sdwa s[8:9], v6, v12 src0_sel:BYTE_0 src1_sel:DWORD
	s_andn2_b64 s[4:5], s[4:5], exec
	s_and_b64 s[8:9], s[8:9], exec
	s_or_b64 s[4:5], s[4:5], s[8:9]
	s_or_b64 exec, exec, s[6:7]
	s_and_saveexec_b64 s[6:7], s[4:5]
	s_cbranch_execnz .LBB2_131
	s_branch .LBB2_132
.LBB2_2181:
	s_movk_i32 s4, 0x80
	v_cmp_eq_u16_sdwa s[12:13], v2, s4 src0_sel:BYTE_0 src1_sel:DWORD
	s_mov_b64 s[4:5], -1
                                        ; implicit-def: $sgpr10
	s_and_saveexec_b64 s[8:9], s[12:13]
; %bb.2182:
	s_mov_b32 s10, 0x7f800001
	s_xor_b64 s[4:5], exec, -1
; %bb.2183:
	s_or_b64 exec, exec, s[8:9]
	s_and_b64 s[4:5], s[4:5], exec
	s_or_saveexec_b64 s[6:7], s[6:7]
	v_mov_b32_e32 v13, s10
	s_xor_b64 exec, exec, s[6:7]
	s_cbranch_execz .LBB2_134
.LBB2_2184:
	v_mov_b32_e32 v13, 0
	v_cmp_ne_u16_sdwa s[8:9], v2, v13 src0_sel:BYTE_0 src1_sel:DWORD
	s_andn2_b64 s[4:5], s[4:5], exec
	s_and_b64 s[8:9], s[8:9], exec
	s_or_b64 s[4:5], s[4:5], s[8:9]
	s_or_b64 exec, exec, s[6:7]
	s_and_saveexec_b64 s[6:7], s[4:5]
	s_cbranch_execnz .LBB2_135
	s_branch .LBB2_136
.LBB2_2185:
	s_movk_i32 s4, 0x80
	v_cmp_eq_u16_sdwa s[12:13], v13, s4 src0_sel:BYTE_0 src1_sel:DWORD
	s_mov_b64 s[4:5], -1
                                        ; implicit-def: $sgpr10
	s_and_saveexec_b64 s[8:9], s[12:13]
; %bb.2186:
	s_mov_b32 s10, 0x7f800001
	s_xor_b64 s[4:5], exec, -1
; %bb.2187:
	s_or_b64 exec, exec, s[8:9]
	s_and_b64 s[4:5], s[4:5], exec
	s_or_saveexec_b64 s[6:7], s[6:7]
	v_mov_b32_e32 v12, s10
	s_xor_b64 exec, exec, s[6:7]
	s_cbranch_execz .LBB2_138
.LBB2_2188:
	v_mov_b32_e32 v12, 0
	v_cmp_ne_u16_sdwa s[8:9], v13, v12 src0_sel:BYTE_0 src1_sel:DWORD
	s_andn2_b64 s[4:5], s[4:5], exec
	s_and_b64 s[8:9], s[8:9], exec
	s_or_b64 s[4:5], s[4:5], s[8:9]
	s_or_b64 exec, exec, s[6:7]
	s_and_saveexec_b64 s[6:7], s[4:5]
	s_cbranch_execnz .LBB2_139
	s_branch .LBB2_140
.LBB2_2189:
	s_movk_i32 s4, 0x80
	v_cmp_eq_u16_sdwa s[12:13], v13, s4 src0_sel:BYTE_0 src1_sel:DWORD
	s_mov_b64 s[4:5], -1
                                        ; implicit-def: $sgpr10
	s_and_saveexec_b64 s[8:9], s[12:13]
; %bb.2190:
	s_mov_b32 s10, 0x7f800001
	s_xor_b64 s[4:5], exec, -1
; %bb.2191:
	s_or_b64 exec, exec, s[8:9]
	s_and_b64 s[4:5], s[4:5], exec
	s_or_saveexec_b64 s[6:7], s[6:7]
	v_mov_b32_e32 v14, s10
	s_xor_b64 exec, exec, s[6:7]
	s_cbranch_execz .LBB2_142
.LBB2_2192:
	v_mov_b32_e32 v14, 0
	v_cmp_ne_u16_sdwa s[8:9], v13, v14 src0_sel:BYTE_0 src1_sel:DWORD
	s_andn2_b64 s[4:5], s[4:5], exec
	s_and_b64 s[8:9], s[8:9], exec
	s_or_b64 s[4:5], s[4:5], s[8:9]
	s_or_b64 exec, exec, s[6:7]
	s_and_saveexec_b64 s[6:7], s[4:5]
	s_cbranch_execnz .LBB2_143
	s_branch .LBB2_144
.LBB2_2193:
	s_movk_i32 s4, 0x80
	v_cmp_eq_u16_e32 vcc, s4, v13
	s_mov_b64 s[4:5], -1
                                        ; implicit-def: $sgpr10
	s_and_saveexec_b64 s[8:9], vcc
; %bb.2194:
	s_mov_b32 s10, 0x7f800001
	s_xor_b64 s[4:5], exec, -1
; %bb.2195:
	s_or_b64 exec, exec, s[8:9]
	s_and_b64 s[4:5], s[4:5], exec
                                        ; implicit-def: $vgpr13
	s_or_saveexec_b64 s[6:7], s[6:7]
	v_mov_b32_e32 v12, s10
	s_xor_b64 exec, exec, s[6:7]
	s_cbranch_execz .LBB2_146
.LBB2_2196:
	v_cmp_ne_u16_e32 vcc, 0, v13
	s_andn2_b64 s[4:5], s[4:5], exec
	s_and_b64 s[8:9], vcc, exec
	v_mov_b32_e32 v12, 0
	s_or_b64 s[4:5], s[4:5], s[8:9]
	s_or_b64 exec, exec, s[6:7]
	s_and_saveexec_b64 s[6:7], s[4:5]
	s_cbranch_execnz .LBB2_147
	s_branch .LBB2_148
.LBB2_2197:
	s_movk_i32 s4, 0x80
	v_cmp_eq_u16_e32 vcc, s4, v13
	s_mov_b64 s[4:5], -1
                                        ; implicit-def: $sgpr10
	s_and_saveexec_b64 s[8:9], vcc
; %bb.2198:
	s_mov_b32 s10, 0x7f800001
	s_xor_b64 s[4:5], exec, -1
; %bb.2199:
	s_or_b64 exec, exec, s[8:9]
	s_and_b64 s[4:5], s[4:5], exec
                                        ; implicit-def: $vgpr13
	s_or_saveexec_b64 s[6:7], s[6:7]
	v_mov_b32_e32 v14, s10
	s_xor_b64 exec, exec, s[6:7]
	s_cbranch_execz .LBB2_150
.LBB2_2200:
	v_cmp_ne_u16_e32 vcc, 0, v13
	s_andn2_b64 s[4:5], s[4:5], exec
	s_and_b64 s[8:9], vcc, exec
	v_mov_b32_e32 v14, 0
	s_or_b64 s[4:5], s[4:5], s[8:9]
	s_or_b64 exec, exec, s[6:7]
	s_and_saveexec_b64 s[6:7], s[4:5]
	s_cbranch_execnz .LBB2_151
	s_branch .LBB2_152
.LBB2_2201:
	s_movk_i32 s4, 0x80
	v_cmp_eq_u16_sdwa s[12:13], v6, s4 src0_sel:BYTE_3 src1_sel:DWORD
	s_mov_b64 s[4:5], -1
                                        ; implicit-def: $sgpr10
	s_and_saveexec_b64 s[8:9], s[12:13]
; %bb.2202:
	s_mov_b32 s10, 0x7f800001
	s_xor_b64 s[4:5], exec, -1
; %bb.2203:
	s_or_b64 exec, exec, s[8:9]
	s_and_b64 s[4:5], s[4:5], exec
	s_or_saveexec_b64 s[6:7], s[6:7]
	v_mov_b32_e32 v12, s10
	s_xor_b64 exec, exec, s[6:7]
	s_cbranch_execz .LBB2_154
.LBB2_2204:
	v_mov_b32_e32 v12, 0
	v_cmp_ne_u16_sdwa s[8:9], v6, v12 src0_sel:BYTE_3 src1_sel:DWORD
	s_andn2_b64 s[4:5], s[4:5], exec
	s_and_b64 s[8:9], s[8:9], exec
	s_or_b64 s[4:5], s[4:5], s[8:9]
	s_or_b64 exec, exec, s[6:7]
	s_and_saveexec_b64 s[6:7], s[4:5]
	s_cbranch_execnz .LBB2_155
	s_branch .LBB2_156
.LBB2_2205:
	s_movk_i32 s4, 0x80
	v_cmp_eq_u16_sdwa s[12:13], v2, s4 src0_sel:BYTE_3 src1_sel:DWORD
	s_mov_b64 s[4:5], -1
                                        ; implicit-def: $sgpr10
	s_and_saveexec_b64 s[8:9], s[12:13]
; %bb.2206:
	s_mov_b32 s10, 0x7f800001
	s_xor_b64 s[4:5], exec, -1
; %bb.2207:
	s_or_b64 exec, exec, s[8:9]
	s_and_b64 s[4:5], s[4:5], exec
	s_or_saveexec_b64 s[6:7], s[6:7]
	v_mov_b32_e32 v6, s10
	s_xor_b64 exec, exec, s[6:7]
	s_cbranch_execz .LBB2_158
.LBB2_2208:
	v_mov_b32_e32 v6, 0
	v_cmp_ne_u16_sdwa s[8:9], v2, v6 src0_sel:BYTE_3 src1_sel:DWORD
	s_andn2_b64 s[4:5], s[4:5], exec
	s_and_b64 s[8:9], s[8:9], exec
	s_or_b64 s[4:5], s[4:5], s[8:9]
	s_or_b64 exec, exec, s[6:7]
	s_and_saveexec_b64 s[6:7], s[4:5]
	s_cbranch_execnz .LBB2_159
	s_branch .LBB2_160
.LBB2_2209:
	s_movk_i32 s4, 0x80
	v_cmp_eq_u16_sdwa s[12:13], v7, s4 src0_sel:BYTE_0 src1_sel:DWORD
	s_mov_b64 s[4:5], -1
                                        ; implicit-def: $sgpr10
	s_and_saveexec_b64 s[8:9], s[12:13]
; %bb.2210:
	s_mov_b32 s10, 0x7f800001
	s_xor_b64 s[4:5], exec, -1
; %bb.2211:
	s_or_b64 exec, exec, s[8:9]
	s_and_b64 s[4:5], s[4:5], exec
	s_or_saveexec_b64 s[6:7], s[6:7]
	v_mov_b32_e32 v2, s10
	s_xor_b64 exec, exec, s[6:7]
	s_cbranch_execz .LBB2_162
.LBB2_2212:
	v_mov_b32_e32 v2, 0
	v_cmp_ne_u16_sdwa s[8:9], v7, v2 src0_sel:BYTE_0 src1_sel:DWORD
	s_andn2_b64 s[4:5], s[4:5], exec
	s_and_b64 s[8:9], s[8:9], exec
	s_or_b64 s[4:5], s[4:5], s[8:9]
	s_or_b64 exec, exec, s[6:7]
	s_and_saveexec_b64 s[6:7], s[4:5]
	s_cbranch_execnz .LBB2_163
	s_branch .LBB2_164
.LBB2_2213:
	s_movk_i32 s4, 0x80
	v_cmp_eq_u16_sdwa s[12:13], v3, s4 src0_sel:BYTE_0 src1_sel:DWORD
	s_mov_b64 s[4:5], -1
                                        ; implicit-def: $sgpr10
	s_and_saveexec_b64 s[8:9], s[12:13]
; %bb.2214:
	s_mov_b32 s10, 0x7f800001
	s_xor_b64 s[4:5], exec, -1
; %bb.2215:
	s_or_b64 exec, exec, s[8:9]
	s_and_b64 s[4:5], s[4:5], exec
	s_or_saveexec_b64 s[6:7], s[6:7]
	v_mov_b32_e32 v6, s10
	s_xor_b64 exec, exec, s[6:7]
	s_cbranch_execz .LBB2_166
.LBB2_2216:
	v_mov_b32_e32 v6, 0
	v_cmp_ne_u16_sdwa s[8:9], v3, v6 src0_sel:BYTE_0 src1_sel:DWORD
	s_andn2_b64 s[4:5], s[4:5], exec
	s_and_b64 s[8:9], s[8:9], exec
	s_or_b64 s[4:5], s[4:5], s[8:9]
	s_or_b64 exec, exec, s[6:7]
	s_and_saveexec_b64 s[6:7], s[4:5]
	s_cbranch_execnz .LBB2_167
	s_branch .LBB2_168
.LBB2_2217:
	s_movk_i32 s4, 0x80
	v_cmp_eq_u16_sdwa s[12:13], v6, s4 src0_sel:BYTE_0 src1_sel:DWORD
	s_mov_b64 s[4:5], -1
                                        ; implicit-def: $sgpr10
	s_and_saveexec_b64 s[8:9], s[12:13]
; %bb.2218:
	s_mov_b32 s10, 0x7f800001
	s_xor_b64 s[4:5], exec, -1
; %bb.2219:
	s_or_b64 exec, exec, s[8:9]
	s_and_b64 s[4:5], s[4:5], exec
	s_or_saveexec_b64 s[6:7], s[6:7]
	v_mov_b32_e32 v2, s10
	s_xor_b64 exec, exec, s[6:7]
	s_cbranch_execz .LBB2_170
.LBB2_2220:
	v_mov_b32_e32 v2, 0
	v_cmp_ne_u16_sdwa s[8:9], v6, v2 src0_sel:BYTE_0 src1_sel:DWORD
	s_andn2_b64 s[4:5], s[4:5], exec
	s_and_b64 s[8:9], s[8:9], exec
	s_or_b64 s[4:5], s[4:5], s[8:9]
	s_or_b64 exec, exec, s[6:7]
	s_and_saveexec_b64 s[6:7], s[4:5]
	s_cbranch_execnz .LBB2_171
	s_branch .LBB2_172
.LBB2_2221:
	s_movk_i32 s4, 0x80
	v_cmp_eq_u16_sdwa s[12:13], v6, s4 src0_sel:BYTE_0 src1_sel:DWORD
	s_mov_b64 s[4:5], -1
                                        ; implicit-def: $sgpr10
	s_and_saveexec_b64 s[8:9], s[12:13]
; %bb.2222:
	s_mov_b32 s10, 0x7f800001
	s_xor_b64 s[4:5], exec, -1
; %bb.2223:
	s_or_b64 exec, exec, s[8:9]
	s_and_b64 s[4:5], s[4:5], exec
	s_or_saveexec_b64 s[6:7], s[6:7]
	v_mov_b32_e32 v12, s10
	s_xor_b64 exec, exec, s[6:7]
	s_cbranch_execz .LBB2_174
.LBB2_2224:
	v_mov_b32_e32 v12, 0
	v_cmp_ne_u16_sdwa s[8:9], v6, v12 src0_sel:BYTE_0 src1_sel:DWORD
	s_andn2_b64 s[4:5], s[4:5], exec
	s_and_b64 s[8:9], s[8:9], exec
	s_or_b64 s[4:5], s[4:5], s[8:9]
	s_or_b64 exec, exec, s[6:7]
	s_and_saveexec_b64 s[6:7], s[4:5]
	s_cbranch_execnz .LBB2_175
	s_branch .LBB2_176
.LBB2_2225:
	s_movk_i32 s4, 0x80
	v_cmp_eq_u16_e32 vcc, s4, v6
	s_mov_b64 s[4:5], -1
                                        ; implicit-def: $sgpr10
	s_and_saveexec_b64 s[8:9], vcc
; %bb.2226:
	s_mov_b32 s10, 0x7f800001
	s_xor_b64 s[4:5], exec, -1
; %bb.2227:
	s_or_b64 exec, exec, s[8:9]
	s_and_b64 s[4:5], s[4:5], exec
                                        ; implicit-def: $vgpr6
	s_or_saveexec_b64 s[6:7], s[6:7]
	v_mov_b32_e32 v2, s10
	s_xor_b64 exec, exec, s[6:7]
	s_cbranch_execz .LBB2_178
.LBB2_2228:
	v_cmp_ne_u16_e32 vcc, 0, v6
	s_andn2_b64 s[4:5], s[4:5], exec
	s_and_b64 s[8:9], vcc, exec
	v_mov_b32_e32 v2, 0
	s_or_b64 s[4:5], s[4:5], s[8:9]
	s_or_b64 exec, exec, s[6:7]
	s_and_saveexec_b64 s[6:7], s[4:5]
	s_cbranch_execnz .LBB2_179
	s_branch .LBB2_180
.LBB2_2229:
	s_movk_i32 s4, 0x80
	v_cmp_eq_u16_e32 vcc, s4, v6
	s_mov_b64 s[4:5], -1
                                        ; implicit-def: $sgpr10
	s_and_saveexec_b64 s[8:9], vcc
; %bb.2230:
	s_mov_b32 s10, 0x7f800001
	s_xor_b64 s[4:5], exec, -1
; %bb.2231:
	s_or_b64 exec, exec, s[8:9]
	s_and_b64 s[4:5], s[4:5], exec
                                        ; implicit-def: $vgpr6
	s_or_saveexec_b64 s[6:7], s[6:7]
	v_mov_b32_e32 v12, s10
	s_xor_b64 exec, exec, s[6:7]
	s_cbranch_execz .LBB2_182
.LBB2_2232:
	v_cmp_ne_u16_e32 vcc, 0, v6
	s_andn2_b64 s[4:5], s[4:5], exec
	s_and_b64 s[8:9], vcc, exec
	v_mov_b32_e32 v12, 0
	s_or_b64 s[4:5], s[4:5], s[8:9]
	s_or_b64 exec, exec, s[6:7]
	s_and_saveexec_b64 s[6:7], s[4:5]
	s_cbranch_execnz .LBB2_183
	s_branch .LBB2_184
.LBB2_2233:
	s_movk_i32 s4, 0x80
	v_cmp_eq_u16_sdwa s[12:13], v7, s4 src0_sel:BYTE_3 src1_sel:DWORD
	s_mov_b64 s[4:5], -1
                                        ; implicit-def: $sgpr10
	s_and_saveexec_b64 s[8:9], s[12:13]
; %bb.2234:
	s_mov_b32 s10, 0x7f800001
	s_xor_b64 s[4:5], exec, -1
; %bb.2235:
	s_or_b64 exec, exec, s[8:9]
	s_and_b64 s[4:5], s[4:5], exec
	s_or_saveexec_b64 s[6:7], s[6:7]
	v_mov_b32_e32 v2, s10
	s_xor_b64 exec, exec, s[6:7]
	s_cbranch_execz .LBB2_186
.LBB2_2236:
	v_mov_b32_e32 v2, 0
	v_cmp_ne_u16_sdwa s[8:9], v7, v2 src0_sel:BYTE_3 src1_sel:DWORD
	s_andn2_b64 s[4:5], s[4:5], exec
	s_and_b64 s[8:9], s[8:9], exec
	s_or_b64 s[4:5], s[4:5], s[8:9]
	s_or_b64 exec, exec, s[6:7]
	s_and_saveexec_b64 s[6:7], s[4:5]
	s_cbranch_execnz .LBB2_187
	s_branch .LBB2_188
.LBB2_2237:
	s_movk_i32 s4, 0x80
	v_cmp_eq_u16_sdwa s[12:13], v3, s4 src0_sel:BYTE_3 src1_sel:DWORD
	s_mov_b64 s[4:5], -1
                                        ; implicit-def: $sgpr10
	s_and_saveexec_b64 s[8:9], s[12:13]
; %bb.2238:
	s_mov_b32 s10, 0x7f800001
	s_xor_b64 s[4:5], exec, -1
; %bb.2239:
	s_or_b64 exec, exec, s[8:9]
	s_and_b64 s[4:5], s[4:5], exec
	s_or_saveexec_b64 s[6:7], s[6:7]
	v_mov_b32_e32 v6, s10
	s_xor_b64 exec, exec, s[6:7]
	s_cbranch_execz .LBB2_190
.LBB2_2240:
	v_mov_b32_e32 v6, 0
	v_cmp_ne_u16_sdwa s[8:9], v3, v6 src0_sel:BYTE_3 src1_sel:DWORD
	s_andn2_b64 s[4:5], s[4:5], exec
	s_and_b64 s[8:9], s[8:9], exec
	s_or_b64 s[4:5], s[4:5], s[8:9]
	s_or_b64 exec, exec, s[6:7]
	s_and_saveexec_b64 s[6:7], s[4:5]
	s_cbranch_execnz .LBB2_191
	s_branch .LBB2_192
.LBB2_2241:
	s_movk_i32 s4, 0x80
	v_cmp_eq_u16_sdwa s[12:13], v8, s4 src0_sel:BYTE_0 src1_sel:DWORD
	s_mov_b64 s[4:5], -1
                                        ; implicit-def: $sgpr10
	s_and_saveexec_b64 s[8:9], s[12:13]
; %bb.2242:
	s_mov_b32 s10, 0x7f800001
	s_xor_b64 s[4:5], exec, -1
; %bb.2243:
	s_or_b64 exec, exec, s[8:9]
	s_and_b64 s[4:5], s[4:5], exec
	s_or_saveexec_b64 s[6:7], s[6:7]
	v_mov_b32_e32 v2, s10
	s_xor_b64 exec, exec, s[6:7]
	s_cbranch_execz .LBB2_194
.LBB2_2244:
	v_mov_b32_e32 v2, 0
	v_cmp_ne_u16_sdwa s[8:9], v8, v2 src0_sel:BYTE_0 src1_sel:DWORD
	s_andn2_b64 s[4:5], s[4:5], exec
	s_and_b64 s[8:9], s[8:9], exec
	s_or_b64 s[4:5], s[4:5], s[8:9]
	s_or_b64 exec, exec, s[6:7]
	s_and_saveexec_b64 s[6:7], s[4:5]
	s_cbranch_execnz .LBB2_195
	s_branch .LBB2_196
.LBB2_2245:
	s_movk_i32 s4, 0x80
	v_cmp_eq_u16_sdwa s[12:13], v4, s4 src0_sel:BYTE_0 src1_sel:DWORD
	s_mov_b64 s[4:5], -1
                                        ; implicit-def: $sgpr10
	s_and_saveexec_b64 s[8:9], s[12:13]
; %bb.2246:
	s_mov_b32 s10, 0x7f800001
	s_xor_b64 s[4:5], exec, -1
; %bb.2247:
	s_or_b64 exec, exec, s[8:9]
	s_and_b64 s[4:5], s[4:5], exec
	s_or_saveexec_b64 s[6:7], s[6:7]
	v_mov_b32_e32 v3, s10
	s_xor_b64 exec, exec, s[6:7]
	s_cbranch_execz .LBB2_198
.LBB2_2248:
	v_mov_b32_e32 v3, 0
	v_cmp_ne_u16_sdwa s[8:9], v4, v3 src0_sel:BYTE_0 src1_sel:DWORD
	s_andn2_b64 s[4:5], s[4:5], exec
	s_and_b64 s[8:9], s[8:9], exec
	s_or_b64 s[4:5], s[4:5], s[8:9]
	s_or_b64 exec, exec, s[6:7]
	s_and_saveexec_b64 s[6:7], s[4:5]
	s_cbranch_execnz .LBB2_199
	s_branch .LBB2_200
.LBB2_2249:
	s_movk_i32 s4, 0x80
	v_cmp_eq_u16_sdwa s[12:13], v3, s4 src0_sel:BYTE_0 src1_sel:DWORD
	s_mov_b64 s[4:5], -1
                                        ; implicit-def: $sgpr10
	s_and_saveexec_b64 s[8:9], s[12:13]
; %bb.2250:
	s_mov_b32 s10, 0x7f800001
	s_xor_b64 s[4:5], exec, -1
; %bb.2251:
	s_or_b64 exec, exec, s[8:9]
	s_and_b64 s[4:5], s[4:5], exec
	s_or_saveexec_b64 s[6:7], s[6:7]
	v_mov_b32_e32 v2, s10
	s_xor_b64 exec, exec, s[6:7]
	s_cbranch_execz .LBB2_202
.LBB2_2252:
	v_mov_b32_e32 v2, 0
	v_cmp_ne_u16_sdwa s[8:9], v3, v2 src0_sel:BYTE_0 src1_sel:DWORD
	s_andn2_b64 s[4:5], s[4:5], exec
	s_and_b64 s[8:9], s[8:9], exec
	s_or_b64 s[4:5], s[4:5], s[8:9]
	s_or_b64 exec, exec, s[6:7]
	s_and_saveexec_b64 s[6:7], s[4:5]
	s_cbranch_execnz .LBB2_203
	s_branch .LBB2_204
.LBB2_2253:
	s_movk_i32 s4, 0x80
	v_cmp_eq_u16_sdwa s[12:13], v3, s4 src0_sel:BYTE_0 src1_sel:DWORD
	s_mov_b64 s[4:5], -1
                                        ; implicit-def: $sgpr10
	s_and_saveexec_b64 s[8:9], s[12:13]
; %bb.2254:
	s_mov_b32 s10, 0x7f800001
	s_xor_b64 s[4:5], exec, -1
; %bb.2255:
	s_or_b64 exec, exec, s[8:9]
	s_and_b64 s[4:5], s[4:5], exec
	s_or_saveexec_b64 s[6:7], s[6:7]
	v_mov_b32_e32 v6, s10
	s_xor_b64 exec, exec, s[6:7]
	s_cbranch_execz .LBB2_206
.LBB2_2256:
	v_mov_b32_e32 v6, 0
	v_cmp_ne_u16_sdwa s[8:9], v3, v6 src0_sel:BYTE_0 src1_sel:DWORD
	s_andn2_b64 s[4:5], s[4:5], exec
	s_and_b64 s[8:9], s[8:9], exec
	s_or_b64 s[4:5], s[4:5], s[8:9]
	s_or_b64 exec, exec, s[6:7]
	s_and_saveexec_b64 s[6:7], s[4:5]
	s_cbranch_execnz .LBB2_207
	s_branch .LBB2_208
.LBB2_2257:
	s_movk_i32 s4, 0x80
	v_cmp_eq_u16_e32 vcc, s4, v3
	s_mov_b64 s[4:5], -1
                                        ; implicit-def: $sgpr10
	s_and_saveexec_b64 s[8:9], vcc
; %bb.2258:
	s_mov_b32 s10, 0x7f800001
	s_xor_b64 s[4:5], exec, -1
; %bb.2259:
	s_or_b64 exec, exec, s[8:9]
	s_and_b64 s[4:5], s[4:5], exec
                                        ; implicit-def: $vgpr3
	s_or_saveexec_b64 s[6:7], s[6:7]
	v_mov_b32_e32 v2, s10
	s_xor_b64 exec, exec, s[6:7]
	s_cbranch_execz .LBB2_210
.LBB2_2260:
	v_cmp_ne_u16_e32 vcc, 0, v3
	s_andn2_b64 s[4:5], s[4:5], exec
	s_and_b64 s[8:9], vcc, exec
	v_mov_b32_e32 v2, 0
	s_or_b64 s[4:5], s[4:5], s[8:9]
	s_or_b64 exec, exec, s[6:7]
	s_and_saveexec_b64 s[6:7], s[4:5]
	s_cbranch_execnz .LBB2_211
	s_branch .LBB2_212
.LBB2_2261:
	s_movk_i32 s4, 0x80
	v_cmp_eq_u16_e32 vcc, s4, v3
	s_mov_b64 s[4:5], -1
                                        ; implicit-def: $sgpr10
	s_and_saveexec_b64 s[8:9], vcc
; %bb.2262:
	s_mov_b32 s10, 0x7f800001
	s_xor_b64 s[4:5], exec, -1
; %bb.2263:
	s_or_b64 exec, exec, s[8:9]
	s_and_b64 s[4:5], s[4:5], exec
                                        ; implicit-def: $vgpr3
	s_or_saveexec_b64 s[6:7], s[6:7]
	v_mov_b32_e32 v6, s10
	s_xor_b64 exec, exec, s[6:7]
	s_cbranch_execz .LBB2_214
.LBB2_2264:
	v_cmp_ne_u16_e32 vcc, 0, v3
	s_andn2_b64 s[4:5], s[4:5], exec
	s_and_b64 s[8:9], vcc, exec
	v_mov_b32_e32 v6, 0
	s_or_b64 s[4:5], s[4:5], s[8:9]
	s_or_b64 exec, exec, s[6:7]
	s_and_saveexec_b64 s[6:7], s[4:5]
	s_cbranch_execnz .LBB2_215
	s_branch .LBB2_216
.LBB2_2265:
	s_movk_i32 s4, 0x80
	v_cmp_eq_u16_sdwa s[12:13], v8, s4 src0_sel:BYTE_3 src1_sel:DWORD
	s_mov_b64 s[4:5], -1
                                        ; implicit-def: $sgpr10
	s_and_saveexec_b64 s[8:9], s[12:13]
; %bb.2266:
	s_mov_b32 s10, 0x7f800001
	s_xor_b64 s[4:5], exec, -1
; %bb.2267:
	s_or_b64 exec, exec, s[8:9]
	s_and_b64 s[4:5], s[4:5], exec
	s_or_saveexec_b64 s[6:7], s[6:7]
	v_mov_b32_e32 v2, s10
	s_xor_b64 exec, exec, s[6:7]
	s_cbranch_execz .LBB2_218
.LBB2_2268:
	v_mov_b32_e32 v2, 0
	v_cmp_ne_u16_sdwa s[8:9], v8, v2 src0_sel:BYTE_3 src1_sel:DWORD
	s_andn2_b64 s[4:5], s[4:5], exec
	s_and_b64 s[8:9], s[8:9], exec
	s_or_b64 s[4:5], s[4:5], s[8:9]
	s_or_b64 exec, exec, s[6:7]
	s_and_saveexec_b64 s[6:7], s[4:5]
	s_cbranch_execnz .LBB2_219
	s_branch .LBB2_220
.LBB2_2269:
	s_movk_i32 s4, 0x80
	v_cmp_eq_u16_sdwa s[12:13], v4, s4 src0_sel:BYTE_3 src1_sel:DWORD
	s_mov_b64 s[4:5], -1
                                        ; implicit-def: $sgpr10
	s_and_saveexec_b64 s[8:9], s[12:13]
; %bb.2270:
	s_mov_b32 s10, 0x7f800001
	s_xor_b64 s[4:5], exec, -1
; %bb.2271:
	s_or_b64 exec, exec, s[8:9]
	s_and_b64 s[4:5], s[4:5], exec
	s_or_saveexec_b64 s[6:7], s[6:7]
	v_mov_b32_e32 v3, s10
	s_xor_b64 exec, exec, s[6:7]
	s_cbranch_execz .LBB2_222
.LBB2_2272:
	v_mov_b32_e32 v3, 0
	v_cmp_ne_u16_sdwa s[8:9], v4, v3 src0_sel:BYTE_3 src1_sel:DWORD
	s_andn2_b64 s[4:5], s[4:5], exec
	s_and_b64 s[8:9], s[8:9], exec
	s_or_b64 s[4:5], s[4:5], s[8:9]
	s_or_b64 exec, exec, s[6:7]
	s_and_saveexec_b64 s[6:7], s[4:5]
	s_cbranch_execnz .LBB2_223
	s_branch .LBB2_224
.LBB2_2273:
	s_movk_i32 s4, 0x80
	v_cmp_eq_u16_sdwa s[12:13], v9, s4 src0_sel:BYTE_0 src1_sel:DWORD
	s_mov_b64 s[4:5], -1
                                        ; implicit-def: $sgpr10
	s_and_saveexec_b64 s[8:9], s[12:13]
; %bb.2274:
	s_mov_b32 s10, 0x7f800001
	s_xor_b64 s[4:5], exec, -1
; %bb.2275:
	s_or_b64 exec, exec, s[8:9]
	s_and_b64 s[4:5], s[4:5], exec
	s_or_saveexec_b64 s[6:7], s[6:7]
	v_mov_b32_e32 v2, s10
	s_xor_b64 exec, exec, s[6:7]
	s_cbranch_execz .LBB2_226
.LBB2_2276:
	v_mov_b32_e32 v2, 0
	v_cmp_ne_u16_sdwa s[8:9], v9, v2 src0_sel:BYTE_0 src1_sel:DWORD
	s_andn2_b64 s[4:5], s[4:5], exec
	s_and_b64 s[8:9], s[8:9], exec
	s_or_b64 s[4:5], s[4:5], s[8:9]
	s_or_b64 exec, exec, s[6:7]
	s_and_saveexec_b64 s[6:7], s[4:5]
	s_cbranch_execnz .LBB2_227
	s_branch .LBB2_228
.LBB2_2277:
	s_movk_i32 s4, 0x80
	v_cmp_eq_u16_sdwa s[12:13], v5, s4 src0_sel:BYTE_0 src1_sel:DWORD
	s_mov_b64 s[4:5], -1
                                        ; implicit-def: $sgpr10
	s_and_saveexec_b64 s[8:9], s[12:13]
; %bb.2278:
	s_mov_b32 s10, 0x7f800001
	s_xor_b64 s[4:5], exec, -1
; %bb.2279:
	s_or_b64 exec, exec, s[8:9]
	s_and_b64 s[4:5], s[4:5], exec
	s_or_saveexec_b64 s[6:7], s[6:7]
	v_mov_b32_e32 v3, s10
	s_xor_b64 exec, exec, s[6:7]
	s_cbranch_execz .LBB2_230
.LBB2_2280:
	v_mov_b32_e32 v3, 0
	v_cmp_ne_u16_sdwa s[8:9], v5, v3 src0_sel:BYTE_0 src1_sel:DWORD
	s_andn2_b64 s[4:5], s[4:5], exec
	s_and_b64 s[8:9], s[8:9], exec
	s_or_b64 s[4:5], s[4:5], s[8:9]
	s_or_b64 exec, exec, s[6:7]
	s_and_saveexec_b64 s[6:7], s[4:5]
	s_cbranch_execnz .LBB2_231
	s_branch .LBB2_232
.LBB2_2281:
	s_movk_i32 s4, 0x80
	v_cmp_eq_u16_sdwa s[12:13], v3, s4 src0_sel:BYTE_0 src1_sel:DWORD
	s_mov_b64 s[4:5], -1
                                        ; implicit-def: $sgpr10
	s_and_saveexec_b64 s[8:9], s[12:13]
; %bb.2282:
	s_mov_b32 s10, 0x7f800001
	s_xor_b64 s[4:5], exec, -1
; %bb.2283:
	s_or_b64 exec, exec, s[8:9]
	s_and_b64 s[4:5], s[4:5], exec
	s_or_saveexec_b64 s[6:7], s[6:7]
	v_mov_b32_e32 v2, s10
	s_xor_b64 exec, exec, s[6:7]
	s_cbranch_execz .LBB2_234
.LBB2_2284:
	v_mov_b32_e32 v2, 0
	v_cmp_ne_u16_sdwa s[8:9], v3, v2 src0_sel:BYTE_0 src1_sel:DWORD
	s_andn2_b64 s[4:5], s[4:5], exec
	s_and_b64 s[8:9], s[8:9], exec
	s_or_b64 s[4:5], s[4:5], s[8:9]
	s_or_b64 exec, exec, s[6:7]
	s_and_saveexec_b64 s[6:7], s[4:5]
	s_cbranch_execnz .LBB2_235
	s_branch .LBB2_236
.LBB2_2285:
	s_movk_i32 s4, 0x80
	v_cmp_eq_u16_sdwa s[12:13], v3, s4 src0_sel:BYTE_0 src1_sel:DWORD
	s_mov_b64 s[4:5], -1
                                        ; implicit-def: $sgpr10
	s_and_saveexec_b64 s[8:9], s[12:13]
; %bb.2286:
	s_mov_b32 s10, 0x7f800001
	s_xor_b64 s[4:5], exec, -1
; %bb.2287:
	s_or_b64 exec, exec, s[8:9]
	s_and_b64 s[4:5], s[4:5], exec
	s_or_saveexec_b64 s[6:7], s[6:7]
	v_mov_b32_e32 v4, s10
	s_xor_b64 exec, exec, s[6:7]
	s_cbranch_execz .LBB2_238
.LBB2_2288:
	v_mov_b32_e32 v4, 0
	v_cmp_ne_u16_sdwa s[8:9], v3, v4 src0_sel:BYTE_0 src1_sel:DWORD
	s_andn2_b64 s[4:5], s[4:5], exec
	s_and_b64 s[8:9], s[8:9], exec
	s_or_b64 s[4:5], s[4:5], s[8:9]
	s_or_b64 exec, exec, s[6:7]
	s_and_saveexec_b64 s[6:7], s[4:5]
	s_cbranch_execnz .LBB2_239
	s_branch .LBB2_240
.LBB2_2289:
	s_movk_i32 s4, 0x80
	v_cmp_eq_u16_e32 vcc, s4, v3
	s_mov_b64 s[4:5], -1
                                        ; implicit-def: $sgpr10
	s_and_saveexec_b64 s[8:9], vcc
; %bb.2290:
	s_mov_b32 s10, 0x7f800001
	s_xor_b64 s[4:5], exec, -1
; %bb.2291:
	s_or_b64 exec, exec, s[8:9]
	s_and_b64 s[4:5], s[4:5], exec
                                        ; implicit-def: $vgpr3
	s_or_saveexec_b64 s[6:7], s[6:7]
	v_mov_b32_e32 v2, s10
	s_xor_b64 exec, exec, s[6:7]
	s_cbranch_execz .LBB2_242
.LBB2_2292:
	v_cmp_ne_u16_e32 vcc, 0, v3
	s_andn2_b64 s[4:5], s[4:5], exec
	s_and_b64 s[8:9], vcc, exec
	v_mov_b32_e32 v2, 0
	s_or_b64 s[4:5], s[4:5], s[8:9]
	s_or_b64 exec, exec, s[6:7]
	s_and_saveexec_b64 s[6:7], s[4:5]
	s_cbranch_execnz .LBB2_243
	s_branch .LBB2_244
.LBB2_2293:
	s_movk_i32 s4, 0x80
	v_cmp_eq_u16_e32 vcc, s4, v3
	s_mov_b64 s[4:5], -1
                                        ; implicit-def: $sgpr10
	s_and_saveexec_b64 s[8:9], vcc
; %bb.2294:
	s_mov_b32 s10, 0x7f800001
	s_xor_b64 s[4:5], exec, -1
; %bb.2295:
	s_or_b64 exec, exec, s[8:9]
	s_and_b64 s[4:5], s[4:5], exec
                                        ; implicit-def: $vgpr3
	s_or_saveexec_b64 s[6:7], s[6:7]
	v_mov_b32_e32 v4, s10
	s_xor_b64 exec, exec, s[6:7]
	s_cbranch_execz .LBB2_246
.LBB2_2296:
	v_cmp_ne_u16_e32 vcc, 0, v3
	s_andn2_b64 s[4:5], s[4:5], exec
	s_and_b64 s[8:9], vcc, exec
	v_mov_b32_e32 v4, 0
	s_or_b64 s[4:5], s[4:5], s[8:9]
	s_or_b64 exec, exec, s[6:7]
	s_and_saveexec_b64 s[6:7], s[4:5]
	s_cbranch_execnz .LBB2_247
	s_branch .LBB2_248
.LBB2_2297:
	s_movk_i32 s4, 0x80
	v_cmp_eq_u16_sdwa s[12:13], v9, s4 src0_sel:BYTE_3 src1_sel:DWORD
	s_mov_b64 s[4:5], -1
                                        ; implicit-def: $sgpr10
	s_and_saveexec_b64 s[8:9], s[12:13]
; %bb.2298:
	s_mov_b32 s10, 0x7f800001
	s_xor_b64 s[4:5], exec, -1
; %bb.2299:
	s_or_b64 exec, exec, s[8:9]
	s_and_b64 s[4:5], s[4:5], exec
	s_or_saveexec_b64 s[6:7], s[6:7]
	v_mov_b32_e32 v2, s10
	s_xor_b64 exec, exec, s[6:7]
	s_cbranch_execz .LBB2_250
.LBB2_2300:
	v_mov_b32_e32 v2, 0
	v_cmp_ne_u16_sdwa s[8:9], v9, v2 src0_sel:BYTE_3 src1_sel:DWORD
	s_andn2_b64 s[4:5], s[4:5], exec
	s_and_b64 s[8:9], s[8:9], exec
	s_or_b64 s[4:5], s[4:5], s[8:9]
	s_or_b64 exec, exec, s[6:7]
	s_and_saveexec_b64 s[6:7], s[4:5]
	s_cbranch_execnz .LBB2_251
	s_branch .LBB2_252
.LBB2_2301:
	s_movk_i32 s4, 0x80
	v_cmp_eq_u16_sdwa s[12:13], v5, s4 src0_sel:BYTE_3 src1_sel:DWORD
	s_mov_b64 s[4:5], -1
                                        ; implicit-def: $sgpr10
	s_and_saveexec_b64 s[8:9], s[12:13]
; %bb.2302:
	s_mov_b32 s10, 0x7f800001
	s_xor_b64 s[4:5], exec, -1
; %bb.2303:
	s_or_b64 exec, exec, s[8:9]
	s_and_b64 s[4:5], s[4:5], exec
	s_or_saveexec_b64 s[6:7], s[6:7]
	v_mov_b32_e32 v3, s10
	s_xor_b64 exec, exec, s[6:7]
	s_cbranch_execz .LBB2_254
.LBB2_2304:
	v_mov_b32_e32 v3, 0
	v_cmp_ne_u16_sdwa s[8:9], v5, v3 src0_sel:BYTE_3 src1_sel:DWORD
	s_andn2_b64 s[4:5], s[4:5], exec
	s_and_b64 s[8:9], s[8:9], exec
	s_or_b64 s[4:5], s[4:5], s[8:9]
	s_or_b64 exec, exec, s[6:7]
	s_and_saveexec_b64 s[6:7], s[4:5]
	s_cbranch_execnz .LBB2_255
	s_branch .LBB2_256
.LBB2_2305:
	s_movk_i32 s4, 0x80
	v_cmp_eq_u16_sdwa s[12:13], v6, s4 src0_sel:BYTE_0 src1_sel:DWORD
	s_mov_b64 s[4:5], -1
                                        ; implicit-def: $sgpr10
	s_and_saveexec_b64 s[8:9], s[12:13]
; %bb.2306:
	s_mov_b32 s10, 0x7f800001
	s_xor_b64 s[4:5], exec, -1
; %bb.2307:
	s_or_b64 exec, exec, s[8:9]
	s_and_b64 s[4:5], s[4:5], exec
	s_or_saveexec_b64 s[6:7], s[6:7]
	v_mov_b32_e32 v12, s10
	s_xor_b64 exec, exec, s[6:7]
	s_cbranch_execz .LBB2_258
.LBB2_2308:
	v_mov_b32_e32 v12, 0
	v_cmp_ne_u16_sdwa s[8:9], v6, v12 src0_sel:BYTE_0 src1_sel:DWORD
	s_andn2_b64 s[4:5], s[4:5], exec
	s_and_b64 s[8:9], s[8:9], exec
	s_or_b64 s[4:5], s[4:5], s[8:9]
	s_or_b64 exec, exec, s[6:7]
	s_and_saveexec_b64 s[6:7], s[4:5]
	s_cbranch_execnz .LBB2_259
	s_branch .LBB2_260
.LBB2_2309:
	s_movk_i32 s4, 0x80
	v_cmp_eq_u16_sdwa s[12:13], v2, s4 src0_sel:BYTE_0 src1_sel:DWORD
	s_mov_b64 s[4:5], -1
                                        ; implicit-def: $sgpr10
	s_and_saveexec_b64 s[8:9], s[12:13]
; %bb.2310:
	s_mov_b32 s10, 0x7f800001
	s_xor_b64 s[4:5], exec, -1
; %bb.2311:
	s_or_b64 exec, exec, s[8:9]
	s_and_b64 s[4:5], s[4:5], exec
	s_or_saveexec_b64 s[6:7], s[6:7]
	v_mov_b32_e32 v13, s10
	s_xor_b64 exec, exec, s[6:7]
	s_cbranch_execz .LBB2_262
.LBB2_2312:
	v_mov_b32_e32 v13, 0
	v_cmp_ne_u16_sdwa s[8:9], v2, v13 src0_sel:BYTE_0 src1_sel:DWORD
	s_andn2_b64 s[4:5], s[4:5], exec
	s_and_b64 s[8:9], s[8:9], exec
	s_or_b64 s[4:5], s[4:5], s[8:9]
	s_or_b64 exec, exec, s[6:7]
	s_and_saveexec_b64 s[6:7], s[4:5]
	s_cbranch_execnz .LBB2_263
	s_branch .LBB2_264
.LBB2_2313:
	s_movk_i32 s4, 0x80
	v_cmp_eq_u16_sdwa s[12:13], v13, s4 src0_sel:BYTE_0 src1_sel:DWORD
	s_mov_b64 s[4:5], -1
                                        ; implicit-def: $sgpr10
	s_and_saveexec_b64 s[8:9], s[12:13]
; %bb.2314:
	s_mov_b32 s10, 0x7f800001
	s_xor_b64 s[4:5], exec, -1
; %bb.2315:
	s_or_b64 exec, exec, s[8:9]
	s_and_b64 s[4:5], s[4:5], exec
	s_or_saveexec_b64 s[6:7], s[6:7]
	v_mov_b32_e32 v12, s10
	s_xor_b64 exec, exec, s[6:7]
	s_cbranch_execz .LBB2_266
.LBB2_2316:
	v_mov_b32_e32 v12, 0
	v_cmp_ne_u16_sdwa s[8:9], v13, v12 src0_sel:BYTE_0 src1_sel:DWORD
	s_andn2_b64 s[4:5], s[4:5], exec
	s_and_b64 s[8:9], s[8:9], exec
	s_or_b64 s[4:5], s[4:5], s[8:9]
	s_or_b64 exec, exec, s[6:7]
	s_and_saveexec_b64 s[6:7], s[4:5]
	s_cbranch_execnz .LBB2_267
	s_branch .LBB2_268
.LBB2_2317:
	s_movk_i32 s4, 0x80
	v_cmp_eq_u16_sdwa s[12:13], v13, s4 src0_sel:BYTE_0 src1_sel:DWORD
	s_mov_b64 s[4:5], -1
                                        ; implicit-def: $sgpr10
	s_and_saveexec_b64 s[8:9], s[12:13]
; %bb.2318:
	s_mov_b32 s10, 0x7f800001
	s_xor_b64 s[4:5], exec, -1
; %bb.2319:
	s_or_b64 exec, exec, s[8:9]
	s_and_b64 s[4:5], s[4:5], exec
	s_or_saveexec_b64 s[6:7], s[6:7]
	v_mov_b32_e32 v14, s10
	s_xor_b64 exec, exec, s[6:7]
	s_cbranch_execz .LBB2_270
.LBB2_2320:
	v_mov_b32_e32 v14, 0
	v_cmp_ne_u16_sdwa s[8:9], v13, v14 src0_sel:BYTE_0 src1_sel:DWORD
	s_andn2_b64 s[4:5], s[4:5], exec
	s_and_b64 s[8:9], s[8:9], exec
	s_or_b64 s[4:5], s[4:5], s[8:9]
	s_or_b64 exec, exec, s[6:7]
	s_and_saveexec_b64 s[6:7], s[4:5]
	s_cbranch_execnz .LBB2_271
	s_branch .LBB2_272
.LBB2_2321:
	s_movk_i32 s4, 0x80
	v_cmp_eq_u16_e32 vcc, s4, v13
	s_mov_b64 s[4:5], -1
                                        ; implicit-def: $sgpr10
	s_and_saveexec_b64 s[8:9], vcc
; %bb.2322:
	s_mov_b32 s10, 0x7f800001
	s_xor_b64 s[4:5], exec, -1
; %bb.2323:
	s_or_b64 exec, exec, s[8:9]
	s_and_b64 s[4:5], s[4:5], exec
                                        ; implicit-def: $vgpr13
	s_or_saveexec_b64 s[6:7], s[6:7]
	v_mov_b32_e32 v12, s10
	s_xor_b64 exec, exec, s[6:7]
	s_cbranch_execz .LBB2_274
.LBB2_2324:
	v_cmp_ne_u16_e32 vcc, 0, v13
	s_andn2_b64 s[4:5], s[4:5], exec
	s_and_b64 s[8:9], vcc, exec
	v_mov_b32_e32 v12, 0
	s_or_b64 s[4:5], s[4:5], s[8:9]
	s_or_b64 exec, exec, s[6:7]
	s_and_saveexec_b64 s[6:7], s[4:5]
	s_cbranch_execnz .LBB2_275
	s_branch .LBB2_276
.LBB2_2325:
	s_movk_i32 s4, 0x80
	v_cmp_eq_u16_e32 vcc, s4, v13
	s_mov_b64 s[4:5], -1
                                        ; implicit-def: $sgpr10
	s_and_saveexec_b64 s[8:9], vcc
; %bb.2326:
	s_mov_b32 s10, 0x7f800001
	s_xor_b64 s[4:5], exec, -1
; %bb.2327:
	s_or_b64 exec, exec, s[8:9]
	s_and_b64 s[4:5], s[4:5], exec
                                        ; implicit-def: $vgpr13
	s_or_saveexec_b64 s[6:7], s[6:7]
	v_mov_b32_e32 v14, s10
	s_xor_b64 exec, exec, s[6:7]
	s_cbranch_execz .LBB2_278
.LBB2_2328:
	v_cmp_ne_u16_e32 vcc, 0, v13
	s_andn2_b64 s[4:5], s[4:5], exec
	s_and_b64 s[8:9], vcc, exec
	v_mov_b32_e32 v14, 0
	s_or_b64 s[4:5], s[4:5], s[8:9]
	s_or_b64 exec, exec, s[6:7]
	s_and_saveexec_b64 s[6:7], s[4:5]
	s_cbranch_execnz .LBB2_279
	s_branch .LBB2_280
.LBB2_2329:
	s_movk_i32 s4, 0x80
	v_cmp_eq_u16_sdwa s[12:13], v6, s4 src0_sel:BYTE_3 src1_sel:DWORD
	s_mov_b64 s[4:5], -1
                                        ; implicit-def: $sgpr10
	s_and_saveexec_b64 s[8:9], s[12:13]
; %bb.2330:
	s_mov_b32 s10, 0x7f800001
	s_xor_b64 s[4:5], exec, -1
; %bb.2331:
	s_or_b64 exec, exec, s[8:9]
	s_and_b64 s[4:5], s[4:5], exec
	s_or_saveexec_b64 s[6:7], s[6:7]
	v_mov_b32_e32 v12, s10
	s_xor_b64 exec, exec, s[6:7]
	s_cbranch_execz .LBB2_282
.LBB2_2332:
	v_mov_b32_e32 v12, 0
	v_cmp_ne_u16_sdwa s[8:9], v6, v12 src0_sel:BYTE_3 src1_sel:DWORD
	s_andn2_b64 s[4:5], s[4:5], exec
	s_and_b64 s[8:9], s[8:9], exec
	s_or_b64 s[4:5], s[4:5], s[8:9]
	s_or_b64 exec, exec, s[6:7]
	s_and_saveexec_b64 s[6:7], s[4:5]
	s_cbranch_execnz .LBB2_283
	s_branch .LBB2_284
.LBB2_2333:
	s_movk_i32 s4, 0x80
	v_cmp_eq_u16_sdwa s[12:13], v2, s4 src0_sel:BYTE_3 src1_sel:DWORD
	s_mov_b64 s[4:5], -1
                                        ; implicit-def: $sgpr10
	s_and_saveexec_b64 s[8:9], s[12:13]
; %bb.2334:
	s_mov_b32 s10, 0x7f800001
	s_xor_b64 s[4:5], exec, -1
; %bb.2335:
	s_or_b64 exec, exec, s[8:9]
	s_and_b64 s[4:5], s[4:5], exec
	s_or_saveexec_b64 s[6:7], s[6:7]
	v_mov_b32_e32 v6, s10
	s_xor_b64 exec, exec, s[6:7]
	s_cbranch_execz .LBB2_286
.LBB2_2336:
	v_mov_b32_e32 v6, 0
	v_cmp_ne_u16_sdwa s[8:9], v2, v6 src0_sel:BYTE_3 src1_sel:DWORD
	s_andn2_b64 s[4:5], s[4:5], exec
	s_and_b64 s[8:9], s[8:9], exec
	s_or_b64 s[4:5], s[4:5], s[8:9]
	s_or_b64 exec, exec, s[6:7]
	s_and_saveexec_b64 s[6:7], s[4:5]
	s_cbranch_execnz .LBB2_287
	s_branch .LBB2_288
.LBB2_2337:
	s_movk_i32 s4, 0x80
	v_cmp_eq_u16_sdwa s[12:13], v7, s4 src0_sel:BYTE_0 src1_sel:DWORD
	s_mov_b64 s[4:5], -1
                                        ; implicit-def: $sgpr10
	s_and_saveexec_b64 s[8:9], s[12:13]
; %bb.2338:
	s_mov_b32 s10, 0x7f800001
	s_xor_b64 s[4:5], exec, -1
; %bb.2339:
	s_or_b64 exec, exec, s[8:9]
	s_and_b64 s[4:5], s[4:5], exec
	s_or_saveexec_b64 s[6:7], s[6:7]
	v_mov_b32_e32 v2, s10
	s_xor_b64 exec, exec, s[6:7]
	s_cbranch_execz .LBB2_290
.LBB2_2340:
	v_mov_b32_e32 v2, 0
	v_cmp_ne_u16_sdwa s[8:9], v7, v2 src0_sel:BYTE_0 src1_sel:DWORD
	s_andn2_b64 s[4:5], s[4:5], exec
	s_and_b64 s[8:9], s[8:9], exec
	s_or_b64 s[4:5], s[4:5], s[8:9]
	s_or_b64 exec, exec, s[6:7]
	s_and_saveexec_b64 s[6:7], s[4:5]
	s_cbranch_execnz .LBB2_291
	s_branch .LBB2_292
.LBB2_2341:
	s_movk_i32 s4, 0x80
	v_cmp_eq_u16_sdwa s[12:13], v3, s4 src0_sel:BYTE_0 src1_sel:DWORD
	s_mov_b64 s[4:5], -1
                                        ; implicit-def: $sgpr10
	s_and_saveexec_b64 s[8:9], s[12:13]
; %bb.2342:
	s_mov_b32 s10, 0x7f800001
	s_xor_b64 s[4:5], exec, -1
; %bb.2343:
	s_or_b64 exec, exec, s[8:9]
	s_and_b64 s[4:5], s[4:5], exec
	s_or_saveexec_b64 s[6:7], s[6:7]
	v_mov_b32_e32 v6, s10
	s_xor_b64 exec, exec, s[6:7]
	s_cbranch_execz .LBB2_294
.LBB2_2344:
	v_mov_b32_e32 v6, 0
	v_cmp_ne_u16_sdwa s[8:9], v3, v6 src0_sel:BYTE_0 src1_sel:DWORD
	s_andn2_b64 s[4:5], s[4:5], exec
	s_and_b64 s[8:9], s[8:9], exec
	s_or_b64 s[4:5], s[4:5], s[8:9]
	s_or_b64 exec, exec, s[6:7]
	s_and_saveexec_b64 s[6:7], s[4:5]
	s_cbranch_execnz .LBB2_295
	s_branch .LBB2_296
.LBB2_2345:
	s_movk_i32 s4, 0x80
	v_cmp_eq_u16_sdwa s[12:13], v6, s4 src0_sel:BYTE_0 src1_sel:DWORD
	s_mov_b64 s[4:5], -1
                                        ; implicit-def: $sgpr10
	s_and_saveexec_b64 s[8:9], s[12:13]
; %bb.2346:
	s_mov_b32 s10, 0x7f800001
	s_xor_b64 s[4:5], exec, -1
; %bb.2347:
	s_or_b64 exec, exec, s[8:9]
	s_and_b64 s[4:5], s[4:5], exec
	s_or_saveexec_b64 s[6:7], s[6:7]
	v_mov_b32_e32 v2, s10
	s_xor_b64 exec, exec, s[6:7]
	s_cbranch_execz .LBB2_298
.LBB2_2348:
	v_mov_b32_e32 v2, 0
	v_cmp_ne_u16_sdwa s[8:9], v6, v2 src0_sel:BYTE_0 src1_sel:DWORD
	s_andn2_b64 s[4:5], s[4:5], exec
	s_and_b64 s[8:9], s[8:9], exec
	s_or_b64 s[4:5], s[4:5], s[8:9]
	s_or_b64 exec, exec, s[6:7]
	s_and_saveexec_b64 s[6:7], s[4:5]
	s_cbranch_execnz .LBB2_299
	s_branch .LBB2_300
.LBB2_2349:
	s_movk_i32 s4, 0x80
	v_cmp_eq_u16_sdwa s[12:13], v6, s4 src0_sel:BYTE_0 src1_sel:DWORD
	s_mov_b64 s[4:5], -1
                                        ; implicit-def: $sgpr10
	s_and_saveexec_b64 s[8:9], s[12:13]
; %bb.2350:
	s_mov_b32 s10, 0x7f800001
	s_xor_b64 s[4:5], exec, -1
; %bb.2351:
	s_or_b64 exec, exec, s[8:9]
	s_and_b64 s[4:5], s[4:5], exec
	s_or_saveexec_b64 s[6:7], s[6:7]
	v_mov_b32_e32 v12, s10
	s_xor_b64 exec, exec, s[6:7]
	s_cbranch_execz .LBB2_302
.LBB2_2352:
	v_mov_b32_e32 v12, 0
	v_cmp_ne_u16_sdwa s[8:9], v6, v12 src0_sel:BYTE_0 src1_sel:DWORD
	s_andn2_b64 s[4:5], s[4:5], exec
	s_and_b64 s[8:9], s[8:9], exec
	s_or_b64 s[4:5], s[4:5], s[8:9]
	s_or_b64 exec, exec, s[6:7]
	s_and_saveexec_b64 s[6:7], s[4:5]
	s_cbranch_execnz .LBB2_303
	s_branch .LBB2_304
.LBB2_2353:
	s_movk_i32 s4, 0x80
	v_cmp_eq_u16_e32 vcc, s4, v6
	s_mov_b64 s[4:5], -1
                                        ; implicit-def: $sgpr10
	s_and_saveexec_b64 s[8:9], vcc
; %bb.2354:
	s_mov_b32 s10, 0x7f800001
	s_xor_b64 s[4:5], exec, -1
; %bb.2355:
	s_or_b64 exec, exec, s[8:9]
	s_and_b64 s[4:5], s[4:5], exec
                                        ; implicit-def: $vgpr6
	s_or_saveexec_b64 s[6:7], s[6:7]
	v_mov_b32_e32 v2, s10
	s_xor_b64 exec, exec, s[6:7]
	s_cbranch_execz .LBB2_306
.LBB2_2356:
	v_cmp_ne_u16_e32 vcc, 0, v6
	s_andn2_b64 s[4:5], s[4:5], exec
	s_and_b64 s[8:9], vcc, exec
	v_mov_b32_e32 v2, 0
	s_or_b64 s[4:5], s[4:5], s[8:9]
	s_or_b64 exec, exec, s[6:7]
	s_and_saveexec_b64 s[6:7], s[4:5]
	s_cbranch_execnz .LBB2_307
	s_branch .LBB2_308
.LBB2_2357:
	s_movk_i32 s4, 0x80
	v_cmp_eq_u16_e32 vcc, s4, v6
	s_mov_b64 s[4:5], -1
                                        ; implicit-def: $sgpr10
	s_and_saveexec_b64 s[8:9], vcc
; %bb.2358:
	s_mov_b32 s10, 0x7f800001
	s_xor_b64 s[4:5], exec, -1
; %bb.2359:
	s_or_b64 exec, exec, s[8:9]
	s_and_b64 s[4:5], s[4:5], exec
                                        ; implicit-def: $vgpr6
	s_or_saveexec_b64 s[6:7], s[6:7]
	v_mov_b32_e32 v12, s10
	s_xor_b64 exec, exec, s[6:7]
	s_cbranch_execz .LBB2_310
.LBB2_2360:
	v_cmp_ne_u16_e32 vcc, 0, v6
	s_andn2_b64 s[4:5], s[4:5], exec
	s_and_b64 s[8:9], vcc, exec
	v_mov_b32_e32 v12, 0
	s_or_b64 s[4:5], s[4:5], s[8:9]
	s_or_b64 exec, exec, s[6:7]
	s_and_saveexec_b64 s[6:7], s[4:5]
	s_cbranch_execnz .LBB2_311
	s_branch .LBB2_312
.LBB2_2361:
	s_movk_i32 s4, 0x80
	v_cmp_eq_u16_sdwa s[12:13], v7, s4 src0_sel:BYTE_3 src1_sel:DWORD
	s_mov_b64 s[4:5], -1
                                        ; implicit-def: $sgpr10
	s_and_saveexec_b64 s[8:9], s[12:13]
; %bb.2362:
	s_mov_b32 s10, 0x7f800001
	s_xor_b64 s[4:5], exec, -1
; %bb.2363:
	s_or_b64 exec, exec, s[8:9]
	s_and_b64 s[4:5], s[4:5], exec
	s_or_saveexec_b64 s[6:7], s[6:7]
	v_mov_b32_e32 v2, s10
	s_xor_b64 exec, exec, s[6:7]
	s_cbranch_execz .LBB2_314
.LBB2_2364:
	v_mov_b32_e32 v2, 0
	v_cmp_ne_u16_sdwa s[8:9], v7, v2 src0_sel:BYTE_3 src1_sel:DWORD
	s_andn2_b64 s[4:5], s[4:5], exec
	s_and_b64 s[8:9], s[8:9], exec
	s_or_b64 s[4:5], s[4:5], s[8:9]
	s_or_b64 exec, exec, s[6:7]
	s_and_saveexec_b64 s[6:7], s[4:5]
	s_cbranch_execnz .LBB2_315
	s_branch .LBB2_316
.LBB2_2365:
	s_movk_i32 s4, 0x80
	v_cmp_eq_u16_sdwa s[12:13], v3, s4 src0_sel:BYTE_3 src1_sel:DWORD
	s_mov_b64 s[4:5], -1
                                        ; implicit-def: $sgpr10
	s_and_saveexec_b64 s[8:9], s[12:13]
; %bb.2366:
	s_mov_b32 s10, 0x7f800001
	s_xor_b64 s[4:5], exec, -1
; %bb.2367:
	s_or_b64 exec, exec, s[8:9]
	s_and_b64 s[4:5], s[4:5], exec
	s_or_saveexec_b64 s[6:7], s[6:7]
	v_mov_b32_e32 v6, s10
	s_xor_b64 exec, exec, s[6:7]
	s_cbranch_execz .LBB2_318
.LBB2_2368:
	v_mov_b32_e32 v6, 0
	v_cmp_ne_u16_sdwa s[8:9], v3, v6 src0_sel:BYTE_3 src1_sel:DWORD
	s_andn2_b64 s[4:5], s[4:5], exec
	s_and_b64 s[8:9], s[8:9], exec
	s_or_b64 s[4:5], s[4:5], s[8:9]
	s_or_b64 exec, exec, s[6:7]
	s_and_saveexec_b64 s[6:7], s[4:5]
	s_cbranch_execnz .LBB2_319
	s_branch .LBB2_320
.LBB2_2369:
	s_movk_i32 s4, 0x80
	v_cmp_eq_u16_sdwa s[12:13], v8, s4 src0_sel:BYTE_0 src1_sel:DWORD
	s_mov_b64 s[4:5], -1
                                        ; implicit-def: $sgpr10
	s_and_saveexec_b64 s[8:9], s[12:13]
; %bb.2370:
	s_mov_b32 s10, 0x7f800001
	s_xor_b64 s[4:5], exec, -1
; %bb.2371:
	s_or_b64 exec, exec, s[8:9]
	s_and_b64 s[4:5], s[4:5], exec
	s_or_saveexec_b64 s[6:7], s[6:7]
	v_mov_b32_e32 v2, s10
	s_xor_b64 exec, exec, s[6:7]
	s_cbranch_execz .LBB2_322
.LBB2_2372:
	v_mov_b32_e32 v2, 0
	v_cmp_ne_u16_sdwa s[8:9], v8, v2 src0_sel:BYTE_0 src1_sel:DWORD
	s_andn2_b64 s[4:5], s[4:5], exec
	s_and_b64 s[8:9], s[8:9], exec
	s_or_b64 s[4:5], s[4:5], s[8:9]
	s_or_b64 exec, exec, s[6:7]
	s_and_saveexec_b64 s[6:7], s[4:5]
	s_cbranch_execnz .LBB2_323
	s_branch .LBB2_324
.LBB2_2373:
	s_movk_i32 s4, 0x80
	v_cmp_eq_u16_sdwa s[12:13], v4, s4 src0_sel:BYTE_0 src1_sel:DWORD
	s_mov_b64 s[4:5], -1
                                        ; implicit-def: $sgpr10
	s_and_saveexec_b64 s[8:9], s[12:13]
; %bb.2374:
	s_mov_b32 s10, 0x7f800001
	s_xor_b64 s[4:5], exec, -1
; %bb.2375:
	s_or_b64 exec, exec, s[8:9]
	s_and_b64 s[4:5], s[4:5], exec
	s_or_saveexec_b64 s[6:7], s[6:7]
	v_mov_b32_e32 v3, s10
	s_xor_b64 exec, exec, s[6:7]
	s_cbranch_execz .LBB2_326
.LBB2_2376:
	v_mov_b32_e32 v3, 0
	v_cmp_ne_u16_sdwa s[8:9], v4, v3 src0_sel:BYTE_0 src1_sel:DWORD
	s_andn2_b64 s[4:5], s[4:5], exec
	s_and_b64 s[8:9], s[8:9], exec
	s_or_b64 s[4:5], s[4:5], s[8:9]
	s_or_b64 exec, exec, s[6:7]
	s_and_saveexec_b64 s[6:7], s[4:5]
	s_cbranch_execnz .LBB2_327
	s_branch .LBB2_328
.LBB2_2377:
	s_movk_i32 s4, 0x80
	v_cmp_eq_u16_sdwa s[12:13], v3, s4 src0_sel:BYTE_0 src1_sel:DWORD
	s_mov_b64 s[4:5], -1
                                        ; implicit-def: $sgpr10
	s_and_saveexec_b64 s[8:9], s[12:13]
; %bb.2378:
	s_mov_b32 s10, 0x7f800001
	s_xor_b64 s[4:5], exec, -1
; %bb.2379:
	s_or_b64 exec, exec, s[8:9]
	s_and_b64 s[4:5], s[4:5], exec
	s_or_saveexec_b64 s[6:7], s[6:7]
	v_mov_b32_e32 v2, s10
	s_xor_b64 exec, exec, s[6:7]
	s_cbranch_execz .LBB2_330
.LBB2_2380:
	v_mov_b32_e32 v2, 0
	v_cmp_ne_u16_sdwa s[8:9], v3, v2 src0_sel:BYTE_0 src1_sel:DWORD
	s_andn2_b64 s[4:5], s[4:5], exec
	s_and_b64 s[8:9], s[8:9], exec
	s_or_b64 s[4:5], s[4:5], s[8:9]
	s_or_b64 exec, exec, s[6:7]
	s_and_saveexec_b64 s[6:7], s[4:5]
	s_cbranch_execnz .LBB2_331
	s_branch .LBB2_332
.LBB2_2381:
	s_movk_i32 s4, 0x80
	v_cmp_eq_u16_sdwa s[12:13], v3, s4 src0_sel:BYTE_0 src1_sel:DWORD
	s_mov_b64 s[4:5], -1
                                        ; implicit-def: $sgpr10
	s_and_saveexec_b64 s[8:9], s[12:13]
; %bb.2382:
	s_mov_b32 s10, 0x7f800001
	s_xor_b64 s[4:5], exec, -1
; %bb.2383:
	s_or_b64 exec, exec, s[8:9]
	s_and_b64 s[4:5], s[4:5], exec
	s_or_saveexec_b64 s[6:7], s[6:7]
	v_mov_b32_e32 v6, s10
	s_xor_b64 exec, exec, s[6:7]
	s_cbranch_execz .LBB2_334
.LBB2_2384:
	v_mov_b32_e32 v6, 0
	v_cmp_ne_u16_sdwa s[8:9], v3, v6 src0_sel:BYTE_0 src1_sel:DWORD
	s_andn2_b64 s[4:5], s[4:5], exec
	s_and_b64 s[8:9], s[8:9], exec
	s_or_b64 s[4:5], s[4:5], s[8:9]
	s_or_b64 exec, exec, s[6:7]
	s_and_saveexec_b64 s[6:7], s[4:5]
	s_cbranch_execnz .LBB2_335
	s_branch .LBB2_336
.LBB2_2385:
	s_movk_i32 s4, 0x80
	v_cmp_eq_u16_e32 vcc, s4, v3
	s_mov_b64 s[4:5], -1
                                        ; implicit-def: $sgpr10
	s_and_saveexec_b64 s[8:9], vcc
; %bb.2386:
	s_mov_b32 s10, 0x7f800001
	s_xor_b64 s[4:5], exec, -1
; %bb.2387:
	s_or_b64 exec, exec, s[8:9]
	s_and_b64 s[4:5], s[4:5], exec
                                        ; implicit-def: $vgpr3
	s_or_saveexec_b64 s[6:7], s[6:7]
	v_mov_b32_e32 v2, s10
	s_xor_b64 exec, exec, s[6:7]
	s_cbranch_execz .LBB2_338
.LBB2_2388:
	v_cmp_ne_u16_e32 vcc, 0, v3
	s_andn2_b64 s[4:5], s[4:5], exec
	s_and_b64 s[8:9], vcc, exec
	v_mov_b32_e32 v2, 0
	s_or_b64 s[4:5], s[4:5], s[8:9]
	s_or_b64 exec, exec, s[6:7]
	s_and_saveexec_b64 s[6:7], s[4:5]
	s_cbranch_execnz .LBB2_339
	s_branch .LBB2_340
.LBB2_2389:
	s_movk_i32 s4, 0x80
	v_cmp_eq_u16_e32 vcc, s4, v3
	s_mov_b64 s[4:5], -1
                                        ; implicit-def: $sgpr10
	s_and_saveexec_b64 s[8:9], vcc
; %bb.2390:
	s_mov_b32 s10, 0x7f800001
	s_xor_b64 s[4:5], exec, -1
; %bb.2391:
	s_or_b64 exec, exec, s[8:9]
	s_and_b64 s[4:5], s[4:5], exec
                                        ; implicit-def: $vgpr3
	s_or_saveexec_b64 s[6:7], s[6:7]
	v_mov_b32_e32 v6, s10
	s_xor_b64 exec, exec, s[6:7]
	s_cbranch_execz .LBB2_342
.LBB2_2392:
	v_cmp_ne_u16_e32 vcc, 0, v3
	s_andn2_b64 s[4:5], s[4:5], exec
	s_and_b64 s[8:9], vcc, exec
	v_mov_b32_e32 v6, 0
	s_or_b64 s[4:5], s[4:5], s[8:9]
	s_or_b64 exec, exec, s[6:7]
	s_and_saveexec_b64 s[6:7], s[4:5]
	s_cbranch_execnz .LBB2_343
	s_branch .LBB2_344
.LBB2_2393:
	s_movk_i32 s4, 0x80
	v_cmp_eq_u16_sdwa s[12:13], v8, s4 src0_sel:BYTE_3 src1_sel:DWORD
	s_mov_b64 s[4:5], -1
                                        ; implicit-def: $sgpr10
	s_and_saveexec_b64 s[8:9], s[12:13]
; %bb.2394:
	s_mov_b32 s10, 0x7f800001
	s_xor_b64 s[4:5], exec, -1
; %bb.2395:
	s_or_b64 exec, exec, s[8:9]
	s_and_b64 s[4:5], s[4:5], exec
	s_or_saveexec_b64 s[6:7], s[6:7]
	v_mov_b32_e32 v2, s10
	s_xor_b64 exec, exec, s[6:7]
	s_cbranch_execz .LBB2_346
.LBB2_2396:
	v_mov_b32_e32 v2, 0
	v_cmp_ne_u16_sdwa s[8:9], v8, v2 src0_sel:BYTE_3 src1_sel:DWORD
	s_andn2_b64 s[4:5], s[4:5], exec
	s_and_b64 s[8:9], s[8:9], exec
	s_or_b64 s[4:5], s[4:5], s[8:9]
	s_or_b64 exec, exec, s[6:7]
	s_and_saveexec_b64 s[6:7], s[4:5]
	s_cbranch_execnz .LBB2_347
	s_branch .LBB2_348
.LBB2_2397:
	s_movk_i32 s4, 0x80
	v_cmp_eq_u16_sdwa s[12:13], v4, s4 src0_sel:BYTE_3 src1_sel:DWORD
	s_mov_b64 s[4:5], -1
                                        ; implicit-def: $sgpr10
	s_and_saveexec_b64 s[8:9], s[12:13]
; %bb.2398:
	s_mov_b32 s10, 0x7f800001
	s_xor_b64 s[4:5], exec, -1
; %bb.2399:
	s_or_b64 exec, exec, s[8:9]
	s_and_b64 s[4:5], s[4:5], exec
	s_or_saveexec_b64 s[6:7], s[6:7]
	v_mov_b32_e32 v3, s10
	s_xor_b64 exec, exec, s[6:7]
	s_cbranch_execz .LBB2_350
.LBB2_2400:
	v_mov_b32_e32 v3, 0
	v_cmp_ne_u16_sdwa s[8:9], v4, v3 src0_sel:BYTE_3 src1_sel:DWORD
	s_andn2_b64 s[4:5], s[4:5], exec
	s_and_b64 s[8:9], s[8:9], exec
	s_or_b64 s[4:5], s[4:5], s[8:9]
	s_or_b64 exec, exec, s[6:7]
	s_and_saveexec_b64 s[6:7], s[4:5]
	s_cbranch_execnz .LBB2_351
	s_branch .LBB2_352
.LBB2_2401:
	s_movk_i32 s4, 0x80
	v_cmp_eq_u16_sdwa s[12:13], v9, s4 src0_sel:BYTE_0 src1_sel:DWORD
	s_mov_b64 s[4:5], -1
                                        ; implicit-def: $sgpr10
	s_and_saveexec_b64 s[8:9], s[12:13]
; %bb.2402:
	s_mov_b32 s10, 0x7f800001
	s_xor_b64 s[4:5], exec, -1
; %bb.2403:
	s_or_b64 exec, exec, s[8:9]
	s_and_b64 s[4:5], s[4:5], exec
	s_or_saveexec_b64 s[6:7], s[6:7]
	v_mov_b32_e32 v2, s10
	s_xor_b64 exec, exec, s[6:7]
	s_cbranch_execz .LBB2_354
.LBB2_2404:
	v_mov_b32_e32 v2, 0
	v_cmp_ne_u16_sdwa s[8:9], v9, v2 src0_sel:BYTE_0 src1_sel:DWORD
	s_andn2_b64 s[4:5], s[4:5], exec
	s_and_b64 s[8:9], s[8:9], exec
	s_or_b64 s[4:5], s[4:5], s[8:9]
	s_or_b64 exec, exec, s[6:7]
	s_and_saveexec_b64 s[6:7], s[4:5]
	s_cbranch_execnz .LBB2_355
	s_branch .LBB2_356
.LBB2_2405:
	s_movk_i32 s4, 0x80
	v_cmp_eq_u16_sdwa s[12:13], v5, s4 src0_sel:BYTE_0 src1_sel:DWORD
	s_mov_b64 s[4:5], -1
                                        ; implicit-def: $sgpr10
	s_and_saveexec_b64 s[8:9], s[12:13]
; %bb.2406:
	s_mov_b32 s10, 0x7f800001
	s_xor_b64 s[4:5], exec, -1
; %bb.2407:
	s_or_b64 exec, exec, s[8:9]
	s_and_b64 s[4:5], s[4:5], exec
	s_or_saveexec_b64 s[6:7], s[6:7]
	v_mov_b32_e32 v3, s10
	s_xor_b64 exec, exec, s[6:7]
	s_cbranch_execz .LBB2_358
.LBB2_2408:
	v_mov_b32_e32 v3, 0
	v_cmp_ne_u16_sdwa s[8:9], v5, v3 src0_sel:BYTE_0 src1_sel:DWORD
	s_andn2_b64 s[4:5], s[4:5], exec
	s_and_b64 s[8:9], s[8:9], exec
	s_or_b64 s[4:5], s[4:5], s[8:9]
	s_or_b64 exec, exec, s[6:7]
	s_and_saveexec_b64 s[6:7], s[4:5]
	s_cbranch_execnz .LBB2_359
	s_branch .LBB2_360
.LBB2_2409:
	s_movk_i32 s4, 0x80
	v_cmp_eq_u16_sdwa s[12:13], v3, s4 src0_sel:BYTE_0 src1_sel:DWORD
	s_mov_b64 s[4:5], -1
                                        ; implicit-def: $sgpr10
	s_and_saveexec_b64 s[8:9], s[12:13]
; %bb.2410:
	s_mov_b32 s10, 0x7f800001
	s_xor_b64 s[4:5], exec, -1
; %bb.2411:
	s_or_b64 exec, exec, s[8:9]
	s_and_b64 s[4:5], s[4:5], exec
	s_or_saveexec_b64 s[6:7], s[6:7]
	v_mov_b32_e32 v2, s10
	s_xor_b64 exec, exec, s[6:7]
	s_cbranch_execz .LBB2_362
.LBB2_2412:
	v_mov_b32_e32 v2, 0
	v_cmp_ne_u16_sdwa s[8:9], v3, v2 src0_sel:BYTE_0 src1_sel:DWORD
	s_andn2_b64 s[4:5], s[4:5], exec
	s_and_b64 s[8:9], s[8:9], exec
	s_or_b64 s[4:5], s[4:5], s[8:9]
	s_or_b64 exec, exec, s[6:7]
	s_and_saveexec_b64 s[6:7], s[4:5]
	s_cbranch_execnz .LBB2_363
	s_branch .LBB2_364
.LBB2_2413:
	s_movk_i32 s4, 0x80
	v_cmp_eq_u16_sdwa s[12:13], v3, s4 src0_sel:BYTE_0 src1_sel:DWORD
	s_mov_b64 s[4:5], -1
                                        ; implicit-def: $sgpr10
	s_and_saveexec_b64 s[8:9], s[12:13]
; %bb.2414:
	s_mov_b32 s10, 0x7f800001
	s_xor_b64 s[4:5], exec, -1
; %bb.2415:
	s_or_b64 exec, exec, s[8:9]
	s_and_b64 s[4:5], s[4:5], exec
	s_or_saveexec_b64 s[6:7], s[6:7]
	v_mov_b32_e32 v4, s10
	s_xor_b64 exec, exec, s[6:7]
	s_cbranch_execz .LBB2_366
.LBB2_2416:
	v_mov_b32_e32 v4, 0
	v_cmp_ne_u16_sdwa s[8:9], v3, v4 src0_sel:BYTE_0 src1_sel:DWORD
	s_andn2_b64 s[4:5], s[4:5], exec
	s_and_b64 s[8:9], s[8:9], exec
	s_or_b64 s[4:5], s[4:5], s[8:9]
	s_or_b64 exec, exec, s[6:7]
	s_and_saveexec_b64 s[6:7], s[4:5]
	s_cbranch_execnz .LBB2_367
	s_branch .LBB2_368
.LBB2_2417:
	s_movk_i32 s4, 0x80
	v_cmp_eq_u16_e32 vcc, s4, v3
	s_mov_b64 s[4:5], -1
                                        ; implicit-def: $sgpr10
	s_and_saveexec_b64 s[8:9], vcc
; %bb.2418:
	s_mov_b32 s10, 0x7f800001
	s_xor_b64 s[4:5], exec, -1
; %bb.2419:
	s_or_b64 exec, exec, s[8:9]
	s_and_b64 s[4:5], s[4:5], exec
                                        ; implicit-def: $vgpr3
	s_or_saveexec_b64 s[6:7], s[6:7]
	v_mov_b32_e32 v2, s10
	s_xor_b64 exec, exec, s[6:7]
	s_cbranch_execz .LBB2_370
.LBB2_2420:
	v_cmp_ne_u16_e32 vcc, 0, v3
	s_andn2_b64 s[4:5], s[4:5], exec
	s_and_b64 s[8:9], vcc, exec
	v_mov_b32_e32 v2, 0
	s_or_b64 s[4:5], s[4:5], s[8:9]
	s_or_b64 exec, exec, s[6:7]
	s_and_saveexec_b64 s[6:7], s[4:5]
	s_cbranch_execnz .LBB2_371
	s_branch .LBB2_372
.LBB2_2421:
	s_movk_i32 s4, 0x80
	v_cmp_eq_u16_e32 vcc, s4, v3
	s_mov_b64 s[4:5], -1
                                        ; implicit-def: $sgpr10
	s_and_saveexec_b64 s[8:9], vcc
; %bb.2422:
	s_mov_b32 s10, 0x7f800001
	s_xor_b64 s[4:5], exec, -1
; %bb.2423:
	s_or_b64 exec, exec, s[8:9]
	s_and_b64 s[4:5], s[4:5], exec
                                        ; implicit-def: $vgpr3
	s_or_saveexec_b64 s[6:7], s[6:7]
	v_mov_b32_e32 v4, s10
	s_xor_b64 exec, exec, s[6:7]
	s_cbranch_execz .LBB2_374
.LBB2_2424:
	v_cmp_ne_u16_e32 vcc, 0, v3
	s_andn2_b64 s[4:5], s[4:5], exec
	s_and_b64 s[8:9], vcc, exec
	v_mov_b32_e32 v4, 0
	s_or_b64 s[4:5], s[4:5], s[8:9]
	s_or_b64 exec, exec, s[6:7]
	s_and_saveexec_b64 s[6:7], s[4:5]
	s_cbranch_execnz .LBB2_375
	s_branch .LBB2_376
.LBB2_2425:
	s_movk_i32 s4, 0x80
	v_cmp_eq_u16_sdwa s[12:13], v9, s4 src0_sel:BYTE_3 src1_sel:DWORD
	s_mov_b64 s[4:5], -1
                                        ; implicit-def: $sgpr10
	s_and_saveexec_b64 s[8:9], s[12:13]
; %bb.2426:
	s_mov_b32 s10, 0x7f800001
	s_xor_b64 s[4:5], exec, -1
; %bb.2427:
	s_or_b64 exec, exec, s[8:9]
	s_and_b64 s[4:5], s[4:5], exec
	s_or_saveexec_b64 s[6:7], s[6:7]
	v_mov_b32_e32 v2, s10
	s_xor_b64 exec, exec, s[6:7]
	s_cbranch_execz .LBB2_378
.LBB2_2428:
	v_mov_b32_e32 v2, 0
	v_cmp_ne_u16_sdwa s[8:9], v9, v2 src0_sel:BYTE_3 src1_sel:DWORD
	s_andn2_b64 s[4:5], s[4:5], exec
	s_and_b64 s[8:9], s[8:9], exec
	s_or_b64 s[4:5], s[4:5], s[8:9]
	s_or_b64 exec, exec, s[6:7]
	s_and_saveexec_b64 s[6:7], s[4:5]
	s_cbranch_execnz .LBB2_379
	s_branch .LBB2_380
.LBB2_2429:
	s_movk_i32 s4, 0x80
	v_cmp_eq_u16_sdwa s[12:13], v5, s4 src0_sel:BYTE_3 src1_sel:DWORD
	s_mov_b64 s[4:5], -1
                                        ; implicit-def: $sgpr10
	s_and_saveexec_b64 s[8:9], s[12:13]
; %bb.2430:
	s_mov_b32 s10, 0x7f800001
	s_xor_b64 s[4:5], exec, -1
; %bb.2431:
	s_or_b64 exec, exec, s[8:9]
	s_and_b64 s[4:5], s[4:5], exec
	s_or_saveexec_b64 s[6:7], s[6:7]
	v_mov_b32_e32 v3, s10
	s_xor_b64 exec, exec, s[6:7]
	s_cbranch_execz .LBB2_382
.LBB2_2432:
	v_mov_b32_e32 v3, 0
	v_cmp_ne_u16_sdwa s[8:9], v5, v3 src0_sel:BYTE_3 src1_sel:DWORD
	s_andn2_b64 s[4:5], s[4:5], exec
	s_and_b64 s[8:9], s[8:9], exec
	s_or_b64 s[4:5], s[4:5], s[8:9]
	s_or_b64 exec, exec, s[6:7]
	s_and_saveexec_b64 s[6:7], s[4:5]
	s_cbranch_execnz .LBB2_383
	s_branch .LBB2_384
.LBB2_2433:
	s_movk_i32 s4, 0x80
	v_cmp_eq_u16_sdwa s[12:13], v6, s4 src0_sel:BYTE_0 src1_sel:DWORD
	s_mov_b64 s[4:5], -1
                                        ; implicit-def: $sgpr10
	s_and_saveexec_b64 s[8:9], s[12:13]
; %bb.2434:
	s_mov_b32 s10, 0x7f800001
	s_xor_b64 s[4:5], exec, -1
; %bb.2435:
	s_or_b64 exec, exec, s[8:9]
	s_and_b64 s[4:5], s[4:5], exec
	s_or_saveexec_b64 s[6:7], s[6:7]
	v_mov_b32_e32 v12, s10
	s_xor_b64 exec, exec, s[6:7]
	s_cbranch_execz .LBB2_386
.LBB2_2436:
	v_mov_b32_e32 v12, 0
	v_cmp_ne_u16_sdwa s[8:9], v6, v12 src0_sel:BYTE_0 src1_sel:DWORD
	s_andn2_b64 s[4:5], s[4:5], exec
	s_and_b64 s[8:9], s[8:9], exec
	s_or_b64 s[4:5], s[4:5], s[8:9]
	s_or_b64 exec, exec, s[6:7]
	s_and_saveexec_b64 s[6:7], s[4:5]
	s_cbranch_execnz .LBB2_387
	s_branch .LBB2_388
.LBB2_2437:
	s_movk_i32 s4, 0x80
	v_cmp_eq_u16_sdwa s[12:13], v2, s4 src0_sel:BYTE_0 src1_sel:DWORD
	s_mov_b64 s[4:5], -1
                                        ; implicit-def: $sgpr10
	s_and_saveexec_b64 s[8:9], s[12:13]
; %bb.2438:
	s_mov_b32 s10, 0x7f800001
	s_xor_b64 s[4:5], exec, -1
; %bb.2439:
	s_or_b64 exec, exec, s[8:9]
	s_and_b64 s[4:5], s[4:5], exec
	s_or_saveexec_b64 s[6:7], s[6:7]
	v_mov_b32_e32 v13, s10
	s_xor_b64 exec, exec, s[6:7]
	s_cbranch_execz .LBB2_390
.LBB2_2440:
	v_mov_b32_e32 v13, 0
	v_cmp_ne_u16_sdwa s[8:9], v2, v13 src0_sel:BYTE_0 src1_sel:DWORD
	s_andn2_b64 s[4:5], s[4:5], exec
	s_and_b64 s[8:9], s[8:9], exec
	s_or_b64 s[4:5], s[4:5], s[8:9]
	s_or_b64 exec, exec, s[6:7]
	s_and_saveexec_b64 s[6:7], s[4:5]
	s_cbranch_execnz .LBB2_391
	s_branch .LBB2_392
.LBB2_2441:
	s_movk_i32 s4, 0x80
	v_cmp_eq_u16_sdwa s[12:13], v13, s4 src0_sel:BYTE_0 src1_sel:DWORD
	s_mov_b64 s[4:5], -1
                                        ; implicit-def: $sgpr10
	s_and_saveexec_b64 s[8:9], s[12:13]
; %bb.2442:
	s_mov_b32 s10, 0x7f800001
	s_xor_b64 s[4:5], exec, -1
; %bb.2443:
	s_or_b64 exec, exec, s[8:9]
	s_and_b64 s[4:5], s[4:5], exec
	s_or_saveexec_b64 s[6:7], s[6:7]
	v_mov_b32_e32 v12, s10
	s_xor_b64 exec, exec, s[6:7]
	s_cbranch_execz .LBB2_394
.LBB2_2444:
	v_mov_b32_e32 v12, 0
	v_cmp_ne_u16_sdwa s[8:9], v13, v12 src0_sel:BYTE_0 src1_sel:DWORD
	s_andn2_b64 s[4:5], s[4:5], exec
	s_and_b64 s[8:9], s[8:9], exec
	s_or_b64 s[4:5], s[4:5], s[8:9]
	s_or_b64 exec, exec, s[6:7]
	s_and_saveexec_b64 s[6:7], s[4:5]
	s_cbranch_execnz .LBB2_395
	s_branch .LBB2_396
.LBB2_2445:
	s_movk_i32 s4, 0x80
	v_cmp_eq_u16_sdwa s[12:13], v13, s4 src0_sel:BYTE_0 src1_sel:DWORD
	s_mov_b64 s[4:5], -1
                                        ; implicit-def: $sgpr10
	s_and_saveexec_b64 s[8:9], s[12:13]
; %bb.2446:
	s_mov_b32 s10, 0x7f800001
	s_xor_b64 s[4:5], exec, -1
; %bb.2447:
	s_or_b64 exec, exec, s[8:9]
	s_and_b64 s[4:5], s[4:5], exec
	s_or_saveexec_b64 s[6:7], s[6:7]
	v_mov_b32_e32 v14, s10
	s_xor_b64 exec, exec, s[6:7]
	s_cbranch_execz .LBB2_398
.LBB2_2448:
	v_mov_b32_e32 v14, 0
	v_cmp_ne_u16_sdwa s[8:9], v13, v14 src0_sel:BYTE_0 src1_sel:DWORD
	s_andn2_b64 s[4:5], s[4:5], exec
	s_and_b64 s[8:9], s[8:9], exec
	s_or_b64 s[4:5], s[4:5], s[8:9]
	s_or_b64 exec, exec, s[6:7]
	s_and_saveexec_b64 s[6:7], s[4:5]
	s_cbranch_execnz .LBB2_399
	s_branch .LBB2_400
.LBB2_2449:
	s_movk_i32 s4, 0x80
	v_cmp_eq_u16_e32 vcc, s4, v13
	s_mov_b64 s[4:5], -1
                                        ; implicit-def: $sgpr10
	s_and_saveexec_b64 s[8:9], vcc
; %bb.2450:
	s_mov_b32 s10, 0x7f800001
	s_xor_b64 s[4:5], exec, -1
; %bb.2451:
	s_or_b64 exec, exec, s[8:9]
	s_and_b64 s[4:5], s[4:5], exec
                                        ; implicit-def: $vgpr13
	s_or_saveexec_b64 s[6:7], s[6:7]
	v_mov_b32_e32 v12, s10
	s_xor_b64 exec, exec, s[6:7]
	s_cbranch_execz .LBB2_402
.LBB2_2452:
	v_cmp_ne_u16_e32 vcc, 0, v13
	s_andn2_b64 s[4:5], s[4:5], exec
	s_and_b64 s[8:9], vcc, exec
	v_mov_b32_e32 v12, 0
	s_or_b64 s[4:5], s[4:5], s[8:9]
	s_or_b64 exec, exec, s[6:7]
	s_and_saveexec_b64 s[6:7], s[4:5]
	s_cbranch_execnz .LBB2_403
	s_branch .LBB2_404
.LBB2_2453:
	s_movk_i32 s4, 0x80
	v_cmp_eq_u16_e32 vcc, s4, v13
	s_mov_b64 s[4:5], -1
                                        ; implicit-def: $sgpr10
	s_and_saveexec_b64 s[8:9], vcc
; %bb.2454:
	s_mov_b32 s10, 0x7f800001
	s_xor_b64 s[4:5], exec, -1
; %bb.2455:
	s_or_b64 exec, exec, s[8:9]
	s_and_b64 s[4:5], s[4:5], exec
                                        ; implicit-def: $vgpr13
	s_or_saveexec_b64 s[6:7], s[6:7]
	v_mov_b32_e32 v14, s10
	s_xor_b64 exec, exec, s[6:7]
	s_cbranch_execz .LBB2_406
.LBB2_2456:
	v_cmp_ne_u16_e32 vcc, 0, v13
	s_andn2_b64 s[4:5], s[4:5], exec
	s_and_b64 s[8:9], vcc, exec
	v_mov_b32_e32 v14, 0
	s_or_b64 s[4:5], s[4:5], s[8:9]
	s_or_b64 exec, exec, s[6:7]
	s_and_saveexec_b64 s[6:7], s[4:5]
	s_cbranch_execnz .LBB2_407
	s_branch .LBB2_408
.LBB2_2457:
	s_movk_i32 s4, 0x80
	v_cmp_eq_u16_sdwa s[12:13], v6, s4 src0_sel:BYTE_3 src1_sel:DWORD
	s_mov_b64 s[4:5], -1
                                        ; implicit-def: $sgpr10
	s_and_saveexec_b64 s[8:9], s[12:13]
; %bb.2458:
	s_mov_b32 s10, 0x7f800001
	s_xor_b64 s[4:5], exec, -1
; %bb.2459:
	s_or_b64 exec, exec, s[8:9]
	s_and_b64 s[4:5], s[4:5], exec
	s_or_saveexec_b64 s[6:7], s[6:7]
	v_mov_b32_e32 v12, s10
	s_xor_b64 exec, exec, s[6:7]
	s_cbranch_execz .LBB2_410
.LBB2_2460:
	v_mov_b32_e32 v12, 0
	v_cmp_ne_u16_sdwa s[8:9], v6, v12 src0_sel:BYTE_3 src1_sel:DWORD
	s_andn2_b64 s[4:5], s[4:5], exec
	s_and_b64 s[8:9], s[8:9], exec
	s_or_b64 s[4:5], s[4:5], s[8:9]
	s_or_b64 exec, exec, s[6:7]
	s_and_saveexec_b64 s[6:7], s[4:5]
	s_cbranch_execnz .LBB2_411
	s_branch .LBB2_412
.LBB2_2461:
	s_movk_i32 s4, 0x80
	v_cmp_eq_u16_sdwa s[12:13], v2, s4 src0_sel:BYTE_3 src1_sel:DWORD
	s_mov_b64 s[4:5], -1
                                        ; implicit-def: $sgpr10
	s_and_saveexec_b64 s[8:9], s[12:13]
; %bb.2462:
	s_mov_b32 s10, 0x7f800001
	s_xor_b64 s[4:5], exec, -1
; %bb.2463:
	s_or_b64 exec, exec, s[8:9]
	s_and_b64 s[4:5], s[4:5], exec
	s_or_saveexec_b64 s[6:7], s[6:7]
	v_mov_b32_e32 v6, s10
	s_xor_b64 exec, exec, s[6:7]
	s_cbranch_execz .LBB2_414
.LBB2_2464:
	v_mov_b32_e32 v6, 0
	v_cmp_ne_u16_sdwa s[8:9], v2, v6 src0_sel:BYTE_3 src1_sel:DWORD
	s_andn2_b64 s[4:5], s[4:5], exec
	s_and_b64 s[8:9], s[8:9], exec
	s_or_b64 s[4:5], s[4:5], s[8:9]
	s_or_b64 exec, exec, s[6:7]
	s_and_saveexec_b64 s[6:7], s[4:5]
	s_cbranch_execnz .LBB2_415
	s_branch .LBB2_416
.LBB2_2465:
	s_movk_i32 s4, 0x80
	v_cmp_eq_u16_sdwa s[12:13], v7, s4 src0_sel:BYTE_0 src1_sel:DWORD
	s_mov_b64 s[4:5], -1
                                        ; implicit-def: $sgpr10
	s_and_saveexec_b64 s[8:9], s[12:13]
; %bb.2466:
	s_mov_b32 s10, 0x7f800001
	s_xor_b64 s[4:5], exec, -1
; %bb.2467:
	s_or_b64 exec, exec, s[8:9]
	s_and_b64 s[4:5], s[4:5], exec
	s_or_saveexec_b64 s[6:7], s[6:7]
	v_mov_b32_e32 v2, s10
	s_xor_b64 exec, exec, s[6:7]
	s_cbranch_execz .LBB2_418
.LBB2_2468:
	v_mov_b32_e32 v2, 0
	v_cmp_ne_u16_sdwa s[8:9], v7, v2 src0_sel:BYTE_0 src1_sel:DWORD
	s_andn2_b64 s[4:5], s[4:5], exec
	s_and_b64 s[8:9], s[8:9], exec
	s_or_b64 s[4:5], s[4:5], s[8:9]
	s_or_b64 exec, exec, s[6:7]
	s_and_saveexec_b64 s[6:7], s[4:5]
	s_cbranch_execnz .LBB2_419
	s_branch .LBB2_420
.LBB2_2469:
	s_movk_i32 s4, 0x80
	v_cmp_eq_u16_sdwa s[12:13], v3, s4 src0_sel:BYTE_0 src1_sel:DWORD
	s_mov_b64 s[4:5], -1
                                        ; implicit-def: $sgpr10
	s_and_saveexec_b64 s[8:9], s[12:13]
; %bb.2470:
	s_mov_b32 s10, 0x7f800001
	s_xor_b64 s[4:5], exec, -1
; %bb.2471:
	s_or_b64 exec, exec, s[8:9]
	s_and_b64 s[4:5], s[4:5], exec
	s_or_saveexec_b64 s[6:7], s[6:7]
	v_mov_b32_e32 v6, s10
	s_xor_b64 exec, exec, s[6:7]
	s_cbranch_execz .LBB2_422
.LBB2_2472:
	v_mov_b32_e32 v6, 0
	v_cmp_ne_u16_sdwa s[8:9], v3, v6 src0_sel:BYTE_0 src1_sel:DWORD
	s_andn2_b64 s[4:5], s[4:5], exec
	s_and_b64 s[8:9], s[8:9], exec
	s_or_b64 s[4:5], s[4:5], s[8:9]
	s_or_b64 exec, exec, s[6:7]
	s_and_saveexec_b64 s[6:7], s[4:5]
	s_cbranch_execnz .LBB2_423
	s_branch .LBB2_424
.LBB2_2473:
	s_movk_i32 s4, 0x80
	v_cmp_eq_u16_sdwa s[12:13], v6, s4 src0_sel:BYTE_0 src1_sel:DWORD
	s_mov_b64 s[4:5], -1
                                        ; implicit-def: $sgpr10
	s_and_saveexec_b64 s[8:9], s[12:13]
; %bb.2474:
	s_mov_b32 s10, 0x7f800001
	s_xor_b64 s[4:5], exec, -1
; %bb.2475:
	s_or_b64 exec, exec, s[8:9]
	s_and_b64 s[4:5], s[4:5], exec
	s_or_saveexec_b64 s[6:7], s[6:7]
	v_mov_b32_e32 v2, s10
	s_xor_b64 exec, exec, s[6:7]
	s_cbranch_execz .LBB2_426
.LBB2_2476:
	v_mov_b32_e32 v2, 0
	v_cmp_ne_u16_sdwa s[8:9], v6, v2 src0_sel:BYTE_0 src1_sel:DWORD
	s_andn2_b64 s[4:5], s[4:5], exec
	s_and_b64 s[8:9], s[8:9], exec
	s_or_b64 s[4:5], s[4:5], s[8:9]
	s_or_b64 exec, exec, s[6:7]
	s_and_saveexec_b64 s[6:7], s[4:5]
	s_cbranch_execnz .LBB2_427
	s_branch .LBB2_428
.LBB2_2477:
	s_movk_i32 s4, 0x80
	v_cmp_eq_u16_sdwa s[12:13], v6, s4 src0_sel:BYTE_0 src1_sel:DWORD
	s_mov_b64 s[4:5], -1
                                        ; implicit-def: $sgpr10
	s_and_saveexec_b64 s[8:9], s[12:13]
; %bb.2478:
	s_mov_b32 s10, 0x7f800001
	s_xor_b64 s[4:5], exec, -1
; %bb.2479:
	s_or_b64 exec, exec, s[8:9]
	s_and_b64 s[4:5], s[4:5], exec
	s_or_saveexec_b64 s[6:7], s[6:7]
	v_mov_b32_e32 v12, s10
	s_xor_b64 exec, exec, s[6:7]
	s_cbranch_execz .LBB2_430
.LBB2_2480:
	v_mov_b32_e32 v12, 0
	v_cmp_ne_u16_sdwa s[8:9], v6, v12 src0_sel:BYTE_0 src1_sel:DWORD
	s_andn2_b64 s[4:5], s[4:5], exec
	s_and_b64 s[8:9], s[8:9], exec
	s_or_b64 s[4:5], s[4:5], s[8:9]
	s_or_b64 exec, exec, s[6:7]
	s_and_saveexec_b64 s[6:7], s[4:5]
	s_cbranch_execnz .LBB2_431
	s_branch .LBB2_432
.LBB2_2481:
	s_movk_i32 s4, 0x80
	v_cmp_eq_u16_e32 vcc, s4, v6
	s_mov_b64 s[4:5], -1
                                        ; implicit-def: $sgpr10
	s_and_saveexec_b64 s[8:9], vcc
; %bb.2482:
	s_mov_b32 s10, 0x7f800001
	s_xor_b64 s[4:5], exec, -1
; %bb.2483:
	s_or_b64 exec, exec, s[8:9]
	s_and_b64 s[4:5], s[4:5], exec
                                        ; implicit-def: $vgpr6
	s_or_saveexec_b64 s[6:7], s[6:7]
	v_mov_b32_e32 v2, s10
	s_xor_b64 exec, exec, s[6:7]
	s_cbranch_execz .LBB2_434
.LBB2_2484:
	v_cmp_ne_u16_e32 vcc, 0, v6
	s_andn2_b64 s[4:5], s[4:5], exec
	s_and_b64 s[8:9], vcc, exec
	v_mov_b32_e32 v2, 0
	s_or_b64 s[4:5], s[4:5], s[8:9]
	s_or_b64 exec, exec, s[6:7]
	s_and_saveexec_b64 s[6:7], s[4:5]
	s_cbranch_execnz .LBB2_435
	s_branch .LBB2_436
.LBB2_2485:
	s_movk_i32 s4, 0x80
	v_cmp_eq_u16_e32 vcc, s4, v6
	s_mov_b64 s[4:5], -1
                                        ; implicit-def: $sgpr10
	s_and_saveexec_b64 s[8:9], vcc
; %bb.2486:
	s_mov_b32 s10, 0x7f800001
	s_xor_b64 s[4:5], exec, -1
; %bb.2487:
	s_or_b64 exec, exec, s[8:9]
	s_and_b64 s[4:5], s[4:5], exec
                                        ; implicit-def: $vgpr6
	s_or_saveexec_b64 s[6:7], s[6:7]
	v_mov_b32_e32 v12, s10
	s_xor_b64 exec, exec, s[6:7]
	s_cbranch_execz .LBB2_438
.LBB2_2488:
	v_cmp_ne_u16_e32 vcc, 0, v6
	s_andn2_b64 s[4:5], s[4:5], exec
	s_and_b64 s[8:9], vcc, exec
	v_mov_b32_e32 v12, 0
	s_or_b64 s[4:5], s[4:5], s[8:9]
	s_or_b64 exec, exec, s[6:7]
	s_and_saveexec_b64 s[6:7], s[4:5]
	s_cbranch_execnz .LBB2_439
	s_branch .LBB2_440
.LBB2_2489:
	s_movk_i32 s4, 0x80
	v_cmp_eq_u16_sdwa s[12:13], v7, s4 src0_sel:BYTE_3 src1_sel:DWORD
	s_mov_b64 s[4:5], -1
                                        ; implicit-def: $sgpr10
	s_and_saveexec_b64 s[8:9], s[12:13]
; %bb.2490:
	s_mov_b32 s10, 0x7f800001
	s_xor_b64 s[4:5], exec, -1
; %bb.2491:
	s_or_b64 exec, exec, s[8:9]
	s_and_b64 s[4:5], s[4:5], exec
	s_or_saveexec_b64 s[6:7], s[6:7]
	v_mov_b32_e32 v2, s10
	s_xor_b64 exec, exec, s[6:7]
	s_cbranch_execz .LBB2_442
.LBB2_2492:
	v_mov_b32_e32 v2, 0
	v_cmp_ne_u16_sdwa s[8:9], v7, v2 src0_sel:BYTE_3 src1_sel:DWORD
	s_andn2_b64 s[4:5], s[4:5], exec
	s_and_b64 s[8:9], s[8:9], exec
	s_or_b64 s[4:5], s[4:5], s[8:9]
	s_or_b64 exec, exec, s[6:7]
	s_and_saveexec_b64 s[6:7], s[4:5]
	s_cbranch_execnz .LBB2_443
	s_branch .LBB2_444
.LBB2_2493:
	s_movk_i32 s4, 0x80
	v_cmp_eq_u16_sdwa s[12:13], v3, s4 src0_sel:BYTE_3 src1_sel:DWORD
	s_mov_b64 s[4:5], -1
                                        ; implicit-def: $sgpr10
	s_and_saveexec_b64 s[8:9], s[12:13]
; %bb.2494:
	s_mov_b32 s10, 0x7f800001
	s_xor_b64 s[4:5], exec, -1
; %bb.2495:
	s_or_b64 exec, exec, s[8:9]
	s_and_b64 s[4:5], s[4:5], exec
	s_or_saveexec_b64 s[6:7], s[6:7]
	v_mov_b32_e32 v6, s10
	s_xor_b64 exec, exec, s[6:7]
	s_cbranch_execz .LBB2_446
.LBB2_2496:
	v_mov_b32_e32 v6, 0
	v_cmp_ne_u16_sdwa s[8:9], v3, v6 src0_sel:BYTE_3 src1_sel:DWORD
	s_andn2_b64 s[4:5], s[4:5], exec
	s_and_b64 s[8:9], s[8:9], exec
	s_or_b64 s[4:5], s[4:5], s[8:9]
	s_or_b64 exec, exec, s[6:7]
	s_and_saveexec_b64 s[6:7], s[4:5]
	s_cbranch_execnz .LBB2_447
	s_branch .LBB2_448
.LBB2_2497:
	s_movk_i32 s4, 0x80
	v_cmp_eq_u16_sdwa s[12:13], v8, s4 src0_sel:BYTE_0 src1_sel:DWORD
	s_mov_b64 s[4:5], -1
                                        ; implicit-def: $sgpr10
	s_and_saveexec_b64 s[8:9], s[12:13]
; %bb.2498:
	s_mov_b32 s10, 0x7f800001
	s_xor_b64 s[4:5], exec, -1
; %bb.2499:
	s_or_b64 exec, exec, s[8:9]
	s_and_b64 s[4:5], s[4:5], exec
	s_or_saveexec_b64 s[6:7], s[6:7]
	v_mov_b32_e32 v2, s10
	s_xor_b64 exec, exec, s[6:7]
	s_cbranch_execz .LBB2_450
.LBB2_2500:
	v_mov_b32_e32 v2, 0
	v_cmp_ne_u16_sdwa s[8:9], v8, v2 src0_sel:BYTE_0 src1_sel:DWORD
	s_andn2_b64 s[4:5], s[4:5], exec
	s_and_b64 s[8:9], s[8:9], exec
	s_or_b64 s[4:5], s[4:5], s[8:9]
	s_or_b64 exec, exec, s[6:7]
	s_and_saveexec_b64 s[6:7], s[4:5]
	s_cbranch_execnz .LBB2_451
	s_branch .LBB2_452
.LBB2_2501:
	s_movk_i32 s4, 0x80
	v_cmp_eq_u16_sdwa s[12:13], v4, s4 src0_sel:BYTE_0 src1_sel:DWORD
	s_mov_b64 s[4:5], -1
                                        ; implicit-def: $sgpr10
	s_and_saveexec_b64 s[8:9], s[12:13]
; %bb.2502:
	s_mov_b32 s10, 0x7f800001
	s_xor_b64 s[4:5], exec, -1
; %bb.2503:
	s_or_b64 exec, exec, s[8:9]
	s_and_b64 s[4:5], s[4:5], exec
	s_or_saveexec_b64 s[6:7], s[6:7]
	v_mov_b32_e32 v3, s10
	s_xor_b64 exec, exec, s[6:7]
	s_cbranch_execz .LBB2_454
.LBB2_2504:
	v_mov_b32_e32 v3, 0
	v_cmp_ne_u16_sdwa s[8:9], v4, v3 src0_sel:BYTE_0 src1_sel:DWORD
	s_andn2_b64 s[4:5], s[4:5], exec
	s_and_b64 s[8:9], s[8:9], exec
	s_or_b64 s[4:5], s[4:5], s[8:9]
	s_or_b64 exec, exec, s[6:7]
	s_and_saveexec_b64 s[6:7], s[4:5]
	s_cbranch_execnz .LBB2_455
	s_branch .LBB2_456
.LBB2_2505:
	s_movk_i32 s4, 0x80
	v_cmp_eq_u16_sdwa s[12:13], v3, s4 src0_sel:BYTE_0 src1_sel:DWORD
	s_mov_b64 s[4:5], -1
                                        ; implicit-def: $sgpr10
	s_and_saveexec_b64 s[8:9], s[12:13]
; %bb.2506:
	s_mov_b32 s10, 0x7f800001
	s_xor_b64 s[4:5], exec, -1
; %bb.2507:
	s_or_b64 exec, exec, s[8:9]
	s_and_b64 s[4:5], s[4:5], exec
	s_or_saveexec_b64 s[6:7], s[6:7]
	v_mov_b32_e32 v2, s10
	s_xor_b64 exec, exec, s[6:7]
	s_cbranch_execz .LBB2_458
.LBB2_2508:
	v_mov_b32_e32 v2, 0
	v_cmp_ne_u16_sdwa s[8:9], v3, v2 src0_sel:BYTE_0 src1_sel:DWORD
	s_andn2_b64 s[4:5], s[4:5], exec
	s_and_b64 s[8:9], s[8:9], exec
	s_or_b64 s[4:5], s[4:5], s[8:9]
	s_or_b64 exec, exec, s[6:7]
	s_and_saveexec_b64 s[6:7], s[4:5]
	s_cbranch_execnz .LBB2_459
	s_branch .LBB2_460
.LBB2_2509:
	s_movk_i32 s4, 0x80
	v_cmp_eq_u16_sdwa s[12:13], v3, s4 src0_sel:BYTE_0 src1_sel:DWORD
	s_mov_b64 s[4:5], -1
                                        ; implicit-def: $sgpr10
	s_and_saveexec_b64 s[8:9], s[12:13]
; %bb.2510:
	s_mov_b32 s10, 0x7f800001
	s_xor_b64 s[4:5], exec, -1
; %bb.2511:
	s_or_b64 exec, exec, s[8:9]
	s_and_b64 s[4:5], s[4:5], exec
	s_or_saveexec_b64 s[6:7], s[6:7]
	v_mov_b32_e32 v6, s10
	s_xor_b64 exec, exec, s[6:7]
	s_cbranch_execz .LBB2_462
.LBB2_2512:
	v_mov_b32_e32 v6, 0
	v_cmp_ne_u16_sdwa s[8:9], v3, v6 src0_sel:BYTE_0 src1_sel:DWORD
	s_andn2_b64 s[4:5], s[4:5], exec
	s_and_b64 s[8:9], s[8:9], exec
	s_or_b64 s[4:5], s[4:5], s[8:9]
	s_or_b64 exec, exec, s[6:7]
	s_and_saveexec_b64 s[6:7], s[4:5]
	s_cbranch_execnz .LBB2_463
	s_branch .LBB2_464
.LBB2_2513:
	s_movk_i32 s4, 0x80
	v_cmp_eq_u16_e32 vcc, s4, v3
	s_mov_b64 s[4:5], -1
                                        ; implicit-def: $sgpr10
	s_and_saveexec_b64 s[8:9], vcc
; %bb.2514:
	s_mov_b32 s10, 0x7f800001
	s_xor_b64 s[4:5], exec, -1
; %bb.2515:
	s_or_b64 exec, exec, s[8:9]
	s_and_b64 s[4:5], s[4:5], exec
                                        ; implicit-def: $vgpr3
	s_or_saveexec_b64 s[6:7], s[6:7]
	v_mov_b32_e32 v2, s10
	s_xor_b64 exec, exec, s[6:7]
	s_cbranch_execz .LBB2_466
.LBB2_2516:
	v_cmp_ne_u16_e32 vcc, 0, v3
	s_andn2_b64 s[4:5], s[4:5], exec
	s_and_b64 s[8:9], vcc, exec
	v_mov_b32_e32 v2, 0
	s_or_b64 s[4:5], s[4:5], s[8:9]
	s_or_b64 exec, exec, s[6:7]
	s_and_saveexec_b64 s[6:7], s[4:5]
	s_cbranch_execnz .LBB2_467
	s_branch .LBB2_468
.LBB2_2517:
	s_movk_i32 s4, 0x80
	v_cmp_eq_u16_e32 vcc, s4, v3
	s_mov_b64 s[4:5], -1
                                        ; implicit-def: $sgpr10
	s_and_saveexec_b64 s[8:9], vcc
; %bb.2518:
	s_mov_b32 s10, 0x7f800001
	s_xor_b64 s[4:5], exec, -1
; %bb.2519:
	s_or_b64 exec, exec, s[8:9]
	s_and_b64 s[4:5], s[4:5], exec
                                        ; implicit-def: $vgpr3
	s_or_saveexec_b64 s[6:7], s[6:7]
	v_mov_b32_e32 v6, s10
	s_xor_b64 exec, exec, s[6:7]
	s_cbranch_execz .LBB2_470
.LBB2_2520:
	v_cmp_ne_u16_e32 vcc, 0, v3
	s_andn2_b64 s[4:5], s[4:5], exec
	s_and_b64 s[8:9], vcc, exec
	v_mov_b32_e32 v6, 0
	s_or_b64 s[4:5], s[4:5], s[8:9]
	s_or_b64 exec, exec, s[6:7]
	s_and_saveexec_b64 s[6:7], s[4:5]
	s_cbranch_execnz .LBB2_471
	s_branch .LBB2_472
.LBB2_2521:
	s_movk_i32 s4, 0x80
	v_cmp_eq_u16_sdwa s[12:13], v8, s4 src0_sel:BYTE_3 src1_sel:DWORD
	s_mov_b64 s[4:5], -1
                                        ; implicit-def: $sgpr10
	s_and_saveexec_b64 s[8:9], s[12:13]
; %bb.2522:
	s_mov_b32 s10, 0x7f800001
	s_xor_b64 s[4:5], exec, -1
; %bb.2523:
	s_or_b64 exec, exec, s[8:9]
	s_and_b64 s[4:5], s[4:5], exec
	s_or_saveexec_b64 s[6:7], s[6:7]
	v_mov_b32_e32 v2, s10
	s_xor_b64 exec, exec, s[6:7]
	s_cbranch_execz .LBB2_474
.LBB2_2524:
	v_mov_b32_e32 v2, 0
	v_cmp_ne_u16_sdwa s[8:9], v8, v2 src0_sel:BYTE_3 src1_sel:DWORD
	s_andn2_b64 s[4:5], s[4:5], exec
	s_and_b64 s[8:9], s[8:9], exec
	s_or_b64 s[4:5], s[4:5], s[8:9]
	s_or_b64 exec, exec, s[6:7]
	s_and_saveexec_b64 s[6:7], s[4:5]
	s_cbranch_execnz .LBB2_475
	s_branch .LBB2_476
.LBB2_2525:
	s_movk_i32 s4, 0x80
	v_cmp_eq_u16_sdwa s[12:13], v4, s4 src0_sel:BYTE_3 src1_sel:DWORD
	s_mov_b64 s[4:5], -1
                                        ; implicit-def: $sgpr10
	s_and_saveexec_b64 s[8:9], s[12:13]
; %bb.2526:
	s_mov_b32 s10, 0x7f800001
	s_xor_b64 s[4:5], exec, -1
; %bb.2527:
	s_or_b64 exec, exec, s[8:9]
	s_and_b64 s[4:5], s[4:5], exec
	s_or_saveexec_b64 s[6:7], s[6:7]
	v_mov_b32_e32 v3, s10
	s_xor_b64 exec, exec, s[6:7]
	s_cbranch_execz .LBB2_478
.LBB2_2528:
	v_mov_b32_e32 v3, 0
	v_cmp_ne_u16_sdwa s[8:9], v4, v3 src0_sel:BYTE_3 src1_sel:DWORD
	s_andn2_b64 s[4:5], s[4:5], exec
	s_and_b64 s[8:9], s[8:9], exec
	s_or_b64 s[4:5], s[4:5], s[8:9]
	s_or_b64 exec, exec, s[6:7]
	s_and_saveexec_b64 s[6:7], s[4:5]
	s_cbranch_execnz .LBB2_479
	s_branch .LBB2_480
.LBB2_2529:
	s_movk_i32 s4, 0x80
	v_cmp_eq_u16_sdwa s[12:13], v9, s4 src0_sel:BYTE_0 src1_sel:DWORD
	s_mov_b64 s[4:5], -1
                                        ; implicit-def: $sgpr10
	s_and_saveexec_b64 s[8:9], s[12:13]
; %bb.2530:
	s_mov_b32 s10, 0x7f800001
	s_xor_b64 s[4:5], exec, -1
; %bb.2531:
	s_or_b64 exec, exec, s[8:9]
	s_and_b64 s[4:5], s[4:5], exec
	s_or_saveexec_b64 s[6:7], s[6:7]
	v_mov_b32_e32 v2, s10
	s_xor_b64 exec, exec, s[6:7]
	s_cbranch_execz .LBB2_482
.LBB2_2532:
	v_mov_b32_e32 v2, 0
	v_cmp_ne_u16_sdwa s[8:9], v9, v2 src0_sel:BYTE_0 src1_sel:DWORD
	s_andn2_b64 s[4:5], s[4:5], exec
	s_and_b64 s[8:9], s[8:9], exec
	s_or_b64 s[4:5], s[4:5], s[8:9]
	s_or_b64 exec, exec, s[6:7]
	s_and_saveexec_b64 s[6:7], s[4:5]
	s_cbranch_execnz .LBB2_483
	s_branch .LBB2_484
.LBB2_2533:
	s_movk_i32 s4, 0x80
	v_cmp_eq_u16_sdwa s[12:13], v5, s4 src0_sel:BYTE_0 src1_sel:DWORD
	s_mov_b64 s[4:5], -1
                                        ; implicit-def: $sgpr10
	s_and_saveexec_b64 s[8:9], s[12:13]
; %bb.2534:
	s_mov_b32 s10, 0x7f800001
	s_xor_b64 s[4:5], exec, -1
; %bb.2535:
	s_or_b64 exec, exec, s[8:9]
	s_and_b64 s[4:5], s[4:5], exec
	s_or_saveexec_b64 s[6:7], s[6:7]
	v_mov_b32_e32 v3, s10
	s_xor_b64 exec, exec, s[6:7]
	s_cbranch_execz .LBB2_486
.LBB2_2536:
	v_mov_b32_e32 v3, 0
	v_cmp_ne_u16_sdwa s[8:9], v5, v3 src0_sel:BYTE_0 src1_sel:DWORD
	s_andn2_b64 s[4:5], s[4:5], exec
	s_and_b64 s[8:9], s[8:9], exec
	s_or_b64 s[4:5], s[4:5], s[8:9]
	s_or_b64 exec, exec, s[6:7]
	s_and_saveexec_b64 s[6:7], s[4:5]
	s_cbranch_execnz .LBB2_487
	s_branch .LBB2_488
.LBB2_2537:
	s_movk_i32 s4, 0x80
	v_cmp_eq_u16_sdwa s[12:13], v3, s4 src0_sel:BYTE_0 src1_sel:DWORD
	s_mov_b64 s[4:5], -1
                                        ; implicit-def: $sgpr10
	s_and_saveexec_b64 s[8:9], s[12:13]
; %bb.2538:
	s_mov_b32 s10, 0x7f800001
	s_xor_b64 s[4:5], exec, -1
; %bb.2539:
	s_or_b64 exec, exec, s[8:9]
	s_and_b64 s[4:5], s[4:5], exec
	s_or_saveexec_b64 s[6:7], s[6:7]
	v_mov_b32_e32 v2, s10
	s_xor_b64 exec, exec, s[6:7]
	s_cbranch_execz .LBB2_490
.LBB2_2540:
	v_mov_b32_e32 v2, 0
	v_cmp_ne_u16_sdwa s[8:9], v3, v2 src0_sel:BYTE_0 src1_sel:DWORD
	s_andn2_b64 s[4:5], s[4:5], exec
	s_and_b64 s[8:9], s[8:9], exec
	s_or_b64 s[4:5], s[4:5], s[8:9]
	s_or_b64 exec, exec, s[6:7]
	s_and_saveexec_b64 s[6:7], s[4:5]
	s_cbranch_execnz .LBB2_491
	s_branch .LBB2_492
.LBB2_2541:
	s_movk_i32 s4, 0x80
	v_cmp_eq_u16_sdwa s[12:13], v3, s4 src0_sel:BYTE_0 src1_sel:DWORD
	s_mov_b64 s[4:5], -1
                                        ; implicit-def: $sgpr10
	s_and_saveexec_b64 s[8:9], s[12:13]
; %bb.2542:
	s_mov_b32 s10, 0x7f800001
	s_xor_b64 s[4:5], exec, -1
; %bb.2543:
	s_or_b64 exec, exec, s[8:9]
	s_and_b64 s[4:5], s[4:5], exec
	s_or_saveexec_b64 s[6:7], s[6:7]
	v_mov_b32_e32 v4, s10
	s_xor_b64 exec, exec, s[6:7]
	s_cbranch_execz .LBB2_494
.LBB2_2544:
	v_mov_b32_e32 v4, 0
	v_cmp_ne_u16_sdwa s[8:9], v3, v4 src0_sel:BYTE_0 src1_sel:DWORD
	s_andn2_b64 s[4:5], s[4:5], exec
	s_and_b64 s[8:9], s[8:9], exec
	s_or_b64 s[4:5], s[4:5], s[8:9]
	s_or_b64 exec, exec, s[6:7]
	s_and_saveexec_b64 s[6:7], s[4:5]
	s_cbranch_execnz .LBB2_495
	s_branch .LBB2_496
.LBB2_2545:
	s_movk_i32 s4, 0x80
	v_cmp_eq_u16_e32 vcc, s4, v3
	s_mov_b64 s[4:5], -1
                                        ; implicit-def: $sgpr10
	s_and_saveexec_b64 s[8:9], vcc
; %bb.2546:
	s_mov_b32 s10, 0x7f800001
	s_xor_b64 s[4:5], exec, -1
; %bb.2547:
	s_or_b64 exec, exec, s[8:9]
	s_and_b64 s[4:5], s[4:5], exec
                                        ; implicit-def: $vgpr3
	s_or_saveexec_b64 s[6:7], s[6:7]
	v_mov_b32_e32 v2, s10
	s_xor_b64 exec, exec, s[6:7]
	s_cbranch_execz .LBB2_498
.LBB2_2548:
	v_cmp_ne_u16_e32 vcc, 0, v3
	s_andn2_b64 s[4:5], s[4:5], exec
	s_and_b64 s[8:9], vcc, exec
	v_mov_b32_e32 v2, 0
	s_or_b64 s[4:5], s[4:5], s[8:9]
	s_or_b64 exec, exec, s[6:7]
	s_and_saveexec_b64 s[6:7], s[4:5]
	s_cbranch_execnz .LBB2_499
	s_branch .LBB2_500
.LBB2_2549:
	s_movk_i32 s4, 0x80
	v_cmp_eq_u16_e32 vcc, s4, v3
	s_mov_b64 s[4:5], -1
                                        ; implicit-def: $sgpr10
	s_and_saveexec_b64 s[8:9], vcc
; %bb.2550:
	s_mov_b32 s10, 0x7f800001
	s_xor_b64 s[4:5], exec, -1
; %bb.2551:
	s_or_b64 exec, exec, s[8:9]
	s_and_b64 s[4:5], s[4:5], exec
                                        ; implicit-def: $vgpr3
	s_or_saveexec_b64 s[6:7], s[6:7]
	v_mov_b32_e32 v4, s10
	s_xor_b64 exec, exec, s[6:7]
	s_cbranch_execz .LBB2_502
.LBB2_2552:
	v_cmp_ne_u16_e32 vcc, 0, v3
	s_andn2_b64 s[4:5], s[4:5], exec
	s_and_b64 s[8:9], vcc, exec
	v_mov_b32_e32 v4, 0
	s_or_b64 s[4:5], s[4:5], s[8:9]
	s_or_b64 exec, exec, s[6:7]
	s_and_saveexec_b64 s[6:7], s[4:5]
	s_cbranch_execnz .LBB2_503
	s_branch .LBB2_504
.LBB2_2553:
	s_movk_i32 s4, 0x80
	v_cmp_eq_u16_sdwa s[12:13], v9, s4 src0_sel:BYTE_3 src1_sel:DWORD
	s_mov_b64 s[4:5], -1
                                        ; implicit-def: $sgpr10
	s_and_saveexec_b64 s[8:9], s[12:13]
; %bb.2554:
	s_mov_b32 s10, 0x7f800001
	s_xor_b64 s[4:5], exec, -1
; %bb.2555:
	s_or_b64 exec, exec, s[8:9]
	s_and_b64 s[4:5], s[4:5], exec
	s_or_saveexec_b64 s[6:7], s[6:7]
	v_mov_b32_e32 v2, s10
	s_xor_b64 exec, exec, s[6:7]
	s_cbranch_execz .LBB2_506
.LBB2_2556:
	v_mov_b32_e32 v2, 0
	v_cmp_ne_u16_sdwa s[8:9], v9, v2 src0_sel:BYTE_3 src1_sel:DWORD
	s_andn2_b64 s[4:5], s[4:5], exec
	s_and_b64 s[8:9], s[8:9], exec
	s_or_b64 s[4:5], s[4:5], s[8:9]
	s_or_b64 exec, exec, s[6:7]
	s_and_saveexec_b64 s[6:7], s[4:5]
	s_cbranch_execnz .LBB2_507
	s_branch .LBB2_508
.LBB2_2557:
	s_movk_i32 s4, 0x80
	v_cmp_eq_u16_sdwa s[12:13], v5, s4 src0_sel:BYTE_3 src1_sel:DWORD
	s_mov_b64 s[4:5], -1
                                        ; implicit-def: $sgpr10
	s_and_saveexec_b64 s[8:9], s[12:13]
; %bb.2558:
	s_mov_b32 s10, 0x7f800001
	s_xor_b64 s[4:5], exec, -1
; %bb.2559:
	s_or_b64 exec, exec, s[8:9]
	s_and_b64 s[4:5], s[4:5], exec
	s_or_saveexec_b64 s[6:7], s[6:7]
	v_mov_b32_e32 v3, s10
	s_xor_b64 exec, exec, s[6:7]
	s_cbranch_execz .LBB2_510
.LBB2_2560:
	v_mov_b32_e32 v3, 0
	v_cmp_ne_u16_sdwa s[8:9], v5, v3 src0_sel:BYTE_3 src1_sel:DWORD
	s_andn2_b64 s[4:5], s[4:5], exec
	s_and_b64 s[8:9], s[8:9], exec
	s_or_b64 s[4:5], s[4:5], s[8:9]
	s_or_b64 exec, exec, s[6:7]
	s_and_saveexec_b64 s[6:7], s[4:5]
	s_cbranch_execnz .LBB2_511
	s_branch .LBB2_512
.LBB2_2561:
	s_movk_i32 s4, 0x80
	v_cmp_eq_u16_sdwa s[12:13], v6, s4 src0_sel:BYTE_0 src1_sel:DWORD
	s_mov_b64 s[4:5], -1
                                        ; implicit-def: $sgpr10
	s_and_saveexec_b64 s[8:9], s[12:13]
; %bb.2562:
	s_mov_b32 s10, 0x7f800001
	s_xor_b64 s[4:5], exec, -1
; %bb.2563:
	s_or_b64 exec, exec, s[8:9]
	s_and_b64 s[4:5], s[4:5], exec
	s_or_saveexec_b64 s[6:7], s[6:7]
	v_mov_b32_e32 v12, s10
	s_xor_b64 exec, exec, s[6:7]
	s_cbranch_execz .LBB2_514
.LBB2_2564:
	v_mov_b32_e32 v12, 0
	v_cmp_ne_u16_sdwa s[8:9], v6, v12 src0_sel:BYTE_0 src1_sel:DWORD
	s_andn2_b64 s[4:5], s[4:5], exec
	s_and_b64 s[8:9], s[8:9], exec
	s_or_b64 s[4:5], s[4:5], s[8:9]
	s_or_b64 exec, exec, s[6:7]
	s_and_saveexec_b64 s[6:7], s[4:5]
	s_cbranch_execnz .LBB2_515
	s_branch .LBB2_516
.LBB2_2565:
	s_movk_i32 s4, 0x80
	v_cmp_eq_u16_sdwa s[12:13], v2, s4 src0_sel:BYTE_0 src1_sel:DWORD
	s_mov_b64 s[4:5], -1
                                        ; implicit-def: $sgpr10
	s_and_saveexec_b64 s[8:9], s[12:13]
; %bb.2566:
	s_mov_b32 s10, 0x7f800001
	s_xor_b64 s[4:5], exec, -1
; %bb.2567:
	s_or_b64 exec, exec, s[8:9]
	s_and_b64 s[4:5], s[4:5], exec
	s_or_saveexec_b64 s[6:7], s[6:7]
	v_mov_b32_e32 v13, s10
	s_xor_b64 exec, exec, s[6:7]
	s_cbranch_execz .LBB2_518
.LBB2_2568:
	v_mov_b32_e32 v13, 0
	v_cmp_ne_u16_sdwa s[8:9], v2, v13 src0_sel:BYTE_0 src1_sel:DWORD
	s_andn2_b64 s[4:5], s[4:5], exec
	s_and_b64 s[8:9], s[8:9], exec
	s_or_b64 s[4:5], s[4:5], s[8:9]
	s_or_b64 exec, exec, s[6:7]
	s_and_saveexec_b64 s[6:7], s[4:5]
	s_cbranch_execnz .LBB2_519
	s_branch .LBB2_520
.LBB2_2569:
	s_movk_i32 s4, 0x80
	v_cmp_eq_u16_sdwa s[12:13], v13, s4 src0_sel:BYTE_0 src1_sel:DWORD
	s_mov_b64 s[4:5], -1
                                        ; implicit-def: $sgpr10
	s_and_saveexec_b64 s[8:9], s[12:13]
; %bb.2570:
	s_mov_b32 s10, 0x7f800001
	s_xor_b64 s[4:5], exec, -1
; %bb.2571:
	s_or_b64 exec, exec, s[8:9]
	s_and_b64 s[4:5], s[4:5], exec
	s_or_saveexec_b64 s[6:7], s[6:7]
	v_mov_b32_e32 v12, s10
	s_xor_b64 exec, exec, s[6:7]
	s_cbranch_execz .LBB2_522
.LBB2_2572:
	v_mov_b32_e32 v12, 0
	v_cmp_ne_u16_sdwa s[8:9], v13, v12 src0_sel:BYTE_0 src1_sel:DWORD
	s_andn2_b64 s[4:5], s[4:5], exec
	s_and_b64 s[8:9], s[8:9], exec
	s_or_b64 s[4:5], s[4:5], s[8:9]
	s_or_b64 exec, exec, s[6:7]
	s_and_saveexec_b64 s[6:7], s[4:5]
	s_cbranch_execnz .LBB2_523
	s_branch .LBB2_524
.LBB2_2573:
	s_movk_i32 s4, 0x80
	v_cmp_eq_u16_sdwa s[12:13], v13, s4 src0_sel:BYTE_0 src1_sel:DWORD
	s_mov_b64 s[4:5], -1
                                        ; implicit-def: $sgpr10
	s_and_saveexec_b64 s[8:9], s[12:13]
; %bb.2574:
	s_mov_b32 s10, 0x7f800001
	s_xor_b64 s[4:5], exec, -1
; %bb.2575:
	s_or_b64 exec, exec, s[8:9]
	s_and_b64 s[4:5], s[4:5], exec
	s_or_saveexec_b64 s[6:7], s[6:7]
	v_mov_b32_e32 v14, s10
	s_xor_b64 exec, exec, s[6:7]
	s_cbranch_execz .LBB2_526
.LBB2_2576:
	v_mov_b32_e32 v14, 0
	v_cmp_ne_u16_sdwa s[8:9], v13, v14 src0_sel:BYTE_0 src1_sel:DWORD
	s_andn2_b64 s[4:5], s[4:5], exec
	s_and_b64 s[8:9], s[8:9], exec
	s_or_b64 s[4:5], s[4:5], s[8:9]
	s_or_b64 exec, exec, s[6:7]
	s_and_saveexec_b64 s[6:7], s[4:5]
	s_cbranch_execnz .LBB2_527
	s_branch .LBB2_528
.LBB2_2577:
	s_movk_i32 s4, 0x80
	v_cmp_eq_u16_e32 vcc, s4, v13
	s_mov_b64 s[4:5], -1
                                        ; implicit-def: $sgpr10
	s_and_saveexec_b64 s[8:9], vcc
; %bb.2578:
	s_mov_b32 s10, 0x7f800001
	s_xor_b64 s[4:5], exec, -1
; %bb.2579:
	s_or_b64 exec, exec, s[8:9]
	s_and_b64 s[4:5], s[4:5], exec
                                        ; implicit-def: $vgpr13
	s_or_saveexec_b64 s[6:7], s[6:7]
	v_mov_b32_e32 v12, s10
	s_xor_b64 exec, exec, s[6:7]
	s_cbranch_execz .LBB2_530
.LBB2_2580:
	v_cmp_ne_u16_e32 vcc, 0, v13
	s_andn2_b64 s[4:5], s[4:5], exec
	s_and_b64 s[8:9], vcc, exec
	v_mov_b32_e32 v12, 0
	s_or_b64 s[4:5], s[4:5], s[8:9]
	s_or_b64 exec, exec, s[6:7]
	s_and_saveexec_b64 s[6:7], s[4:5]
	s_cbranch_execnz .LBB2_531
	s_branch .LBB2_532
.LBB2_2581:
	s_movk_i32 s4, 0x80
	v_cmp_eq_u16_e32 vcc, s4, v13
	s_mov_b64 s[4:5], -1
                                        ; implicit-def: $sgpr10
	s_and_saveexec_b64 s[8:9], vcc
; %bb.2582:
	s_mov_b32 s10, 0x7f800001
	s_xor_b64 s[4:5], exec, -1
; %bb.2583:
	s_or_b64 exec, exec, s[8:9]
	s_and_b64 s[4:5], s[4:5], exec
                                        ; implicit-def: $vgpr13
	s_or_saveexec_b64 s[6:7], s[6:7]
	v_mov_b32_e32 v14, s10
	s_xor_b64 exec, exec, s[6:7]
	s_cbranch_execz .LBB2_534
.LBB2_2584:
	v_cmp_ne_u16_e32 vcc, 0, v13
	s_andn2_b64 s[4:5], s[4:5], exec
	s_and_b64 s[8:9], vcc, exec
	v_mov_b32_e32 v14, 0
	s_or_b64 s[4:5], s[4:5], s[8:9]
	s_or_b64 exec, exec, s[6:7]
	s_and_saveexec_b64 s[6:7], s[4:5]
	s_cbranch_execnz .LBB2_535
	s_branch .LBB2_536
.LBB2_2585:
	s_movk_i32 s4, 0x80
	v_cmp_eq_u16_sdwa s[12:13], v6, s4 src0_sel:BYTE_3 src1_sel:DWORD
	s_mov_b64 s[4:5], -1
                                        ; implicit-def: $sgpr10
	s_and_saveexec_b64 s[8:9], s[12:13]
; %bb.2586:
	s_mov_b32 s10, 0x7f800001
	s_xor_b64 s[4:5], exec, -1
; %bb.2587:
	s_or_b64 exec, exec, s[8:9]
	s_and_b64 s[4:5], s[4:5], exec
	s_or_saveexec_b64 s[6:7], s[6:7]
	v_mov_b32_e32 v12, s10
	s_xor_b64 exec, exec, s[6:7]
	s_cbranch_execz .LBB2_538
.LBB2_2588:
	v_mov_b32_e32 v12, 0
	v_cmp_ne_u16_sdwa s[8:9], v6, v12 src0_sel:BYTE_3 src1_sel:DWORD
	s_andn2_b64 s[4:5], s[4:5], exec
	s_and_b64 s[8:9], s[8:9], exec
	s_or_b64 s[4:5], s[4:5], s[8:9]
	s_or_b64 exec, exec, s[6:7]
	s_and_saveexec_b64 s[6:7], s[4:5]
	s_cbranch_execnz .LBB2_539
	s_branch .LBB2_540
.LBB2_2589:
	s_movk_i32 s4, 0x80
	v_cmp_eq_u16_sdwa s[12:13], v2, s4 src0_sel:BYTE_3 src1_sel:DWORD
	s_mov_b64 s[4:5], -1
                                        ; implicit-def: $sgpr10
	s_and_saveexec_b64 s[8:9], s[12:13]
; %bb.2590:
	s_mov_b32 s10, 0x7f800001
	s_xor_b64 s[4:5], exec, -1
; %bb.2591:
	s_or_b64 exec, exec, s[8:9]
	s_and_b64 s[4:5], s[4:5], exec
	s_or_saveexec_b64 s[6:7], s[6:7]
	v_mov_b32_e32 v6, s10
	s_xor_b64 exec, exec, s[6:7]
	s_cbranch_execz .LBB2_542
.LBB2_2592:
	v_mov_b32_e32 v6, 0
	v_cmp_ne_u16_sdwa s[8:9], v2, v6 src0_sel:BYTE_3 src1_sel:DWORD
	s_andn2_b64 s[4:5], s[4:5], exec
	s_and_b64 s[8:9], s[8:9], exec
	s_or_b64 s[4:5], s[4:5], s[8:9]
	s_or_b64 exec, exec, s[6:7]
	s_and_saveexec_b64 s[6:7], s[4:5]
	s_cbranch_execnz .LBB2_543
	s_branch .LBB2_544
.LBB2_2593:
	s_movk_i32 s4, 0x80
	v_cmp_eq_u16_sdwa s[12:13], v7, s4 src0_sel:BYTE_0 src1_sel:DWORD
	s_mov_b64 s[4:5], -1
                                        ; implicit-def: $sgpr10
	s_and_saveexec_b64 s[8:9], s[12:13]
; %bb.2594:
	s_mov_b32 s10, 0x7f800001
	s_xor_b64 s[4:5], exec, -1
; %bb.2595:
	s_or_b64 exec, exec, s[8:9]
	s_and_b64 s[4:5], s[4:5], exec
	s_or_saveexec_b64 s[6:7], s[6:7]
	v_mov_b32_e32 v2, s10
	s_xor_b64 exec, exec, s[6:7]
	s_cbranch_execz .LBB2_546
.LBB2_2596:
	v_mov_b32_e32 v2, 0
	v_cmp_ne_u16_sdwa s[8:9], v7, v2 src0_sel:BYTE_0 src1_sel:DWORD
	s_andn2_b64 s[4:5], s[4:5], exec
	s_and_b64 s[8:9], s[8:9], exec
	s_or_b64 s[4:5], s[4:5], s[8:9]
	s_or_b64 exec, exec, s[6:7]
	s_and_saveexec_b64 s[6:7], s[4:5]
	s_cbranch_execnz .LBB2_547
	s_branch .LBB2_548
.LBB2_2597:
	s_movk_i32 s4, 0x80
	v_cmp_eq_u16_sdwa s[12:13], v3, s4 src0_sel:BYTE_0 src1_sel:DWORD
	s_mov_b64 s[4:5], -1
                                        ; implicit-def: $sgpr10
	s_and_saveexec_b64 s[8:9], s[12:13]
; %bb.2598:
	s_mov_b32 s10, 0x7f800001
	s_xor_b64 s[4:5], exec, -1
; %bb.2599:
	s_or_b64 exec, exec, s[8:9]
	s_and_b64 s[4:5], s[4:5], exec
	s_or_saveexec_b64 s[6:7], s[6:7]
	v_mov_b32_e32 v6, s10
	s_xor_b64 exec, exec, s[6:7]
	s_cbranch_execz .LBB2_550
.LBB2_2600:
	v_mov_b32_e32 v6, 0
	v_cmp_ne_u16_sdwa s[8:9], v3, v6 src0_sel:BYTE_0 src1_sel:DWORD
	s_andn2_b64 s[4:5], s[4:5], exec
	s_and_b64 s[8:9], s[8:9], exec
	s_or_b64 s[4:5], s[4:5], s[8:9]
	s_or_b64 exec, exec, s[6:7]
	s_and_saveexec_b64 s[6:7], s[4:5]
	s_cbranch_execnz .LBB2_551
	s_branch .LBB2_552
.LBB2_2601:
	s_movk_i32 s4, 0x80
	v_cmp_eq_u16_sdwa s[12:13], v6, s4 src0_sel:BYTE_0 src1_sel:DWORD
	s_mov_b64 s[4:5], -1
                                        ; implicit-def: $sgpr10
	s_and_saveexec_b64 s[8:9], s[12:13]
; %bb.2602:
	s_mov_b32 s10, 0x7f800001
	s_xor_b64 s[4:5], exec, -1
; %bb.2603:
	s_or_b64 exec, exec, s[8:9]
	s_and_b64 s[4:5], s[4:5], exec
	s_or_saveexec_b64 s[6:7], s[6:7]
	v_mov_b32_e32 v2, s10
	s_xor_b64 exec, exec, s[6:7]
	s_cbranch_execz .LBB2_554
.LBB2_2604:
	v_mov_b32_e32 v2, 0
	v_cmp_ne_u16_sdwa s[8:9], v6, v2 src0_sel:BYTE_0 src1_sel:DWORD
	s_andn2_b64 s[4:5], s[4:5], exec
	s_and_b64 s[8:9], s[8:9], exec
	s_or_b64 s[4:5], s[4:5], s[8:9]
	s_or_b64 exec, exec, s[6:7]
	s_and_saveexec_b64 s[6:7], s[4:5]
	s_cbranch_execnz .LBB2_555
	s_branch .LBB2_556
.LBB2_2605:
	s_movk_i32 s4, 0x80
	v_cmp_eq_u16_sdwa s[12:13], v6, s4 src0_sel:BYTE_0 src1_sel:DWORD
	s_mov_b64 s[4:5], -1
                                        ; implicit-def: $sgpr10
	s_and_saveexec_b64 s[8:9], s[12:13]
; %bb.2606:
	s_mov_b32 s10, 0x7f800001
	s_xor_b64 s[4:5], exec, -1
; %bb.2607:
	s_or_b64 exec, exec, s[8:9]
	s_and_b64 s[4:5], s[4:5], exec
	s_or_saveexec_b64 s[6:7], s[6:7]
	v_mov_b32_e32 v12, s10
	s_xor_b64 exec, exec, s[6:7]
	s_cbranch_execz .LBB2_558
.LBB2_2608:
	v_mov_b32_e32 v12, 0
	v_cmp_ne_u16_sdwa s[8:9], v6, v12 src0_sel:BYTE_0 src1_sel:DWORD
	s_andn2_b64 s[4:5], s[4:5], exec
	s_and_b64 s[8:9], s[8:9], exec
	s_or_b64 s[4:5], s[4:5], s[8:9]
	s_or_b64 exec, exec, s[6:7]
	s_and_saveexec_b64 s[6:7], s[4:5]
	s_cbranch_execnz .LBB2_559
	s_branch .LBB2_560
.LBB2_2609:
	s_movk_i32 s4, 0x80
	v_cmp_eq_u16_e32 vcc, s4, v6
	s_mov_b64 s[4:5], -1
                                        ; implicit-def: $sgpr10
	s_and_saveexec_b64 s[8:9], vcc
; %bb.2610:
	s_mov_b32 s10, 0x7f800001
	s_xor_b64 s[4:5], exec, -1
; %bb.2611:
	s_or_b64 exec, exec, s[8:9]
	s_and_b64 s[4:5], s[4:5], exec
                                        ; implicit-def: $vgpr6
	s_or_saveexec_b64 s[6:7], s[6:7]
	v_mov_b32_e32 v2, s10
	s_xor_b64 exec, exec, s[6:7]
	s_cbranch_execz .LBB2_562
.LBB2_2612:
	v_cmp_ne_u16_e32 vcc, 0, v6
	s_andn2_b64 s[4:5], s[4:5], exec
	s_and_b64 s[8:9], vcc, exec
	v_mov_b32_e32 v2, 0
	s_or_b64 s[4:5], s[4:5], s[8:9]
	s_or_b64 exec, exec, s[6:7]
	s_and_saveexec_b64 s[6:7], s[4:5]
	s_cbranch_execnz .LBB2_563
	s_branch .LBB2_564
.LBB2_2613:
	s_movk_i32 s4, 0x80
	v_cmp_eq_u16_e32 vcc, s4, v6
	s_mov_b64 s[4:5], -1
                                        ; implicit-def: $sgpr10
	s_and_saveexec_b64 s[8:9], vcc
; %bb.2614:
	s_mov_b32 s10, 0x7f800001
	s_xor_b64 s[4:5], exec, -1
; %bb.2615:
	s_or_b64 exec, exec, s[8:9]
	s_and_b64 s[4:5], s[4:5], exec
                                        ; implicit-def: $vgpr6
	s_or_saveexec_b64 s[6:7], s[6:7]
	v_mov_b32_e32 v12, s10
	s_xor_b64 exec, exec, s[6:7]
	s_cbranch_execz .LBB2_566
.LBB2_2616:
	v_cmp_ne_u16_e32 vcc, 0, v6
	s_andn2_b64 s[4:5], s[4:5], exec
	s_and_b64 s[8:9], vcc, exec
	v_mov_b32_e32 v12, 0
	s_or_b64 s[4:5], s[4:5], s[8:9]
	s_or_b64 exec, exec, s[6:7]
	s_and_saveexec_b64 s[6:7], s[4:5]
	s_cbranch_execnz .LBB2_567
	s_branch .LBB2_568
.LBB2_2617:
	s_movk_i32 s4, 0x80
	v_cmp_eq_u16_sdwa s[12:13], v7, s4 src0_sel:BYTE_3 src1_sel:DWORD
	s_mov_b64 s[4:5], -1
                                        ; implicit-def: $sgpr10
	s_and_saveexec_b64 s[8:9], s[12:13]
; %bb.2618:
	s_mov_b32 s10, 0x7f800001
	s_xor_b64 s[4:5], exec, -1
; %bb.2619:
	s_or_b64 exec, exec, s[8:9]
	s_and_b64 s[4:5], s[4:5], exec
	s_or_saveexec_b64 s[6:7], s[6:7]
	v_mov_b32_e32 v2, s10
	s_xor_b64 exec, exec, s[6:7]
	s_cbranch_execz .LBB2_570
.LBB2_2620:
	v_mov_b32_e32 v2, 0
	v_cmp_ne_u16_sdwa s[8:9], v7, v2 src0_sel:BYTE_3 src1_sel:DWORD
	s_andn2_b64 s[4:5], s[4:5], exec
	s_and_b64 s[8:9], s[8:9], exec
	s_or_b64 s[4:5], s[4:5], s[8:9]
	s_or_b64 exec, exec, s[6:7]
	s_and_saveexec_b64 s[6:7], s[4:5]
	s_cbranch_execnz .LBB2_571
	s_branch .LBB2_572
.LBB2_2621:
	s_movk_i32 s4, 0x80
	v_cmp_eq_u16_sdwa s[12:13], v3, s4 src0_sel:BYTE_3 src1_sel:DWORD
	s_mov_b64 s[4:5], -1
                                        ; implicit-def: $sgpr10
	s_and_saveexec_b64 s[8:9], s[12:13]
; %bb.2622:
	s_mov_b32 s10, 0x7f800001
	s_xor_b64 s[4:5], exec, -1
; %bb.2623:
	s_or_b64 exec, exec, s[8:9]
	s_and_b64 s[4:5], s[4:5], exec
	s_or_saveexec_b64 s[6:7], s[6:7]
	v_mov_b32_e32 v6, s10
	s_xor_b64 exec, exec, s[6:7]
	s_cbranch_execz .LBB2_574
.LBB2_2624:
	v_mov_b32_e32 v6, 0
	v_cmp_ne_u16_sdwa s[8:9], v3, v6 src0_sel:BYTE_3 src1_sel:DWORD
	s_andn2_b64 s[4:5], s[4:5], exec
	s_and_b64 s[8:9], s[8:9], exec
	s_or_b64 s[4:5], s[4:5], s[8:9]
	s_or_b64 exec, exec, s[6:7]
	s_and_saveexec_b64 s[6:7], s[4:5]
	s_cbranch_execnz .LBB2_575
	s_branch .LBB2_576
.LBB2_2625:
	s_movk_i32 s4, 0x80
	v_cmp_eq_u16_sdwa s[12:13], v8, s4 src0_sel:BYTE_0 src1_sel:DWORD
	s_mov_b64 s[4:5], -1
                                        ; implicit-def: $sgpr10
	s_and_saveexec_b64 s[8:9], s[12:13]
; %bb.2626:
	s_mov_b32 s10, 0x7f800001
	s_xor_b64 s[4:5], exec, -1
; %bb.2627:
	s_or_b64 exec, exec, s[8:9]
	s_and_b64 s[4:5], s[4:5], exec
	s_or_saveexec_b64 s[6:7], s[6:7]
	v_mov_b32_e32 v2, s10
	s_xor_b64 exec, exec, s[6:7]
	s_cbranch_execz .LBB2_578
.LBB2_2628:
	v_mov_b32_e32 v2, 0
	v_cmp_ne_u16_sdwa s[8:9], v8, v2 src0_sel:BYTE_0 src1_sel:DWORD
	s_andn2_b64 s[4:5], s[4:5], exec
	s_and_b64 s[8:9], s[8:9], exec
	s_or_b64 s[4:5], s[4:5], s[8:9]
	s_or_b64 exec, exec, s[6:7]
	s_and_saveexec_b64 s[6:7], s[4:5]
	s_cbranch_execnz .LBB2_579
	s_branch .LBB2_580
.LBB2_2629:
	s_movk_i32 s4, 0x80
	v_cmp_eq_u16_sdwa s[12:13], v4, s4 src0_sel:BYTE_0 src1_sel:DWORD
	s_mov_b64 s[4:5], -1
                                        ; implicit-def: $sgpr10
	s_and_saveexec_b64 s[8:9], s[12:13]
; %bb.2630:
	s_mov_b32 s10, 0x7f800001
	s_xor_b64 s[4:5], exec, -1
; %bb.2631:
	s_or_b64 exec, exec, s[8:9]
	s_and_b64 s[4:5], s[4:5], exec
	s_or_saveexec_b64 s[6:7], s[6:7]
	v_mov_b32_e32 v3, s10
	s_xor_b64 exec, exec, s[6:7]
	s_cbranch_execz .LBB2_582
.LBB2_2632:
	v_mov_b32_e32 v3, 0
	v_cmp_ne_u16_sdwa s[8:9], v4, v3 src0_sel:BYTE_0 src1_sel:DWORD
	s_andn2_b64 s[4:5], s[4:5], exec
	s_and_b64 s[8:9], s[8:9], exec
	s_or_b64 s[4:5], s[4:5], s[8:9]
	s_or_b64 exec, exec, s[6:7]
	s_and_saveexec_b64 s[6:7], s[4:5]
	s_cbranch_execnz .LBB2_583
	s_branch .LBB2_584
.LBB2_2633:
	s_movk_i32 s4, 0x80
	v_cmp_eq_u16_sdwa s[12:13], v3, s4 src0_sel:BYTE_0 src1_sel:DWORD
	s_mov_b64 s[4:5], -1
                                        ; implicit-def: $sgpr10
	s_and_saveexec_b64 s[8:9], s[12:13]
; %bb.2634:
	s_mov_b32 s10, 0x7f800001
	s_xor_b64 s[4:5], exec, -1
; %bb.2635:
	s_or_b64 exec, exec, s[8:9]
	s_and_b64 s[4:5], s[4:5], exec
	s_or_saveexec_b64 s[6:7], s[6:7]
	v_mov_b32_e32 v2, s10
	s_xor_b64 exec, exec, s[6:7]
	s_cbranch_execz .LBB2_586
.LBB2_2636:
	v_mov_b32_e32 v2, 0
	v_cmp_ne_u16_sdwa s[8:9], v3, v2 src0_sel:BYTE_0 src1_sel:DWORD
	s_andn2_b64 s[4:5], s[4:5], exec
	s_and_b64 s[8:9], s[8:9], exec
	s_or_b64 s[4:5], s[4:5], s[8:9]
	s_or_b64 exec, exec, s[6:7]
	s_and_saveexec_b64 s[6:7], s[4:5]
	s_cbranch_execnz .LBB2_587
	s_branch .LBB2_588
.LBB2_2637:
	s_movk_i32 s4, 0x80
	v_cmp_eq_u16_sdwa s[12:13], v3, s4 src0_sel:BYTE_0 src1_sel:DWORD
	s_mov_b64 s[4:5], -1
                                        ; implicit-def: $sgpr10
	s_and_saveexec_b64 s[8:9], s[12:13]
; %bb.2638:
	s_mov_b32 s10, 0x7f800001
	s_xor_b64 s[4:5], exec, -1
; %bb.2639:
	s_or_b64 exec, exec, s[8:9]
	s_and_b64 s[4:5], s[4:5], exec
	s_or_saveexec_b64 s[6:7], s[6:7]
	v_mov_b32_e32 v6, s10
	s_xor_b64 exec, exec, s[6:7]
	s_cbranch_execz .LBB2_590
.LBB2_2640:
	v_mov_b32_e32 v6, 0
	v_cmp_ne_u16_sdwa s[8:9], v3, v6 src0_sel:BYTE_0 src1_sel:DWORD
	s_andn2_b64 s[4:5], s[4:5], exec
	s_and_b64 s[8:9], s[8:9], exec
	s_or_b64 s[4:5], s[4:5], s[8:9]
	s_or_b64 exec, exec, s[6:7]
	s_and_saveexec_b64 s[6:7], s[4:5]
	s_cbranch_execnz .LBB2_591
	s_branch .LBB2_592
.LBB2_2641:
	s_movk_i32 s4, 0x80
	v_cmp_eq_u16_e32 vcc, s4, v3
	s_mov_b64 s[4:5], -1
                                        ; implicit-def: $sgpr10
	s_and_saveexec_b64 s[8:9], vcc
; %bb.2642:
	s_mov_b32 s10, 0x7f800001
	s_xor_b64 s[4:5], exec, -1
; %bb.2643:
	s_or_b64 exec, exec, s[8:9]
	s_and_b64 s[4:5], s[4:5], exec
                                        ; implicit-def: $vgpr3
	s_or_saveexec_b64 s[6:7], s[6:7]
	v_mov_b32_e32 v2, s10
	s_xor_b64 exec, exec, s[6:7]
	s_cbranch_execz .LBB2_594
.LBB2_2644:
	v_cmp_ne_u16_e32 vcc, 0, v3
	s_andn2_b64 s[4:5], s[4:5], exec
	s_and_b64 s[8:9], vcc, exec
	v_mov_b32_e32 v2, 0
	s_or_b64 s[4:5], s[4:5], s[8:9]
	s_or_b64 exec, exec, s[6:7]
	s_and_saveexec_b64 s[6:7], s[4:5]
	s_cbranch_execnz .LBB2_595
	s_branch .LBB2_596
.LBB2_2645:
	s_movk_i32 s4, 0x80
	v_cmp_eq_u16_e32 vcc, s4, v3
	s_mov_b64 s[4:5], -1
                                        ; implicit-def: $sgpr10
	s_and_saveexec_b64 s[8:9], vcc
; %bb.2646:
	s_mov_b32 s10, 0x7f800001
	s_xor_b64 s[4:5], exec, -1
; %bb.2647:
	s_or_b64 exec, exec, s[8:9]
	s_and_b64 s[4:5], s[4:5], exec
                                        ; implicit-def: $vgpr3
	s_or_saveexec_b64 s[6:7], s[6:7]
	v_mov_b32_e32 v6, s10
	s_xor_b64 exec, exec, s[6:7]
	s_cbranch_execz .LBB2_598
.LBB2_2648:
	v_cmp_ne_u16_e32 vcc, 0, v3
	s_andn2_b64 s[4:5], s[4:5], exec
	s_and_b64 s[8:9], vcc, exec
	v_mov_b32_e32 v6, 0
	s_or_b64 s[4:5], s[4:5], s[8:9]
	s_or_b64 exec, exec, s[6:7]
	s_and_saveexec_b64 s[6:7], s[4:5]
	s_cbranch_execnz .LBB2_599
	s_branch .LBB2_600
.LBB2_2649:
	s_movk_i32 s4, 0x80
	v_cmp_eq_u16_sdwa s[12:13], v8, s4 src0_sel:BYTE_3 src1_sel:DWORD
	s_mov_b64 s[4:5], -1
                                        ; implicit-def: $sgpr10
	s_and_saveexec_b64 s[8:9], s[12:13]
; %bb.2650:
	s_mov_b32 s10, 0x7f800001
	s_xor_b64 s[4:5], exec, -1
; %bb.2651:
	s_or_b64 exec, exec, s[8:9]
	s_and_b64 s[4:5], s[4:5], exec
	s_or_saveexec_b64 s[6:7], s[6:7]
	v_mov_b32_e32 v2, s10
	s_xor_b64 exec, exec, s[6:7]
	s_cbranch_execz .LBB2_602
.LBB2_2652:
	v_mov_b32_e32 v2, 0
	v_cmp_ne_u16_sdwa s[8:9], v8, v2 src0_sel:BYTE_3 src1_sel:DWORD
	s_andn2_b64 s[4:5], s[4:5], exec
	s_and_b64 s[8:9], s[8:9], exec
	s_or_b64 s[4:5], s[4:5], s[8:9]
	s_or_b64 exec, exec, s[6:7]
	s_and_saveexec_b64 s[6:7], s[4:5]
	s_cbranch_execnz .LBB2_603
	s_branch .LBB2_604
.LBB2_2653:
	s_movk_i32 s4, 0x80
	v_cmp_eq_u16_sdwa s[12:13], v4, s4 src0_sel:BYTE_3 src1_sel:DWORD
	s_mov_b64 s[4:5], -1
                                        ; implicit-def: $sgpr10
	s_and_saveexec_b64 s[8:9], s[12:13]
; %bb.2654:
	s_mov_b32 s10, 0x7f800001
	s_xor_b64 s[4:5], exec, -1
; %bb.2655:
	s_or_b64 exec, exec, s[8:9]
	s_and_b64 s[4:5], s[4:5], exec
	s_or_saveexec_b64 s[6:7], s[6:7]
	v_mov_b32_e32 v3, s10
	s_xor_b64 exec, exec, s[6:7]
	s_cbranch_execz .LBB2_606
.LBB2_2656:
	v_mov_b32_e32 v3, 0
	v_cmp_ne_u16_sdwa s[8:9], v4, v3 src0_sel:BYTE_3 src1_sel:DWORD
	s_andn2_b64 s[4:5], s[4:5], exec
	s_and_b64 s[8:9], s[8:9], exec
	s_or_b64 s[4:5], s[4:5], s[8:9]
	s_or_b64 exec, exec, s[6:7]
	s_and_saveexec_b64 s[6:7], s[4:5]
	s_cbranch_execnz .LBB2_607
	s_branch .LBB2_608
.LBB2_2657:
	s_movk_i32 s4, 0x80
	v_cmp_eq_u16_sdwa s[12:13], v9, s4 src0_sel:BYTE_0 src1_sel:DWORD
	s_mov_b64 s[4:5], -1
                                        ; implicit-def: $sgpr10
	s_and_saveexec_b64 s[8:9], s[12:13]
; %bb.2658:
	s_mov_b32 s10, 0x7f800001
	s_xor_b64 s[4:5], exec, -1
; %bb.2659:
	s_or_b64 exec, exec, s[8:9]
	s_and_b64 s[4:5], s[4:5], exec
	s_or_saveexec_b64 s[6:7], s[6:7]
	v_mov_b32_e32 v2, s10
	s_xor_b64 exec, exec, s[6:7]
	s_cbranch_execz .LBB2_610
.LBB2_2660:
	v_mov_b32_e32 v2, 0
	v_cmp_ne_u16_sdwa s[8:9], v9, v2 src0_sel:BYTE_0 src1_sel:DWORD
	s_andn2_b64 s[4:5], s[4:5], exec
	s_and_b64 s[8:9], s[8:9], exec
	s_or_b64 s[4:5], s[4:5], s[8:9]
	s_or_b64 exec, exec, s[6:7]
	s_and_saveexec_b64 s[6:7], s[4:5]
	s_cbranch_execnz .LBB2_611
	s_branch .LBB2_612
.LBB2_2661:
	s_movk_i32 s4, 0x80
	v_cmp_eq_u16_sdwa s[12:13], v5, s4 src0_sel:BYTE_0 src1_sel:DWORD
	s_mov_b64 s[4:5], -1
                                        ; implicit-def: $sgpr10
	s_and_saveexec_b64 s[8:9], s[12:13]
; %bb.2662:
	s_mov_b32 s10, 0x7f800001
	s_xor_b64 s[4:5], exec, -1
; %bb.2663:
	s_or_b64 exec, exec, s[8:9]
	s_and_b64 s[4:5], s[4:5], exec
	s_or_saveexec_b64 s[6:7], s[6:7]
	v_mov_b32_e32 v3, s10
	s_xor_b64 exec, exec, s[6:7]
	s_cbranch_execz .LBB2_614
.LBB2_2664:
	v_mov_b32_e32 v3, 0
	v_cmp_ne_u16_sdwa s[8:9], v5, v3 src0_sel:BYTE_0 src1_sel:DWORD
	s_andn2_b64 s[4:5], s[4:5], exec
	s_and_b64 s[8:9], s[8:9], exec
	s_or_b64 s[4:5], s[4:5], s[8:9]
	s_or_b64 exec, exec, s[6:7]
	s_and_saveexec_b64 s[6:7], s[4:5]
	s_cbranch_execnz .LBB2_615
	s_branch .LBB2_616
.LBB2_2665:
	s_movk_i32 s4, 0x80
	v_cmp_eq_u16_sdwa s[12:13], v3, s4 src0_sel:BYTE_0 src1_sel:DWORD
	s_mov_b64 s[4:5], -1
                                        ; implicit-def: $sgpr10
	s_and_saveexec_b64 s[8:9], s[12:13]
; %bb.2666:
	s_mov_b32 s10, 0x7f800001
	s_xor_b64 s[4:5], exec, -1
; %bb.2667:
	s_or_b64 exec, exec, s[8:9]
	s_and_b64 s[4:5], s[4:5], exec
	s_or_saveexec_b64 s[6:7], s[6:7]
	v_mov_b32_e32 v2, s10
	s_xor_b64 exec, exec, s[6:7]
	s_cbranch_execz .LBB2_618
.LBB2_2668:
	v_mov_b32_e32 v2, 0
	v_cmp_ne_u16_sdwa s[8:9], v3, v2 src0_sel:BYTE_0 src1_sel:DWORD
	s_andn2_b64 s[4:5], s[4:5], exec
	s_and_b64 s[8:9], s[8:9], exec
	s_or_b64 s[4:5], s[4:5], s[8:9]
	s_or_b64 exec, exec, s[6:7]
	s_and_saveexec_b64 s[6:7], s[4:5]
	s_cbranch_execnz .LBB2_619
	s_branch .LBB2_620
.LBB2_2669:
	s_movk_i32 s4, 0x80
	v_cmp_eq_u16_sdwa s[12:13], v3, s4 src0_sel:BYTE_0 src1_sel:DWORD
	s_mov_b64 s[4:5], -1
                                        ; implicit-def: $sgpr10
	s_and_saveexec_b64 s[8:9], s[12:13]
; %bb.2670:
	s_mov_b32 s10, 0x7f800001
	s_xor_b64 s[4:5], exec, -1
; %bb.2671:
	s_or_b64 exec, exec, s[8:9]
	s_and_b64 s[4:5], s[4:5], exec
	s_or_saveexec_b64 s[6:7], s[6:7]
	v_mov_b32_e32 v4, s10
	s_xor_b64 exec, exec, s[6:7]
	s_cbranch_execz .LBB2_622
.LBB2_2672:
	v_mov_b32_e32 v4, 0
	v_cmp_ne_u16_sdwa s[8:9], v3, v4 src0_sel:BYTE_0 src1_sel:DWORD
	s_andn2_b64 s[4:5], s[4:5], exec
	s_and_b64 s[8:9], s[8:9], exec
	s_or_b64 s[4:5], s[4:5], s[8:9]
	s_or_b64 exec, exec, s[6:7]
	s_and_saveexec_b64 s[6:7], s[4:5]
	s_cbranch_execnz .LBB2_623
	s_branch .LBB2_624
.LBB2_2673:
	s_movk_i32 s4, 0x80
	v_cmp_eq_u16_e32 vcc, s4, v3
	s_mov_b64 s[4:5], -1
                                        ; implicit-def: $sgpr10
	s_and_saveexec_b64 s[8:9], vcc
; %bb.2674:
	s_mov_b32 s10, 0x7f800001
	s_xor_b64 s[4:5], exec, -1
; %bb.2675:
	s_or_b64 exec, exec, s[8:9]
	s_and_b64 s[4:5], s[4:5], exec
                                        ; implicit-def: $vgpr3
	s_or_saveexec_b64 s[6:7], s[6:7]
	v_mov_b32_e32 v2, s10
	s_xor_b64 exec, exec, s[6:7]
	s_cbranch_execz .LBB2_626
.LBB2_2676:
	v_cmp_ne_u16_e32 vcc, 0, v3
	s_andn2_b64 s[4:5], s[4:5], exec
	s_and_b64 s[8:9], vcc, exec
	v_mov_b32_e32 v2, 0
	s_or_b64 s[4:5], s[4:5], s[8:9]
	s_or_b64 exec, exec, s[6:7]
	s_and_saveexec_b64 s[6:7], s[4:5]
	s_cbranch_execnz .LBB2_627
	s_branch .LBB2_628
.LBB2_2677:
	s_movk_i32 s4, 0x80
	v_cmp_eq_u16_e32 vcc, s4, v3
	s_mov_b64 s[4:5], -1
                                        ; implicit-def: $sgpr10
	s_and_saveexec_b64 s[8:9], vcc
; %bb.2678:
	s_mov_b32 s10, 0x7f800001
	s_xor_b64 s[4:5], exec, -1
; %bb.2679:
	s_or_b64 exec, exec, s[8:9]
	s_and_b64 s[4:5], s[4:5], exec
                                        ; implicit-def: $vgpr3
	s_or_saveexec_b64 s[6:7], s[6:7]
	v_mov_b32_e32 v4, s10
	s_xor_b64 exec, exec, s[6:7]
	s_cbranch_execz .LBB2_630
.LBB2_2680:
	v_cmp_ne_u16_e32 vcc, 0, v3
	s_andn2_b64 s[4:5], s[4:5], exec
	s_and_b64 s[8:9], vcc, exec
	v_mov_b32_e32 v4, 0
	s_or_b64 s[4:5], s[4:5], s[8:9]
	s_or_b64 exec, exec, s[6:7]
	s_and_saveexec_b64 s[6:7], s[4:5]
	s_cbranch_execnz .LBB2_631
	s_branch .LBB2_632
.LBB2_2681:
	s_movk_i32 s4, 0x80
	v_cmp_eq_u16_sdwa s[12:13], v9, s4 src0_sel:BYTE_3 src1_sel:DWORD
	s_mov_b64 s[4:5], -1
                                        ; implicit-def: $sgpr10
	s_and_saveexec_b64 s[8:9], s[12:13]
; %bb.2682:
	s_mov_b32 s10, 0x7f800001
	s_xor_b64 s[4:5], exec, -1
; %bb.2683:
	s_or_b64 exec, exec, s[8:9]
	s_and_b64 s[4:5], s[4:5], exec
	s_or_saveexec_b64 s[6:7], s[6:7]
	v_mov_b32_e32 v2, s10
	s_xor_b64 exec, exec, s[6:7]
	s_cbranch_execz .LBB2_634
.LBB2_2684:
	v_mov_b32_e32 v2, 0
	v_cmp_ne_u16_sdwa s[8:9], v9, v2 src0_sel:BYTE_3 src1_sel:DWORD
	s_andn2_b64 s[4:5], s[4:5], exec
	s_and_b64 s[8:9], s[8:9], exec
	s_or_b64 s[4:5], s[4:5], s[8:9]
	s_or_b64 exec, exec, s[6:7]
	s_and_saveexec_b64 s[6:7], s[4:5]
	s_cbranch_execnz .LBB2_635
	s_branch .LBB2_636
.LBB2_2685:
	s_movk_i32 s4, 0x80
	v_cmp_eq_u16_sdwa s[12:13], v5, s4 src0_sel:BYTE_3 src1_sel:DWORD
	s_mov_b64 s[4:5], -1
                                        ; implicit-def: $sgpr10
	s_and_saveexec_b64 s[8:9], s[12:13]
; %bb.2686:
	s_mov_b32 s10, 0x7f800001
	s_xor_b64 s[4:5], exec, -1
; %bb.2687:
	s_or_b64 exec, exec, s[8:9]
	s_and_b64 s[4:5], s[4:5], exec
	s_or_saveexec_b64 s[6:7], s[6:7]
	v_mov_b32_e32 v3, s10
	s_xor_b64 exec, exec, s[6:7]
	s_cbranch_execz .LBB2_638
.LBB2_2688:
	v_mov_b32_e32 v3, 0
	v_cmp_ne_u16_sdwa s[8:9], v5, v3 src0_sel:BYTE_3 src1_sel:DWORD
	s_andn2_b64 s[4:5], s[4:5], exec
	s_and_b64 s[8:9], s[8:9], exec
	s_or_b64 s[4:5], s[4:5], s[8:9]
	s_or_b64 exec, exec, s[6:7]
	s_and_saveexec_b64 s[6:7], s[4:5]
	s_cbranch_execnz .LBB2_639
	s_branch .LBB2_640
.LBB2_2689:
	s_movk_i32 s4, 0x80
	v_cmp_eq_u16_sdwa s[12:13], v6, s4 src0_sel:BYTE_0 src1_sel:DWORD
	s_mov_b64 s[4:5], -1
                                        ; implicit-def: $sgpr10
	s_and_saveexec_b64 s[8:9], s[12:13]
; %bb.2690:
	s_mov_b32 s10, 0x7f800001
	s_xor_b64 s[4:5], exec, -1
; %bb.2691:
	s_or_b64 exec, exec, s[8:9]
	s_and_b64 s[4:5], s[4:5], exec
	s_or_saveexec_b64 s[6:7], s[6:7]
	v_mov_b32_e32 v12, s10
	s_xor_b64 exec, exec, s[6:7]
	s_cbranch_execz .LBB2_642
.LBB2_2692:
	v_mov_b32_e32 v12, 0
	v_cmp_ne_u16_sdwa s[8:9], v6, v12 src0_sel:BYTE_0 src1_sel:DWORD
	s_andn2_b64 s[4:5], s[4:5], exec
	s_and_b64 s[8:9], s[8:9], exec
	s_or_b64 s[4:5], s[4:5], s[8:9]
	s_or_b64 exec, exec, s[6:7]
	s_and_saveexec_b64 s[6:7], s[4:5]
	s_cbranch_execnz .LBB2_643
	s_branch .LBB2_644
.LBB2_2693:
	s_movk_i32 s4, 0x80
	v_cmp_eq_u16_sdwa s[12:13], v2, s4 src0_sel:BYTE_0 src1_sel:DWORD
	s_mov_b64 s[4:5], -1
                                        ; implicit-def: $sgpr10
	s_and_saveexec_b64 s[8:9], s[12:13]
; %bb.2694:
	s_mov_b32 s10, 0x7f800001
	s_xor_b64 s[4:5], exec, -1
; %bb.2695:
	s_or_b64 exec, exec, s[8:9]
	s_and_b64 s[4:5], s[4:5], exec
	s_or_saveexec_b64 s[6:7], s[6:7]
	v_mov_b32_e32 v13, s10
	s_xor_b64 exec, exec, s[6:7]
	s_cbranch_execz .LBB2_646
.LBB2_2696:
	v_mov_b32_e32 v13, 0
	v_cmp_ne_u16_sdwa s[8:9], v2, v13 src0_sel:BYTE_0 src1_sel:DWORD
	s_andn2_b64 s[4:5], s[4:5], exec
	s_and_b64 s[8:9], s[8:9], exec
	s_or_b64 s[4:5], s[4:5], s[8:9]
	s_or_b64 exec, exec, s[6:7]
	s_and_saveexec_b64 s[6:7], s[4:5]
	s_cbranch_execnz .LBB2_647
	s_branch .LBB2_648
.LBB2_2697:
	s_movk_i32 s4, 0x80
	v_cmp_eq_u16_sdwa s[12:13], v13, s4 src0_sel:BYTE_0 src1_sel:DWORD
	s_mov_b64 s[4:5], -1
                                        ; implicit-def: $sgpr10
	s_and_saveexec_b64 s[8:9], s[12:13]
; %bb.2698:
	s_mov_b32 s10, 0x7f800001
	s_xor_b64 s[4:5], exec, -1
; %bb.2699:
	s_or_b64 exec, exec, s[8:9]
	s_and_b64 s[4:5], s[4:5], exec
	s_or_saveexec_b64 s[6:7], s[6:7]
	v_mov_b32_e32 v12, s10
	s_xor_b64 exec, exec, s[6:7]
	s_cbranch_execz .LBB2_650
.LBB2_2700:
	v_mov_b32_e32 v12, 0
	v_cmp_ne_u16_sdwa s[8:9], v13, v12 src0_sel:BYTE_0 src1_sel:DWORD
	s_andn2_b64 s[4:5], s[4:5], exec
	s_and_b64 s[8:9], s[8:9], exec
	s_or_b64 s[4:5], s[4:5], s[8:9]
	s_or_b64 exec, exec, s[6:7]
	s_and_saveexec_b64 s[6:7], s[4:5]
	s_cbranch_execnz .LBB2_651
	s_branch .LBB2_652
.LBB2_2701:
	s_movk_i32 s4, 0x80
	v_cmp_eq_u16_sdwa s[12:13], v13, s4 src0_sel:BYTE_0 src1_sel:DWORD
	s_mov_b64 s[4:5], -1
                                        ; implicit-def: $sgpr10
	s_and_saveexec_b64 s[8:9], s[12:13]
; %bb.2702:
	s_mov_b32 s10, 0x7f800001
	s_xor_b64 s[4:5], exec, -1
; %bb.2703:
	s_or_b64 exec, exec, s[8:9]
	s_and_b64 s[4:5], s[4:5], exec
	s_or_saveexec_b64 s[6:7], s[6:7]
	v_mov_b32_e32 v14, s10
	s_xor_b64 exec, exec, s[6:7]
	s_cbranch_execz .LBB2_654
.LBB2_2704:
	v_mov_b32_e32 v14, 0
	v_cmp_ne_u16_sdwa s[8:9], v13, v14 src0_sel:BYTE_0 src1_sel:DWORD
	s_andn2_b64 s[4:5], s[4:5], exec
	s_and_b64 s[8:9], s[8:9], exec
	s_or_b64 s[4:5], s[4:5], s[8:9]
	s_or_b64 exec, exec, s[6:7]
	s_and_saveexec_b64 s[6:7], s[4:5]
	s_cbranch_execnz .LBB2_655
	s_branch .LBB2_656
.LBB2_2705:
	s_movk_i32 s4, 0x80
	v_cmp_eq_u16_e32 vcc, s4, v13
	s_mov_b64 s[4:5], -1
                                        ; implicit-def: $sgpr10
	s_and_saveexec_b64 s[8:9], vcc
; %bb.2706:
	s_mov_b32 s10, 0x7f800001
	s_xor_b64 s[4:5], exec, -1
; %bb.2707:
	s_or_b64 exec, exec, s[8:9]
	s_and_b64 s[4:5], s[4:5], exec
                                        ; implicit-def: $vgpr13
	s_or_saveexec_b64 s[6:7], s[6:7]
	v_mov_b32_e32 v12, s10
	s_xor_b64 exec, exec, s[6:7]
	s_cbranch_execz .LBB2_658
.LBB2_2708:
	v_cmp_ne_u16_e32 vcc, 0, v13
	s_andn2_b64 s[4:5], s[4:5], exec
	s_and_b64 s[8:9], vcc, exec
	v_mov_b32_e32 v12, 0
	s_or_b64 s[4:5], s[4:5], s[8:9]
	s_or_b64 exec, exec, s[6:7]
	s_and_saveexec_b64 s[6:7], s[4:5]
	s_cbranch_execnz .LBB2_659
	s_branch .LBB2_660
.LBB2_2709:
	s_movk_i32 s4, 0x80
	v_cmp_eq_u16_e32 vcc, s4, v13
	s_mov_b64 s[4:5], -1
                                        ; implicit-def: $sgpr10
	s_and_saveexec_b64 s[8:9], vcc
; %bb.2710:
	s_mov_b32 s10, 0x7f800001
	s_xor_b64 s[4:5], exec, -1
; %bb.2711:
	s_or_b64 exec, exec, s[8:9]
	s_and_b64 s[4:5], s[4:5], exec
                                        ; implicit-def: $vgpr13
	s_or_saveexec_b64 s[6:7], s[6:7]
	v_mov_b32_e32 v14, s10
	s_xor_b64 exec, exec, s[6:7]
	s_cbranch_execz .LBB2_662
.LBB2_2712:
	v_cmp_ne_u16_e32 vcc, 0, v13
	s_andn2_b64 s[4:5], s[4:5], exec
	s_and_b64 s[8:9], vcc, exec
	v_mov_b32_e32 v14, 0
	s_or_b64 s[4:5], s[4:5], s[8:9]
	s_or_b64 exec, exec, s[6:7]
	s_and_saveexec_b64 s[6:7], s[4:5]
	s_cbranch_execnz .LBB2_663
	s_branch .LBB2_664
.LBB2_2713:
	s_movk_i32 s4, 0x80
	v_cmp_eq_u16_sdwa s[12:13], v6, s4 src0_sel:BYTE_3 src1_sel:DWORD
	s_mov_b64 s[4:5], -1
                                        ; implicit-def: $sgpr10
	s_and_saveexec_b64 s[8:9], s[12:13]
; %bb.2714:
	s_mov_b32 s10, 0x7f800001
	s_xor_b64 s[4:5], exec, -1
; %bb.2715:
	s_or_b64 exec, exec, s[8:9]
	s_and_b64 s[4:5], s[4:5], exec
	s_or_saveexec_b64 s[6:7], s[6:7]
	v_mov_b32_e32 v12, s10
	s_xor_b64 exec, exec, s[6:7]
	s_cbranch_execz .LBB2_666
.LBB2_2716:
	v_mov_b32_e32 v12, 0
	v_cmp_ne_u16_sdwa s[8:9], v6, v12 src0_sel:BYTE_3 src1_sel:DWORD
	s_andn2_b64 s[4:5], s[4:5], exec
	s_and_b64 s[8:9], s[8:9], exec
	s_or_b64 s[4:5], s[4:5], s[8:9]
	s_or_b64 exec, exec, s[6:7]
	s_and_saveexec_b64 s[6:7], s[4:5]
	s_cbranch_execnz .LBB2_667
	s_branch .LBB2_668
.LBB2_2717:
	s_movk_i32 s4, 0x80
	v_cmp_eq_u16_sdwa s[12:13], v2, s4 src0_sel:BYTE_3 src1_sel:DWORD
	s_mov_b64 s[4:5], -1
                                        ; implicit-def: $sgpr10
	s_and_saveexec_b64 s[8:9], s[12:13]
; %bb.2718:
	s_mov_b32 s10, 0x7f800001
	s_xor_b64 s[4:5], exec, -1
; %bb.2719:
	s_or_b64 exec, exec, s[8:9]
	s_and_b64 s[4:5], s[4:5], exec
	s_or_saveexec_b64 s[6:7], s[6:7]
	v_mov_b32_e32 v6, s10
	s_xor_b64 exec, exec, s[6:7]
	s_cbranch_execz .LBB2_670
.LBB2_2720:
	v_mov_b32_e32 v6, 0
	v_cmp_ne_u16_sdwa s[8:9], v2, v6 src0_sel:BYTE_3 src1_sel:DWORD
	s_andn2_b64 s[4:5], s[4:5], exec
	s_and_b64 s[8:9], s[8:9], exec
	s_or_b64 s[4:5], s[4:5], s[8:9]
	s_or_b64 exec, exec, s[6:7]
	s_and_saveexec_b64 s[6:7], s[4:5]
	s_cbranch_execnz .LBB2_671
	s_branch .LBB2_672
.LBB2_2721:
	s_movk_i32 s4, 0x80
	v_cmp_eq_u16_sdwa s[12:13], v7, s4 src0_sel:BYTE_0 src1_sel:DWORD
	s_mov_b64 s[4:5], -1
                                        ; implicit-def: $sgpr10
	s_and_saveexec_b64 s[8:9], s[12:13]
; %bb.2722:
	s_mov_b32 s10, 0x7f800001
	s_xor_b64 s[4:5], exec, -1
; %bb.2723:
	s_or_b64 exec, exec, s[8:9]
	s_and_b64 s[4:5], s[4:5], exec
	s_or_saveexec_b64 s[6:7], s[6:7]
	v_mov_b32_e32 v2, s10
	s_xor_b64 exec, exec, s[6:7]
	s_cbranch_execz .LBB2_674
.LBB2_2724:
	v_mov_b32_e32 v2, 0
	v_cmp_ne_u16_sdwa s[8:9], v7, v2 src0_sel:BYTE_0 src1_sel:DWORD
	s_andn2_b64 s[4:5], s[4:5], exec
	s_and_b64 s[8:9], s[8:9], exec
	s_or_b64 s[4:5], s[4:5], s[8:9]
	s_or_b64 exec, exec, s[6:7]
	s_and_saveexec_b64 s[6:7], s[4:5]
	s_cbranch_execnz .LBB2_675
	s_branch .LBB2_676
.LBB2_2725:
	s_movk_i32 s4, 0x80
	v_cmp_eq_u16_sdwa s[12:13], v3, s4 src0_sel:BYTE_0 src1_sel:DWORD
	s_mov_b64 s[4:5], -1
                                        ; implicit-def: $sgpr10
	s_and_saveexec_b64 s[8:9], s[12:13]
; %bb.2726:
	s_mov_b32 s10, 0x7f800001
	s_xor_b64 s[4:5], exec, -1
; %bb.2727:
	s_or_b64 exec, exec, s[8:9]
	s_and_b64 s[4:5], s[4:5], exec
	s_or_saveexec_b64 s[6:7], s[6:7]
	v_mov_b32_e32 v6, s10
	s_xor_b64 exec, exec, s[6:7]
	s_cbranch_execz .LBB2_678
.LBB2_2728:
	v_mov_b32_e32 v6, 0
	v_cmp_ne_u16_sdwa s[8:9], v3, v6 src0_sel:BYTE_0 src1_sel:DWORD
	s_andn2_b64 s[4:5], s[4:5], exec
	s_and_b64 s[8:9], s[8:9], exec
	s_or_b64 s[4:5], s[4:5], s[8:9]
	s_or_b64 exec, exec, s[6:7]
	s_and_saveexec_b64 s[6:7], s[4:5]
	s_cbranch_execnz .LBB2_679
	s_branch .LBB2_680
.LBB2_2729:
	s_movk_i32 s4, 0x80
	v_cmp_eq_u16_sdwa s[12:13], v6, s4 src0_sel:BYTE_0 src1_sel:DWORD
	s_mov_b64 s[4:5], -1
                                        ; implicit-def: $sgpr10
	s_and_saveexec_b64 s[8:9], s[12:13]
; %bb.2730:
	s_mov_b32 s10, 0x7f800001
	s_xor_b64 s[4:5], exec, -1
; %bb.2731:
	s_or_b64 exec, exec, s[8:9]
	s_and_b64 s[4:5], s[4:5], exec
	s_or_saveexec_b64 s[6:7], s[6:7]
	v_mov_b32_e32 v2, s10
	s_xor_b64 exec, exec, s[6:7]
	s_cbranch_execz .LBB2_682
.LBB2_2732:
	v_mov_b32_e32 v2, 0
	v_cmp_ne_u16_sdwa s[8:9], v6, v2 src0_sel:BYTE_0 src1_sel:DWORD
	s_andn2_b64 s[4:5], s[4:5], exec
	s_and_b64 s[8:9], s[8:9], exec
	s_or_b64 s[4:5], s[4:5], s[8:9]
	s_or_b64 exec, exec, s[6:7]
	s_and_saveexec_b64 s[6:7], s[4:5]
	s_cbranch_execnz .LBB2_683
	s_branch .LBB2_684
.LBB2_2733:
	s_movk_i32 s4, 0x80
	v_cmp_eq_u16_sdwa s[12:13], v6, s4 src0_sel:BYTE_0 src1_sel:DWORD
	s_mov_b64 s[4:5], -1
                                        ; implicit-def: $sgpr10
	s_and_saveexec_b64 s[8:9], s[12:13]
; %bb.2734:
	s_mov_b32 s10, 0x7f800001
	s_xor_b64 s[4:5], exec, -1
; %bb.2735:
	s_or_b64 exec, exec, s[8:9]
	s_and_b64 s[4:5], s[4:5], exec
	s_or_saveexec_b64 s[6:7], s[6:7]
	v_mov_b32_e32 v12, s10
	s_xor_b64 exec, exec, s[6:7]
	s_cbranch_execz .LBB2_686
.LBB2_2736:
	v_mov_b32_e32 v12, 0
	v_cmp_ne_u16_sdwa s[8:9], v6, v12 src0_sel:BYTE_0 src1_sel:DWORD
	s_andn2_b64 s[4:5], s[4:5], exec
	s_and_b64 s[8:9], s[8:9], exec
	s_or_b64 s[4:5], s[4:5], s[8:9]
	s_or_b64 exec, exec, s[6:7]
	s_and_saveexec_b64 s[6:7], s[4:5]
	s_cbranch_execnz .LBB2_687
	s_branch .LBB2_688
.LBB2_2737:
	s_movk_i32 s4, 0x80
	v_cmp_eq_u16_e32 vcc, s4, v6
	s_mov_b64 s[4:5], -1
                                        ; implicit-def: $sgpr10
	s_and_saveexec_b64 s[8:9], vcc
; %bb.2738:
	s_mov_b32 s10, 0x7f800001
	s_xor_b64 s[4:5], exec, -1
; %bb.2739:
	s_or_b64 exec, exec, s[8:9]
	s_and_b64 s[4:5], s[4:5], exec
                                        ; implicit-def: $vgpr6
	s_or_saveexec_b64 s[6:7], s[6:7]
	v_mov_b32_e32 v2, s10
	s_xor_b64 exec, exec, s[6:7]
	s_cbranch_execz .LBB2_690
.LBB2_2740:
	v_cmp_ne_u16_e32 vcc, 0, v6
	s_andn2_b64 s[4:5], s[4:5], exec
	s_and_b64 s[8:9], vcc, exec
	v_mov_b32_e32 v2, 0
	s_or_b64 s[4:5], s[4:5], s[8:9]
	s_or_b64 exec, exec, s[6:7]
	s_and_saveexec_b64 s[6:7], s[4:5]
	s_cbranch_execnz .LBB2_691
	s_branch .LBB2_692
.LBB2_2741:
	s_movk_i32 s4, 0x80
	v_cmp_eq_u16_e32 vcc, s4, v6
	s_mov_b64 s[4:5], -1
                                        ; implicit-def: $sgpr10
	s_and_saveexec_b64 s[8:9], vcc
; %bb.2742:
	s_mov_b32 s10, 0x7f800001
	s_xor_b64 s[4:5], exec, -1
; %bb.2743:
	s_or_b64 exec, exec, s[8:9]
	s_and_b64 s[4:5], s[4:5], exec
                                        ; implicit-def: $vgpr6
	s_or_saveexec_b64 s[6:7], s[6:7]
	v_mov_b32_e32 v12, s10
	s_xor_b64 exec, exec, s[6:7]
	s_cbranch_execz .LBB2_694
.LBB2_2744:
	v_cmp_ne_u16_e32 vcc, 0, v6
	s_andn2_b64 s[4:5], s[4:5], exec
	s_and_b64 s[8:9], vcc, exec
	v_mov_b32_e32 v12, 0
	s_or_b64 s[4:5], s[4:5], s[8:9]
	s_or_b64 exec, exec, s[6:7]
	s_and_saveexec_b64 s[6:7], s[4:5]
	s_cbranch_execnz .LBB2_695
	s_branch .LBB2_696
.LBB2_2745:
	s_movk_i32 s4, 0x80
	v_cmp_eq_u16_sdwa s[12:13], v7, s4 src0_sel:BYTE_3 src1_sel:DWORD
	s_mov_b64 s[4:5], -1
                                        ; implicit-def: $sgpr10
	s_and_saveexec_b64 s[8:9], s[12:13]
; %bb.2746:
	s_mov_b32 s10, 0x7f800001
	s_xor_b64 s[4:5], exec, -1
; %bb.2747:
	s_or_b64 exec, exec, s[8:9]
	s_and_b64 s[4:5], s[4:5], exec
	s_or_saveexec_b64 s[6:7], s[6:7]
	v_mov_b32_e32 v2, s10
	s_xor_b64 exec, exec, s[6:7]
	s_cbranch_execz .LBB2_698
.LBB2_2748:
	v_mov_b32_e32 v2, 0
	v_cmp_ne_u16_sdwa s[8:9], v7, v2 src0_sel:BYTE_3 src1_sel:DWORD
	s_andn2_b64 s[4:5], s[4:5], exec
	s_and_b64 s[8:9], s[8:9], exec
	s_or_b64 s[4:5], s[4:5], s[8:9]
	s_or_b64 exec, exec, s[6:7]
	s_and_saveexec_b64 s[6:7], s[4:5]
	s_cbranch_execnz .LBB2_699
	s_branch .LBB2_700
.LBB2_2749:
	s_movk_i32 s4, 0x80
	v_cmp_eq_u16_sdwa s[12:13], v3, s4 src0_sel:BYTE_3 src1_sel:DWORD
	s_mov_b64 s[4:5], -1
                                        ; implicit-def: $sgpr10
	s_and_saveexec_b64 s[8:9], s[12:13]
; %bb.2750:
	s_mov_b32 s10, 0x7f800001
	s_xor_b64 s[4:5], exec, -1
; %bb.2751:
	s_or_b64 exec, exec, s[8:9]
	s_and_b64 s[4:5], s[4:5], exec
	s_or_saveexec_b64 s[6:7], s[6:7]
	v_mov_b32_e32 v6, s10
	s_xor_b64 exec, exec, s[6:7]
	s_cbranch_execz .LBB2_702
.LBB2_2752:
	v_mov_b32_e32 v6, 0
	v_cmp_ne_u16_sdwa s[8:9], v3, v6 src0_sel:BYTE_3 src1_sel:DWORD
	s_andn2_b64 s[4:5], s[4:5], exec
	s_and_b64 s[8:9], s[8:9], exec
	s_or_b64 s[4:5], s[4:5], s[8:9]
	s_or_b64 exec, exec, s[6:7]
	s_and_saveexec_b64 s[6:7], s[4:5]
	s_cbranch_execnz .LBB2_703
	s_branch .LBB2_704
.LBB2_2753:
	s_movk_i32 s4, 0x80
	v_cmp_eq_u16_sdwa s[12:13], v8, s4 src0_sel:BYTE_0 src1_sel:DWORD
	s_mov_b64 s[4:5], -1
                                        ; implicit-def: $sgpr10
	s_and_saveexec_b64 s[8:9], s[12:13]
; %bb.2754:
	s_mov_b32 s10, 0x7f800001
	s_xor_b64 s[4:5], exec, -1
; %bb.2755:
	s_or_b64 exec, exec, s[8:9]
	s_and_b64 s[4:5], s[4:5], exec
	s_or_saveexec_b64 s[6:7], s[6:7]
	v_mov_b32_e32 v2, s10
	s_xor_b64 exec, exec, s[6:7]
	s_cbranch_execz .LBB2_706
.LBB2_2756:
	v_mov_b32_e32 v2, 0
	v_cmp_ne_u16_sdwa s[8:9], v8, v2 src0_sel:BYTE_0 src1_sel:DWORD
	s_andn2_b64 s[4:5], s[4:5], exec
	s_and_b64 s[8:9], s[8:9], exec
	s_or_b64 s[4:5], s[4:5], s[8:9]
	s_or_b64 exec, exec, s[6:7]
	s_and_saveexec_b64 s[6:7], s[4:5]
	s_cbranch_execnz .LBB2_707
	s_branch .LBB2_708
.LBB2_2757:
	s_movk_i32 s4, 0x80
	v_cmp_eq_u16_sdwa s[12:13], v4, s4 src0_sel:BYTE_0 src1_sel:DWORD
	s_mov_b64 s[4:5], -1
                                        ; implicit-def: $sgpr10
	s_and_saveexec_b64 s[8:9], s[12:13]
; %bb.2758:
	s_mov_b32 s10, 0x7f800001
	s_xor_b64 s[4:5], exec, -1
; %bb.2759:
	s_or_b64 exec, exec, s[8:9]
	s_and_b64 s[4:5], s[4:5], exec
	s_or_saveexec_b64 s[6:7], s[6:7]
	v_mov_b32_e32 v3, s10
	s_xor_b64 exec, exec, s[6:7]
	s_cbranch_execz .LBB2_710
.LBB2_2760:
	v_mov_b32_e32 v3, 0
	v_cmp_ne_u16_sdwa s[8:9], v4, v3 src0_sel:BYTE_0 src1_sel:DWORD
	s_andn2_b64 s[4:5], s[4:5], exec
	s_and_b64 s[8:9], s[8:9], exec
	s_or_b64 s[4:5], s[4:5], s[8:9]
	s_or_b64 exec, exec, s[6:7]
	s_and_saveexec_b64 s[6:7], s[4:5]
	s_cbranch_execnz .LBB2_711
	s_branch .LBB2_712
.LBB2_2761:
	s_movk_i32 s4, 0x80
	v_cmp_eq_u16_sdwa s[12:13], v3, s4 src0_sel:BYTE_0 src1_sel:DWORD
	s_mov_b64 s[4:5], -1
                                        ; implicit-def: $sgpr10
	s_and_saveexec_b64 s[8:9], s[12:13]
; %bb.2762:
	s_mov_b32 s10, 0x7f800001
	s_xor_b64 s[4:5], exec, -1
; %bb.2763:
	s_or_b64 exec, exec, s[8:9]
	s_and_b64 s[4:5], s[4:5], exec
	s_or_saveexec_b64 s[6:7], s[6:7]
	v_mov_b32_e32 v2, s10
	s_xor_b64 exec, exec, s[6:7]
	s_cbranch_execz .LBB2_714
.LBB2_2764:
	v_mov_b32_e32 v2, 0
	v_cmp_ne_u16_sdwa s[8:9], v3, v2 src0_sel:BYTE_0 src1_sel:DWORD
	s_andn2_b64 s[4:5], s[4:5], exec
	s_and_b64 s[8:9], s[8:9], exec
	s_or_b64 s[4:5], s[4:5], s[8:9]
	s_or_b64 exec, exec, s[6:7]
	s_and_saveexec_b64 s[6:7], s[4:5]
	s_cbranch_execnz .LBB2_715
	s_branch .LBB2_716
.LBB2_2765:
	s_movk_i32 s4, 0x80
	v_cmp_eq_u16_sdwa s[12:13], v3, s4 src0_sel:BYTE_0 src1_sel:DWORD
	s_mov_b64 s[4:5], -1
                                        ; implicit-def: $sgpr10
	s_and_saveexec_b64 s[8:9], s[12:13]
; %bb.2766:
	s_mov_b32 s10, 0x7f800001
	s_xor_b64 s[4:5], exec, -1
; %bb.2767:
	s_or_b64 exec, exec, s[8:9]
	s_and_b64 s[4:5], s[4:5], exec
	s_or_saveexec_b64 s[6:7], s[6:7]
	v_mov_b32_e32 v6, s10
	s_xor_b64 exec, exec, s[6:7]
	s_cbranch_execz .LBB2_718
.LBB2_2768:
	v_mov_b32_e32 v6, 0
	v_cmp_ne_u16_sdwa s[8:9], v3, v6 src0_sel:BYTE_0 src1_sel:DWORD
	s_andn2_b64 s[4:5], s[4:5], exec
	s_and_b64 s[8:9], s[8:9], exec
	s_or_b64 s[4:5], s[4:5], s[8:9]
	s_or_b64 exec, exec, s[6:7]
	s_and_saveexec_b64 s[6:7], s[4:5]
	s_cbranch_execnz .LBB2_719
	s_branch .LBB2_720
.LBB2_2769:
	s_movk_i32 s4, 0x80
	v_cmp_eq_u16_e32 vcc, s4, v3
	s_mov_b64 s[4:5], -1
                                        ; implicit-def: $sgpr10
	s_and_saveexec_b64 s[8:9], vcc
; %bb.2770:
	s_mov_b32 s10, 0x7f800001
	s_xor_b64 s[4:5], exec, -1
; %bb.2771:
	s_or_b64 exec, exec, s[8:9]
	s_and_b64 s[4:5], s[4:5], exec
                                        ; implicit-def: $vgpr3
	s_or_saveexec_b64 s[6:7], s[6:7]
	v_mov_b32_e32 v2, s10
	s_xor_b64 exec, exec, s[6:7]
	s_cbranch_execz .LBB2_722
.LBB2_2772:
	v_cmp_ne_u16_e32 vcc, 0, v3
	s_andn2_b64 s[4:5], s[4:5], exec
	s_and_b64 s[8:9], vcc, exec
	v_mov_b32_e32 v2, 0
	s_or_b64 s[4:5], s[4:5], s[8:9]
	s_or_b64 exec, exec, s[6:7]
	s_and_saveexec_b64 s[6:7], s[4:5]
	s_cbranch_execnz .LBB2_723
	s_branch .LBB2_724
.LBB2_2773:
	s_movk_i32 s4, 0x80
	v_cmp_eq_u16_e32 vcc, s4, v3
	s_mov_b64 s[4:5], -1
                                        ; implicit-def: $sgpr10
	s_and_saveexec_b64 s[8:9], vcc
; %bb.2774:
	s_mov_b32 s10, 0x7f800001
	s_xor_b64 s[4:5], exec, -1
; %bb.2775:
	s_or_b64 exec, exec, s[8:9]
	s_and_b64 s[4:5], s[4:5], exec
                                        ; implicit-def: $vgpr3
	s_or_saveexec_b64 s[6:7], s[6:7]
	v_mov_b32_e32 v6, s10
	s_xor_b64 exec, exec, s[6:7]
	s_cbranch_execz .LBB2_726
.LBB2_2776:
	v_cmp_ne_u16_e32 vcc, 0, v3
	s_andn2_b64 s[4:5], s[4:5], exec
	s_and_b64 s[8:9], vcc, exec
	v_mov_b32_e32 v6, 0
	s_or_b64 s[4:5], s[4:5], s[8:9]
	s_or_b64 exec, exec, s[6:7]
	s_and_saveexec_b64 s[6:7], s[4:5]
	s_cbranch_execnz .LBB2_727
	s_branch .LBB2_728
.LBB2_2777:
	s_movk_i32 s4, 0x80
	v_cmp_eq_u16_sdwa s[12:13], v8, s4 src0_sel:BYTE_3 src1_sel:DWORD
	s_mov_b64 s[4:5], -1
                                        ; implicit-def: $sgpr10
	s_and_saveexec_b64 s[8:9], s[12:13]
; %bb.2778:
	s_mov_b32 s10, 0x7f800001
	s_xor_b64 s[4:5], exec, -1
; %bb.2779:
	s_or_b64 exec, exec, s[8:9]
	s_and_b64 s[4:5], s[4:5], exec
	s_or_saveexec_b64 s[6:7], s[6:7]
	v_mov_b32_e32 v2, s10
	s_xor_b64 exec, exec, s[6:7]
	s_cbranch_execz .LBB2_730
.LBB2_2780:
	v_mov_b32_e32 v2, 0
	v_cmp_ne_u16_sdwa s[8:9], v8, v2 src0_sel:BYTE_3 src1_sel:DWORD
	s_andn2_b64 s[4:5], s[4:5], exec
	s_and_b64 s[8:9], s[8:9], exec
	s_or_b64 s[4:5], s[4:5], s[8:9]
	s_or_b64 exec, exec, s[6:7]
	s_and_saveexec_b64 s[6:7], s[4:5]
	s_cbranch_execnz .LBB2_731
	s_branch .LBB2_732
.LBB2_2781:
	s_movk_i32 s4, 0x80
	v_cmp_eq_u16_sdwa s[12:13], v4, s4 src0_sel:BYTE_3 src1_sel:DWORD
	s_mov_b64 s[4:5], -1
                                        ; implicit-def: $sgpr10
	s_and_saveexec_b64 s[8:9], s[12:13]
; %bb.2782:
	s_mov_b32 s10, 0x7f800001
	s_xor_b64 s[4:5], exec, -1
; %bb.2783:
	s_or_b64 exec, exec, s[8:9]
	s_and_b64 s[4:5], s[4:5], exec
	s_or_saveexec_b64 s[6:7], s[6:7]
	v_mov_b32_e32 v3, s10
	s_xor_b64 exec, exec, s[6:7]
	s_cbranch_execz .LBB2_734
.LBB2_2784:
	v_mov_b32_e32 v3, 0
	v_cmp_ne_u16_sdwa s[8:9], v4, v3 src0_sel:BYTE_3 src1_sel:DWORD
	s_andn2_b64 s[4:5], s[4:5], exec
	s_and_b64 s[8:9], s[8:9], exec
	s_or_b64 s[4:5], s[4:5], s[8:9]
	s_or_b64 exec, exec, s[6:7]
	s_and_saveexec_b64 s[6:7], s[4:5]
	s_cbranch_execnz .LBB2_735
	s_branch .LBB2_736
.LBB2_2785:
	s_movk_i32 s4, 0x80
	v_cmp_eq_u16_sdwa s[12:13], v9, s4 src0_sel:BYTE_0 src1_sel:DWORD
	s_mov_b64 s[4:5], -1
                                        ; implicit-def: $sgpr10
	s_and_saveexec_b64 s[8:9], s[12:13]
; %bb.2786:
	s_mov_b32 s10, 0x7f800001
	s_xor_b64 s[4:5], exec, -1
; %bb.2787:
	s_or_b64 exec, exec, s[8:9]
	s_and_b64 s[4:5], s[4:5], exec
	s_or_saveexec_b64 s[6:7], s[6:7]
	v_mov_b32_e32 v2, s10
	s_xor_b64 exec, exec, s[6:7]
	s_cbranch_execz .LBB2_738
.LBB2_2788:
	v_mov_b32_e32 v2, 0
	v_cmp_ne_u16_sdwa s[8:9], v9, v2 src0_sel:BYTE_0 src1_sel:DWORD
	s_andn2_b64 s[4:5], s[4:5], exec
	s_and_b64 s[8:9], s[8:9], exec
	s_or_b64 s[4:5], s[4:5], s[8:9]
	s_or_b64 exec, exec, s[6:7]
	s_and_saveexec_b64 s[6:7], s[4:5]
	s_cbranch_execnz .LBB2_739
	s_branch .LBB2_740
.LBB2_2789:
	s_movk_i32 s4, 0x80
	v_cmp_eq_u16_sdwa s[12:13], v5, s4 src0_sel:BYTE_0 src1_sel:DWORD
	s_mov_b64 s[4:5], -1
                                        ; implicit-def: $sgpr10
	s_and_saveexec_b64 s[8:9], s[12:13]
; %bb.2790:
	s_mov_b32 s10, 0x7f800001
	s_xor_b64 s[4:5], exec, -1
; %bb.2791:
	s_or_b64 exec, exec, s[8:9]
	s_and_b64 s[4:5], s[4:5], exec
	s_or_saveexec_b64 s[6:7], s[6:7]
	v_mov_b32_e32 v3, s10
	s_xor_b64 exec, exec, s[6:7]
	s_cbranch_execz .LBB2_742
.LBB2_2792:
	v_mov_b32_e32 v3, 0
	v_cmp_ne_u16_sdwa s[8:9], v5, v3 src0_sel:BYTE_0 src1_sel:DWORD
	s_andn2_b64 s[4:5], s[4:5], exec
	s_and_b64 s[8:9], s[8:9], exec
	s_or_b64 s[4:5], s[4:5], s[8:9]
	s_or_b64 exec, exec, s[6:7]
	s_and_saveexec_b64 s[6:7], s[4:5]
	s_cbranch_execnz .LBB2_743
	s_branch .LBB2_744
.LBB2_2793:
	s_movk_i32 s4, 0x80
	v_cmp_eq_u16_sdwa s[12:13], v3, s4 src0_sel:BYTE_0 src1_sel:DWORD
	s_mov_b64 s[4:5], -1
                                        ; implicit-def: $sgpr10
	s_and_saveexec_b64 s[8:9], s[12:13]
; %bb.2794:
	s_mov_b32 s10, 0x7f800001
	s_xor_b64 s[4:5], exec, -1
; %bb.2795:
	s_or_b64 exec, exec, s[8:9]
	s_and_b64 s[4:5], s[4:5], exec
	s_or_saveexec_b64 s[6:7], s[6:7]
	v_mov_b32_e32 v2, s10
	s_xor_b64 exec, exec, s[6:7]
	s_cbranch_execz .LBB2_746
.LBB2_2796:
	v_mov_b32_e32 v2, 0
	v_cmp_ne_u16_sdwa s[8:9], v3, v2 src0_sel:BYTE_0 src1_sel:DWORD
	s_andn2_b64 s[4:5], s[4:5], exec
	s_and_b64 s[8:9], s[8:9], exec
	s_or_b64 s[4:5], s[4:5], s[8:9]
	s_or_b64 exec, exec, s[6:7]
	s_and_saveexec_b64 s[6:7], s[4:5]
	s_cbranch_execnz .LBB2_747
	s_branch .LBB2_748
.LBB2_2797:
	s_movk_i32 s4, 0x80
	v_cmp_eq_u16_sdwa s[12:13], v3, s4 src0_sel:BYTE_0 src1_sel:DWORD
	s_mov_b64 s[4:5], -1
                                        ; implicit-def: $sgpr10
	s_and_saveexec_b64 s[8:9], s[12:13]
; %bb.2798:
	s_mov_b32 s10, 0x7f800001
	s_xor_b64 s[4:5], exec, -1
; %bb.2799:
	s_or_b64 exec, exec, s[8:9]
	s_and_b64 s[4:5], s[4:5], exec
	s_or_saveexec_b64 s[6:7], s[6:7]
	v_mov_b32_e32 v4, s10
	s_xor_b64 exec, exec, s[6:7]
	s_cbranch_execz .LBB2_750
.LBB2_2800:
	v_mov_b32_e32 v4, 0
	v_cmp_ne_u16_sdwa s[8:9], v3, v4 src0_sel:BYTE_0 src1_sel:DWORD
	s_andn2_b64 s[4:5], s[4:5], exec
	s_and_b64 s[8:9], s[8:9], exec
	s_or_b64 s[4:5], s[4:5], s[8:9]
	s_or_b64 exec, exec, s[6:7]
	s_and_saveexec_b64 s[6:7], s[4:5]
	s_cbranch_execnz .LBB2_751
	s_branch .LBB2_752
.LBB2_2801:
	s_movk_i32 s4, 0x80
	v_cmp_eq_u16_e32 vcc, s4, v3
	s_mov_b64 s[4:5], -1
                                        ; implicit-def: $sgpr10
	s_and_saveexec_b64 s[8:9], vcc
; %bb.2802:
	s_mov_b32 s10, 0x7f800001
	s_xor_b64 s[4:5], exec, -1
; %bb.2803:
	s_or_b64 exec, exec, s[8:9]
	s_and_b64 s[4:5], s[4:5], exec
                                        ; implicit-def: $vgpr3
	s_or_saveexec_b64 s[6:7], s[6:7]
	v_mov_b32_e32 v2, s10
	s_xor_b64 exec, exec, s[6:7]
	s_cbranch_execz .LBB2_754
.LBB2_2804:
	v_cmp_ne_u16_e32 vcc, 0, v3
	s_andn2_b64 s[4:5], s[4:5], exec
	s_and_b64 s[8:9], vcc, exec
	v_mov_b32_e32 v2, 0
	s_or_b64 s[4:5], s[4:5], s[8:9]
	s_or_b64 exec, exec, s[6:7]
	s_and_saveexec_b64 s[6:7], s[4:5]
	s_cbranch_execnz .LBB2_755
	s_branch .LBB2_756
.LBB2_2805:
	s_movk_i32 s4, 0x80
	v_cmp_eq_u16_e32 vcc, s4, v3
	s_mov_b64 s[4:5], -1
                                        ; implicit-def: $sgpr10
	s_and_saveexec_b64 s[8:9], vcc
; %bb.2806:
	s_mov_b32 s10, 0x7f800001
	s_xor_b64 s[4:5], exec, -1
; %bb.2807:
	s_or_b64 exec, exec, s[8:9]
	s_and_b64 s[4:5], s[4:5], exec
                                        ; implicit-def: $vgpr3
	s_or_saveexec_b64 s[6:7], s[6:7]
	v_mov_b32_e32 v4, s10
	s_xor_b64 exec, exec, s[6:7]
	s_cbranch_execz .LBB2_758
.LBB2_2808:
	v_cmp_ne_u16_e32 vcc, 0, v3
	s_andn2_b64 s[4:5], s[4:5], exec
	s_and_b64 s[8:9], vcc, exec
	v_mov_b32_e32 v4, 0
	s_or_b64 s[4:5], s[4:5], s[8:9]
	s_or_b64 exec, exec, s[6:7]
	s_and_saveexec_b64 s[6:7], s[4:5]
	s_cbranch_execnz .LBB2_759
	s_branch .LBB2_760
.LBB2_2809:
	s_movk_i32 s4, 0x80
	v_cmp_eq_u16_sdwa s[12:13], v9, s4 src0_sel:BYTE_3 src1_sel:DWORD
	s_mov_b64 s[4:5], -1
                                        ; implicit-def: $sgpr10
	s_and_saveexec_b64 s[8:9], s[12:13]
; %bb.2810:
	s_mov_b32 s10, 0x7f800001
	s_xor_b64 s[4:5], exec, -1
; %bb.2811:
	s_or_b64 exec, exec, s[8:9]
	s_and_b64 s[4:5], s[4:5], exec
	s_or_saveexec_b64 s[6:7], s[6:7]
	v_mov_b32_e32 v2, s10
	s_xor_b64 exec, exec, s[6:7]
	s_cbranch_execz .LBB2_762
.LBB2_2812:
	v_mov_b32_e32 v2, 0
	v_cmp_ne_u16_sdwa s[8:9], v9, v2 src0_sel:BYTE_3 src1_sel:DWORD
	s_andn2_b64 s[4:5], s[4:5], exec
	s_and_b64 s[8:9], s[8:9], exec
	s_or_b64 s[4:5], s[4:5], s[8:9]
	s_or_b64 exec, exec, s[6:7]
	s_and_saveexec_b64 s[6:7], s[4:5]
	s_cbranch_execnz .LBB2_763
	s_branch .LBB2_764
.LBB2_2813:
	s_movk_i32 s4, 0x80
	v_cmp_eq_u16_sdwa s[12:13], v5, s4 src0_sel:BYTE_3 src1_sel:DWORD
	s_mov_b64 s[4:5], -1
                                        ; implicit-def: $sgpr10
	s_and_saveexec_b64 s[8:9], s[12:13]
; %bb.2814:
	s_mov_b32 s10, 0x7f800001
	s_xor_b64 s[4:5], exec, -1
; %bb.2815:
	s_or_b64 exec, exec, s[8:9]
	s_and_b64 s[4:5], s[4:5], exec
	s_or_saveexec_b64 s[6:7], s[6:7]
	v_mov_b32_e32 v3, s10
	s_xor_b64 exec, exec, s[6:7]
	s_cbranch_execz .LBB2_766
.LBB2_2816:
	v_mov_b32_e32 v3, 0
	v_cmp_ne_u16_sdwa s[8:9], v5, v3 src0_sel:BYTE_3 src1_sel:DWORD
	s_andn2_b64 s[4:5], s[4:5], exec
	s_and_b64 s[8:9], s[8:9], exec
	s_or_b64 s[4:5], s[4:5], s[8:9]
	s_or_b64 exec, exec, s[6:7]
	s_and_saveexec_b64 s[6:7], s[4:5]
	s_cbranch_execnz .LBB2_767
	s_branch .LBB2_768
.LBB2_2817:
	s_movk_i32 s4, 0x80
	v_cmp_eq_u16_sdwa s[12:13], v6, s4 src0_sel:BYTE_0 src1_sel:DWORD
	s_mov_b64 s[4:5], -1
                                        ; implicit-def: $sgpr10
	s_and_saveexec_b64 s[8:9], s[12:13]
; %bb.2818:
	s_mov_b32 s10, 0x7f800001
	s_xor_b64 s[4:5], exec, -1
; %bb.2819:
	s_or_b64 exec, exec, s[8:9]
	s_and_b64 s[4:5], s[4:5], exec
	s_or_saveexec_b64 s[6:7], s[6:7]
	v_mov_b32_e32 v12, s10
	s_xor_b64 exec, exec, s[6:7]
	s_cbranch_execz .LBB2_770
.LBB2_2820:
	v_mov_b32_e32 v12, 0
	v_cmp_ne_u16_sdwa s[8:9], v6, v12 src0_sel:BYTE_0 src1_sel:DWORD
	s_andn2_b64 s[4:5], s[4:5], exec
	s_and_b64 s[8:9], s[8:9], exec
	s_or_b64 s[4:5], s[4:5], s[8:9]
	s_or_b64 exec, exec, s[6:7]
	s_and_saveexec_b64 s[6:7], s[4:5]
	s_cbranch_execnz .LBB2_771
	s_branch .LBB2_772
.LBB2_2821:
	s_movk_i32 s4, 0x80
	v_cmp_eq_u16_sdwa s[12:13], v2, s4 src0_sel:BYTE_0 src1_sel:DWORD
	s_mov_b64 s[4:5], -1
                                        ; implicit-def: $sgpr10
	s_and_saveexec_b64 s[8:9], s[12:13]
; %bb.2822:
	s_mov_b32 s10, 0x7f800001
	s_xor_b64 s[4:5], exec, -1
; %bb.2823:
	s_or_b64 exec, exec, s[8:9]
	s_and_b64 s[4:5], s[4:5], exec
	s_or_saveexec_b64 s[6:7], s[6:7]
	v_mov_b32_e32 v13, s10
	s_xor_b64 exec, exec, s[6:7]
	s_cbranch_execz .LBB2_774
.LBB2_2824:
	v_mov_b32_e32 v13, 0
	v_cmp_ne_u16_sdwa s[8:9], v2, v13 src0_sel:BYTE_0 src1_sel:DWORD
	s_andn2_b64 s[4:5], s[4:5], exec
	s_and_b64 s[8:9], s[8:9], exec
	s_or_b64 s[4:5], s[4:5], s[8:9]
	s_or_b64 exec, exec, s[6:7]
	s_and_saveexec_b64 s[6:7], s[4:5]
	s_cbranch_execnz .LBB2_775
	s_branch .LBB2_776
.LBB2_2825:
	s_movk_i32 s4, 0x80
	v_cmp_eq_u16_sdwa s[12:13], v13, s4 src0_sel:BYTE_0 src1_sel:DWORD
	s_mov_b64 s[4:5], -1
                                        ; implicit-def: $sgpr10
	s_and_saveexec_b64 s[8:9], s[12:13]
; %bb.2826:
	s_mov_b32 s10, 0x7f800001
	s_xor_b64 s[4:5], exec, -1
; %bb.2827:
	s_or_b64 exec, exec, s[8:9]
	s_and_b64 s[4:5], s[4:5], exec
	s_or_saveexec_b64 s[6:7], s[6:7]
	v_mov_b32_e32 v12, s10
	s_xor_b64 exec, exec, s[6:7]
	s_cbranch_execz .LBB2_778
.LBB2_2828:
	v_mov_b32_e32 v12, 0
	v_cmp_ne_u16_sdwa s[8:9], v13, v12 src0_sel:BYTE_0 src1_sel:DWORD
	s_andn2_b64 s[4:5], s[4:5], exec
	s_and_b64 s[8:9], s[8:9], exec
	s_or_b64 s[4:5], s[4:5], s[8:9]
	s_or_b64 exec, exec, s[6:7]
	s_and_saveexec_b64 s[6:7], s[4:5]
	s_cbranch_execnz .LBB2_779
	s_branch .LBB2_780
.LBB2_2829:
	s_movk_i32 s4, 0x80
	v_cmp_eq_u16_sdwa s[12:13], v13, s4 src0_sel:BYTE_0 src1_sel:DWORD
	s_mov_b64 s[4:5], -1
                                        ; implicit-def: $sgpr10
	s_and_saveexec_b64 s[8:9], s[12:13]
; %bb.2830:
	s_mov_b32 s10, 0x7f800001
	s_xor_b64 s[4:5], exec, -1
; %bb.2831:
	s_or_b64 exec, exec, s[8:9]
	s_and_b64 s[4:5], s[4:5], exec
	s_or_saveexec_b64 s[6:7], s[6:7]
	v_mov_b32_e32 v14, s10
	s_xor_b64 exec, exec, s[6:7]
	s_cbranch_execz .LBB2_782
.LBB2_2832:
	v_mov_b32_e32 v14, 0
	v_cmp_ne_u16_sdwa s[8:9], v13, v14 src0_sel:BYTE_0 src1_sel:DWORD
	s_andn2_b64 s[4:5], s[4:5], exec
	s_and_b64 s[8:9], s[8:9], exec
	s_or_b64 s[4:5], s[4:5], s[8:9]
	s_or_b64 exec, exec, s[6:7]
	s_and_saveexec_b64 s[6:7], s[4:5]
	s_cbranch_execnz .LBB2_783
	s_branch .LBB2_784
.LBB2_2833:
	s_movk_i32 s4, 0x80
	v_cmp_eq_u16_e32 vcc, s4, v13
	s_mov_b64 s[4:5], -1
                                        ; implicit-def: $sgpr10
	s_and_saveexec_b64 s[8:9], vcc
; %bb.2834:
	s_mov_b32 s10, 0x7f800001
	s_xor_b64 s[4:5], exec, -1
; %bb.2835:
	s_or_b64 exec, exec, s[8:9]
	s_and_b64 s[4:5], s[4:5], exec
                                        ; implicit-def: $vgpr13
	s_or_saveexec_b64 s[6:7], s[6:7]
	v_mov_b32_e32 v12, s10
	s_xor_b64 exec, exec, s[6:7]
	s_cbranch_execz .LBB2_786
.LBB2_2836:
	v_cmp_ne_u16_e32 vcc, 0, v13
	s_andn2_b64 s[4:5], s[4:5], exec
	s_and_b64 s[8:9], vcc, exec
	v_mov_b32_e32 v12, 0
	s_or_b64 s[4:5], s[4:5], s[8:9]
	s_or_b64 exec, exec, s[6:7]
	s_and_saveexec_b64 s[6:7], s[4:5]
	s_cbranch_execnz .LBB2_787
	s_branch .LBB2_788
.LBB2_2837:
	s_movk_i32 s4, 0x80
	v_cmp_eq_u16_e32 vcc, s4, v13
	s_mov_b64 s[4:5], -1
                                        ; implicit-def: $sgpr10
	s_and_saveexec_b64 s[8:9], vcc
; %bb.2838:
	s_mov_b32 s10, 0x7f800001
	s_xor_b64 s[4:5], exec, -1
; %bb.2839:
	s_or_b64 exec, exec, s[8:9]
	s_and_b64 s[4:5], s[4:5], exec
                                        ; implicit-def: $vgpr13
	s_or_saveexec_b64 s[6:7], s[6:7]
	v_mov_b32_e32 v14, s10
	s_xor_b64 exec, exec, s[6:7]
	s_cbranch_execz .LBB2_790
.LBB2_2840:
	v_cmp_ne_u16_e32 vcc, 0, v13
	s_andn2_b64 s[4:5], s[4:5], exec
	s_and_b64 s[8:9], vcc, exec
	v_mov_b32_e32 v14, 0
	s_or_b64 s[4:5], s[4:5], s[8:9]
	s_or_b64 exec, exec, s[6:7]
	s_and_saveexec_b64 s[6:7], s[4:5]
	s_cbranch_execnz .LBB2_791
	s_branch .LBB2_792
.LBB2_2841:
	s_movk_i32 s4, 0x80
	v_cmp_eq_u16_sdwa s[12:13], v6, s4 src0_sel:BYTE_3 src1_sel:DWORD
	s_mov_b64 s[4:5], -1
                                        ; implicit-def: $sgpr10
	s_and_saveexec_b64 s[8:9], s[12:13]
; %bb.2842:
	s_mov_b32 s10, 0x7f800001
	s_xor_b64 s[4:5], exec, -1
; %bb.2843:
	s_or_b64 exec, exec, s[8:9]
	s_and_b64 s[4:5], s[4:5], exec
	s_or_saveexec_b64 s[6:7], s[6:7]
	v_mov_b32_e32 v12, s10
	s_xor_b64 exec, exec, s[6:7]
	s_cbranch_execz .LBB2_794
.LBB2_2844:
	v_mov_b32_e32 v12, 0
	v_cmp_ne_u16_sdwa s[8:9], v6, v12 src0_sel:BYTE_3 src1_sel:DWORD
	s_andn2_b64 s[4:5], s[4:5], exec
	s_and_b64 s[8:9], s[8:9], exec
	s_or_b64 s[4:5], s[4:5], s[8:9]
	s_or_b64 exec, exec, s[6:7]
	s_and_saveexec_b64 s[6:7], s[4:5]
	s_cbranch_execnz .LBB2_795
	s_branch .LBB2_796
.LBB2_2845:
	s_movk_i32 s4, 0x80
	v_cmp_eq_u16_sdwa s[12:13], v2, s4 src0_sel:BYTE_3 src1_sel:DWORD
	s_mov_b64 s[4:5], -1
                                        ; implicit-def: $sgpr10
	s_and_saveexec_b64 s[8:9], s[12:13]
; %bb.2846:
	s_mov_b32 s10, 0x7f800001
	s_xor_b64 s[4:5], exec, -1
; %bb.2847:
	s_or_b64 exec, exec, s[8:9]
	s_and_b64 s[4:5], s[4:5], exec
	s_or_saveexec_b64 s[6:7], s[6:7]
	v_mov_b32_e32 v6, s10
	s_xor_b64 exec, exec, s[6:7]
	s_cbranch_execz .LBB2_798
.LBB2_2848:
	v_mov_b32_e32 v6, 0
	v_cmp_ne_u16_sdwa s[8:9], v2, v6 src0_sel:BYTE_3 src1_sel:DWORD
	s_andn2_b64 s[4:5], s[4:5], exec
	s_and_b64 s[8:9], s[8:9], exec
	s_or_b64 s[4:5], s[4:5], s[8:9]
	s_or_b64 exec, exec, s[6:7]
	s_and_saveexec_b64 s[6:7], s[4:5]
	s_cbranch_execnz .LBB2_799
	s_branch .LBB2_800
.LBB2_2849:
	s_movk_i32 s4, 0x80
	v_cmp_eq_u16_sdwa s[12:13], v7, s4 src0_sel:BYTE_0 src1_sel:DWORD
	s_mov_b64 s[4:5], -1
                                        ; implicit-def: $sgpr10
	s_and_saveexec_b64 s[8:9], s[12:13]
; %bb.2850:
	s_mov_b32 s10, 0x7f800001
	s_xor_b64 s[4:5], exec, -1
; %bb.2851:
	s_or_b64 exec, exec, s[8:9]
	s_and_b64 s[4:5], s[4:5], exec
	s_or_saveexec_b64 s[6:7], s[6:7]
	v_mov_b32_e32 v2, s10
	s_xor_b64 exec, exec, s[6:7]
	s_cbranch_execz .LBB2_802
.LBB2_2852:
	v_mov_b32_e32 v2, 0
	v_cmp_ne_u16_sdwa s[8:9], v7, v2 src0_sel:BYTE_0 src1_sel:DWORD
	s_andn2_b64 s[4:5], s[4:5], exec
	s_and_b64 s[8:9], s[8:9], exec
	s_or_b64 s[4:5], s[4:5], s[8:9]
	s_or_b64 exec, exec, s[6:7]
	s_and_saveexec_b64 s[6:7], s[4:5]
	s_cbranch_execnz .LBB2_803
	s_branch .LBB2_804
.LBB2_2853:
	s_movk_i32 s4, 0x80
	v_cmp_eq_u16_sdwa s[12:13], v3, s4 src0_sel:BYTE_0 src1_sel:DWORD
	s_mov_b64 s[4:5], -1
                                        ; implicit-def: $sgpr10
	s_and_saveexec_b64 s[8:9], s[12:13]
; %bb.2854:
	s_mov_b32 s10, 0x7f800001
	s_xor_b64 s[4:5], exec, -1
; %bb.2855:
	s_or_b64 exec, exec, s[8:9]
	s_and_b64 s[4:5], s[4:5], exec
	s_or_saveexec_b64 s[6:7], s[6:7]
	v_mov_b32_e32 v6, s10
	s_xor_b64 exec, exec, s[6:7]
	s_cbranch_execz .LBB2_806
.LBB2_2856:
	v_mov_b32_e32 v6, 0
	v_cmp_ne_u16_sdwa s[8:9], v3, v6 src0_sel:BYTE_0 src1_sel:DWORD
	s_andn2_b64 s[4:5], s[4:5], exec
	s_and_b64 s[8:9], s[8:9], exec
	s_or_b64 s[4:5], s[4:5], s[8:9]
	s_or_b64 exec, exec, s[6:7]
	s_and_saveexec_b64 s[6:7], s[4:5]
	s_cbranch_execnz .LBB2_807
	s_branch .LBB2_808
.LBB2_2857:
	s_movk_i32 s4, 0x80
	v_cmp_eq_u16_sdwa s[12:13], v6, s4 src0_sel:BYTE_0 src1_sel:DWORD
	s_mov_b64 s[4:5], -1
                                        ; implicit-def: $sgpr10
	s_and_saveexec_b64 s[8:9], s[12:13]
; %bb.2858:
	s_mov_b32 s10, 0x7f800001
	s_xor_b64 s[4:5], exec, -1
; %bb.2859:
	s_or_b64 exec, exec, s[8:9]
	s_and_b64 s[4:5], s[4:5], exec
	s_or_saveexec_b64 s[6:7], s[6:7]
	v_mov_b32_e32 v2, s10
	s_xor_b64 exec, exec, s[6:7]
	s_cbranch_execz .LBB2_810
.LBB2_2860:
	v_mov_b32_e32 v2, 0
	v_cmp_ne_u16_sdwa s[8:9], v6, v2 src0_sel:BYTE_0 src1_sel:DWORD
	s_andn2_b64 s[4:5], s[4:5], exec
	s_and_b64 s[8:9], s[8:9], exec
	s_or_b64 s[4:5], s[4:5], s[8:9]
	s_or_b64 exec, exec, s[6:7]
	s_and_saveexec_b64 s[6:7], s[4:5]
	s_cbranch_execnz .LBB2_811
	s_branch .LBB2_812
.LBB2_2861:
	s_movk_i32 s4, 0x80
	v_cmp_eq_u16_sdwa s[12:13], v6, s4 src0_sel:BYTE_0 src1_sel:DWORD
	s_mov_b64 s[4:5], -1
                                        ; implicit-def: $sgpr10
	s_and_saveexec_b64 s[8:9], s[12:13]
; %bb.2862:
	s_mov_b32 s10, 0x7f800001
	s_xor_b64 s[4:5], exec, -1
; %bb.2863:
	s_or_b64 exec, exec, s[8:9]
	s_and_b64 s[4:5], s[4:5], exec
	s_or_saveexec_b64 s[6:7], s[6:7]
	v_mov_b32_e32 v12, s10
	s_xor_b64 exec, exec, s[6:7]
	s_cbranch_execz .LBB2_814
.LBB2_2864:
	v_mov_b32_e32 v12, 0
	v_cmp_ne_u16_sdwa s[8:9], v6, v12 src0_sel:BYTE_0 src1_sel:DWORD
	s_andn2_b64 s[4:5], s[4:5], exec
	s_and_b64 s[8:9], s[8:9], exec
	s_or_b64 s[4:5], s[4:5], s[8:9]
	s_or_b64 exec, exec, s[6:7]
	s_and_saveexec_b64 s[6:7], s[4:5]
	s_cbranch_execnz .LBB2_815
	s_branch .LBB2_816
.LBB2_2865:
	s_movk_i32 s4, 0x80
	v_cmp_eq_u16_e32 vcc, s4, v6
	s_mov_b64 s[4:5], -1
                                        ; implicit-def: $sgpr10
	s_and_saveexec_b64 s[8:9], vcc
; %bb.2866:
	s_mov_b32 s10, 0x7f800001
	s_xor_b64 s[4:5], exec, -1
; %bb.2867:
	s_or_b64 exec, exec, s[8:9]
	s_and_b64 s[4:5], s[4:5], exec
                                        ; implicit-def: $vgpr6
	s_or_saveexec_b64 s[6:7], s[6:7]
	v_mov_b32_e32 v2, s10
	s_xor_b64 exec, exec, s[6:7]
	s_cbranch_execz .LBB2_818
.LBB2_2868:
	v_cmp_ne_u16_e32 vcc, 0, v6
	s_andn2_b64 s[4:5], s[4:5], exec
	s_and_b64 s[8:9], vcc, exec
	v_mov_b32_e32 v2, 0
	s_or_b64 s[4:5], s[4:5], s[8:9]
	s_or_b64 exec, exec, s[6:7]
	s_and_saveexec_b64 s[6:7], s[4:5]
	s_cbranch_execnz .LBB2_819
	s_branch .LBB2_820
.LBB2_2869:
	s_movk_i32 s4, 0x80
	v_cmp_eq_u16_e32 vcc, s4, v6
	s_mov_b64 s[4:5], -1
                                        ; implicit-def: $sgpr10
	s_and_saveexec_b64 s[8:9], vcc
; %bb.2870:
	s_mov_b32 s10, 0x7f800001
	s_xor_b64 s[4:5], exec, -1
; %bb.2871:
	s_or_b64 exec, exec, s[8:9]
	s_and_b64 s[4:5], s[4:5], exec
                                        ; implicit-def: $vgpr6
	s_or_saveexec_b64 s[6:7], s[6:7]
	v_mov_b32_e32 v12, s10
	s_xor_b64 exec, exec, s[6:7]
	s_cbranch_execz .LBB2_822
.LBB2_2872:
	v_cmp_ne_u16_e32 vcc, 0, v6
	s_andn2_b64 s[4:5], s[4:5], exec
	s_and_b64 s[8:9], vcc, exec
	v_mov_b32_e32 v12, 0
	s_or_b64 s[4:5], s[4:5], s[8:9]
	s_or_b64 exec, exec, s[6:7]
	s_and_saveexec_b64 s[6:7], s[4:5]
	s_cbranch_execnz .LBB2_823
	s_branch .LBB2_824
.LBB2_2873:
	s_movk_i32 s4, 0x80
	v_cmp_eq_u16_sdwa s[12:13], v7, s4 src0_sel:BYTE_3 src1_sel:DWORD
	s_mov_b64 s[4:5], -1
                                        ; implicit-def: $sgpr10
	s_and_saveexec_b64 s[8:9], s[12:13]
; %bb.2874:
	s_mov_b32 s10, 0x7f800001
	s_xor_b64 s[4:5], exec, -1
; %bb.2875:
	s_or_b64 exec, exec, s[8:9]
	s_and_b64 s[4:5], s[4:5], exec
	s_or_saveexec_b64 s[6:7], s[6:7]
	v_mov_b32_e32 v2, s10
	s_xor_b64 exec, exec, s[6:7]
	s_cbranch_execz .LBB2_826
.LBB2_2876:
	v_mov_b32_e32 v2, 0
	v_cmp_ne_u16_sdwa s[8:9], v7, v2 src0_sel:BYTE_3 src1_sel:DWORD
	s_andn2_b64 s[4:5], s[4:5], exec
	s_and_b64 s[8:9], s[8:9], exec
	s_or_b64 s[4:5], s[4:5], s[8:9]
	s_or_b64 exec, exec, s[6:7]
	s_and_saveexec_b64 s[6:7], s[4:5]
	s_cbranch_execnz .LBB2_827
	s_branch .LBB2_828
.LBB2_2877:
	s_movk_i32 s4, 0x80
	v_cmp_eq_u16_sdwa s[12:13], v3, s4 src0_sel:BYTE_3 src1_sel:DWORD
	s_mov_b64 s[4:5], -1
                                        ; implicit-def: $sgpr10
	s_and_saveexec_b64 s[8:9], s[12:13]
; %bb.2878:
	s_mov_b32 s10, 0x7f800001
	s_xor_b64 s[4:5], exec, -1
; %bb.2879:
	s_or_b64 exec, exec, s[8:9]
	s_and_b64 s[4:5], s[4:5], exec
	s_or_saveexec_b64 s[6:7], s[6:7]
	v_mov_b32_e32 v6, s10
	s_xor_b64 exec, exec, s[6:7]
	s_cbranch_execz .LBB2_830
.LBB2_2880:
	v_mov_b32_e32 v6, 0
	v_cmp_ne_u16_sdwa s[8:9], v3, v6 src0_sel:BYTE_3 src1_sel:DWORD
	s_andn2_b64 s[4:5], s[4:5], exec
	s_and_b64 s[8:9], s[8:9], exec
	s_or_b64 s[4:5], s[4:5], s[8:9]
	s_or_b64 exec, exec, s[6:7]
	s_and_saveexec_b64 s[6:7], s[4:5]
	s_cbranch_execnz .LBB2_831
	s_branch .LBB2_832
.LBB2_2881:
	s_movk_i32 s4, 0x80
	v_cmp_eq_u16_sdwa s[12:13], v8, s4 src0_sel:BYTE_0 src1_sel:DWORD
	s_mov_b64 s[4:5], -1
                                        ; implicit-def: $sgpr10
	s_and_saveexec_b64 s[8:9], s[12:13]
; %bb.2882:
	s_mov_b32 s10, 0x7f800001
	s_xor_b64 s[4:5], exec, -1
; %bb.2883:
	s_or_b64 exec, exec, s[8:9]
	s_and_b64 s[4:5], s[4:5], exec
	s_or_saveexec_b64 s[6:7], s[6:7]
	v_mov_b32_e32 v2, s10
	s_xor_b64 exec, exec, s[6:7]
	s_cbranch_execz .LBB2_834
.LBB2_2884:
	v_mov_b32_e32 v2, 0
	v_cmp_ne_u16_sdwa s[8:9], v8, v2 src0_sel:BYTE_0 src1_sel:DWORD
	s_andn2_b64 s[4:5], s[4:5], exec
	s_and_b64 s[8:9], s[8:9], exec
	s_or_b64 s[4:5], s[4:5], s[8:9]
	s_or_b64 exec, exec, s[6:7]
	s_and_saveexec_b64 s[6:7], s[4:5]
	s_cbranch_execnz .LBB2_835
	s_branch .LBB2_836
.LBB2_2885:
	s_movk_i32 s4, 0x80
	v_cmp_eq_u16_sdwa s[12:13], v4, s4 src0_sel:BYTE_0 src1_sel:DWORD
	s_mov_b64 s[4:5], -1
                                        ; implicit-def: $sgpr10
	s_and_saveexec_b64 s[8:9], s[12:13]
; %bb.2886:
	s_mov_b32 s10, 0x7f800001
	s_xor_b64 s[4:5], exec, -1
; %bb.2887:
	s_or_b64 exec, exec, s[8:9]
	s_and_b64 s[4:5], s[4:5], exec
	s_or_saveexec_b64 s[6:7], s[6:7]
	v_mov_b32_e32 v3, s10
	s_xor_b64 exec, exec, s[6:7]
	s_cbranch_execz .LBB2_838
.LBB2_2888:
	v_mov_b32_e32 v3, 0
	v_cmp_ne_u16_sdwa s[8:9], v4, v3 src0_sel:BYTE_0 src1_sel:DWORD
	s_andn2_b64 s[4:5], s[4:5], exec
	s_and_b64 s[8:9], s[8:9], exec
	s_or_b64 s[4:5], s[4:5], s[8:9]
	s_or_b64 exec, exec, s[6:7]
	s_and_saveexec_b64 s[6:7], s[4:5]
	s_cbranch_execnz .LBB2_839
	s_branch .LBB2_840
.LBB2_2889:
	s_movk_i32 s4, 0x80
	v_cmp_eq_u16_sdwa s[12:13], v3, s4 src0_sel:BYTE_0 src1_sel:DWORD
	s_mov_b64 s[4:5], -1
                                        ; implicit-def: $sgpr10
	s_and_saveexec_b64 s[8:9], s[12:13]
; %bb.2890:
	s_mov_b32 s10, 0x7f800001
	s_xor_b64 s[4:5], exec, -1
; %bb.2891:
	s_or_b64 exec, exec, s[8:9]
	s_and_b64 s[4:5], s[4:5], exec
	s_or_saveexec_b64 s[6:7], s[6:7]
	v_mov_b32_e32 v2, s10
	s_xor_b64 exec, exec, s[6:7]
	s_cbranch_execz .LBB2_842
.LBB2_2892:
	v_mov_b32_e32 v2, 0
	v_cmp_ne_u16_sdwa s[8:9], v3, v2 src0_sel:BYTE_0 src1_sel:DWORD
	s_andn2_b64 s[4:5], s[4:5], exec
	s_and_b64 s[8:9], s[8:9], exec
	s_or_b64 s[4:5], s[4:5], s[8:9]
	s_or_b64 exec, exec, s[6:7]
	s_and_saveexec_b64 s[6:7], s[4:5]
	s_cbranch_execnz .LBB2_843
	s_branch .LBB2_844
.LBB2_2893:
	s_movk_i32 s4, 0x80
	v_cmp_eq_u16_sdwa s[12:13], v3, s4 src0_sel:BYTE_0 src1_sel:DWORD
	s_mov_b64 s[4:5], -1
                                        ; implicit-def: $sgpr10
	s_and_saveexec_b64 s[8:9], s[12:13]
; %bb.2894:
	s_mov_b32 s10, 0x7f800001
	s_xor_b64 s[4:5], exec, -1
; %bb.2895:
	s_or_b64 exec, exec, s[8:9]
	s_and_b64 s[4:5], s[4:5], exec
	s_or_saveexec_b64 s[6:7], s[6:7]
	v_mov_b32_e32 v6, s10
	s_xor_b64 exec, exec, s[6:7]
	s_cbranch_execz .LBB2_846
.LBB2_2896:
	v_mov_b32_e32 v6, 0
	v_cmp_ne_u16_sdwa s[8:9], v3, v6 src0_sel:BYTE_0 src1_sel:DWORD
	s_andn2_b64 s[4:5], s[4:5], exec
	s_and_b64 s[8:9], s[8:9], exec
	s_or_b64 s[4:5], s[4:5], s[8:9]
	s_or_b64 exec, exec, s[6:7]
	s_and_saveexec_b64 s[6:7], s[4:5]
	s_cbranch_execnz .LBB2_847
	s_branch .LBB2_848
.LBB2_2897:
	s_movk_i32 s4, 0x80
	v_cmp_eq_u16_e32 vcc, s4, v3
	s_mov_b64 s[4:5], -1
                                        ; implicit-def: $sgpr10
	s_and_saveexec_b64 s[8:9], vcc
; %bb.2898:
	s_mov_b32 s10, 0x7f800001
	s_xor_b64 s[4:5], exec, -1
; %bb.2899:
	s_or_b64 exec, exec, s[8:9]
	s_and_b64 s[4:5], s[4:5], exec
                                        ; implicit-def: $vgpr3
	s_or_saveexec_b64 s[6:7], s[6:7]
	v_mov_b32_e32 v2, s10
	s_xor_b64 exec, exec, s[6:7]
	s_cbranch_execz .LBB2_850
.LBB2_2900:
	v_cmp_ne_u16_e32 vcc, 0, v3
	s_andn2_b64 s[4:5], s[4:5], exec
	s_and_b64 s[8:9], vcc, exec
	v_mov_b32_e32 v2, 0
	s_or_b64 s[4:5], s[4:5], s[8:9]
	s_or_b64 exec, exec, s[6:7]
	s_and_saveexec_b64 s[6:7], s[4:5]
	s_cbranch_execnz .LBB2_851
	s_branch .LBB2_852
.LBB2_2901:
	s_movk_i32 s4, 0x80
	v_cmp_eq_u16_e32 vcc, s4, v3
	s_mov_b64 s[4:5], -1
                                        ; implicit-def: $sgpr10
	s_and_saveexec_b64 s[8:9], vcc
; %bb.2902:
	s_mov_b32 s10, 0x7f800001
	s_xor_b64 s[4:5], exec, -1
; %bb.2903:
	s_or_b64 exec, exec, s[8:9]
	s_and_b64 s[4:5], s[4:5], exec
                                        ; implicit-def: $vgpr3
	s_or_saveexec_b64 s[6:7], s[6:7]
	v_mov_b32_e32 v6, s10
	s_xor_b64 exec, exec, s[6:7]
	s_cbranch_execz .LBB2_854
.LBB2_2904:
	v_cmp_ne_u16_e32 vcc, 0, v3
	s_andn2_b64 s[4:5], s[4:5], exec
	s_and_b64 s[8:9], vcc, exec
	v_mov_b32_e32 v6, 0
	s_or_b64 s[4:5], s[4:5], s[8:9]
	s_or_b64 exec, exec, s[6:7]
	s_and_saveexec_b64 s[6:7], s[4:5]
	s_cbranch_execnz .LBB2_855
	s_branch .LBB2_856
.LBB2_2905:
	s_movk_i32 s4, 0x80
	v_cmp_eq_u16_sdwa s[12:13], v8, s4 src0_sel:BYTE_3 src1_sel:DWORD
	s_mov_b64 s[4:5], -1
                                        ; implicit-def: $sgpr10
	s_and_saveexec_b64 s[8:9], s[12:13]
; %bb.2906:
	s_mov_b32 s10, 0x7f800001
	s_xor_b64 s[4:5], exec, -1
; %bb.2907:
	s_or_b64 exec, exec, s[8:9]
	s_and_b64 s[4:5], s[4:5], exec
	s_or_saveexec_b64 s[6:7], s[6:7]
	v_mov_b32_e32 v2, s10
	s_xor_b64 exec, exec, s[6:7]
	s_cbranch_execz .LBB2_858
.LBB2_2908:
	v_mov_b32_e32 v2, 0
	v_cmp_ne_u16_sdwa s[8:9], v8, v2 src0_sel:BYTE_3 src1_sel:DWORD
	s_andn2_b64 s[4:5], s[4:5], exec
	s_and_b64 s[8:9], s[8:9], exec
	s_or_b64 s[4:5], s[4:5], s[8:9]
	s_or_b64 exec, exec, s[6:7]
	s_and_saveexec_b64 s[6:7], s[4:5]
	s_cbranch_execnz .LBB2_859
	s_branch .LBB2_860
.LBB2_2909:
	s_movk_i32 s4, 0x80
	v_cmp_eq_u16_sdwa s[12:13], v4, s4 src0_sel:BYTE_3 src1_sel:DWORD
	s_mov_b64 s[4:5], -1
                                        ; implicit-def: $sgpr10
	s_and_saveexec_b64 s[8:9], s[12:13]
; %bb.2910:
	s_mov_b32 s10, 0x7f800001
	s_xor_b64 s[4:5], exec, -1
; %bb.2911:
	s_or_b64 exec, exec, s[8:9]
	s_and_b64 s[4:5], s[4:5], exec
	s_or_saveexec_b64 s[6:7], s[6:7]
	v_mov_b32_e32 v3, s10
	s_xor_b64 exec, exec, s[6:7]
	s_cbranch_execz .LBB2_862
.LBB2_2912:
	v_mov_b32_e32 v3, 0
	v_cmp_ne_u16_sdwa s[8:9], v4, v3 src0_sel:BYTE_3 src1_sel:DWORD
	s_andn2_b64 s[4:5], s[4:5], exec
	s_and_b64 s[8:9], s[8:9], exec
	s_or_b64 s[4:5], s[4:5], s[8:9]
	s_or_b64 exec, exec, s[6:7]
	s_and_saveexec_b64 s[6:7], s[4:5]
	s_cbranch_execnz .LBB2_863
	s_branch .LBB2_864
.LBB2_2913:
	s_movk_i32 s4, 0x80
	v_cmp_eq_u16_sdwa s[12:13], v9, s4 src0_sel:BYTE_0 src1_sel:DWORD
	s_mov_b64 s[4:5], -1
                                        ; implicit-def: $sgpr10
	s_and_saveexec_b64 s[8:9], s[12:13]
; %bb.2914:
	s_mov_b32 s10, 0x7f800001
	s_xor_b64 s[4:5], exec, -1
; %bb.2915:
	s_or_b64 exec, exec, s[8:9]
	s_and_b64 s[4:5], s[4:5], exec
	s_or_saveexec_b64 s[6:7], s[6:7]
	v_mov_b32_e32 v2, s10
	s_xor_b64 exec, exec, s[6:7]
	s_cbranch_execz .LBB2_866
.LBB2_2916:
	v_mov_b32_e32 v2, 0
	v_cmp_ne_u16_sdwa s[8:9], v9, v2 src0_sel:BYTE_0 src1_sel:DWORD
	s_andn2_b64 s[4:5], s[4:5], exec
	s_and_b64 s[8:9], s[8:9], exec
	s_or_b64 s[4:5], s[4:5], s[8:9]
	s_or_b64 exec, exec, s[6:7]
	s_and_saveexec_b64 s[6:7], s[4:5]
	s_cbranch_execnz .LBB2_867
	s_branch .LBB2_868
.LBB2_2917:
	s_movk_i32 s4, 0x80
	v_cmp_eq_u16_sdwa s[12:13], v5, s4 src0_sel:BYTE_0 src1_sel:DWORD
	s_mov_b64 s[4:5], -1
                                        ; implicit-def: $sgpr10
	s_and_saveexec_b64 s[8:9], s[12:13]
; %bb.2918:
	s_mov_b32 s10, 0x7f800001
	s_xor_b64 s[4:5], exec, -1
; %bb.2919:
	s_or_b64 exec, exec, s[8:9]
	s_and_b64 s[4:5], s[4:5], exec
	s_or_saveexec_b64 s[6:7], s[6:7]
	v_mov_b32_e32 v3, s10
	s_xor_b64 exec, exec, s[6:7]
	s_cbranch_execz .LBB2_870
.LBB2_2920:
	v_mov_b32_e32 v3, 0
	v_cmp_ne_u16_sdwa s[8:9], v5, v3 src0_sel:BYTE_0 src1_sel:DWORD
	s_andn2_b64 s[4:5], s[4:5], exec
	s_and_b64 s[8:9], s[8:9], exec
	s_or_b64 s[4:5], s[4:5], s[8:9]
	s_or_b64 exec, exec, s[6:7]
	s_and_saveexec_b64 s[6:7], s[4:5]
	s_cbranch_execnz .LBB2_871
	s_branch .LBB2_872
.LBB2_2921:
	s_movk_i32 s4, 0x80
	v_cmp_eq_u16_sdwa s[12:13], v3, s4 src0_sel:BYTE_0 src1_sel:DWORD
	s_mov_b64 s[4:5], -1
                                        ; implicit-def: $sgpr10
	s_and_saveexec_b64 s[8:9], s[12:13]
; %bb.2922:
	s_mov_b32 s10, 0x7f800001
	s_xor_b64 s[4:5], exec, -1
; %bb.2923:
	s_or_b64 exec, exec, s[8:9]
	s_and_b64 s[4:5], s[4:5], exec
	s_or_saveexec_b64 s[6:7], s[6:7]
	v_mov_b32_e32 v2, s10
	s_xor_b64 exec, exec, s[6:7]
	s_cbranch_execz .LBB2_874
.LBB2_2924:
	v_mov_b32_e32 v2, 0
	v_cmp_ne_u16_sdwa s[8:9], v3, v2 src0_sel:BYTE_0 src1_sel:DWORD
	s_andn2_b64 s[4:5], s[4:5], exec
	s_and_b64 s[8:9], s[8:9], exec
	s_or_b64 s[4:5], s[4:5], s[8:9]
	s_or_b64 exec, exec, s[6:7]
	s_and_saveexec_b64 s[6:7], s[4:5]
	s_cbranch_execnz .LBB2_875
	s_branch .LBB2_876
.LBB2_2925:
	s_movk_i32 s4, 0x80
	v_cmp_eq_u16_sdwa s[12:13], v3, s4 src0_sel:BYTE_0 src1_sel:DWORD
	s_mov_b64 s[4:5], -1
                                        ; implicit-def: $sgpr10
	s_and_saveexec_b64 s[8:9], s[12:13]
; %bb.2926:
	s_mov_b32 s10, 0x7f800001
	s_xor_b64 s[4:5], exec, -1
; %bb.2927:
	s_or_b64 exec, exec, s[8:9]
	s_and_b64 s[4:5], s[4:5], exec
	s_or_saveexec_b64 s[6:7], s[6:7]
	v_mov_b32_e32 v4, s10
	s_xor_b64 exec, exec, s[6:7]
	s_cbranch_execz .LBB2_878
.LBB2_2928:
	v_mov_b32_e32 v4, 0
	v_cmp_ne_u16_sdwa s[8:9], v3, v4 src0_sel:BYTE_0 src1_sel:DWORD
	s_andn2_b64 s[4:5], s[4:5], exec
	s_and_b64 s[8:9], s[8:9], exec
	s_or_b64 s[4:5], s[4:5], s[8:9]
	s_or_b64 exec, exec, s[6:7]
	s_and_saveexec_b64 s[6:7], s[4:5]
	s_cbranch_execnz .LBB2_879
	s_branch .LBB2_880
.LBB2_2929:
	s_movk_i32 s4, 0x80
	v_cmp_eq_u16_e32 vcc, s4, v3
	s_mov_b64 s[4:5], -1
                                        ; implicit-def: $sgpr10
	s_and_saveexec_b64 s[8:9], vcc
; %bb.2930:
	s_mov_b32 s10, 0x7f800001
	s_xor_b64 s[4:5], exec, -1
; %bb.2931:
	s_or_b64 exec, exec, s[8:9]
	s_and_b64 s[4:5], s[4:5], exec
                                        ; implicit-def: $vgpr3
	s_or_saveexec_b64 s[6:7], s[6:7]
	v_mov_b32_e32 v2, s10
	s_xor_b64 exec, exec, s[6:7]
	s_cbranch_execz .LBB2_882
.LBB2_2932:
	v_cmp_ne_u16_e32 vcc, 0, v3
	s_andn2_b64 s[4:5], s[4:5], exec
	s_and_b64 s[8:9], vcc, exec
	v_mov_b32_e32 v2, 0
	s_or_b64 s[4:5], s[4:5], s[8:9]
	s_or_b64 exec, exec, s[6:7]
	s_and_saveexec_b64 s[6:7], s[4:5]
	s_cbranch_execnz .LBB2_883
	s_branch .LBB2_884
.LBB2_2933:
	s_movk_i32 s4, 0x80
	v_cmp_eq_u16_e32 vcc, s4, v3
	s_mov_b64 s[4:5], -1
                                        ; implicit-def: $sgpr10
	s_and_saveexec_b64 s[8:9], vcc
; %bb.2934:
	s_mov_b32 s10, 0x7f800001
	s_xor_b64 s[4:5], exec, -1
; %bb.2935:
	s_or_b64 exec, exec, s[8:9]
	s_and_b64 s[4:5], s[4:5], exec
                                        ; implicit-def: $vgpr3
	s_or_saveexec_b64 s[6:7], s[6:7]
	v_mov_b32_e32 v4, s10
	s_xor_b64 exec, exec, s[6:7]
	s_cbranch_execz .LBB2_886
.LBB2_2936:
	v_cmp_ne_u16_e32 vcc, 0, v3
	s_andn2_b64 s[4:5], s[4:5], exec
	s_and_b64 s[8:9], vcc, exec
	v_mov_b32_e32 v4, 0
	s_or_b64 s[4:5], s[4:5], s[8:9]
	s_or_b64 exec, exec, s[6:7]
	s_and_saveexec_b64 s[6:7], s[4:5]
	s_cbranch_execnz .LBB2_887
	s_branch .LBB2_888
.LBB2_2937:
	s_movk_i32 s4, 0x80
	v_cmp_eq_u16_sdwa s[12:13], v9, s4 src0_sel:BYTE_3 src1_sel:DWORD
	s_mov_b64 s[4:5], -1
                                        ; implicit-def: $sgpr10
	s_and_saveexec_b64 s[8:9], s[12:13]
; %bb.2938:
	s_mov_b32 s10, 0x7f800001
	s_xor_b64 s[4:5], exec, -1
; %bb.2939:
	s_or_b64 exec, exec, s[8:9]
	s_and_b64 s[4:5], s[4:5], exec
	s_or_saveexec_b64 s[6:7], s[6:7]
	v_mov_b32_e32 v2, s10
	s_xor_b64 exec, exec, s[6:7]
	s_cbranch_execz .LBB2_890
.LBB2_2940:
	v_mov_b32_e32 v2, 0
	v_cmp_ne_u16_sdwa s[8:9], v9, v2 src0_sel:BYTE_3 src1_sel:DWORD
	s_andn2_b64 s[4:5], s[4:5], exec
	s_and_b64 s[8:9], s[8:9], exec
	s_or_b64 s[4:5], s[4:5], s[8:9]
	s_or_b64 exec, exec, s[6:7]
	s_and_saveexec_b64 s[6:7], s[4:5]
	s_cbranch_execnz .LBB2_891
	s_branch .LBB2_892
.LBB2_2941:
	s_movk_i32 s4, 0x80
	v_cmp_eq_u16_sdwa s[12:13], v5, s4 src0_sel:BYTE_3 src1_sel:DWORD
	s_mov_b64 s[4:5], -1
                                        ; implicit-def: $sgpr10
	s_and_saveexec_b64 s[8:9], s[12:13]
; %bb.2942:
	s_mov_b32 s10, 0x7f800001
	s_xor_b64 s[4:5], exec, -1
; %bb.2943:
	s_or_b64 exec, exec, s[8:9]
	s_and_b64 s[4:5], s[4:5], exec
	s_or_saveexec_b64 s[6:7], s[6:7]
	v_mov_b32_e32 v3, s10
	s_xor_b64 exec, exec, s[6:7]
	s_cbranch_execz .LBB2_894
.LBB2_2944:
	v_mov_b32_e32 v3, 0
	v_cmp_ne_u16_sdwa s[8:9], v5, v3 src0_sel:BYTE_3 src1_sel:DWORD
	s_andn2_b64 s[4:5], s[4:5], exec
	s_and_b64 s[8:9], s[8:9], exec
	s_or_b64 s[4:5], s[4:5], s[8:9]
	s_or_b64 exec, exec, s[6:7]
	s_and_saveexec_b64 s[6:7], s[4:5]
	s_cbranch_execnz .LBB2_895
	s_branch .LBB2_896
.LBB2_2945:
	s_movk_i32 s4, 0x80
	v_cmp_eq_u16_sdwa s[12:13], v6, s4 src0_sel:BYTE_0 src1_sel:DWORD
	s_mov_b64 s[4:5], -1
                                        ; implicit-def: $sgpr10
	s_and_saveexec_b64 s[8:9], s[12:13]
; %bb.2946:
	s_mov_b32 s10, 0x7f800001
	s_xor_b64 s[4:5], exec, -1
; %bb.2947:
	s_or_b64 exec, exec, s[8:9]
	s_and_b64 s[4:5], s[4:5], exec
	s_or_saveexec_b64 s[6:7], s[6:7]
	v_mov_b32_e32 v12, s10
	s_xor_b64 exec, exec, s[6:7]
	s_cbranch_execz .LBB2_898
.LBB2_2948:
	v_mov_b32_e32 v12, 0
	v_cmp_ne_u16_sdwa s[8:9], v6, v12 src0_sel:BYTE_0 src1_sel:DWORD
	s_andn2_b64 s[4:5], s[4:5], exec
	s_and_b64 s[8:9], s[8:9], exec
	s_or_b64 s[4:5], s[4:5], s[8:9]
	s_or_b64 exec, exec, s[6:7]
	s_and_saveexec_b64 s[6:7], s[4:5]
	s_cbranch_execnz .LBB2_899
	s_branch .LBB2_900
.LBB2_2949:
	s_movk_i32 s4, 0x80
	v_cmp_eq_u16_sdwa s[12:13], v2, s4 src0_sel:BYTE_0 src1_sel:DWORD
	s_mov_b64 s[4:5], -1
                                        ; implicit-def: $sgpr10
	s_and_saveexec_b64 s[8:9], s[12:13]
; %bb.2950:
	s_mov_b32 s10, 0x7f800001
	s_xor_b64 s[4:5], exec, -1
; %bb.2951:
	s_or_b64 exec, exec, s[8:9]
	s_and_b64 s[4:5], s[4:5], exec
	s_or_saveexec_b64 s[6:7], s[6:7]
	v_mov_b32_e32 v13, s10
	s_xor_b64 exec, exec, s[6:7]
	s_cbranch_execz .LBB2_902
.LBB2_2952:
	v_mov_b32_e32 v13, 0
	v_cmp_ne_u16_sdwa s[8:9], v2, v13 src0_sel:BYTE_0 src1_sel:DWORD
	s_andn2_b64 s[4:5], s[4:5], exec
	s_and_b64 s[8:9], s[8:9], exec
	s_or_b64 s[4:5], s[4:5], s[8:9]
	s_or_b64 exec, exec, s[6:7]
	s_and_saveexec_b64 s[6:7], s[4:5]
	s_cbranch_execnz .LBB2_903
	s_branch .LBB2_904
.LBB2_2953:
	s_movk_i32 s4, 0x80
	v_cmp_eq_u16_sdwa s[12:13], v13, s4 src0_sel:BYTE_0 src1_sel:DWORD
	s_mov_b64 s[4:5], -1
                                        ; implicit-def: $sgpr10
	s_and_saveexec_b64 s[8:9], s[12:13]
; %bb.2954:
	s_mov_b32 s10, 0x7f800001
	s_xor_b64 s[4:5], exec, -1
; %bb.2955:
	s_or_b64 exec, exec, s[8:9]
	s_and_b64 s[4:5], s[4:5], exec
	s_or_saveexec_b64 s[6:7], s[6:7]
	v_mov_b32_e32 v12, s10
	s_xor_b64 exec, exec, s[6:7]
	s_cbranch_execz .LBB2_906
.LBB2_2956:
	v_mov_b32_e32 v12, 0
	v_cmp_ne_u16_sdwa s[8:9], v13, v12 src0_sel:BYTE_0 src1_sel:DWORD
	s_andn2_b64 s[4:5], s[4:5], exec
	s_and_b64 s[8:9], s[8:9], exec
	s_or_b64 s[4:5], s[4:5], s[8:9]
	s_or_b64 exec, exec, s[6:7]
	s_and_saveexec_b64 s[6:7], s[4:5]
	s_cbranch_execnz .LBB2_907
	s_branch .LBB2_908
.LBB2_2957:
	s_movk_i32 s4, 0x80
	v_cmp_eq_u16_sdwa s[12:13], v13, s4 src0_sel:BYTE_0 src1_sel:DWORD
	s_mov_b64 s[4:5], -1
                                        ; implicit-def: $sgpr10
	s_and_saveexec_b64 s[8:9], s[12:13]
; %bb.2958:
	s_mov_b32 s10, 0x7f800001
	s_xor_b64 s[4:5], exec, -1
; %bb.2959:
	s_or_b64 exec, exec, s[8:9]
	s_and_b64 s[4:5], s[4:5], exec
	s_or_saveexec_b64 s[6:7], s[6:7]
	v_mov_b32_e32 v14, s10
	s_xor_b64 exec, exec, s[6:7]
	s_cbranch_execz .LBB2_910
.LBB2_2960:
	v_mov_b32_e32 v14, 0
	v_cmp_ne_u16_sdwa s[8:9], v13, v14 src0_sel:BYTE_0 src1_sel:DWORD
	s_andn2_b64 s[4:5], s[4:5], exec
	s_and_b64 s[8:9], s[8:9], exec
	s_or_b64 s[4:5], s[4:5], s[8:9]
	s_or_b64 exec, exec, s[6:7]
	s_and_saveexec_b64 s[6:7], s[4:5]
	s_cbranch_execnz .LBB2_911
	s_branch .LBB2_912
.LBB2_2961:
	s_movk_i32 s4, 0x80
	v_cmp_eq_u16_e32 vcc, s4, v13
	s_mov_b64 s[4:5], -1
                                        ; implicit-def: $sgpr10
	s_and_saveexec_b64 s[8:9], vcc
; %bb.2962:
	s_mov_b32 s10, 0x7f800001
	s_xor_b64 s[4:5], exec, -1
; %bb.2963:
	s_or_b64 exec, exec, s[8:9]
	s_and_b64 s[4:5], s[4:5], exec
                                        ; implicit-def: $vgpr13
	s_or_saveexec_b64 s[6:7], s[6:7]
	v_mov_b32_e32 v12, s10
	s_xor_b64 exec, exec, s[6:7]
	s_cbranch_execz .LBB2_914
.LBB2_2964:
	v_cmp_ne_u16_e32 vcc, 0, v13
	s_andn2_b64 s[4:5], s[4:5], exec
	s_and_b64 s[8:9], vcc, exec
	v_mov_b32_e32 v12, 0
	s_or_b64 s[4:5], s[4:5], s[8:9]
	s_or_b64 exec, exec, s[6:7]
	s_and_saveexec_b64 s[6:7], s[4:5]
	s_cbranch_execnz .LBB2_915
	s_branch .LBB2_916
.LBB2_2965:
	s_movk_i32 s4, 0x80
	v_cmp_eq_u16_e32 vcc, s4, v13
	s_mov_b64 s[4:5], -1
                                        ; implicit-def: $sgpr10
	s_and_saveexec_b64 s[8:9], vcc
; %bb.2966:
	s_mov_b32 s10, 0x7f800001
	s_xor_b64 s[4:5], exec, -1
; %bb.2967:
	s_or_b64 exec, exec, s[8:9]
	s_and_b64 s[4:5], s[4:5], exec
                                        ; implicit-def: $vgpr13
	s_or_saveexec_b64 s[6:7], s[6:7]
	v_mov_b32_e32 v14, s10
	s_xor_b64 exec, exec, s[6:7]
	s_cbranch_execz .LBB2_918
.LBB2_2968:
	v_cmp_ne_u16_e32 vcc, 0, v13
	s_andn2_b64 s[4:5], s[4:5], exec
	s_and_b64 s[8:9], vcc, exec
	v_mov_b32_e32 v14, 0
	s_or_b64 s[4:5], s[4:5], s[8:9]
	s_or_b64 exec, exec, s[6:7]
	s_and_saveexec_b64 s[6:7], s[4:5]
	s_cbranch_execnz .LBB2_919
	s_branch .LBB2_920
.LBB2_2969:
	s_movk_i32 s4, 0x80
	v_cmp_eq_u16_sdwa s[12:13], v6, s4 src0_sel:BYTE_3 src1_sel:DWORD
	s_mov_b64 s[4:5], -1
                                        ; implicit-def: $sgpr10
	s_and_saveexec_b64 s[8:9], s[12:13]
; %bb.2970:
	s_mov_b32 s10, 0x7f800001
	s_xor_b64 s[4:5], exec, -1
; %bb.2971:
	s_or_b64 exec, exec, s[8:9]
	s_and_b64 s[4:5], s[4:5], exec
	s_or_saveexec_b64 s[6:7], s[6:7]
	v_mov_b32_e32 v12, s10
	s_xor_b64 exec, exec, s[6:7]
	s_cbranch_execz .LBB2_922
.LBB2_2972:
	v_mov_b32_e32 v12, 0
	v_cmp_ne_u16_sdwa s[8:9], v6, v12 src0_sel:BYTE_3 src1_sel:DWORD
	s_andn2_b64 s[4:5], s[4:5], exec
	s_and_b64 s[8:9], s[8:9], exec
	s_or_b64 s[4:5], s[4:5], s[8:9]
	s_or_b64 exec, exec, s[6:7]
	s_and_saveexec_b64 s[6:7], s[4:5]
	s_cbranch_execnz .LBB2_923
	s_branch .LBB2_924
.LBB2_2973:
	s_movk_i32 s4, 0x80
	v_cmp_eq_u16_sdwa s[12:13], v2, s4 src0_sel:BYTE_3 src1_sel:DWORD
	s_mov_b64 s[4:5], -1
                                        ; implicit-def: $sgpr10
	s_and_saveexec_b64 s[8:9], s[12:13]
; %bb.2974:
	s_mov_b32 s10, 0x7f800001
	s_xor_b64 s[4:5], exec, -1
; %bb.2975:
	s_or_b64 exec, exec, s[8:9]
	s_and_b64 s[4:5], s[4:5], exec
	s_or_saveexec_b64 s[6:7], s[6:7]
	v_mov_b32_e32 v6, s10
	s_xor_b64 exec, exec, s[6:7]
	s_cbranch_execz .LBB2_926
.LBB2_2976:
	v_mov_b32_e32 v6, 0
	v_cmp_ne_u16_sdwa s[8:9], v2, v6 src0_sel:BYTE_3 src1_sel:DWORD
	s_andn2_b64 s[4:5], s[4:5], exec
	s_and_b64 s[8:9], s[8:9], exec
	s_or_b64 s[4:5], s[4:5], s[8:9]
	s_or_b64 exec, exec, s[6:7]
	s_and_saveexec_b64 s[6:7], s[4:5]
	s_cbranch_execnz .LBB2_927
	s_branch .LBB2_928
.LBB2_2977:
	s_movk_i32 s4, 0x80
	v_cmp_eq_u16_sdwa s[12:13], v7, s4 src0_sel:BYTE_0 src1_sel:DWORD
	s_mov_b64 s[4:5], -1
                                        ; implicit-def: $sgpr10
	s_and_saveexec_b64 s[8:9], s[12:13]
; %bb.2978:
	s_mov_b32 s10, 0x7f800001
	s_xor_b64 s[4:5], exec, -1
; %bb.2979:
	s_or_b64 exec, exec, s[8:9]
	s_and_b64 s[4:5], s[4:5], exec
	s_or_saveexec_b64 s[6:7], s[6:7]
	v_mov_b32_e32 v2, s10
	s_xor_b64 exec, exec, s[6:7]
	s_cbranch_execz .LBB2_930
.LBB2_2980:
	v_mov_b32_e32 v2, 0
	v_cmp_ne_u16_sdwa s[8:9], v7, v2 src0_sel:BYTE_0 src1_sel:DWORD
	s_andn2_b64 s[4:5], s[4:5], exec
	s_and_b64 s[8:9], s[8:9], exec
	s_or_b64 s[4:5], s[4:5], s[8:9]
	s_or_b64 exec, exec, s[6:7]
	s_and_saveexec_b64 s[6:7], s[4:5]
	s_cbranch_execnz .LBB2_931
	s_branch .LBB2_932
.LBB2_2981:
	s_movk_i32 s4, 0x80
	v_cmp_eq_u16_sdwa s[12:13], v3, s4 src0_sel:BYTE_0 src1_sel:DWORD
	s_mov_b64 s[4:5], -1
                                        ; implicit-def: $sgpr10
	s_and_saveexec_b64 s[8:9], s[12:13]
; %bb.2982:
	s_mov_b32 s10, 0x7f800001
	s_xor_b64 s[4:5], exec, -1
; %bb.2983:
	s_or_b64 exec, exec, s[8:9]
	s_and_b64 s[4:5], s[4:5], exec
	s_or_saveexec_b64 s[6:7], s[6:7]
	v_mov_b32_e32 v6, s10
	s_xor_b64 exec, exec, s[6:7]
	s_cbranch_execz .LBB2_934
.LBB2_2984:
	v_mov_b32_e32 v6, 0
	v_cmp_ne_u16_sdwa s[8:9], v3, v6 src0_sel:BYTE_0 src1_sel:DWORD
	s_andn2_b64 s[4:5], s[4:5], exec
	s_and_b64 s[8:9], s[8:9], exec
	s_or_b64 s[4:5], s[4:5], s[8:9]
	s_or_b64 exec, exec, s[6:7]
	s_and_saveexec_b64 s[6:7], s[4:5]
	s_cbranch_execnz .LBB2_935
	s_branch .LBB2_936
.LBB2_2985:
	s_movk_i32 s4, 0x80
	v_cmp_eq_u16_sdwa s[12:13], v6, s4 src0_sel:BYTE_0 src1_sel:DWORD
	s_mov_b64 s[4:5], -1
                                        ; implicit-def: $sgpr10
	s_and_saveexec_b64 s[8:9], s[12:13]
; %bb.2986:
	s_mov_b32 s10, 0x7f800001
	s_xor_b64 s[4:5], exec, -1
; %bb.2987:
	s_or_b64 exec, exec, s[8:9]
	s_and_b64 s[4:5], s[4:5], exec
	s_or_saveexec_b64 s[6:7], s[6:7]
	v_mov_b32_e32 v2, s10
	s_xor_b64 exec, exec, s[6:7]
	s_cbranch_execz .LBB2_938
.LBB2_2988:
	v_mov_b32_e32 v2, 0
	v_cmp_ne_u16_sdwa s[8:9], v6, v2 src0_sel:BYTE_0 src1_sel:DWORD
	s_andn2_b64 s[4:5], s[4:5], exec
	s_and_b64 s[8:9], s[8:9], exec
	s_or_b64 s[4:5], s[4:5], s[8:9]
	s_or_b64 exec, exec, s[6:7]
	s_and_saveexec_b64 s[6:7], s[4:5]
	s_cbranch_execnz .LBB2_939
	s_branch .LBB2_940
.LBB2_2989:
	s_movk_i32 s4, 0x80
	v_cmp_eq_u16_sdwa s[12:13], v6, s4 src0_sel:BYTE_0 src1_sel:DWORD
	s_mov_b64 s[4:5], -1
                                        ; implicit-def: $sgpr10
	s_and_saveexec_b64 s[8:9], s[12:13]
; %bb.2990:
	s_mov_b32 s10, 0x7f800001
	s_xor_b64 s[4:5], exec, -1
; %bb.2991:
	s_or_b64 exec, exec, s[8:9]
	s_and_b64 s[4:5], s[4:5], exec
	s_or_saveexec_b64 s[6:7], s[6:7]
	v_mov_b32_e32 v12, s10
	s_xor_b64 exec, exec, s[6:7]
	s_cbranch_execz .LBB2_942
.LBB2_2992:
	v_mov_b32_e32 v12, 0
	v_cmp_ne_u16_sdwa s[8:9], v6, v12 src0_sel:BYTE_0 src1_sel:DWORD
	s_andn2_b64 s[4:5], s[4:5], exec
	s_and_b64 s[8:9], s[8:9], exec
	s_or_b64 s[4:5], s[4:5], s[8:9]
	s_or_b64 exec, exec, s[6:7]
	s_and_saveexec_b64 s[6:7], s[4:5]
	s_cbranch_execnz .LBB2_943
	s_branch .LBB2_944
.LBB2_2993:
	s_movk_i32 s4, 0x80
	v_cmp_eq_u16_e32 vcc, s4, v6
	s_mov_b64 s[4:5], -1
                                        ; implicit-def: $sgpr10
	s_and_saveexec_b64 s[8:9], vcc
; %bb.2994:
	s_mov_b32 s10, 0x7f800001
	s_xor_b64 s[4:5], exec, -1
; %bb.2995:
	s_or_b64 exec, exec, s[8:9]
	s_and_b64 s[4:5], s[4:5], exec
                                        ; implicit-def: $vgpr6
	s_or_saveexec_b64 s[6:7], s[6:7]
	v_mov_b32_e32 v2, s10
	s_xor_b64 exec, exec, s[6:7]
	s_cbranch_execz .LBB2_946
.LBB2_2996:
	v_cmp_ne_u16_e32 vcc, 0, v6
	s_andn2_b64 s[4:5], s[4:5], exec
	s_and_b64 s[8:9], vcc, exec
	v_mov_b32_e32 v2, 0
	s_or_b64 s[4:5], s[4:5], s[8:9]
	s_or_b64 exec, exec, s[6:7]
	s_and_saveexec_b64 s[6:7], s[4:5]
	s_cbranch_execnz .LBB2_947
	s_branch .LBB2_948
.LBB2_2997:
	s_movk_i32 s4, 0x80
	v_cmp_eq_u16_e32 vcc, s4, v6
	s_mov_b64 s[4:5], -1
                                        ; implicit-def: $sgpr10
	s_and_saveexec_b64 s[8:9], vcc
; %bb.2998:
	s_mov_b32 s10, 0x7f800001
	s_xor_b64 s[4:5], exec, -1
; %bb.2999:
	s_or_b64 exec, exec, s[8:9]
	s_and_b64 s[4:5], s[4:5], exec
                                        ; implicit-def: $vgpr6
	s_or_saveexec_b64 s[6:7], s[6:7]
	v_mov_b32_e32 v12, s10
	s_xor_b64 exec, exec, s[6:7]
	s_cbranch_execz .LBB2_950
.LBB2_3000:
	v_cmp_ne_u16_e32 vcc, 0, v6
	s_andn2_b64 s[4:5], s[4:5], exec
	s_and_b64 s[8:9], vcc, exec
	v_mov_b32_e32 v12, 0
	s_or_b64 s[4:5], s[4:5], s[8:9]
	s_or_b64 exec, exec, s[6:7]
	s_and_saveexec_b64 s[6:7], s[4:5]
	s_cbranch_execnz .LBB2_951
	s_branch .LBB2_952
.LBB2_3001:
	s_movk_i32 s4, 0x80
	v_cmp_eq_u16_sdwa s[12:13], v7, s4 src0_sel:BYTE_3 src1_sel:DWORD
	s_mov_b64 s[4:5], -1
                                        ; implicit-def: $sgpr10
	s_and_saveexec_b64 s[8:9], s[12:13]
; %bb.3002:
	s_mov_b32 s10, 0x7f800001
	s_xor_b64 s[4:5], exec, -1
; %bb.3003:
	s_or_b64 exec, exec, s[8:9]
	s_and_b64 s[4:5], s[4:5], exec
	s_or_saveexec_b64 s[6:7], s[6:7]
	v_mov_b32_e32 v2, s10
	s_xor_b64 exec, exec, s[6:7]
	s_cbranch_execz .LBB2_954
.LBB2_3004:
	v_mov_b32_e32 v2, 0
	v_cmp_ne_u16_sdwa s[8:9], v7, v2 src0_sel:BYTE_3 src1_sel:DWORD
	s_andn2_b64 s[4:5], s[4:5], exec
	s_and_b64 s[8:9], s[8:9], exec
	s_or_b64 s[4:5], s[4:5], s[8:9]
	s_or_b64 exec, exec, s[6:7]
	s_and_saveexec_b64 s[6:7], s[4:5]
	s_cbranch_execnz .LBB2_955
	s_branch .LBB2_956
.LBB2_3005:
	s_movk_i32 s4, 0x80
	v_cmp_eq_u16_sdwa s[12:13], v3, s4 src0_sel:BYTE_3 src1_sel:DWORD
	s_mov_b64 s[4:5], -1
                                        ; implicit-def: $sgpr10
	s_and_saveexec_b64 s[8:9], s[12:13]
; %bb.3006:
	s_mov_b32 s10, 0x7f800001
	s_xor_b64 s[4:5], exec, -1
; %bb.3007:
	s_or_b64 exec, exec, s[8:9]
	s_and_b64 s[4:5], s[4:5], exec
	s_or_saveexec_b64 s[6:7], s[6:7]
	v_mov_b32_e32 v6, s10
	s_xor_b64 exec, exec, s[6:7]
	s_cbranch_execz .LBB2_958
.LBB2_3008:
	v_mov_b32_e32 v6, 0
	v_cmp_ne_u16_sdwa s[8:9], v3, v6 src0_sel:BYTE_3 src1_sel:DWORD
	s_andn2_b64 s[4:5], s[4:5], exec
	s_and_b64 s[8:9], s[8:9], exec
	s_or_b64 s[4:5], s[4:5], s[8:9]
	s_or_b64 exec, exec, s[6:7]
	s_and_saveexec_b64 s[6:7], s[4:5]
	s_cbranch_execnz .LBB2_959
	s_branch .LBB2_960
.LBB2_3009:
	s_movk_i32 s4, 0x80
	v_cmp_eq_u16_sdwa s[12:13], v8, s4 src0_sel:BYTE_0 src1_sel:DWORD
	s_mov_b64 s[4:5], -1
                                        ; implicit-def: $sgpr10
	s_and_saveexec_b64 s[8:9], s[12:13]
; %bb.3010:
	s_mov_b32 s10, 0x7f800001
	s_xor_b64 s[4:5], exec, -1
; %bb.3011:
	s_or_b64 exec, exec, s[8:9]
	s_and_b64 s[4:5], s[4:5], exec
	s_or_saveexec_b64 s[6:7], s[6:7]
	v_mov_b32_e32 v2, s10
	s_xor_b64 exec, exec, s[6:7]
	s_cbranch_execz .LBB2_962
.LBB2_3012:
	v_mov_b32_e32 v2, 0
	v_cmp_ne_u16_sdwa s[8:9], v8, v2 src0_sel:BYTE_0 src1_sel:DWORD
	s_andn2_b64 s[4:5], s[4:5], exec
	s_and_b64 s[8:9], s[8:9], exec
	s_or_b64 s[4:5], s[4:5], s[8:9]
	s_or_b64 exec, exec, s[6:7]
	s_and_saveexec_b64 s[6:7], s[4:5]
	s_cbranch_execnz .LBB2_963
	s_branch .LBB2_964
.LBB2_3013:
	s_movk_i32 s4, 0x80
	v_cmp_eq_u16_sdwa s[12:13], v4, s4 src0_sel:BYTE_0 src1_sel:DWORD
	s_mov_b64 s[4:5], -1
                                        ; implicit-def: $sgpr10
	s_and_saveexec_b64 s[8:9], s[12:13]
; %bb.3014:
	s_mov_b32 s10, 0x7f800001
	s_xor_b64 s[4:5], exec, -1
; %bb.3015:
	s_or_b64 exec, exec, s[8:9]
	s_and_b64 s[4:5], s[4:5], exec
	s_or_saveexec_b64 s[6:7], s[6:7]
	v_mov_b32_e32 v3, s10
	s_xor_b64 exec, exec, s[6:7]
	s_cbranch_execz .LBB2_966
.LBB2_3016:
	v_mov_b32_e32 v3, 0
	v_cmp_ne_u16_sdwa s[8:9], v4, v3 src0_sel:BYTE_0 src1_sel:DWORD
	s_andn2_b64 s[4:5], s[4:5], exec
	s_and_b64 s[8:9], s[8:9], exec
	s_or_b64 s[4:5], s[4:5], s[8:9]
	s_or_b64 exec, exec, s[6:7]
	s_and_saveexec_b64 s[6:7], s[4:5]
	s_cbranch_execnz .LBB2_967
	s_branch .LBB2_968
.LBB2_3017:
	s_movk_i32 s4, 0x80
	v_cmp_eq_u16_sdwa s[12:13], v3, s4 src0_sel:BYTE_0 src1_sel:DWORD
	s_mov_b64 s[4:5], -1
                                        ; implicit-def: $sgpr10
	s_and_saveexec_b64 s[8:9], s[12:13]
; %bb.3018:
	s_mov_b32 s10, 0x7f800001
	s_xor_b64 s[4:5], exec, -1
; %bb.3019:
	s_or_b64 exec, exec, s[8:9]
	s_and_b64 s[4:5], s[4:5], exec
	s_or_saveexec_b64 s[6:7], s[6:7]
	v_mov_b32_e32 v2, s10
	s_xor_b64 exec, exec, s[6:7]
	s_cbranch_execz .LBB2_970
.LBB2_3020:
	v_mov_b32_e32 v2, 0
	v_cmp_ne_u16_sdwa s[8:9], v3, v2 src0_sel:BYTE_0 src1_sel:DWORD
	s_andn2_b64 s[4:5], s[4:5], exec
	s_and_b64 s[8:9], s[8:9], exec
	s_or_b64 s[4:5], s[4:5], s[8:9]
	s_or_b64 exec, exec, s[6:7]
	s_and_saveexec_b64 s[6:7], s[4:5]
	s_cbranch_execnz .LBB2_971
	s_branch .LBB2_972
.LBB2_3021:
	s_movk_i32 s4, 0x80
	v_cmp_eq_u16_sdwa s[12:13], v3, s4 src0_sel:BYTE_0 src1_sel:DWORD
	s_mov_b64 s[4:5], -1
                                        ; implicit-def: $sgpr10
	s_and_saveexec_b64 s[8:9], s[12:13]
; %bb.3022:
	s_mov_b32 s10, 0x7f800001
	s_xor_b64 s[4:5], exec, -1
; %bb.3023:
	s_or_b64 exec, exec, s[8:9]
	s_and_b64 s[4:5], s[4:5], exec
	s_or_saveexec_b64 s[6:7], s[6:7]
	v_mov_b32_e32 v6, s10
	s_xor_b64 exec, exec, s[6:7]
	s_cbranch_execz .LBB2_974
.LBB2_3024:
	v_mov_b32_e32 v6, 0
	v_cmp_ne_u16_sdwa s[8:9], v3, v6 src0_sel:BYTE_0 src1_sel:DWORD
	s_andn2_b64 s[4:5], s[4:5], exec
	s_and_b64 s[8:9], s[8:9], exec
	s_or_b64 s[4:5], s[4:5], s[8:9]
	s_or_b64 exec, exec, s[6:7]
	s_and_saveexec_b64 s[6:7], s[4:5]
	s_cbranch_execnz .LBB2_975
	s_branch .LBB2_976
.LBB2_3025:
	s_movk_i32 s4, 0x80
	v_cmp_eq_u16_e32 vcc, s4, v3
	s_mov_b64 s[4:5], -1
                                        ; implicit-def: $sgpr10
	s_and_saveexec_b64 s[8:9], vcc
; %bb.3026:
	s_mov_b32 s10, 0x7f800001
	s_xor_b64 s[4:5], exec, -1
; %bb.3027:
	s_or_b64 exec, exec, s[8:9]
	s_and_b64 s[4:5], s[4:5], exec
                                        ; implicit-def: $vgpr3
	s_or_saveexec_b64 s[6:7], s[6:7]
	v_mov_b32_e32 v2, s10
	s_xor_b64 exec, exec, s[6:7]
	s_cbranch_execz .LBB2_978
.LBB2_3028:
	v_cmp_ne_u16_e32 vcc, 0, v3
	s_andn2_b64 s[4:5], s[4:5], exec
	s_and_b64 s[8:9], vcc, exec
	v_mov_b32_e32 v2, 0
	s_or_b64 s[4:5], s[4:5], s[8:9]
	s_or_b64 exec, exec, s[6:7]
	s_and_saveexec_b64 s[6:7], s[4:5]
	s_cbranch_execnz .LBB2_979
	s_branch .LBB2_980
.LBB2_3029:
	s_movk_i32 s4, 0x80
	v_cmp_eq_u16_e32 vcc, s4, v3
	s_mov_b64 s[4:5], -1
                                        ; implicit-def: $sgpr10
	s_and_saveexec_b64 s[8:9], vcc
; %bb.3030:
	s_mov_b32 s10, 0x7f800001
	s_xor_b64 s[4:5], exec, -1
; %bb.3031:
	s_or_b64 exec, exec, s[8:9]
	s_and_b64 s[4:5], s[4:5], exec
                                        ; implicit-def: $vgpr3
	s_or_saveexec_b64 s[6:7], s[6:7]
	v_mov_b32_e32 v6, s10
	s_xor_b64 exec, exec, s[6:7]
	s_cbranch_execz .LBB2_982
.LBB2_3032:
	v_cmp_ne_u16_e32 vcc, 0, v3
	s_andn2_b64 s[4:5], s[4:5], exec
	s_and_b64 s[8:9], vcc, exec
	v_mov_b32_e32 v6, 0
	s_or_b64 s[4:5], s[4:5], s[8:9]
	s_or_b64 exec, exec, s[6:7]
	s_and_saveexec_b64 s[6:7], s[4:5]
	s_cbranch_execnz .LBB2_983
	s_branch .LBB2_984
.LBB2_3033:
	s_movk_i32 s4, 0x80
	v_cmp_eq_u16_sdwa s[12:13], v8, s4 src0_sel:BYTE_3 src1_sel:DWORD
	s_mov_b64 s[4:5], -1
                                        ; implicit-def: $sgpr10
	s_and_saveexec_b64 s[8:9], s[12:13]
; %bb.3034:
	s_mov_b32 s10, 0x7f800001
	s_xor_b64 s[4:5], exec, -1
; %bb.3035:
	s_or_b64 exec, exec, s[8:9]
	s_and_b64 s[4:5], s[4:5], exec
	s_or_saveexec_b64 s[6:7], s[6:7]
	v_mov_b32_e32 v2, s10
	s_xor_b64 exec, exec, s[6:7]
	s_cbranch_execz .LBB2_986
.LBB2_3036:
	v_mov_b32_e32 v2, 0
	v_cmp_ne_u16_sdwa s[8:9], v8, v2 src0_sel:BYTE_3 src1_sel:DWORD
	s_andn2_b64 s[4:5], s[4:5], exec
	s_and_b64 s[8:9], s[8:9], exec
	s_or_b64 s[4:5], s[4:5], s[8:9]
	s_or_b64 exec, exec, s[6:7]
	s_and_saveexec_b64 s[6:7], s[4:5]
	s_cbranch_execnz .LBB2_987
	s_branch .LBB2_988
.LBB2_3037:
	s_movk_i32 s4, 0x80
	v_cmp_eq_u16_sdwa s[12:13], v4, s4 src0_sel:BYTE_3 src1_sel:DWORD
	s_mov_b64 s[4:5], -1
                                        ; implicit-def: $sgpr10
	s_and_saveexec_b64 s[8:9], s[12:13]
; %bb.3038:
	s_mov_b32 s10, 0x7f800001
	s_xor_b64 s[4:5], exec, -1
; %bb.3039:
	s_or_b64 exec, exec, s[8:9]
	s_and_b64 s[4:5], s[4:5], exec
	s_or_saveexec_b64 s[6:7], s[6:7]
	v_mov_b32_e32 v3, s10
	s_xor_b64 exec, exec, s[6:7]
	s_cbranch_execz .LBB2_990
.LBB2_3040:
	v_mov_b32_e32 v3, 0
	v_cmp_ne_u16_sdwa s[8:9], v4, v3 src0_sel:BYTE_3 src1_sel:DWORD
	s_andn2_b64 s[4:5], s[4:5], exec
	s_and_b64 s[8:9], s[8:9], exec
	s_or_b64 s[4:5], s[4:5], s[8:9]
	s_or_b64 exec, exec, s[6:7]
	s_and_saveexec_b64 s[6:7], s[4:5]
	s_cbranch_execnz .LBB2_991
	s_branch .LBB2_992
.LBB2_3041:
	s_movk_i32 s4, 0x80
	v_cmp_eq_u16_sdwa s[12:13], v9, s4 src0_sel:BYTE_0 src1_sel:DWORD
	s_mov_b64 s[4:5], -1
                                        ; implicit-def: $sgpr10
	s_and_saveexec_b64 s[8:9], s[12:13]
; %bb.3042:
	s_mov_b32 s10, 0x7f800001
	s_xor_b64 s[4:5], exec, -1
; %bb.3043:
	s_or_b64 exec, exec, s[8:9]
	s_and_b64 s[4:5], s[4:5], exec
	s_or_saveexec_b64 s[6:7], s[6:7]
	v_mov_b32_e32 v2, s10
	s_xor_b64 exec, exec, s[6:7]
	s_cbranch_execz .LBB2_994
.LBB2_3044:
	v_mov_b32_e32 v2, 0
	v_cmp_ne_u16_sdwa s[8:9], v9, v2 src0_sel:BYTE_0 src1_sel:DWORD
	s_andn2_b64 s[4:5], s[4:5], exec
	s_and_b64 s[8:9], s[8:9], exec
	s_or_b64 s[4:5], s[4:5], s[8:9]
	s_or_b64 exec, exec, s[6:7]
	s_and_saveexec_b64 s[6:7], s[4:5]
	s_cbranch_execnz .LBB2_995
	s_branch .LBB2_996
.LBB2_3045:
	s_movk_i32 s4, 0x80
	v_cmp_eq_u16_sdwa s[12:13], v5, s4 src0_sel:BYTE_0 src1_sel:DWORD
	s_mov_b64 s[4:5], -1
                                        ; implicit-def: $sgpr10
	s_and_saveexec_b64 s[8:9], s[12:13]
; %bb.3046:
	s_mov_b32 s10, 0x7f800001
	s_xor_b64 s[4:5], exec, -1
; %bb.3047:
	s_or_b64 exec, exec, s[8:9]
	s_and_b64 s[4:5], s[4:5], exec
	s_or_saveexec_b64 s[6:7], s[6:7]
	v_mov_b32_e32 v3, s10
	s_xor_b64 exec, exec, s[6:7]
	s_cbranch_execz .LBB2_998
.LBB2_3048:
	v_mov_b32_e32 v3, 0
	v_cmp_ne_u16_sdwa s[8:9], v5, v3 src0_sel:BYTE_0 src1_sel:DWORD
	s_andn2_b64 s[4:5], s[4:5], exec
	s_and_b64 s[8:9], s[8:9], exec
	s_or_b64 s[4:5], s[4:5], s[8:9]
	s_or_b64 exec, exec, s[6:7]
	s_and_saveexec_b64 s[6:7], s[4:5]
	s_cbranch_execnz .LBB2_999
	s_branch .LBB2_1000
.LBB2_3049:
	s_movk_i32 s4, 0x80
	v_cmp_eq_u16_sdwa s[12:13], v3, s4 src0_sel:BYTE_0 src1_sel:DWORD
	s_mov_b64 s[4:5], -1
                                        ; implicit-def: $sgpr10
	s_and_saveexec_b64 s[8:9], s[12:13]
; %bb.3050:
	s_mov_b32 s10, 0x7f800001
	s_xor_b64 s[4:5], exec, -1
; %bb.3051:
	s_or_b64 exec, exec, s[8:9]
	s_and_b64 s[4:5], s[4:5], exec
	s_or_saveexec_b64 s[6:7], s[6:7]
	v_mov_b32_e32 v2, s10
	s_xor_b64 exec, exec, s[6:7]
	s_cbranch_execz .LBB2_1002
.LBB2_3052:
	v_mov_b32_e32 v2, 0
	v_cmp_ne_u16_sdwa s[8:9], v3, v2 src0_sel:BYTE_0 src1_sel:DWORD
	s_andn2_b64 s[4:5], s[4:5], exec
	s_and_b64 s[8:9], s[8:9], exec
	s_or_b64 s[4:5], s[4:5], s[8:9]
	s_or_b64 exec, exec, s[6:7]
	s_and_saveexec_b64 s[6:7], s[4:5]
	s_cbranch_execnz .LBB2_1003
	s_branch .LBB2_1004
.LBB2_3053:
	s_movk_i32 s4, 0x80
	v_cmp_eq_u16_sdwa s[12:13], v3, s4 src0_sel:BYTE_0 src1_sel:DWORD
	s_mov_b64 s[4:5], -1
                                        ; implicit-def: $sgpr10
	s_and_saveexec_b64 s[8:9], s[12:13]
; %bb.3054:
	s_mov_b32 s10, 0x7f800001
	s_xor_b64 s[4:5], exec, -1
; %bb.3055:
	s_or_b64 exec, exec, s[8:9]
	s_and_b64 s[4:5], s[4:5], exec
	s_or_saveexec_b64 s[6:7], s[6:7]
	v_mov_b32_e32 v4, s10
	s_xor_b64 exec, exec, s[6:7]
	s_cbranch_execz .LBB2_1006
.LBB2_3056:
	v_mov_b32_e32 v4, 0
	v_cmp_ne_u16_sdwa s[8:9], v3, v4 src0_sel:BYTE_0 src1_sel:DWORD
	s_andn2_b64 s[4:5], s[4:5], exec
	s_and_b64 s[8:9], s[8:9], exec
	s_or_b64 s[4:5], s[4:5], s[8:9]
	s_or_b64 exec, exec, s[6:7]
	s_and_saveexec_b64 s[6:7], s[4:5]
	s_cbranch_execnz .LBB2_1007
	s_branch .LBB2_1008
.LBB2_3057:
	s_movk_i32 s4, 0x80
	v_cmp_eq_u16_e32 vcc, s4, v3
	s_mov_b64 s[4:5], -1
                                        ; implicit-def: $sgpr10
	s_and_saveexec_b64 s[8:9], vcc
; %bb.3058:
	s_mov_b32 s10, 0x7f800001
	s_xor_b64 s[4:5], exec, -1
; %bb.3059:
	s_or_b64 exec, exec, s[8:9]
	s_and_b64 s[4:5], s[4:5], exec
                                        ; implicit-def: $vgpr3
	s_or_saveexec_b64 s[6:7], s[6:7]
	v_mov_b32_e32 v2, s10
	s_xor_b64 exec, exec, s[6:7]
	s_cbranch_execz .LBB2_1010
.LBB2_3060:
	v_cmp_ne_u16_e32 vcc, 0, v3
	s_andn2_b64 s[4:5], s[4:5], exec
	s_and_b64 s[8:9], vcc, exec
	v_mov_b32_e32 v2, 0
	s_or_b64 s[4:5], s[4:5], s[8:9]
	s_or_b64 exec, exec, s[6:7]
	s_and_saveexec_b64 s[6:7], s[4:5]
	s_cbranch_execnz .LBB2_1011
	s_branch .LBB2_1012
.LBB2_3061:
	s_movk_i32 s4, 0x80
	v_cmp_eq_u16_e32 vcc, s4, v3
	s_mov_b64 s[4:5], -1
                                        ; implicit-def: $sgpr10
	s_and_saveexec_b64 s[8:9], vcc
; %bb.3062:
	s_mov_b32 s10, 0x7f800001
	s_xor_b64 s[4:5], exec, -1
; %bb.3063:
	s_or_b64 exec, exec, s[8:9]
	s_and_b64 s[4:5], s[4:5], exec
                                        ; implicit-def: $vgpr3
	s_or_saveexec_b64 s[6:7], s[6:7]
	v_mov_b32_e32 v4, s10
	s_xor_b64 exec, exec, s[6:7]
	s_cbranch_execz .LBB2_1014
.LBB2_3064:
	v_cmp_ne_u16_e32 vcc, 0, v3
	s_andn2_b64 s[4:5], s[4:5], exec
	s_and_b64 s[8:9], vcc, exec
	v_mov_b32_e32 v4, 0
	s_or_b64 s[4:5], s[4:5], s[8:9]
	s_or_b64 exec, exec, s[6:7]
	s_and_saveexec_b64 s[6:7], s[4:5]
	s_cbranch_execnz .LBB2_1015
	s_branch .LBB2_1016
.LBB2_3065:
	s_movk_i32 s4, 0x80
	v_cmp_eq_u16_sdwa s[12:13], v9, s4 src0_sel:BYTE_3 src1_sel:DWORD
	s_mov_b64 s[4:5], -1
                                        ; implicit-def: $sgpr10
	s_and_saveexec_b64 s[8:9], s[12:13]
; %bb.3066:
	s_mov_b32 s10, 0x7f800001
	s_xor_b64 s[4:5], exec, -1
; %bb.3067:
	s_or_b64 exec, exec, s[8:9]
	s_and_b64 s[4:5], s[4:5], exec
	s_or_saveexec_b64 s[6:7], s[6:7]
	v_mov_b32_e32 v2, s10
	s_xor_b64 exec, exec, s[6:7]
	s_cbranch_execz .LBB2_1018
.LBB2_3068:
	v_mov_b32_e32 v2, 0
	v_cmp_ne_u16_sdwa s[8:9], v9, v2 src0_sel:BYTE_3 src1_sel:DWORD
	s_andn2_b64 s[4:5], s[4:5], exec
	s_and_b64 s[8:9], s[8:9], exec
	s_or_b64 s[4:5], s[4:5], s[8:9]
	s_or_b64 exec, exec, s[6:7]
	s_and_saveexec_b64 s[6:7], s[4:5]
	s_cbranch_execnz .LBB2_1019
	s_branch .LBB2_1020
.LBB2_3069:
	s_movk_i32 s4, 0x80
	v_cmp_eq_u16_sdwa s[12:13], v5, s4 src0_sel:BYTE_3 src1_sel:DWORD
	s_mov_b64 s[4:5], -1
                                        ; implicit-def: $sgpr10
	s_and_saveexec_b64 s[8:9], s[12:13]
; %bb.3070:
	s_mov_b32 s10, 0x7f800001
	s_xor_b64 s[4:5], exec, -1
; %bb.3071:
	s_or_b64 exec, exec, s[8:9]
	s_and_b64 s[4:5], s[4:5], exec
	s_or_saveexec_b64 s[6:7], s[6:7]
	v_mov_b32_e32 v3, s10
	s_xor_b64 exec, exec, s[6:7]
	s_cbranch_execz .LBB2_1022
.LBB2_3072:
	v_mov_b32_e32 v3, 0
	v_cmp_ne_u16_sdwa s[8:9], v5, v3 src0_sel:BYTE_3 src1_sel:DWORD
	s_andn2_b64 s[4:5], s[4:5], exec
	s_and_b64 s[8:9], s[8:9], exec
	s_or_b64 s[4:5], s[4:5], s[8:9]
	s_or_b64 exec, exec, s[6:7]
	s_and_saveexec_b64 s[6:7], s[4:5]
	s_cbranch_execnz .LBB2_1023
	s_branch .LBB2_1024
.LBB2_3073:
	s_movk_i32 s4, 0x80
	v_cmp_eq_u16_sdwa s[12:13], v6, s4 src0_sel:BYTE_0 src1_sel:DWORD
	s_mov_b64 s[4:5], -1
                                        ; implicit-def: $sgpr10
	s_and_saveexec_b64 s[8:9], s[12:13]
; %bb.3074:
	s_mov_b32 s10, 0x7f800001
	s_xor_b64 s[4:5], exec, -1
; %bb.3075:
	s_or_b64 exec, exec, s[8:9]
	s_and_b64 s[4:5], s[4:5], exec
	s_or_saveexec_b64 s[6:7], s[6:7]
	v_mov_b32_e32 v12, s10
	s_xor_b64 exec, exec, s[6:7]
	s_cbranch_execz .LBB2_1026
.LBB2_3076:
	v_mov_b32_e32 v12, 0
	v_cmp_ne_u16_sdwa s[8:9], v6, v12 src0_sel:BYTE_0 src1_sel:DWORD
	s_andn2_b64 s[4:5], s[4:5], exec
	s_and_b64 s[8:9], s[8:9], exec
	s_or_b64 s[4:5], s[4:5], s[8:9]
	s_or_b64 exec, exec, s[6:7]
	s_and_saveexec_b64 s[6:7], s[4:5]
	s_cbranch_execnz .LBB2_1027
	s_branch .LBB2_1028
.LBB2_3077:
	s_movk_i32 s4, 0x80
	v_cmp_eq_u16_sdwa s[12:13], v2, s4 src0_sel:BYTE_0 src1_sel:DWORD
	s_mov_b64 s[4:5], -1
                                        ; implicit-def: $sgpr10
	s_and_saveexec_b64 s[8:9], s[12:13]
; %bb.3078:
	s_mov_b32 s10, 0x7f800001
	s_xor_b64 s[4:5], exec, -1
; %bb.3079:
	s_or_b64 exec, exec, s[8:9]
	s_and_b64 s[4:5], s[4:5], exec
	s_or_saveexec_b64 s[6:7], s[6:7]
	v_mov_b32_e32 v13, s10
	s_xor_b64 exec, exec, s[6:7]
	s_cbranch_execz .LBB2_1030
.LBB2_3080:
	v_mov_b32_e32 v13, 0
	v_cmp_ne_u16_sdwa s[8:9], v2, v13 src0_sel:BYTE_0 src1_sel:DWORD
	s_andn2_b64 s[4:5], s[4:5], exec
	s_and_b64 s[8:9], s[8:9], exec
	s_or_b64 s[4:5], s[4:5], s[8:9]
	s_or_b64 exec, exec, s[6:7]
	s_and_saveexec_b64 s[6:7], s[4:5]
	s_cbranch_execnz .LBB2_1031
	s_branch .LBB2_1032
.LBB2_3081:
	s_movk_i32 s4, 0x80
	v_cmp_eq_u16_sdwa s[12:13], v13, s4 src0_sel:BYTE_0 src1_sel:DWORD
	s_mov_b64 s[4:5], -1
                                        ; implicit-def: $sgpr10
	s_and_saveexec_b64 s[8:9], s[12:13]
; %bb.3082:
	s_mov_b32 s10, 0x7f800001
	s_xor_b64 s[4:5], exec, -1
; %bb.3083:
	s_or_b64 exec, exec, s[8:9]
	s_and_b64 s[4:5], s[4:5], exec
	s_or_saveexec_b64 s[6:7], s[6:7]
	v_mov_b32_e32 v12, s10
	s_xor_b64 exec, exec, s[6:7]
	s_cbranch_execz .LBB2_1034
.LBB2_3084:
	v_mov_b32_e32 v12, 0
	v_cmp_ne_u16_sdwa s[8:9], v13, v12 src0_sel:BYTE_0 src1_sel:DWORD
	s_andn2_b64 s[4:5], s[4:5], exec
	s_and_b64 s[8:9], s[8:9], exec
	s_or_b64 s[4:5], s[4:5], s[8:9]
	s_or_b64 exec, exec, s[6:7]
	s_and_saveexec_b64 s[6:7], s[4:5]
	s_cbranch_execnz .LBB2_1035
	s_branch .LBB2_1036
.LBB2_3085:
	s_movk_i32 s4, 0x80
	v_cmp_eq_u16_sdwa s[12:13], v13, s4 src0_sel:BYTE_0 src1_sel:DWORD
	s_mov_b64 s[4:5], -1
                                        ; implicit-def: $sgpr10
	s_and_saveexec_b64 s[8:9], s[12:13]
; %bb.3086:
	s_mov_b32 s10, 0x7f800001
	s_xor_b64 s[4:5], exec, -1
; %bb.3087:
	s_or_b64 exec, exec, s[8:9]
	s_and_b64 s[4:5], s[4:5], exec
	s_or_saveexec_b64 s[6:7], s[6:7]
	v_mov_b32_e32 v14, s10
	s_xor_b64 exec, exec, s[6:7]
	s_cbranch_execz .LBB2_1038
.LBB2_3088:
	v_mov_b32_e32 v14, 0
	v_cmp_ne_u16_sdwa s[8:9], v13, v14 src0_sel:BYTE_0 src1_sel:DWORD
	s_andn2_b64 s[4:5], s[4:5], exec
	s_and_b64 s[8:9], s[8:9], exec
	s_or_b64 s[4:5], s[4:5], s[8:9]
	s_or_b64 exec, exec, s[6:7]
	s_and_saveexec_b64 s[6:7], s[4:5]
	s_cbranch_execnz .LBB2_1039
	s_branch .LBB2_1040
.LBB2_3089:
	s_movk_i32 s4, 0x80
	v_cmp_eq_u16_e32 vcc, s4, v13
	s_mov_b64 s[4:5], -1
                                        ; implicit-def: $sgpr10
	s_and_saveexec_b64 s[8:9], vcc
; %bb.3090:
	s_mov_b32 s10, 0x7f800001
	s_xor_b64 s[4:5], exec, -1
; %bb.3091:
	s_or_b64 exec, exec, s[8:9]
	s_and_b64 s[4:5], s[4:5], exec
                                        ; implicit-def: $vgpr13
	s_or_saveexec_b64 s[6:7], s[6:7]
	v_mov_b32_e32 v12, s10
	s_xor_b64 exec, exec, s[6:7]
	s_cbranch_execz .LBB2_1042
.LBB2_3092:
	v_cmp_ne_u16_e32 vcc, 0, v13
	s_andn2_b64 s[4:5], s[4:5], exec
	s_and_b64 s[8:9], vcc, exec
	v_mov_b32_e32 v12, 0
	s_or_b64 s[4:5], s[4:5], s[8:9]
	s_or_b64 exec, exec, s[6:7]
	s_and_saveexec_b64 s[6:7], s[4:5]
	s_cbranch_execnz .LBB2_1043
	s_branch .LBB2_1044
.LBB2_3093:
	s_movk_i32 s4, 0x80
	v_cmp_eq_u16_e32 vcc, s4, v13
	s_mov_b64 s[4:5], -1
                                        ; implicit-def: $sgpr10
	s_and_saveexec_b64 s[8:9], vcc
; %bb.3094:
	s_mov_b32 s10, 0x7f800001
	s_xor_b64 s[4:5], exec, -1
; %bb.3095:
	s_or_b64 exec, exec, s[8:9]
	s_and_b64 s[4:5], s[4:5], exec
                                        ; implicit-def: $vgpr13
	s_or_saveexec_b64 s[6:7], s[6:7]
	v_mov_b32_e32 v14, s10
	s_xor_b64 exec, exec, s[6:7]
	s_cbranch_execz .LBB2_1046
.LBB2_3096:
	v_cmp_ne_u16_e32 vcc, 0, v13
	s_andn2_b64 s[4:5], s[4:5], exec
	s_and_b64 s[8:9], vcc, exec
	v_mov_b32_e32 v14, 0
	s_or_b64 s[4:5], s[4:5], s[8:9]
	s_or_b64 exec, exec, s[6:7]
	s_and_saveexec_b64 s[6:7], s[4:5]
	s_cbranch_execnz .LBB2_1047
	s_branch .LBB2_1048
.LBB2_3097:
	s_movk_i32 s4, 0x80
	v_cmp_eq_u16_sdwa s[12:13], v6, s4 src0_sel:BYTE_3 src1_sel:DWORD
	s_mov_b64 s[4:5], -1
                                        ; implicit-def: $sgpr10
	s_and_saveexec_b64 s[8:9], s[12:13]
; %bb.3098:
	s_mov_b32 s10, 0x7f800001
	s_xor_b64 s[4:5], exec, -1
; %bb.3099:
	s_or_b64 exec, exec, s[8:9]
	s_and_b64 s[4:5], s[4:5], exec
	s_or_saveexec_b64 s[6:7], s[6:7]
	v_mov_b32_e32 v12, s10
	s_xor_b64 exec, exec, s[6:7]
	s_cbranch_execz .LBB2_1050
.LBB2_3100:
	v_mov_b32_e32 v12, 0
	v_cmp_ne_u16_sdwa s[8:9], v6, v12 src0_sel:BYTE_3 src1_sel:DWORD
	s_andn2_b64 s[4:5], s[4:5], exec
	s_and_b64 s[8:9], s[8:9], exec
	s_or_b64 s[4:5], s[4:5], s[8:9]
	s_or_b64 exec, exec, s[6:7]
	s_and_saveexec_b64 s[6:7], s[4:5]
	s_cbranch_execnz .LBB2_1051
	s_branch .LBB2_1052
.LBB2_3101:
	s_movk_i32 s4, 0x80
	v_cmp_eq_u16_sdwa s[12:13], v2, s4 src0_sel:BYTE_3 src1_sel:DWORD
	s_mov_b64 s[4:5], -1
                                        ; implicit-def: $sgpr10
	s_and_saveexec_b64 s[8:9], s[12:13]
; %bb.3102:
	s_mov_b32 s10, 0x7f800001
	s_xor_b64 s[4:5], exec, -1
; %bb.3103:
	s_or_b64 exec, exec, s[8:9]
	s_and_b64 s[4:5], s[4:5], exec
	s_or_saveexec_b64 s[6:7], s[6:7]
	v_mov_b32_e32 v6, s10
	s_xor_b64 exec, exec, s[6:7]
	s_cbranch_execz .LBB2_1054
.LBB2_3104:
	v_mov_b32_e32 v6, 0
	v_cmp_ne_u16_sdwa s[8:9], v2, v6 src0_sel:BYTE_3 src1_sel:DWORD
	s_andn2_b64 s[4:5], s[4:5], exec
	s_and_b64 s[8:9], s[8:9], exec
	s_or_b64 s[4:5], s[4:5], s[8:9]
	s_or_b64 exec, exec, s[6:7]
	s_and_saveexec_b64 s[6:7], s[4:5]
	s_cbranch_execnz .LBB2_1055
	s_branch .LBB2_1056
.LBB2_3105:
	s_movk_i32 s4, 0x80
	v_cmp_eq_u16_sdwa s[12:13], v7, s4 src0_sel:BYTE_0 src1_sel:DWORD
	s_mov_b64 s[4:5], -1
                                        ; implicit-def: $sgpr10
	s_and_saveexec_b64 s[8:9], s[12:13]
; %bb.3106:
	s_mov_b32 s10, 0x7f800001
	s_xor_b64 s[4:5], exec, -1
; %bb.3107:
	s_or_b64 exec, exec, s[8:9]
	s_and_b64 s[4:5], s[4:5], exec
	s_or_saveexec_b64 s[6:7], s[6:7]
	v_mov_b32_e32 v2, s10
	s_xor_b64 exec, exec, s[6:7]
	s_cbranch_execz .LBB2_1058
.LBB2_3108:
	v_mov_b32_e32 v2, 0
	v_cmp_ne_u16_sdwa s[8:9], v7, v2 src0_sel:BYTE_0 src1_sel:DWORD
	s_andn2_b64 s[4:5], s[4:5], exec
	s_and_b64 s[8:9], s[8:9], exec
	s_or_b64 s[4:5], s[4:5], s[8:9]
	s_or_b64 exec, exec, s[6:7]
	s_and_saveexec_b64 s[6:7], s[4:5]
	s_cbranch_execnz .LBB2_1059
	s_branch .LBB2_1060
.LBB2_3109:
	s_movk_i32 s4, 0x80
	v_cmp_eq_u16_sdwa s[12:13], v3, s4 src0_sel:BYTE_0 src1_sel:DWORD
	s_mov_b64 s[4:5], -1
                                        ; implicit-def: $sgpr10
	s_and_saveexec_b64 s[8:9], s[12:13]
; %bb.3110:
	s_mov_b32 s10, 0x7f800001
	s_xor_b64 s[4:5], exec, -1
; %bb.3111:
	s_or_b64 exec, exec, s[8:9]
	s_and_b64 s[4:5], s[4:5], exec
	s_or_saveexec_b64 s[6:7], s[6:7]
	v_mov_b32_e32 v6, s10
	s_xor_b64 exec, exec, s[6:7]
	s_cbranch_execz .LBB2_1062
.LBB2_3112:
	v_mov_b32_e32 v6, 0
	v_cmp_ne_u16_sdwa s[8:9], v3, v6 src0_sel:BYTE_0 src1_sel:DWORD
	s_andn2_b64 s[4:5], s[4:5], exec
	s_and_b64 s[8:9], s[8:9], exec
	s_or_b64 s[4:5], s[4:5], s[8:9]
	s_or_b64 exec, exec, s[6:7]
	s_and_saveexec_b64 s[6:7], s[4:5]
	s_cbranch_execnz .LBB2_1063
	s_branch .LBB2_1064
.LBB2_3113:
	s_movk_i32 s4, 0x80
	v_cmp_eq_u16_sdwa s[12:13], v6, s4 src0_sel:BYTE_0 src1_sel:DWORD
	s_mov_b64 s[4:5], -1
                                        ; implicit-def: $sgpr10
	s_and_saveexec_b64 s[8:9], s[12:13]
; %bb.3114:
	s_mov_b32 s10, 0x7f800001
	s_xor_b64 s[4:5], exec, -1
; %bb.3115:
	s_or_b64 exec, exec, s[8:9]
	s_and_b64 s[4:5], s[4:5], exec
	s_or_saveexec_b64 s[6:7], s[6:7]
	v_mov_b32_e32 v2, s10
	s_xor_b64 exec, exec, s[6:7]
	s_cbranch_execz .LBB2_1066
.LBB2_3116:
	v_mov_b32_e32 v2, 0
	v_cmp_ne_u16_sdwa s[8:9], v6, v2 src0_sel:BYTE_0 src1_sel:DWORD
	s_andn2_b64 s[4:5], s[4:5], exec
	s_and_b64 s[8:9], s[8:9], exec
	s_or_b64 s[4:5], s[4:5], s[8:9]
	s_or_b64 exec, exec, s[6:7]
	s_and_saveexec_b64 s[6:7], s[4:5]
	s_cbranch_execnz .LBB2_1067
	s_branch .LBB2_1068
.LBB2_3117:
	s_movk_i32 s4, 0x80
	v_cmp_eq_u16_sdwa s[12:13], v6, s4 src0_sel:BYTE_0 src1_sel:DWORD
	s_mov_b64 s[4:5], -1
                                        ; implicit-def: $sgpr10
	s_and_saveexec_b64 s[8:9], s[12:13]
; %bb.3118:
	s_mov_b32 s10, 0x7f800001
	s_xor_b64 s[4:5], exec, -1
; %bb.3119:
	s_or_b64 exec, exec, s[8:9]
	s_and_b64 s[4:5], s[4:5], exec
	s_or_saveexec_b64 s[6:7], s[6:7]
	v_mov_b32_e32 v12, s10
	s_xor_b64 exec, exec, s[6:7]
	s_cbranch_execz .LBB2_1070
.LBB2_3120:
	v_mov_b32_e32 v12, 0
	v_cmp_ne_u16_sdwa s[8:9], v6, v12 src0_sel:BYTE_0 src1_sel:DWORD
	s_andn2_b64 s[4:5], s[4:5], exec
	s_and_b64 s[8:9], s[8:9], exec
	s_or_b64 s[4:5], s[4:5], s[8:9]
	s_or_b64 exec, exec, s[6:7]
	s_and_saveexec_b64 s[6:7], s[4:5]
	s_cbranch_execnz .LBB2_1071
	s_branch .LBB2_1072
.LBB2_3121:
	s_movk_i32 s4, 0x80
	v_cmp_eq_u16_e32 vcc, s4, v6
	s_mov_b64 s[4:5], -1
                                        ; implicit-def: $sgpr10
	s_and_saveexec_b64 s[8:9], vcc
; %bb.3122:
	s_mov_b32 s10, 0x7f800001
	s_xor_b64 s[4:5], exec, -1
; %bb.3123:
	s_or_b64 exec, exec, s[8:9]
	s_and_b64 s[4:5], s[4:5], exec
                                        ; implicit-def: $vgpr6
	s_or_saveexec_b64 s[6:7], s[6:7]
	v_mov_b32_e32 v2, s10
	s_xor_b64 exec, exec, s[6:7]
	s_cbranch_execz .LBB2_1074
.LBB2_3124:
	v_cmp_ne_u16_e32 vcc, 0, v6
	s_andn2_b64 s[4:5], s[4:5], exec
	s_and_b64 s[8:9], vcc, exec
	v_mov_b32_e32 v2, 0
	s_or_b64 s[4:5], s[4:5], s[8:9]
	s_or_b64 exec, exec, s[6:7]
	s_and_saveexec_b64 s[6:7], s[4:5]
	s_cbranch_execnz .LBB2_1075
	s_branch .LBB2_1076
.LBB2_3125:
	s_movk_i32 s4, 0x80
	v_cmp_eq_u16_e32 vcc, s4, v6
	s_mov_b64 s[4:5], -1
                                        ; implicit-def: $sgpr10
	s_and_saveexec_b64 s[8:9], vcc
; %bb.3126:
	s_mov_b32 s10, 0x7f800001
	s_xor_b64 s[4:5], exec, -1
; %bb.3127:
	s_or_b64 exec, exec, s[8:9]
	s_and_b64 s[4:5], s[4:5], exec
                                        ; implicit-def: $vgpr6
	s_or_saveexec_b64 s[6:7], s[6:7]
	v_mov_b32_e32 v12, s10
	s_xor_b64 exec, exec, s[6:7]
	s_cbranch_execz .LBB2_1078
.LBB2_3128:
	v_cmp_ne_u16_e32 vcc, 0, v6
	s_andn2_b64 s[4:5], s[4:5], exec
	s_and_b64 s[8:9], vcc, exec
	v_mov_b32_e32 v12, 0
	s_or_b64 s[4:5], s[4:5], s[8:9]
	s_or_b64 exec, exec, s[6:7]
	s_and_saveexec_b64 s[6:7], s[4:5]
	s_cbranch_execnz .LBB2_1079
	s_branch .LBB2_1080
.LBB2_3129:
	s_movk_i32 s4, 0x80
	v_cmp_eq_u16_sdwa s[12:13], v7, s4 src0_sel:BYTE_3 src1_sel:DWORD
	s_mov_b64 s[4:5], -1
                                        ; implicit-def: $sgpr10
	s_and_saveexec_b64 s[8:9], s[12:13]
; %bb.3130:
	s_mov_b32 s10, 0x7f800001
	s_xor_b64 s[4:5], exec, -1
; %bb.3131:
	s_or_b64 exec, exec, s[8:9]
	s_and_b64 s[4:5], s[4:5], exec
	s_or_saveexec_b64 s[6:7], s[6:7]
	v_mov_b32_e32 v2, s10
	s_xor_b64 exec, exec, s[6:7]
	s_cbranch_execz .LBB2_1082
.LBB2_3132:
	v_mov_b32_e32 v2, 0
	v_cmp_ne_u16_sdwa s[8:9], v7, v2 src0_sel:BYTE_3 src1_sel:DWORD
	s_andn2_b64 s[4:5], s[4:5], exec
	s_and_b64 s[8:9], s[8:9], exec
	s_or_b64 s[4:5], s[4:5], s[8:9]
	s_or_b64 exec, exec, s[6:7]
	s_and_saveexec_b64 s[6:7], s[4:5]
	s_cbranch_execnz .LBB2_1083
	s_branch .LBB2_1084
.LBB2_3133:
	s_movk_i32 s4, 0x80
	v_cmp_eq_u16_sdwa s[12:13], v3, s4 src0_sel:BYTE_3 src1_sel:DWORD
	s_mov_b64 s[4:5], -1
                                        ; implicit-def: $sgpr10
	s_and_saveexec_b64 s[8:9], s[12:13]
; %bb.3134:
	s_mov_b32 s10, 0x7f800001
	s_xor_b64 s[4:5], exec, -1
; %bb.3135:
	s_or_b64 exec, exec, s[8:9]
	s_and_b64 s[4:5], s[4:5], exec
	s_or_saveexec_b64 s[6:7], s[6:7]
	v_mov_b32_e32 v6, s10
	s_xor_b64 exec, exec, s[6:7]
	s_cbranch_execz .LBB2_1086
.LBB2_3136:
	v_mov_b32_e32 v6, 0
	v_cmp_ne_u16_sdwa s[8:9], v3, v6 src0_sel:BYTE_3 src1_sel:DWORD
	s_andn2_b64 s[4:5], s[4:5], exec
	s_and_b64 s[8:9], s[8:9], exec
	s_or_b64 s[4:5], s[4:5], s[8:9]
	s_or_b64 exec, exec, s[6:7]
	s_and_saveexec_b64 s[6:7], s[4:5]
	s_cbranch_execnz .LBB2_1087
	s_branch .LBB2_1088
.LBB2_3137:
	s_movk_i32 s4, 0x80
	v_cmp_eq_u16_sdwa s[12:13], v8, s4 src0_sel:BYTE_0 src1_sel:DWORD
	s_mov_b64 s[4:5], -1
                                        ; implicit-def: $sgpr10
	s_and_saveexec_b64 s[8:9], s[12:13]
; %bb.3138:
	s_mov_b32 s10, 0x7f800001
	s_xor_b64 s[4:5], exec, -1
; %bb.3139:
	s_or_b64 exec, exec, s[8:9]
	s_and_b64 s[4:5], s[4:5], exec
	s_or_saveexec_b64 s[6:7], s[6:7]
	v_mov_b32_e32 v2, s10
	s_xor_b64 exec, exec, s[6:7]
	s_cbranch_execz .LBB2_1090
.LBB2_3140:
	v_mov_b32_e32 v2, 0
	v_cmp_ne_u16_sdwa s[8:9], v8, v2 src0_sel:BYTE_0 src1_sel:DWORD
	s_andn2_b64 s[4:5], s[4:5], exec
	s_and_b64 s[8:9], s[8:9], exec
	s_or_b64 s[4:5], s[4:5], s[8:9]
	s_or_b64 exec, exec, s[6:7]
	s_and_saveexec_b64 s[6:7], s[4:5]
	s_cbranch_execnz .LBB2_1091
	s_branch .LBB2_1092
.LBB2_3141:
	s_movk_i32 s4, 0x80
	v_cmp_eq_u16_sdwa s[12:13], v4, s4 src0_sel:BYTE_0 src1_sel:DWORD
	s_mov_b64 s[4:5], -1
                                        ; implicit-def: $sgpr10
	s_and_saveexec_b64 s[8:9], s[12:13]
; %bb.3142:
	s_mov_b32 s10, 0x7f800001
	s_xor_b64 s[4:5], exec, -1
; %bb.3143:
	s_or_b64 exec, exec, s[8:9]
	s_and_b64 s[4:5], s[4:5], exec
	s_or_saveexec_b64 s[6:7], s[6:7]
	v_mov_b32_e32 v3, s10
	s_xor_b64 exec, exec, s[6:7]
	s_cbranch_execz .LBB2_1094
.LBB2_3144:
	v_mov_b32_e32 v3, 0
	v_cmp_ne_u16_sdwa s[8:9], v4, v3 src0_sel:BYTE_0 src1_sel:DWORD
	s_andn2_b64 s[4:5], s[4:5], exec
	s_and_b64 s[8:9], s[8:9], exec
	s_or_b64 s[4:5], s[4:5], s[8:9]
	s_or_b64 exec, exec, s[6:7]
	s_and_saveexec_b64 s[6:7], s[4:5]
	s_cbranch_execnz .LBB2_1095
	s_branch .LBB2_1096
.LBB2_3145:
	s_movk_i32 s4, 0x80
	v_cmp_eq_u16_sdwa s[12:13], v3, s4 src0_sel:BYTE_0 src1_sel:DWORD
	s_mov_b64 s[4:5], -1
                                        ; implicit-def: $sgpr10
	s_and_saveexec_b64 s[8:9], s[12:13]
; %bb.3146:
	s_mov_b32 s10, 0x7f800001
	s_xor_b64 s[4:5], exec, -1
; %bb.3147:
	s_or_b64 exec, exec, s[8:9]
	s_and_b64 s[4:5], s[4:5], exec
	s_or_saveexec_b64 s[6:7], s[6:7]
	v_mov_b32_e32 v2, s10
	s_xor_b64 exec, exec, s[6:7]
	s_cbranch_execz .LBB2_1098
.LBB2_3148:
	v_mov_b32_e32 v2, 0
	v_cmp_ne_u16_sdwa s[8:9], v3, v2 src0_sel:BYTE_0 src1_sel:DWORD
	s_andn2_b64 s[4:5], s[4:5], exec
	s_and_b64 s[8:9], s[8:9], exec
	s_or_b64 s[4:5], s[4:5], s[8:9]
	s_or_b64 exec, exec, s[6:7]
	s_and_saveexec_b64 s[6:7], s[4:5]
	s_cbranch_execnz .LBB2_1099
	s_branch .LBB2_1100
.LBB2_3149:
	s_movk_i32 s4, 0x80
	v_cmp_eq_u16_sdwa s[12:13], v3, s4 src0_sel:BYTE_0 src1_sel:DWORD
	s_mov_b64 s[4:5], -1
                                        ; implicit-def: $sgpr10
	s_and_saveexec_b64 s[8:9], s[12:13]
; %bb.3150:
	s_mov_b32 s10, 0x7f800001
	s_xor_b64 s[4:5], exec, -1
; %bb.3151:
	s_or_b64 exec, exec, s[8:9]
	s_and_b64 s[4:5], s[4:5], exec
	s_or_saveexec_b64 s[6:7], s[6:7]
	v_mov_b32_e32 v6, s10
	s_xor_b64 exec, exec, s[6:7]
	s_cbranch_execz .LBB2_1102
.LBB2_3152:
	v_mov_b32_e32 v6, 0
	v_cmp_ne_u16_sdwa s[8:9], v3, v6 src0_sel:BYTE_0 src1_sel:DWORD
	s_andn2_b64 s[4:5], s[4:5], exec
	s_and_b64 s[8:9], s[8:9], exec
	s_or_b64 s[4:5], s[4:5], s[8:9]
	s_or_b64 exec, exec, s[6:7]
	s_and_saveexec_b64 s[6:7], s[4:5]
	s_cbranch_execnz .LBB2_1103
	s_branch .LBB2_1104
.LBB2_3153:
	s_movk_i32 s4, 0x80
	v_cmp_eq_u16_e32 vcc, s4, v3
	s_mov_b64 s[4:5], -1
                                        ; implicit-def: $sgpr10
	s_and_saveexec_b64 s[8:9], vcc
; %bb.3154:
	s_mov_b32 s10, 0x7f800001
	s_xor_b64 s[4:5], exec, -1
; %bb.3155:
	s_or_b64 exec, exec, s[8:9]
	s_and_b64 s[4:5], s[4:5], exec
                                        ; implicit-def: $vgpr3
	s_or_saveexec_b64 s[6:7], s[6:7]
	v_mov_b32_e32 v2, s10
	s_xor_b64 exec, exec, s[6:7]
	s_cbranch_execz .LBB2_1106
.LBB2_3156:
	v_cmp_ne_u16_e32 vcc, 0, v3
	s_andn2_b64 s[4:5], s[4:5], exec
	s_and_b64 s[8:9], vcc, exec
	v_mov_b32_e32 v2, 0
	s_or_b64 s[4:5], s[4:5], s[8:9]
	s_or_b64 exec, exec, s[6:7]
	s_and_saveexec_b64 s[6:7], s[4:5]
	s_cbranch_execnz .LBB2_1107
	s_branch .LBB2_1108
.LBB2_3157:
	s_movk_i32 s4, 0x80
	v_cmp_eq_u16_e32 vcc, s4, v3
	s_mov_b64 s[4:5], -1
                                        ; implicit-def: $sgpr10
	s_and_saveexec_b64 s[8:9], vcc
; %bb.3158:
	s_mov_b32 s10, 0x7f800001
	s_xor_b64 s[4:5], exec, -1
; %bb.3159:
	s_or_b64 exec, exec, s[8:9]
	s_and_b64 s[4:5], s[4:5], exec
                                        ; implicit-def: $vgpr3
	s_or_saveexec_b64 s[6:7], s[6:7]
	v_mov_b32_e32 v6, s10
	s_xor_b64 exec, exec, s[6:7]
	s_cbranch_execz .LBB2_1110
.LBB2_3160:
	v_cmp_ne_u16_e32 vcc, 0, v3
	s_andn2_b64 s[4:5], s[4:5], exec
	s_and_b64 s[8:9], vcc, exec
	v_mov_b32_e32 v6, 0
	s_or_b64 s[4:5], s[4:5], s[8:9]
	s_or_b64 exec, exec, s[6:7]
	s_and_saveexec_b64 s[6:7], s[4:5]
	s_cbranch_execnz .LBB2_1111
	s_branch .LBB2_1112
.LBB2_3161:
	s_movk_i32 s4, 0x80
	v_cmp_eq_u16_sdwa s[12:13], v8, s4 src0_sel:BYTE_3 src1_sel:DWORD
	s_mov_b64 s[4:5], -1
                                        ; implicit-def: $sgpr10
	s_and_saveexec_b64 s[8:9], s[12:13]
; %bb.3162:
	s_mov_b32 s10, 0x7f800001
	s_xor_b64 s[4:5], exec, -1
; %bb.3163:
	s_or_b64 exec, exec, s[8:9]
	s_and_b64 s[4:5], s[4:5], exec
	s_or_saveexec_b64 s[6:7], s[6:7]
	v_mov_b32_e32 v2, s10
	s_xor_b64 exec, exec, s[6:7]
	s_cbranch_execz .LBB2_1114
.LBB2_3164:
	v_mov_b32_e32 v2, 0
	v_cmp_ne_u16_sdwa s[8:9], v8, v2 src0_sel:BYTE_3 src1_sel:DWORD
	s_andn2_b64 s[4:5], s[4:5], exec
	s_and_b64 s[8:9], s[8:9], exec
	s_or_b64 s[4:5], s[4:5], s[8:9]
	s_or_b64 exec, exec, s[6:7]
	s_and_saveexec_b64 s[6:7], s[4:5]
	s_cbranch_execnz .LBB2_1115
	s_branch .LBB2_1116
.LBB2_3165:
	s_movk_i32 s4, 0x80
	v_cmp_eq_u16_sdwa s[12:13], v4, s4 src0_sel:BYTE_3 src1_sel:DWORD
	s_mov_b64 s[4:5], -1
                                        ; implicit-def: $sgpr10
	s_and_saveexec_b64 s[8:9], s[12:13]
; %bb.3166:
	s_mov_b32 s10, 0x7f800001
	s_xor_b64 s[4:5], exec, -1
; %bb.3167:
	s_or_b64 exec, exec, s[8:9]
	s_and_b64 s[4:5], s[4:5], exec
	s_or_saveexec_b64 s[6:7], s[6:7]
	v_mov_b32_e32 v3, s10
	s_xor_b64 exec, exec, s[6:7]
	s_cbranch_execz .LBB2_1118
.LBB2_3168:
	v_mov_b32_e32 v3, 0
	v_cmp_ne_u16_sdwa s[8:9], v4, v3 src0_sel:BYTE_3 src1_sel:DWORD
	s_andn2_b64 s[4:5], s[4:5], exec
	s_and_b64 s[8:9], s[8:9], exec
	s_or_b64 s[4:5], s[4:5], s[8:9]
	s_or_b64 exec, exec, s[6:7]
	s_and_saveexec_b64 s[6:7], s[4:5]
	s_cbranch_execnz .LBB2_1119
	s_branch .LBB2_1120
.LBB2_3169:
	s_movk_i32 s4, 0x80
	v_cmp_eq_u16_sdwa s[12:13], v9, s4 src0_sel:BYTE_0 src1_sel:DWORD
	s_mov_b64 s[4:5], -1
                                        ; implicit-def: $sgpr10
	s_and_saveexec_b64 s[8:9], s[12:13]
; %bb.3170:
	s_mov_b32 s10, 0x7f800001
	s_xor_b64 s[4:5], exec, -1
; %bb.3171:
	s_or_b64 exec, exec, s[8:9]
	s_and_b64 s[4:5], s[4:5], exec
	s_or_saveexec_b64 s[6:7], s[6:7]
	v_mov_b32_e32 v2, s10
	s_xor_b64 exec, exec, s[6:7]
	s_cbranch_execz .LBB2_1122
.LBB2_3172:
	v_mov_b32_e32 v2, 0
	v_cmp_ne_u16_sdwa s[8:9], v9, v2 src0_sel:BYTE_0 src1_sel:DWORD
	s_andn2_b64 s[4:5], s[4:5], exec
	s_and_b64 s[8:9], s[8:9], exec
	s_or_b64 s[4:5], s[4:5], s[8:9]
	s_or_b64 exec, exec, s[6:7]
	s_and_saveexec_b64 s[6:7], s[4:5]
	s_cbranch_execnz .LBB2_1123
	s_branch .LBB2_1124
.LBB2_3173:
	s_movk_i32 s4, 0x80
	v_cmp_eq_u16_sdwa s[12:13], v5, s4 src0_sel:BYTE_0 src1_sel:DWORD
	s_mov_b64 s[4:5], -1
                                        ; implicit-def: $sgpr10
	s_and_saveexec_b64 s[8:9], s[12:13]
; %bb.3174:
	s_mov_b32 s10, 0x7f800001
	s_xor_b64 s[4:5], exec, -1
; %bb.3175:
	s_or_b64 exec, exec, s[8:9]
	s_and_b64 s[4:5], s[4:5], exec
	s_or_saveexec_b64 s[6:7], s[6:7]
	v_mov_b32_e32 v3, s10
	s_xor_b64 exec, exec, s[6:7]
	s_cbranch_execz .LBB2_1126
.LBB2_3176:
	v_mov_b32_e32 v3, 0
	v_cmp_ne_u16_sdwa s[8:9], v5, v3 src0_sel:BYTE_0 src1_sel:DWORD
	s_andn2_b64 s[4:5], s[4:5], exec
	s_and_b64 s[8:9], s[8:9], exec
	s_or_b64 s[4:5], s[4:5], s[8:9]
	s_or_b64 exec, exec, s[6:7]
	s_and_saveexec_b64 s[6:7], s[4:5]
	s_cbranch_execnz .LBB2_1127
	s_branch .LBB2_1128
.LBB2_3177:
	s_movk_i32 s4, 0x80
	v_cmp_eq_u16_sdwa s[12:13], v3, s4 src0_sel:BYTE_0 src1_sel:DWORD
	s_mov_b64 s[4:5], -1
                                        ; implicit-def: $sgpr10
	s_and_saveexec_b64 s[8:9], s[12:13]
; %bb.3178:
	s_mov_b32 s10, 0x7f800001
	s_xor_b64 s[4:5], exec, -1
; %bb.3179:
	s_or_b64 exec, exec, s[8:9]
	s_and_b64 s[4:5], s[4:5], exec
	s_or_saveexec_b64 s[6:7], s[6:7]
	v_mov_b32_e32 v2, s10
	s_xor_b64 exec, exec, s[6:7]
	s_cbranch_execz .LBB2_1130
.LBB2_3180:
	v_mov_b32_e32 v2, 0
	v_cmp_ne_u16_sdwa s[8:9], v3, v2 src0_sel:BYTE_0 src1_sel:DWORD
	s_andn2_b64 s[4:5], s[4:5], exec
	s_and_b64 s[8:9], s[8:9], exec
	s_or_b64 s[4:5], s[4:5], s[8:9]
	s_or_b64 exec, exec, s[6:7]
	s_and_saveexec_b64 s[6:7], s[4:5]
	s_cbranch_execnz .LBB2_1131
	s_branch .LBB2_1132
.LBB2_3181:
	s_movk_i32 s4, 0x80
	v_cmp_eq_u16_sdwa s[12:13], v3, s4 src0_sel:BYTE_0 src1_sel:DWORD
	s_mov_b64 s[4:5], -1
                                        ; implicit-def: $sgpr10
	s_and_saveexec_b64 s[8:9], s[12:13]
; %bb.3182:
	s_mov_b32 s10, 0x7f800001
	s_xor_b64 s[4:5], exec, -1
; %bb.3183:
	s_or_b64 exec, exec, s[8:9]
	s_and_b64 s[4:5], s[4:5], exec
	s_or_saveexec_b64 s[6:7], s[6:7]
	v_mov_b32_e32 v4, s10
	s_xor_b64 exec, exec, s[6:7]
	s_cbranch_execz .LBB2_1134
.LBB2_3184:
	v_mov_b32_e32 v4, 0
	v_cmp_ne_u16_sdwa s[8:9], v3, v4 src0_sel:BYTE_0 src1_sel:DWORD
	s_andn2_b64 s[4:5], s[4:5], exec
	s_and_b64 s[8:9], s[8:9], exec
	s_or_b64 s[4:5], s[4:5], s[8:9]
	s_or_b64 exec, exec, s[6:7]
	s_and_saveexec_b64 s[6:7], s[4:5]
	s_cbranch_execnz .LBB2_1135
	s_branch .LBB2_1136
.LBB2_3185:
	s_movk_i32 s4, 0x80
	v_cmp_eq_u16_e32 vcc, s4, v3
	s_mov_b64 s[4:5], -1
                                        ; implicit-def: $sgpr10
	s_and_saveexec_b64 s[8:9], vcc
; %bb.3186:
	s_mov_b32 s10, 0x7f800001
	s_xor_b64 s[4:5], exec, -1
; %bb.3187:
	s_or_b64 exec, exec, s[8:9]
	s_and_b64 s[4:5], s[4:5], exec
                                        ; implicit-def: $vgpr3
	s_or_saveexec_b64 s[6:7], s[6:7]
	v_mov_b32_e32 v2, s10
	s_xor_b64 exec, exec, s[6:7]
	s_cbranch_execz .LBB2_1138
.LBB2_3188:
	v_cmp_ne_u16_e32 vcc, 0, v3
	s_andn2_b64 s[4:5], s[4:5], exec
	s_and_b64 s[8:9], vcc, exec
	v_mov_b32_e32 v2, 0
	s_or_b64 s[4:5], s[4:5], s[8:9]
	s_or_b64 exec, exec, s[6:7]
	s_and_saveexec_b64 s[6:7], s[4:5]
	s_cbranch_execnz .LBB2_1139
	s_branch .LBB2_1140
.LBB2_3189:
	s_movk_i32 s4, 0x80
	v_cmp_eq_u16_e32 vcc, s4, v3
	s_mov_b64 s[4:5], -1
                                        ; implicit-def: $sgpr10
	s_and_saveexec_b64 s[8:9], vcc
; %bb.3190:
	s_mov_b32 s10, 0x7f800001
	s_xor_b64 s[4:5], exec, -1
; %bb.3191:
	s_or_b64 exec, exec, s[8:9]
	s_and_b64 s[4:5], s[4:5], exec
                                        ; implicit-def: $vgpr3
	s_or_saveexec_b64 s[6:7], s[6:7]
	v_mov_b32_e32 v4, s10
	s_xor_b64 exec, exec, s[6:7]
	s_cbranch_execz .LBB2_1142
.LBB2_3192:
	v_cmp_ne_u16_e32 vcc, 0, v3
	s_andn2_b64 s[4:5], s[4:5], exec
	s_and_b64 s[8:9], vcc, exec
	v_mov_b32_e32 v4, 0
	s_or_b64 s[4:5], s[4:5], s[8:9]
	s_or_b64 exec, exec, s[6:7]
	s_and_saveexec_b64 s[6:7], s[4:5]
	s_cbranch_execnz .LBB2_1143
	s_branch .LBB2_1144
.LBB2_3193:
	s_movk_i32 s4, 0x80
	v_cmp_eq_u16_sdwa s[12:13], v9, s4 src0_sel:BYTE_3 src1_sel:DWORD
	s_mov_b64 s[4:5], -1
                                        ; implicit-def: $sgpr10
	s_and_saveexec_b64 s[8:9], s[12:13]
; %bb.3194:
	s_mov_b32 s10, 0x7f800001
	s_xor_b64 s[4:5], exec, -1
; %bb.3195:
	s_or_b64 exec, exec, s[8:9]
	s_and_b64 s[4:5], s[4:5], exec
	s_or_saveexec_b64 s[6:7], s[6:7]
	v_mov_b32_e32 v2, s10
	s_xor_b64 exec, exec, s[6:7]
	s_cbranch_execz .LBB2_1146
.LBB2_3196:
	v_mov_b32_e32 v2, 0
	v_cmp_ne_u16_sdwa s[8:9], v9, v2 src0_sel:BYTE_3 src1_sel:DWORD
	s_andn2_b64 s[4:5], s[4:5], exec
	s_and_b64 s[8:9], s[8:9], exec
	s_or_b64 s[4:5], s[4:5], s[8:9]
	s_or_b64 exec, exec, s[6:7]
	s_and_saveexec_b64 s[6:7], s[4:5]
	s_cbranch_execnz .LBB2_1147
	s_branch .LBB2_1148
.LBB2_3197:
	s_movk_i32 s4, 0x80
	v_cmp_eq_u16_sdwa s[12:13], v5, s4 src0_sel:BYTE_3 src1_sel:DWORD
	s_mov_b64 s[4:5], -1
                                        ; implicit-def: $sgpr10
	s_and_saveexec_b64 s[8:9], s[12:13]
; %bb.3198:
	s_mov_b32 s10, 0x7f800001
	s_xor_b64 s[4:5], exec, -1
; %bb.3199:
	s_or_b64 exec, exec, s[8:9]
	s_and_b64 s[4:5], s[4:5], exec
	s_or_saveexec_b64 s[6:7], s[6:7]
	v_mov_b32_e32 v3, s10
	s_xor_b64 exec, exec, s[6:7]
	s_cbranch_execz .LBB2_1150
.LBB2_3200:
	v_mov_b32_e32 v3, 0
	v_cmp_ne_u16_sdwa s[8:9], v5, v3 src0_sel:BYTE_3 src1_sel:DWORD
	s_andn2_b64 s[4:5], s[4:5], exec
	s_and_b64 s[8:9], s[8:9], exec
	s_or_b64 s[4:5], s[4:5], s[8:9]
	s_or_b64 exec, exec, s[6:7]
	s_and_saveexec_b64 s[6:7], s[4:5]
	s_cbranch_execnz .LBB2_1151
	s_branch .LBB2_1152
.LBB2_3201:
	s_movk_i32 s4, 0x80
	v_cmp_eq_u16_sdwa s[12:13], v6, s4 src0_sel:BYTE_0 src1_sel:DWORD
	s_mov_b64 s[4:5], -1
                                        ; implicit-def: $sgpr10
	s_and_saveexec_b64 s[8:9], s[12:13]
; %bb.3202:
	s_mov_b32 s10, 0x7f800001
	s_xor_b64 s[4:5], exec, -1
; %bb.3203:
	s_or_b64 exec, exec, s[8:9]
	s_and_b64 s[4:5], s[4:5], exec
	s_or_saveexec_b64 s[6:7], s[6:7]
	v_mov_b32_e32 v12, s10
	s_xor_b64 exec, exec, s[6:7]
	s_cbranch_execz .LBB2_1154
.LBB2_3204:
	v_mov_b32_e32 v12, 0
	v_cmp_ne_u16_sdwa s[8:9], v6, v12 src0_sel:BYTE_0 src1_sel:DWORD
	s_andn2_b64 s[4:5], s[4:5], exec
	s_and_b64 s[8:9], s[8:9], exec
	s_or_b64 s[4:5], s[4:5], s[8:9]
	s_or_b64 exec, exec, s[6:7]
	s_and_saveexec_b64 s[6:7], s[4:5]
	s_cbranch_execnz .LBB2_1155
	s_branch .LBB2_1156
.LBB2_3205:
	s_movk_i32 s4, 0x80
	v_cmp_eq_u16_sdwa s[12:13], v2, s4 src0_sel:BYTE_0 src1_sel:DWORD
	s_mov_b64 s[4:5], -1
                                        ; implicit-def: $sgpr10
	s_and_saveexec_b64 s[8:9], s[12:13]
; %bb.3206:
	s_mov_b32 s10, 0x7f800001
	s_xor_b64 s[4:5], exec, -1
; %bb.3207:
	s_or_b64 exec, exec, s[8:9]
	s_and_b64 s[4:5], s[4:5], exec
	s_or_saveexec_b64 s[6:7], s[6:7]
	v_mov_b32_e32 v13, s10
	s_xor_b64 exec, exec, s[6:7]
	s_cbranch_execz .LBB2_1158
.LBB2_3208:
	v_mov_b32_e32 v13, 0
	v_cmp_ne_u16_sdwa s[8:9], v2, v13 src0_sel:BYTE_0 src1_sel:DWORD
	s_andn2_b64 s[4:5], s[4:5], exec
	s_and_b64 s[8:9], s[8:9], exec
	s_or_b64 s[4:5], s[4:5], s[8:9]
	s_or_b64 exec, exec, s[6:7]
	s_and_saveexec_b64 s[6:7], s[4:5]
	s_cbranch_execnz .LBB2_1159
	s_branch .LBB2_1160
.LBB2_3209:
	s_movk_i32 s4, 0x80
	v_cmp_eq_u16_sdwa s[12:13], v13, s4 src0_sel:BYTE_0 src1_sel:DWORD
	s_mov_b64 s[4:5], -1
                                        ; implicit-def: $sgpr10
	s_and_saveexec_b64 s[8:9], s[12:13]
; %bb.3210:
	s_mov_b32 s10, 0x7f800001
	s_xor_b64 s[4:5], exec, -1
; %bb.3211:
	s_or_b64 exec, exec, s[8:9]
	s_and_b64 s[4:5], s[4:5], exec
	s_or_saveexec_b64 s[6:7], s[6:7]
	v_mov_b32_e32 v12, s10
	s_xor_b64 exec, exec, s[6:7]
	s_cbranch_execz .LBB2_1162
.LBB2_3212:
	v_mov_b32_e32 v12, 0
	v_cmp_ne_u16_sdwa s[8:9], v13, v12 src0_sel:BYTE_0 src1_sel:DWORD
	s_andn2_b64 s[4:5], s[4:5], exec
	s_and_b64 s[8:9], s[8:9], exec
	s_or_b64 s[4:5], s[4:5], s[8:9]
	s_or_b64 exec, exec, s[6:7]
	s_and_saveexec_b64 s[6:7], s[4:5]
	s_cbranch_execnz .LBB2_1163
	s_branch .LBB2_1164
.LBB2_3213:
	s_movk_i32 s4, 0x80
	v_cmp_eq_u16_sdwa s[12:13], v13, s4 src0_sel:BYTE_0 src1_sel:DWORD
	s_mov_b64 s[4:5], -1
                                        ; implicit-def: $sgpr10
	s_and_saveexec_b64 s[8:9], s[12:13]
; %bb.3214:
	s_mov_b32 s10, 0x7f800001
	s_xor_b64 s[4:5], exec, -1
; %bb.3215:
	s_or_b64 exec, exec, s[8:9]
	s_and_b64 s[4:5], s[4:5], exec
	s_or_saveexec_b64 s[6:7], s[6:7]
	v_mov_b32_e32 v14, s10
	s_xor_b64 exec, exec, s[6:7]
	s_cbranch_execz .LBB2_1166
.LBB2_3216:
	v_mov_b32_e32 v14, 0
	v_cmp_ne_u16_sdwa s[8:9], v13, v14 src0_sel:BYTE_0 src1_sel:DWORD
	s_andn2_b64 s[4:5], s[4:5], exec
	s_and_b64 s[8:9], s[8:9], exec
	s_or_b64 s[4:5], s[4:5], s[8:9]
	s_or_b64 exec, exec, s[6:7]
	s_and_saveexec_b64 s[6:7], s[4:5]
	s_cbranch_execnz .LBB2_1167
	s_branch .LBB2_1168
.LBB2_3217:
	s_movk_i32 s4, 0x80
	v_cmp_eq_u16_e32 vcc, s4, v13
	s_mov_b64 s[4:5], -1
                                        ; implicit-def: $sgpr10
	s_and_saveexec_b64 s[8:9], vcc
; %bb.3218:
	s_mov_b32 s10, 0x7f800001
	s_xor_b64 s[4:5], exec, -1
; %bb.3219:
	s_or_b64 exec, exec, s[8:9]
	s_and_b64 s[4:5], s[4:5], exec
                                        ; implicit-def: $vgpr13
	s_or_saveexec_b64 s[6:7], s[6:7]
	v_mov_b32_e32 v12, s10
	s_xor_b64 exec, exec, s[6:7]
	s_cbranch_execz .LBB2_1170
.LBB2_3220:
	v_cmp_ne_u16_e32 vcc, 0, v13
	s_andn2_b64 s[4:5], s[4:5], exec
	s_and_b64 s[8:9], vcc, exec
	v_mov_b32_e32 v12, 0
	s_or_b64 s[4:5], s[4:5], s[8:9]
	s_or_b64 exec, exec, s[6:7]
	s_and_saveexec_b64 s[6:7], s[4:5]
	s_cbranch_execnz .LBB2_1171
	s_branch .LBB2_1172
.LBB2_3221:
	s_movk_i32 s4, 0x80
	v_cmp_eq_u16_e32 vcc, s4, v13
	s_mov_b64 s[4:5], -1
                                        ; implicit-def: $sgpr10
	s_and_saveexec_b64 s[8:9], vcc
; %bb.3222:
	s_mov_b32 s10, 0x7f800001
	s_xor_b64 s[4:5], exec, -1
; %bb.3223:
	s_or_b64 exec, exec, s[8:9]
	s_and_b64 s[4:5], s[4:5], exec
                                        ; implicit-def: $vgpr13
	s_or_saveexec_b64 s[6:7], s[6:7]
	v_mov_b32_e32 v14, s10
	s_xor_b64 exec, exec, s[6:7]
	s_cbranch_execz .LBB2_1174
.LBB2_3224:
	v_cmp_ne_u16_e32 vcc, 0, v13
	s_andn2_b64 s[4:5], s[4:5], exec
	s_and_b64 s[8:9], vcc, exec
	v_mov_b32_e32 v14, 0
	s_or_b64 s[4:5], s[4:5], s[8:9]
	s_or_b64 exec, exec, s[6:7]
	s_and_saveexec_b64 s[6:7], s[4:5]
	s_cbranch_execnz .LBB2_1175
	s_branch .LBB2_1176
.LBB2_3225:
	s_movk_i32 s4, 0x80
	v_cmp_eq_u16_sdwa s[12:13], v6, s4 src0_sel:BYTE_3 src1_sel:DWORD
	s_mov_b64 s[4:5], -1
                                        ; implicit-def: $sgpr10
	s_and_saveexec_b64 s[8:9], s[12:13]
; %bb.3226:
	s_mov_b32 s10, 0x7f800001
	s_xor_b64 s[4:5], exec, -1
; %bb.3227:
	s_or_b64 exec, exec, s[8:9]
	s_and_b64 s[4:5], s[4:5], exec
	s_or_saveexec_b64 s[6:7], s[6:7]
	v_mov_b32_e32 v12, s10
	s_xor_b64 exec, exec, s[6:7]
	s_cbranch_execz .LBB2_1178
.LBB2_3228:
	v_mov_b32_e32 v12, 0
	v_cmp_ne_u16_sdwa s[8:9], v6, v12 src0_sel:BYTE_3 src1_sel:DWORD
	s_andn2_b64 s[4:5], s[4:5], exec
	s_and_b64 s[8:9], s[8:9], exec
	s_or_b64 s[4:5], s[4:5], s[8:9]
	s_or_b64 exec, exec, s[6:7]
	s_and_saveexec_b64 s[6:7], s[4:5]
	s_cbranch_execnz .LBB2_1179
	s_branch .LBB2_1180
.LBB2_3229:
	s_movk_i32 s4, 0x80
	v_cmp_eq_u16_sdwa s[12:13], v2, s4 src0_sel:BYTE_3 src1_sel:DWORD
	s_mov_b64 s[4:5], -1
                                        ; implicit-def: $sgpr10
	s_and_saveexec_b64 s[8:9], s[12:13]
; %bb.3230:
	s_mov_b32 s10, 0x7f800001
	s_xor_b64 s[4:5], exec, -1
; %bb.3231:
	s_or_b64 exec, exec, s[8:9]
	s_and_b64 s[4:5], s[4:5], exec
	s_or_saveexec_b64 s[6:7], s[6:7]
	v_mov_b32_e32 v6, s10
	s_xor_b64 exec, exec, s[6:7]
	s_cbranch_execz .LBB2_1182
.LBB2_3232:
	v_mov_b32_e32 v6, 0
	v_cmp_ne_u16_sdwa s[8:9], v2, v6 src0_sel:BYTE_3 src1_sel:DWORD
	s_andn2_b64 s[4:5], s[4:5], exec
	s_and_b64 s[8:9], s[8:9], exec
	s_or_b64 s[4:5], s[4:5], s[8:9]
	s_or_b64 exec, exec, s[6:7]
	s_and_saveexec_b64 s[6:7], s[4:5]
	s_cbranch_execnz .LBB2_1183
	s_branch .LBB2_1184
.LBB2_3233:
	s_movk_i32 s4, 0x80
	v_cmp_eq_u16_sdwa s[12:13], v7, s4 src0_sel:BYTE_0 src1_sel:DWORD
	s_mov_b64 s[4:5], -1
                                        ; implicit-def: $sgpr10
	s_and_saveexec_b64 s[8:9], s[12:13]
; %bb.3234:
	s_mov_b32 s10, 0x7f800001
	s_xor_b64 s[4:5], exec, -1
; %bb.3235:
	s_or_b64 exec, exec, s[8:9]
	s_and_b64 s[4:5], s[4:5], exec
	s_or_saveexec_b64 s[6:7], s[6:7]
	v_mov_b32_e32 v2, s10
	s_xor_b64 exec, exec, s[6:7]
	s_cbranch_execz .LBB2_1186
.LBB2_3236:
	v_mov_b32_e32 v2, 0
	v_cmp_ne_u16_sdwa s[8:9], v7, v2 src0_sel:BYTE_0 src1_sel:DWORD
	s_andn2_b64 s[4:5], s[4:5], exec
	s_and_b64 s[8:9], s[8:9], exec
	s_or_b64 s[4:5], s[4:5], s[8:9]
	s_or_b64 exec, exec, s[6:7]
	s_and_saveexec_b64 s[6:7], s[4:5]
	s_cbranch_execnz .LBB2_1187
	s_branch .LBB2_1188
.LBB2_3237:
	s_movk_i32 s4, 0x80
	v_cmp_eq_u16_sdwa s[12:13], v3, s4 src0_sel:BYTE_0 src1_sel:DWORD
	s_mov_b64 s[4:5], -1
                                        ; implicit-def: $sgpr10
	s_and_saveexec_b64 s[8:9], s[12:13]
; %bb.3238:
	s_mov_b32 s10, 0x7f800001
	s_xor_b64 s[4:5], exec, -1
; %bb.3239:
	s_or_b64 exec, exec, s[8:9]
	s_and_b64 s[4:5], s[4:5], exec
	s_or_saveexec_b64 s[6:7], s[6:7]
	v_mov_b32_e32 v6, s10
	s_xor_b64 exec, exec, s[6:7]
	s_cbranch_execz .LBB2_1190
.LBB2_3240:
	v_mov_b32_e32 v6, 0
	v_cmp_ne_u16_sdwa s[8:9], v3, v6 src0_sel:BYTE_0 src1_sel:DWORD
	s_andn2_b64 s[4:5], s[4:5], exec
	s_and_b64 s[8:9], s[8:9], exec
	s_or_b64 s[4:5], s[4:5], s[8:9]
	s_or_b64 exec, exec, s[6:7]
	s_and_saveexec_b64 s[6:7], s[4:5]
	s_cbranch_execnz .LBB2_1191
	s_branch .LBB2_1192
.LBB2_3241:
	s_movk_i32 s4, 0x80
	v_cmp_eq_u16_sdwa s[12:13], v6, s4 src0_sel:BYTE_0 src1_sel:DWORD
	s_mov_b64 s[4:5], -1
                                        ; implicit-def: $sgpr10
	s_and_saveexec_b64 s[8:9], s[12:13]
; %bb.3242:
	s_mov_b32 s10, 0x7f800001
	s_xor_b64 s[4:5], exec, -1
; %bb.3243:
	s_or_b64 exec, exec, s[8:9]
	s_and_b64 s[4:5], s[4:5], exec
	s_or_saveexec_b64 s[6:7], s[6:7]
	v_mov_b32_e32 v2, s10
	s_xor_b64 exec, exec, s[6:7]
	s_cbranch_execz .LBB2_1194
.LBB2_3244:
	v_mov_b32_e32 v2, 0
	v_cmp_ne_u16_sdwa s[8:9], v6, v2 src0_sel:BYTE_0 src1_sel:DWORD
	s_andn2_b64 s[4:5], s[4:5], exec
	s_and_b64 s[8:9], s[8:9], exec
	s_or_b64 s[4:5], s[4:5], s[8:9]
	s_or_b64 exec, exec, s[6:7]
	s_and_saveexec_b64 s[6:7], s[4:5]
	s_cbranch_execnz .LBB2_1195
	s_branch .LBB2_1196
.LBB2_3245:
	s_movk_i32 s4, 0x80
	v_cmp_eq_u16_sdwa s[12:13], v6, s4 src0_sel:BYTE_0 src1_sel:DWORD
	s_mov_b64 s[4:5], -1
                                        ; implicit-def: $sgpr10
	s_and_saveexec_b64 s[8:9], s[12:13]
; %bb.3246:
	s_mov_b32 s10, 0x7f800001
	s_xor_b64 s[4:5], exec, -1
; %bb.3247:
	s_or_b64 exec, exec, s[8:9]
	s_and_b64 s[4:5], s[4:5], exec
	s_or_saveexec_b64 s[6:7], s[6:7]
	v_mov_b32_e32 v12, s10
	s_xor_b64 exec, exec, s[6:7]
	s_cbranch_execz .LBB2_1198
.LBB2_3248:
	v_mov_b32_e32 v12, 0
	v_cmp_ne_u16_sdwa s[8:9], v6, v12 src0_sel:BYTE_0 src1_sel:DWORD
	s_andn2_b64 s[4:5], s[4:5], exec
	s_and_b64 s[8:9], s[8:9], exec
	s_or_b64 s[4:5], s[4:5], s[8:9]
	s_or_b64 exec, exec, s[6:7]
	s_and_saveexec_b64 s[6:7], s[4:5]
	s_cbranch_execnz .LBB2_1199
	s_branch .LBB2_1200
.LBB2_3249:
	s_movk_i32 s4, 0x80
	v_cmp_eq_u16_e32 vcc, s4, v6
	s_mov_b64 s[4:5], -1
                                        ; implicit-def: $sgpr10
	s_and_saveexec_b64 s[8:9], vcc
; %bb.3250:
	s_mov_b32 s10, 0x7f800001
	s_xor_b64 s[4:5], exec, -1
; %bb.3251:
	s_or_b64 exec, exec, s[8:9]
	s_and_b64 s[4:5], s[4:5], exec
                                        ; implicit-def: $vgpr6
	s_or_saveexec_b64 s[6:7], s[6:7]
	v_mov_b32_e32 v2, s10
	s_xor_b64 exec, exec, s[6:7]
	s_cbranch_execz .LBB2_1202
.LBB2_3252:
	v_cmp_ne_u16_e32 vcc, 0, v6
	s_andn2_b64 s[4:5], s[4:5], exec
	s_and_b64 s[8:9], vcc, exec
	v_mov_b32_e32 v2, 0
	s_or_b64 s[4:5], s[4:5], s[8:9]
	s_or_b64 exec, exec, s[6:7]
	s_and_saveexec_b64 s[6:7], s[4:5]
	s_cbranch_execnz .LBB2_1203
	s_branch .LBB2_1204
.LBB2_3253:
	s_movk_i32 s4, 0x80
	v_cmp_eq_u16_e32 vcc, s4, v6
	s_mov_b64 s[4:5], -1
                                        ; implicit-def: $sgpr10
	s_and_saveexec_b64 s[8:9], vcc
; %bb.3254:
	s_mov_b32 s10, 0x7f800001
	s_xor_b64 s[4:5], exec, -1
; %bb.3255:
	s_or_b64 exec, exec, s[8:9]
	s_and_b64 s[4:5], s[4:5], exec
                                        ; implicit-def: $vgpr6
	s_or_saveexec_b64 s[6:7], s[6:7]
	v_mov_b32_e32 v12, s10
	s_xor_b64 exec, exec, s[6:7]
	s_cbranch_execz .LBB2_1206
.LBB2_3256:
	v_cmp_ne_u16_e32 vcc, 0, v6
	s_andn2_b64 s[4:5], s[4:5], exec
	s_and_b64 s[8:9], vcc, exec
	v_mov_b32_e32 v12, 0
	s_or_b64 s[4:5], s[4:5], s[8:9]
	s_or_b64 exec, exec, s[6:7]
	s_and_saveexec_b64 s[6:7], s[4:5]
	s_cbranch_execnz .LBB2_1207
	s_branch .LBB2_1208
.LBB2_3257:
	s_movk_i32 s4, 0x80
	v_cmp_eq_u16_sdwa s[12:13], v7, s4 src0_sel:BYTE_3 src1_sel:DWORD
	s_mov_b64 s[4:5], -1
                                        ; implicit-def: $sgpr10
	s_and_saveexec_b64 s[8:9], s[12:13]
; %bb.3258:
	s_mov_b32 s10, 0x7f800001
	s_xor_b64 s[4:5], exec, -1
; %bb.3259:
	s_or_b64 exec, exec, s[8:9]
	s_and_b64 s[4:5], s[4:5], exec
	s_or_saveexec_b64 s[6:7], s[6:7]
	v_mov_b32_e32 v2, s10
	s_xor_b64 exec, exec, s[6:7]
	s_cbranch_execz .LBB2_1210
.LBB2_3260:
	v_mov_b32_e32 v2, 0
	v_cmp_ne_u16_sdwa s[8:9], v7, v2 src0_sel:BYTE_3 src1_sel:DWORD
	s_andn2_b64 s[4:5], s[4:5], exec
	s_and_b64 s[8:9], s[8:9], exec
	s_or_b64 s[4:5], s[4:5], s[8:9]
	s_or_b64 exec, exec, s[6:7]
	s_and_saveexec_b64 s[6:7], s[4:5]
	s_cbranch_execnz .LBB2_1211
	s_branch .LBB2_1212
.LBB2_3261:
	s_movk_i32 s4, 0x80
	v_cmp_eq_u16_sdwa s[12:13], v3, s4 src0_sel:BYTE_3 src1_sel:DWORD
	s_mov_b64 s[4:5], -1
                                        ; implicit-def: $sgpr10
	s_and_saveexec_b64 s[8:9], s[12:13]
; %bb.3262:
	s_mov_b32 s10, 0x7f800001
	s_xor_b64 s[4:5], exec, -1
; %bb.3263:
	s_or_b64 exec, exec, s[8:9]
	s_and_b64 s[4:5], s[4:5], exec
	s_or_saveexec_b64 s[6:7], s[6:7]
	v_mov_b32_e32 v6, s10
	s_xor_b64 exec, exec, s[6:7]
	s_cbranch_execz .LBB2_1214
.LBB2_3264:
	v_mov_b32_e32 v6, 0
	v_cmp_ne_u16_sdwa s[8:9], v3, v6 src0_sel:BYTE_3 src1_sel:DWORD
	s_andn2_b64 s[4:5], s[4:5], exec
	s_and_b64 s[8:9], s[8:9], exec
	s_or_b64 s[4:5], s[4:5], s[8:9]
	s_or_b64 exec, exec, s[6:7]
	s_and_saveexec_b64 s[6:7], s[4:5]
	s_cbranch_execnz .LBB2_1215
	s_branch .LBB2_1216
.LBB2_3265:
	s_movk_i32 s4, 0x80
	v_cmp_eq_u16_sdwa s[12:13], v8, s4 src0_sel:BYTE_0 src1_sel:DWORD
	s_mov_b64 s[4:5], -1
                                        ; implicit-def: $sgpr10
	s_and_saveexec_b64 s[8:9], s[12:13]
; %bb.3266:
	s_mov_b32 s10, 0x7f800001
	s_xor_b64 s[4:5], exec, -1
; %bb.3267:
	s_or_b64 exec, exec, s[8:9]
	s_and_b64 s[4:5], s[4:5], exec
	s_or_saveexec_b64 s[6:7], s[6:7]
	v_mov_b32_e32 v2, s10
	s_xor_b64 exec, exec, s[6:7]
	s_cbranch_execz .LBB2_1218
.LBB2_3268:
	v_mov_b32_e32 v2, 0
	v_cmp_ne_u16_sdwa s[8:9], v8, v2 src0_sel:BYTE_0 src1_sel:DWORD
	s_andn2_b64 s[4:5], s[4:5], exec
	s_and_b64 s[8:9], s[8:9], exec
	s_or_b64 s[4:5], s[4:5], s[8:9]
	s_or_b64 exec, exec, s[6:7]
	s_and_saveexec_b64 s[6:7], s[4:5]
	s_cbranch_execnz .LBB2_1219
	s_branch .LBB2_1220
.LBB2_3269:
	s_movk_i32 s4, 0x80
	v_cmp_eq_u16_sdwa s[12:13], v4, s4 src0_sel:BYTE_0 src1_sel:DWORD
	s_mov_b64 s[4:5], -1
                                        ; implicit-def: $sgpr10
	s_and_saveexec_b64 s[8:9], s[12:13]
; %bb.3270:
	s_mov_b32 s10, 0x7f800001
	s_xor_b64 s[4:5], exec, -1
; %bb.3271:
	s_or_b64 exec, exec, s[8:9]
	s_and_b64 s[4:5], s[4:5], exec
	s_or_saveexec_b64 s[6:7], s[6:7]
	v_mov_b32_e32 v3, s10
	s_xor_b64 exec, exec, s[6:7]
	s_cbranch_execz .LBB2_1222
.LBB2_3272:
	v_mov_b32_e32 v3, 0
	v_cmp_ne_u16_sdwa s[8:9], v4, v3 src0_sel:BYTE_0 src1_sel:DWORD
	s_andn2_b64 s[4:5], s[4:5], exec
	s_and_b64 s[8:9], s[8:9], exec
	s_or_b64 s[4:5], s[4:5], s[8:9]
	s_or_b64 exec, exec, s[6:7]
	s_and_saveexec_b64 s[6:7], s[4:5]
	s_cbranch_execnz .LBB2_1223
	s_branch .LBB2_1224
.LBB2_3273:
	s_movk_i32 s4, 0x80
	v_cmp_eq_u16_sdwa s[12:13], v3, s4 src0_sel:BYTE_0 src1_sel:DWORD
	s_mov_b64 s[4:5], -1
                                        ; implicit-def: $sgpr10
	s_and_saveexec_b64 s[8:9], s[12:13]
; %bb.3274:
	s_mov_b32 s10, 0x7f800001
	s_xor_b64 s[4:5], exec, -1
; %bb.3275:
	s_or_b64 exec, exec, s[8:9]
	s_and_b64 s[4:5], s[4:5], exec
	s_or_saveexec_b64 s[6:7], s[6:7]
	v_mov_b32_e32 v2, s10
	s_xor_b64 exec, exec, s[6:7]
	s_cbranch_execz .LBB2_1226
.LBB2_3276:
	v_mov_b32_e32 v2, 0
	v_cmp_ne_u16_sdwa s[8:9], v3, v2 src0_sel:BYTE_0 src1_sel:DWORD
	s_andn2_b64 s[4:5], s[4:5], exec
	s_and_b64 s[8:9], s[8:9], exec
	s_or_b64 s[4:5], s[4:5], s[8:9]
	s_or_b64 exec, exec, s[6:7]
	s_and_saveexec_b64 s[6:7], s[4:5]
	s_cbranch_execnz .LBB2_1227
	s_branch .LBB2_1228
.LBB2_3277:
	s_movk_i32 s4, 0x80
	v_cmp_eq_u16_sdwa s[12:13], v3, s4 src0_sel:BYTE_0 src1_sel:DWORD
	s_mov_b64 s[4:5], -1
                                        ; implicit-def: $sgpr10
	s_and_saveexec_b64 s[8:9], s[12:13]
; %bb.3278:
	s_mov_b32 s10, 0x7f800001
	s_xor_b64 s[4:5], exec, -1
; %bb.3279:
	s_or_b64 exec, exec, s[8:9]
	s_and_b64 s[4:5], s[4:5], exec
	s_or_saveexec_b64 s[6:7], s[6:7]
	v_mov_b32_e32 v6, s10
	s_xor_b64 exec, exec, s[6:7]
	s_cbranch_execz .LBB2_1230
.LBB2_3280:
	v_mov_b32_e32 v6, 0
	v_cmp_ne_u16_sdwa s[8:9], v3, v6 src0_sel:BYTE_0 src1_sel:DWORD
	s_andn2_b64 s[4:5], s[4:5], exec
	s_and_b64 s[8:9], s[8:9], exec
	s_or_b64 s[4:5], s[4:5], s[8:9]
	s_or_b64 exec, exec, s[6:7]
	s_and_saveexec_b64 s[6:7], s[4:5]
	s_cbranch_execnz .LBB2_1231
	s_branch .LBB2_1232
.LBB2_3281:
	s_movk_i32 s4, 0x80
	v_cmp_eq_u16_e32 vcc, s4, v3
	s_mov_b64 s[4:5], -1
                                        ; implicit-def: $sgpr10
	s_and_saveexec_b64 s[8:9], vcc
; %bb.3282:
	s_mov_b32 s10, 0x7f800001
	s_xor_b64 s[4:5], exec, -1
; %bb.3283:
	s_or_b64 exec, exec, s[8:9]
	s_and_b64 s[4:5], s[4:5], exec
                                        ; implicit-def: $vgpr3
	s_or_saveexec_b64 s[6:7], s[6:7]
	v_mov_b32_e32 v2, s10
	s_xor_b64 exec, exec, s[6:7]
	s_cbranch_execz .LBB2_1234
.LBB2_3284:
	v_cmp_ne_u16_e32 vcc, 0, v3
	s_andn2_b64 s[4:5], s[4:5], exec
	s_and_b64 s[8:9], vcc, exec
	v_mov_b32_e32 v2, 0
	s_or_b64 s[4:5], s[4:5], s[8:9]
	s_or_b64 exec, exec, s[6:7]
	s_and_saveexec_b64 s[6:7], s[4:5]
	s_cbranch_execnz .LBB2_1235
	s_branch .LBB2_1236
.LBB2_3285:
	s_movk_i32 s4, 0x80
	v_cmp_eq_u16_e32 vcc, s4, v3
	s_mov_b64 s[4:5], -1
                                        ; implicit-def: $sgpr10
	s_and_saveexec_b64 s[8:9], vcc
; %bb.3286:
	s_mov_b32 s10, 0x7f800001
	s_xor_b64 s[4:5], exec, -1
; %bb.3287:
	s_or_b64 exec, exec, s[8:9]
	s_and_b64 s[4:5], s[4:5], exec
                                        ; implicit-def: $vgpr3
	s_or_saveexec_b64 s[6:7], s[6:7]
	v_mov_b32_e32 v6, s10
	s_xor_b64 exec, exec, s[6:7]
	s_cbranch_execz .LBB2_1238
.LBB2_3288:
	v_cmp_ne_u16_e32 vcc, 0, v3
	s_andn2_b64 s[4:5], s[4:5], exec
	s_and_b64 s[8:9], vcc, exec
	v_mov_b32_e32 v6, 0
	s_or_b64 s[4:5], s[4:5], s[8:9]
	s_or_b64 exec, exec, s[6:7]
	s_and_saveexec_b64 s[6:7], s[4:5]
	s_cbranch_execnz .LBB2_1239
	s_branch .LBB2_1240
.LBB2_3289:
	s_movk_i32 s4, 0x80
	v_cmp_eq_u16_sdwa s[12:13], v8, s4 src0_sel:BYTE_3 src1_sel:DWORD
	s_mov_b64 s[4:5], -1
                                        ; implicit-def: $sgpr10
	s_and_saveexec_b64 s[8:9], s[12:13]
; %bb.3290:
	s_mov_b32 s10, 0x7f800001
	s_xor_b64 s[4:5], exec, -1
; %bb.3291:
	s_or_b64 exec, exec, s[8:9]
	s_and_b64 s[4:5], s[4:5], exec
	s_or_saveexec_b64 s[6:7], s[6:7]
	v_mov_b32_e32 v2, s10
	s_xor_b64 exec, exec, s[6:7]
	s_cbranch_execz .LBB2_1242
.LBB2_3292:
	v_mov_b32_e32 v2, 0
	v_cmp_ne_u16_sdwa s[8:9], v8, v2 src0_sel:BYTE_3 src1_sel:DWORD
	s_andn2_b64 s[4:5], s[4:5], exec
	s_and_b64 s[8:9], s[8:9], exec
	s_or_b64 s[4:5], s[4:5], s[8:9]
	s_or_b64 exec, exec, s[6:7]
	s_and_saveexec_b64 s[6:7], s[4:5]
	s_cbranch_execnz .LBB2_1243
	s_branch .LBB2_1244
.LBB2_3293:
	s_movk_i32 s4, 0x80
	v_cmp_eq_u16_sdwa s[12:13], v4, s4 src0_sel:BYTE_3 src1_sel:DWORD
	s_mov_b64 s[4:5], -1
                                        ; implicit-def: $sgpr10
	s_and_saveexec_b64 s[8:9], s[12:13]
; %bb.3294:
	s_mov_b32 s10, 0x7f800001
	s_xor_b64 s[4:5], exec, -1
; %bb.3295:
	s_or_b64 exec, exec, s[8:9]
	s_and_b64 s[4:5], s[4:5], exec
	s_or_saveexec_b64 s[6:7], s[6:7]
	v_mov_b32_e32 v3, s10
	s_xor_b64 exec, exec, s[6:7]
	s_cbranch_execz .LBB2_1246
.LBB2_3296:
	v_mov_b32_e32 v3, 0
	v_cmp_ne_u16_sdwa s[8:9], v4, v3 src0_sel:BYTE_3 src1_sel:DWORD
	s_andn2_b64 s[4:5], s[4:5], exec
	s_and_b64 s[8:9], s[8:9], exec
	s_or_b64 s[4:5], s[4:5], s[8:9]
	s_or_b64 exec, exec, s[6:7]
	s_and_saveexec_b64 s[6:7], s[4:5]
	s_cbranch_execnz .LBB2_1247
	s_branch .LBB2_1248
.LBB2_3297:
	s_movk_i32 s4, 0x80
	v_cmp_eq_u16_sdwa s[12:13], v9, s4 src0_sel:BYTE_0 src1_sel:DWORD
	s_mov_b64 s[4:5], -1
                                        ; implicit-def: $sgpr10
	s_and_saveexec_b64 s[8:9], s[12:13]
; %bb.3298:
	s_mov_b32 s10, 0x7f800001
	s_xor_b64 s[4:5], exec, -1
; %bb.3299:
	s_or_b64 exec, exec, s[8:9]
	s_and_b64 s[4:5], s[4:5], exec
	s_or_saveexec_b64 s[6:7], s[6:7]
	v_mov_b32_e32 v2, s10
	s_xor_b64 exec, exec, s[6:7]
	s_cbranch_execz .LBB2_1250
.LBB2_3300:
	v_mov_b32_e32 v2, 0
	v_cmp_ne_u16_sdwa s[8:9], v9, v2 src0_sel:BYTE_0 src1_sel:DWORD
	s_andn2_b64 s[4:5], s[4:5], exec
	s_and_b64 s[8:9], s[8:9], exec
	s_or_b64 s[4:5], s[4:5], s[8:9]
	s_or_b64 exec, exec, s[6:7]
	s_and_saveexec_b64 s[6:7], s[4:5]
	s_cbranch_execnz .LBB2_1251
	s_branch .LBB2_1252
.LBB2_3301:
	s_movk_i32 s4, 0x80
	v_cmp_eq_u16_sdwa s[12:13], v5, s4 src0_sel:BYTE_0 src1_sel:DWORD
	s_mov_b64 s[4:5], -1
                                        ; implicit-def: $sgpr10
	s_and_saveexec_b64 s[8:9], s[12:13]
; %bb.3302:
	s_mov_b32 s10, 0x7f800001
	s_xor_b64 s[4:5], exec, -1
; %bb.3303:
	s_or_b64 exec, exec, s[8:9]
	s_and_b64 s[4:5], s[4:5], exec
	s_or_saveexec_b64 s[6:7], s[6:7]
	v_mov_b32_e32 v3, s10
	s_xor_b64 exec, exec, s[6:7]
	s_cbranch_execz .LBB2_1254
.LBB2_3304:
	v_mov_b32_e32 v3, 0
	v_cmp_ne_u16_sdwa s[8:9], v5, v3 src0_sel:BYTE_0 src1_sel:DWORD
	s_andn2_b64 s[4:5], s[4:5], exec
	s_and_b64 s[8:9], s[8:9], exec
	s_or_b64 s[4:5], s[4:5], s[8:9]
	s_or_b64 exec, exec, s[6:7]
	s_and_saveexec_b64 s[6:7], s[4:5]
	s_cbranch_execnz .LBB2_1255
	s_branch .LBB2_1256
.LBB2_3305:
	s_movk_i32 s4, 0x80
	v_cmp_eq_u16_sdwa s[12:13], v3, s4 src0_sel:BYTE_0 src1_sel:DWORD
	s_mov_b64 s[4:5], -1
                                        ; implicit-def: $sgpr10
	s_and_saveexec_b64 s[8:9], s[12:13]
; %bb.3306:
	s_mov_b32 s10, 0x7f800001
	s_xor_b64 s[4:5], exec, -1
; %bb.3307:
	s_or_b64 exec, exec, s[8:9]
	s_and_b64 s[4:5], s[4:5], exec
	s_or_saveexec_b64 s[6:7], s[6:7]
	v_mov_b32_e32 v2, s10
	s_xor_b64 exec, exec, s[6:7]
	s_cbranch_execz .LBB2_1258
.LBB2_3308:
	v_mov_b32_e32 v2, 0
	v_cmp_ne_u16_sdwa s[8:9], v3, v2 src0_sel:BYTE_0 src1_sel:DWORD
	s_andn2_b64 s[4:5], s[4:5], exec
	s_and_b64 s[8:9], s[8:9], exec
	s_or_b64 s[4:5], s[4:5], s[8:9]
	s_or_b64 exec, exec, s[6:7]
	s_and_saveexec_b64 s[6:7], s[4:5]
	s_cbranch_execnz .LBB2_1259
	s_branch .LBB2_1260
.LBB2_3309:
	s_movk_i32 s4, 0x80
	v_cmp_eq_u16_sdwa s[12:13], v3, s4 src0_sel:BYTE_0 src1_sel:DWORD
	s_mov_b64 s[4:5], -1
                                        ; implicit-def: $sgpr10
	s_and_saveexec_b64 s[8:9], s[12:13]
; %bb.3310:
	s_mov_b32 s10, 0x7f800001
	s_xor_b64 s[4:5], exec, -1
; %bb.3311:
	s_or_b64 exec, exec, s[8:9]
	s_and_b64 s[4:5], s[4:5], exec
	s_or_saveexec_b64 s[6:7], s[6:7]
	v_mov_b32_e32 v4, s10
	s_xor_b64 exec, exec, s[6:7]
	s_cbranch_execz .LBB2_1262
.LBB2_3312:
	v_mov_b32_e32 v4, 0
	v_cmp_ne_u16_sdwa s[8:9], v3, v4 src0_sel:BYTE_0 src1_sel:DWORD
	s_andn2_b64 s[4:5], s[4:5], exec
	s_and_b64 s[8:9], s[8:9], exec
	s_or_b64 s[4:5], s[4:5], s[8:9]
	s_or_b64 exec, exec, s[6:7]
	s_and_saveexec_b64 s[6:7], s[4:5]
	s_cbranch_execnz .LBB2_1263
	s_branch .LBB2_1264
.LBB2_3313:
	s_movk_i32 s4, 0x80
	v_cmp_eq_u16_e32 vcc, s4, v3
	s_mov_b64 s[4:5], -1
                                        ; implicit-def: $sgpr10
	s_and_saveexec_b64 s[8:9], vcc
; %bb.3314:
	s_mov_b32 s10, 0x7f800001
	s_xor_b64 s[4:5], exec, -1
; %bb.3315:
	s_or_b64 exec, exec, s[8:9]
	s_and_b64 s[4:5], s[4:5], exec
                                        ; implicit-def: $vgpr3
	s_or_saveexec_b64 s[6:7], s[6:7]
	v_mov_b32_e32 v2, s10
	s_xor_b64 exec, exec, s[6:7]
	s_cbranch_execz .LBB2_1266
.LBB2_3316:
	v_cmp_ne_u16_e32 vcc, 0, v3
	s_andn2_b64 s[4:5], s[4:5], exec
	s_and_b64 s[8:9], vcc, exec
	v_mov_b32_e32 v2, 0
	s_or_b64 s[4:5], s[4:5], s[8:9]
	s_or_b64 exec, exec, s[6:7]
	s_and_saveexec_b64 s[6:7], s[4:5]
	s_cbranch_execnz .LBB2_1267
	s_branch .LBB2_1268
.LBB2_3317:
	s_movk_i32 s4, 0x80
	v_cmp_eq_u16_e32 vcc, s4, v3
	s_mov_b64 s[4:5], -1
                                        ; implicit-def: $sgpr10
	s_and_saveexec_b64 s[8:9], vcc
; %bb.3318:
	s_mov_b32 s10, 0x7f800001
	s_xor_b64 s[4:5], exec, -1
; %bb.3319:
	s_or_b64 exec, exec, s[8:9]
	s_and_b64 s[4:5], s[4:5], exec
                                        ; implicit-def: $vgpr3
	s_or_saveexec_b64 s[6:7], s[6:7]
	v_mov_b32_e32 v4, s10
	s_xor_b64 exec, exec, s[6:7]
	s_cbranch_execz .LBB2_1270
.LBB2_3320:
	v_cmp_ne_u16_e32 vcc, 0, v3
	s_andn2_b64 s[4:5], s[4:5], exec
	s_and_b64 s[8:9], vcc, exec
	v_mov_b32_e32 v4, 0
	s_or_b64 s[4:5], s[4:5], s[8:9]
	s_or_b64 exec, exec, s[6:7]
	s_and_saveexec_b64 s[6:7], s[4:5]
	s_cbranch_execnz .LBB2_1271
	s_branch .LBB2_1272
.LBB2_3321:
	s_movk_i32 s4, 0x80
	v_cmp_eq_u16_sdwa s[12:13], v9, s4 src0_sel:BYTE_3 src1_sel:DWORD
	s_mov_b64 s[4:5], -1
                                        ; implicit-def: $sgpr10
	s_and_saveexec_b64 s[8:9], s[12:13]
; %bb.3322:
	s_mov_b32 s10, 0x7f800001
	s_xor_b64 s[4:5], exec, -1
; %bb.3323:
	s_or_b64 exec, exec, s[8:9]
	s_and_b64 s[4:5], s[4:5], exec
	s_or_saveexec_b64 s[6:7], s[6:7]
	v_mov_b32_e32 v2, s10
	s_xor_b64 exec, exec, s[6:7]
	s_cbranch_execz .LBB2_1274
.LBB2_3324:
	v_mov_b32_e32 v2, 0
	v_cmp_ne_u16_sdwa s[8:9], v9, v2 src0_sel:BYTE_3 src1_sel:DWORD
	s_andn2_b64 s[4:5], s[4:5], exec
	s_and_b64 s[8:9], s[8:9], exec
	s_or_b64 s[4:5], s[4:5], s[8:9]
	s_or_b64 exec, exec, s[6:7]
	s_and_saveexec_b64 s[6:7], s[4:5]
	s_cbranch_execnz .LBB2_1275
	s_branch .LBB2_1276
.LBB2_3325:
	s_movk_i32 s4, 0x80
	v_cmp_eq_u16_sdwa s[12:13], v5, s4 src0_sel:BYTE_3 src1_sel:DWORD
	s_mov_b64 s[4:5], -1
                                        ; implicit-def: $sgpr10
	s_and_saveexec_b64 s[8:9], s[12:13]
; %bb.3326:
	s_mov_b32 s10, 0x7f800001
	s_xor_b64 s[4:5], exec, -1
; %bb.3327:
	s_or_b64 exec, exec, s[8:9]
	s_and_b64 s[4:5], s[4:5], exec
	s_or_saveexec_b64 s[6:7], s[6:7]
	v_mov_b32_e32 v3, s10
	s_xor_b64 exec, exec, s[6:7]
	s_cbranch_execz .LBB2_1278
.LBB2_3328:
	v_mov_b32_e32 v3, 0
	v_cmp_ne_u16_sdwa s[8:9], v5, v3 src0_sel:BYTE_3 src1_sel:DWORD
	s_andn2_b64 s[4:5], s[4:5], exec
	s_and_b64 s[8:9], s[8:9], exec
	s_or_b64 s[4:5], s[4:5], s[8:9]
	s_or_b64 exec, exec, s[6:7]
	s_and_saveexec_b64 s[6:7], s[4:5]
	s_cbranch_execnz .LBB2_1279
	s_branch .LBB2_1280
.LBB2_3329:
	s_movk_i32 s4, 0x80
	v_cmp_eq_u16_sdwa s[12:13], v6, s4 src0_sel:BYTE_0 src1_sel:DWORD
	s_mov_b64 s[4:5], -1
                                        ; implicit-def: $sgpr10
	s_and_saveexec_b64 s[8:9], s[12:13]
; %bb.3330:
	s_mov_b32 s10, 0x7f800001
	s_xor_b64 s[4:5], exec, -1
; %bb.3331:
	s_or_b64 exec, exec, s[8:9]
	s_and_b64 s[4:5], s[4:5], exec
	s_or_saveexec_b64 s[6:7], s[6:7]
	v_mov_b32_e32 v12, s10
	s_xor_b64 exec, exec, s[6:7]
	s_cbranch_execz .LBB2_1282
.LBB2_3332:
	v_mov_b32_e32 v12, 0
	v_cmp_ne_u16_sdwa s[8:9], v6, v12 src0_sel:BYTE_0 src1_sel:DWORD
	s_andn2_b64 s[4:5], s[4:5], exec
	s_and_b64 s[8:9], s[8:9], exec
	s_or_b64 s[4:5], s[4:5], s[8:9]
	s_or_b64 exec, exec, s[6:7]
	s_and_saveexec_b64 s[6:7], s[4:5]
	s_cbranch_execnz .LBB2_1283
	s_branch .LBB2_1284
.LBB2_3333:
	s_movk_i32 s4, 0x80
	v_cmp_eq_u16_sdwa s[12:13], v2, s4 src0_sel:BYTE_0 src1_sel:DWORD
	s_mov_b64 s[4:5], -1
                                        ; implicit-def: $sgpr10
	s_and_saveexec_b64 s[8:9], s[12:13]
; %bb.3334:
	s_mov_b32 s10, 0x7f800001
	s_xor_b64 s[4:5], exec, -1
; %bb.3335:
	s_or_b64 exec, exec, s[8:9]
	s_and_b64 s[4:5], s[4:5], exec
	s_or_saveexec_b64 s[6:7], s[6:7]
	v_mov_b32_e32 v13, s10
	s_xor_b64 exec, exec, s[6:7]
	s_cbranch_execz .LBB2_1286
.LBB2_3336:
	v_mov_b32_e32 v13, 0
	v_cmp_ne_u16_sdwa s[8:9], v2, v13 src0_sel:BYTE_0 src1_sel:DWORD
	s_andn2_b64 s[4:5], s[4:5], exec
	s_and_b64 s[8:9], s[8:9], exec
	s_or_b64 s[4:5], s[4:5], s[8:9]
	s_or_b64 exec, exec, s[6:7]
	s_and_saveexec_b64 s[6:7], s[4:5]
	s_cbranch_execnz .LBB2_1287
	s_branch .LBB2_1288
.LBB2_3337:
	s_movk_i32 s4, 0x80
	v_cmp_eq_u16_sdwa s[12:13], v13, s4 src0_sel:BYTE_0 src1_sel:DWORD
	s_mov_b64 s[4:5], -1
                                        ; implicit-def: $sgpr10
	s_and_saveexec_b64 s[8:9], s[12:13]
; %bb.3338:
	s_mov_b32 s10, 0x7f800001
	s_xor_b64 s[4:5], exec, -1
; %bb.3339:
	s_or_b64 exec, exec, s[8:9]
	s_and_b64 s[4:5], s[4:5], exec
	s_or_saveexec_b64 s[6:7], s[6:7]
	v_mov_b32_e32 v12, s10
	s_xor_b64 exec, exec, s[6:7]
	s_cbranch_execz .LBB2_1290
.LBB2_3340:
	v_mov_b32_e32 v12, 0
	v_cmp_ne_u16_sdwa s[8:9], v13, v12 src0_sel:BYTE_0 src1_sel:DWORD
	s_andn2_b64 s[4:5], s[4:5], exec
	s_and_b64 s[8:9], s[8:9], exec
	s_or_b64 s[4:5], s[4:5], s[8:9]
	s_or_b64 exec, exec, s[6:7]
	s_and_saveexec_b64 s[6:7], s[4:5]
	s_cbranch_execnz .LBB2_1291
	s_branch .LBB2_1292
.LBB2_3341:
	s_movk_i32 s4, 0x80
	v_cmp_eq_u16_sdwa s[12:13], v13, s4 src0_sel:BYTE_0 src1_sel:DWORD
	s_mov_b64 s[4:5], -1
                                        ; implicit-def: $sgpr10
	s_and_saveexec_b64 s[8:9], s[12:13]
; %bb.3342:
	s_mov_b32 s10, 0x7f800001
	s_xor_b64 s[4:5], exec, -1
; %bb.3343:
	s_or_b64 exec, exec, s[8:9]
	s_and_b64 s[4:5], s[4:5], exec
	s_or_saveexec_b64 s[6:7], s[6:7]
	v_mov_b32_e32 v14, s10
	s_xor_b64 exec, exec, s[6:7]
	s_cbranch_execz .LBB2_1294
.LBB2_3344:
	v_mov_b32_e32 v14, 0
	v_cmp_ne_u16_sdwa s[8:9], v13, v14 src0_sel:BYTE_0 src1_sel:DWORD
	s_andn2_b64 s[4:5], s[4:5], exec
	s_and_b64 s[8:9], s[8:9], exec
	s_or_b64 s[4:5], s[4:5], s[8:9]
	s_or_b64 exec, exec, s[6:7]
	s_and_saveexec_b64 s[6:7], s[4:5]
	s_cbranch_execnz .LBB2_1295
	s_branch .LBB2_1296
.LBB2_3345:
	s_movk_i32 s4, 0x80
	v_cmp_eq_u16_e32 vcc, s4, v13
	s_mov_b64 s[4:5], -1
                                        ; implicit-def: $sgpr10
	s_and_saveexec_b64 s[8:9], vcc
; %bb.3346:
	s_mov_b32 s10, 0x7f800001
	s_xor_b64 s[4:5], exec, -1
; %bb.3347:
	s_or_b64 exec, exec, s[8:9]
	s_and_b64 s[4:5], s[4:5], exec
                                        ; implicit-def: $vgpr13
	s_or_saveexec_b64 s[6:7], s[6:7]
	v_mov_b32_e32 v12, s10
	s_xor_b64 exec, exec, s[6:7]
	s_cbranch_execz .LBB2_1298
.LBB2_3348:
	v_cmp_ne_u16_e32 vcc, 0, v13
	s_andn2_b64 s[4:5], s[4:5], exec
	s_and_b64 s[8:9], vcc, exec
	v_mov_b32_e32 v12, 0
	s_or_b64 s[4:5], s[4:5], s[8:9]
	s_or_b64 exec, exec, s[6:7]
	s_and_saveexec_b64 s[6:7], s[4:5]
	s_cbranch_execnz .LBB2_1299
	s_branch .LBB2_1300
.LBB2_3349:
	s_movk_i32 s4, 0x80
	v_cmp_eq_u16_e32 vcc, s4, v13
	s_mov_b64 s[4:5], -1
                                        ; implicit-def: $sgpr10
	s_and_saveexec_b64 s[8:9], vcc
; %bb.3350:
	s_mov_b32 s10, 0x7f800001
	s_xor_b64 s[4:5], exec, -1
; %bb.3351:
	s_or_b64 exec, exec, s[8:9]
	s_and_b64 s[4:5], s[4:5], exec
                                        ; implicit-def: $vgpr13
	s_or_saveexec_b64 s[6:7], s[6:7]
	v_mov_b32_e32 v14, s10
	s_xor_b64 exec, exec, s[6:7]
	s_cbranch_execz .LBB2_1302
.LBB2_3352:
	v_cmp_ne_u16_e32 vcc, 0, v13
	s_andn2_b64 s[4:5], s[4:5], exec
	s_and_b64 s[8:9], vcc, exec
	v_mov_b32_e32 v14, 0
	s_or_b64 s[4:5], s[4:5], s[8:9]
	s_or_b64 exec, exec, s[6:7]
	s_and_saveexec_b64 s[6:7], s[4:5]
	s_cbranch_execnz .LBB2_1303
	s_branch .LBB2_1304
.LBB2_3353:
	s_movk_i32 s4, 0x80
	v_cmp_eq_u16_sdwa s[12:13], v6, s4 src0_sel:BYTE_3 src1_sel:DWORD
	s_mov_b64 s[4:5], -1
                                        ; implicit-def: $sgpr10
	s_and_saveexec_b64 s[8:9], s[12:13]
; %bb.3354:
	s_mov_b32 s10, 0x7f800001
	s_xor_b64 s[4:5], exec, -1
; %bb.3355:
	s_or_b64 exec, exec, s[8:9]
	s_and_b64 s[4:5], s[4:5], exec
	s_or_saveexec_b64 s[6:7], s[6:7]
	v_mov_b32_e32 v12, s10
	s_xor_b64 exec, exec, s[6:7]
	s_cbranch_execz .LBB2_1306
.LBB2_3356:
	v_mov_b32_e32 v12, 0
	v_cmp_ne_u16_sdwa s[8:9], v6, v12 src0_sel:BYTE_3 src1_sel:DWORD
	s_andn2_b64 s[4:5], s[4:5], exec
	s_and_b64 s[8:9], s[8:9], exec
	s_or_b64 s[4:5], s[4:5], s[8:9]
	s_or_b64 exec, exec, s[6:7]
	s_and_saveexec_b64 s[6:7], s[4:5]
	s_cbranch_execnz .LBB2_1307
	s_branch .LBB2_1308
.LBB2_3357:
	s_movk_i32 s4, 0x80
	v_cmp_eq_u16_sdwa s[12:13], v2, s4 src0_sel:BYTE_3 src1_sel:DWORD
	s_mov_b64 s[4:5], -1
                                        ; implicit-def: $sgpr10
	s_and_saveexec_b64 s[8:9], s[12:13]
; %bb.3358:
	s_mov_b32 s10, 0x7f800001
	s_xor_b64 s[4:5], exec, -1
; %bb.3359:
	s_or_b64 exec, exec, s[8:9]
	s_and_b64 s[4:5], s[4:5], exec
	s_or_saveexec_b64 s[6:7], s[6:7]
	v_mov_b32_e32 v6, s10
	s_xor_b64 exec, exec, s[6:7]
	s_cbranch_execz .LBB2_1310
.LBB2_3360:
	v_mov_b32_e32 v6, 0
	v_cmp_ne_u16_sdwa s[8:9], v2, v6 src0_sel:BYTE_3 src1_sel:DWORD
	s_andn2_b64 s[4:5], s[4:5], exec
	s_and_b64 s[8:9], s[8:9], exec
	s_or_b64 s[4:5], s[4:5], s[8:9]
	s_or_b64 exec, exec, s[6:7]
	s_and_saveexec_b64 s[6:7], s[4:5]
	s_cbranch_execnz .LBB2_1311
	s_branch .LBB2_1312
.LBB2_3361:
	s_movk_i32 s4, 0x80
	v_cmp_eq_u16_sdwa s[12:13], v7, s4 src0_sel:BYTE_0 src1_sel:DWORD
	s_mov_b64 s[4:5], -1
                                        ; implicit-def: $sgpr10
	s_and_saveexec_b64 s[8:9], s[12:13]
; %bb.3362:
	s_mov_b32 s10, 0x7f800001
	s_xor_b64 s[4:5], exec, -1
; %bb.3363:
	s_or_b64 exec, exec, s[8:9]
	s_and_b64 s[4:5], s[4:5], exec
	s_or_saveexec_b64 s[6:7], s[6:7]
	v_mov_b32_e32 v2, s10
	s_xor_b64 exec, exec, s[6:7]
	s_cbranch_execz .LBB2_1314
.LBB2_3364:
	v_mov_b32_e32 v2, 0
	v_cmp_ne_u16_sdwa s[8:9], v7, v2 src0_sel:BYTE_0 src1_sel:DWORD
	s_andn2_b64 s[4:5], s[4:5], exec
	s_and_b64 s[8:9], s[8:9], exec
	s_or_b64 s[4:5], s[4:5], s[8:9]
	s_or_b64 exec, exec, s[6:7]
	s_and_saveexec_b64 s[6:7], s[4:5]
	s_cbranch_execnz .LBB2_1315
	s_branch .LBB2_1316
.LBB2_3365:
	s_movk_i32 s4, 0x80
	v_cmp_eq_u16_sdwa s[12:13], v3, s4 src0_sel:BYTE_0 src1_sel:DWORD
	s_mov_b64 s[4:5], -1
                                        ; implicit-def: $sgpr10
	s_and_saveexec_b64 s[8:9], s[12:13]
; %bb.3366:
	s_mov_b32 s10, 0x7f800001
	s_xor_b64 s[4:5], exec, -1
; %bb.3367:
	s_or_b64 exec, exec, s[8:9]
	s_and_b64 s[4:5], s[4:5], exec
	s_or_saveexec_b64 s[6:7], s[6:7]
	v_mov_b32_e32 v6, s10
	s_xor_b64 exec, exec, s[6:7]
	s_cbranch_execz .LBB2_1318
.LBB2_3368:
	v_mov_b32_e32 v6, 0
	v_cmp_ne_u16_sdwa s[8:9], v3, v6 src0_sel:BYTE_0 src1_sel:DWORD
	s_andn2_b64 s[4:5], s[4:5], exec
	s_and_b64 s[8:9], s[8:9], exec
	s_or_b64 s[4:5], s[4:5], s[8:9]
	s_or_b64 exec, exec, s[6:7]
	s_and_saveexec_b64 s[6:7], s[4:5]
	s_cbranch_execnz .LBB2_1319
	s_branch .LBB2_1320
.LBB2_3369:
	s_movk_i32 s4, 0x80
	v_cmp_eq_u16_sdwa s[12:13], v6, s4 src0_sel:BYTE_0 src1_sel:DWORD
	s_mov_b64 s[4:5], -1
                                        ; implicit-def: $sgpr10
	s_and_saveexec_b64 s[8:9], s[12:13]
; %bb.3370:
	s_mov_b32 s10, 0x7f800001
	s_xor_b64 s[4:5], exec, -1
; %bb.3371:
	s_or_b64 exec, exec, s[8:9]
	s_and_b64 s[4:5], s[4:5], exec
	s_or_saveexec_b64 s[6:7], s[6:7]
	v_mov_b32_e32 v2, s10
	s_xor_b64 exec, exec, s[6:7]
	s_cbranch_execz .LBB2_1322
.LBB2_3372:
	v_mov_b32_e32 v2, 0
	v_cmp_ne_u16_sdwa s[8:9], v6, v2 src0_sel:BYTE_0 src1_sel:DWORD
	s_andn2_b64 s[4:5], s[4:5], exec
	s_and_b64 s[8:9], s[8:9], exec
	s_or_b64 s[4:5], s[4:5], s[8:9]
	s_or_b64 exec, exec, s[6:7]
	s_and_saveexec_b64 s[6:7], s[4:5]
	s_cbranch_execnz .LBB2_1323
	s_branch .LBB2_1324
.LBB2_3373:
	s_movk_i32 s4, 0x80
	v_cmp_eq_u16_sdwa s[12:13], v6, s4 src0_sel:BYTE_0 src1_sel:DWORD
	s_mov_b64 s[4:5], -1
                                        ; implicit-def: $sgpr10
	s_and_saveexec_b64 s[8:9], s[12:13]
; %bb.3374:
	s_mov_b32 s10, 0x7f800001
	s_xor_b64 s[4:5], exec, -1
; %bb.3375:
	s_or_b64 exec, exec, s[8:9]
	s_and_b64 s[4:5], s[4:5], exec
	s_or_saveexec_b64 s[6:7], s[6:7]
	v_mov_b32_e32 v12, s10
	s_xor_b64 exec, exec, s[6:7]
	s_cbranch_execz .LBB2_1326
.LBB2_3376:
	v_mov_b32_e32 v12, 0
	v_cmp_ne_u16_sdwa s[8:9], v6, v12 src0_sel:BYTE_0 src1_sel:DWORD
	s_andn2_b64 s[4:5], s[4:5], exec
	s_and_b64 s[8:9], s[8:9], exec
	s_or_b64 s[4:5], s[4:5], s[8:9]
	s_or_b64 exec, exec, s[6:7]
	s_and_saveexec_b64 s[6:7], s[4:5]
	s_cbranch_execnz .LBB2_1327
	s_branch .LBB2_1328
.LBB2_3377:
	s_movk_i32 s4, 0x80
	v_cmp_eq_u16_e32 vcc, s4, v6
	s_mov_b64 s[4:5], -1
                                        ; implicit-def: $sgpr10
	s_and_saveexec_b64 s[8:9], vcc
; %bb.3378:
	s_mov_b32 s10, 0x7f800001
	s_xor_b64 s[4:5], exec, -1
; %bb.3379:
	s_or_b64 exec, exec, s[8:9]
	s_and_b64 s[4:5], s[4:5], exec
                                        ; implicit-def: $vgpr6
	s_or_saveexec_b64 s[6:7], s[6:7]
	v_mov_b32_e32 v2, s10
	s_xor_b64 exec, exec, s[6:7]
	s_cbranch_execz .LBB2_1330
.LBB2_3380:
	v_cmp_ne_u16_e32 vcc, 0, v6
	s_andn2_b64 s[4:5], s[4:5], exec
	s_and_b64 s[8:9], vcc, exec
	v_mov_b32_e32 v2, 0
	s_or_b64 s[4:5], s[4:5], s[8:9]
	s_or_b64 exec, exec, s[6:7]
	s_and_saveexec_b64 s[6:7], s[4:5]
	s_cbranch_execnz .LBB2_1331
	s_branch .LBB2_1332
.LBB2_3381:
	s_movk_i32 s4, 0x80
	v_cmp_eq_u16_e32 vcc, s4, v6
	s_mov_b64 s[4:5], -1
                                        ; implicit-def: $sgpr10
	s_and_saveexec_b64 s[8:9], vcc
; %bb.3382:
	s_mov_b32 s10, 0x7f800001
	s_xor_b64 s[4:5], exec, -1
; %bb.3383:
	s_or_b64 exec, exec, s[8:9]
	s_and_b64 s[4:5], s[4:5], exec
                                        ; implicit-def: $vgpr6
	s_or_saveexec_b64 s[6:7], s[6:7]
	v_mov_b32_e32 v12, s10
	s_xor_b64 exec, exec, s[6:7]
	s_cbranch_execz .LBB2_1334
.LBB2_3384:
	v_cmp_ne_u16_e32 vcc, 0, v6
	s_andn2_b64 s[4:5], s[4:5], exec
	s_and_b64 s[8:9], vcc, exec
	v_mov_b32_e32 v12, 0
	s_or_b64 s[4:5], s[4:5], s[8:9]
	s_or_b64 exec, exec, s[6:7]
	s_and_saveexec_b64 s[6:7], s[4:5]
	s_cbranch_execnz .LBB2_1335
	s_branch .LBB2_1336
.LBB2_3385:
	s_movk_i32 s4, 0x80
	v_cmp_eq_u16_sdwa s[12:13], v7, s4 src0_sel:BYTE_3 src1_sel:DWORD
	s_mov_b64 s[4:5], -1
                                        ; implicit-def: $sgpr10
	s_and_saveexec_b64 s[8:9], s[12:13]
; %bb.3386:
	s_mov_b32 s10, 0x7f800001
	s_xor_b64 s[4:5], exec, -1
; %bb.3387:
	s_or_b64 exec, exec, s[8:9]
	s_and_b64 s[4:5], s[4:5], exec
	s_or_saveexec_b64 s[6:7], s[6:7]
	v_mov_b32_e32 v2, s10
	s_xor_b64 exec, exec, s[6:7]
	s_cbranch_execz .LBB2_1338
.LBB2_3388:
	v_mov_b32_e32 v2, 0
	v_cmp_ne_u16_sdwa s[8:9], v7, v2 src0_sel:BYTE_3 src1_sel:DWORD
	s_andn2_b64 s[4:5], s[4:5], exec
	s_and_b64 s[8:9], s[8:9], exec
	s_or_b64 s[4:5], s[4:5], s[8:9]
	s_or_b64 exec, exec, s[6:7]
	s_and_saveexec_b64 s[6:7], s[4:5]
	s_cbranch_execnz .LBB2_1339
	s_branch .LBB2_1340
.LBB2_3389:
	s_movk_i32 s4, 0x80
	v_cmp_eq_u16_sdwa s[12:13], v3, s4 src0_sel:BYTE_3 src1_sel:DWORD
	s_mov_b64 s[4:5], -1
                                        ; implicit-def: $sgpr10
	s_and_saveexec_b64 s[8:9], s[12:13]
; %bb.3390:
	s_mov_b32 s10, 0x7f800001
	s_xor_b64 s[4:5], exec, -1
; %bb.3391:
	s_or_b64 exec, exec, s[8:9]
	s_and_b64 s[4:5], s[4:5], exec
	s_or_saveexec_b64 s[6:7], s[6:7]
	v_mov_b32_e32 v6, s10
	s_xor_b64 exec, exec, s[6:7]
	s_cbranch_execz .LBB2_1342
.LBB2_3392:
	v_mov_b32_e32 v6, 0
	v_cmp_ne_u16_sdwa s[8:9], v3, v6 src0_sel:BYTE_3 src1_sel:DWORD
	s_andn2_b64 s[4:5], s[4:5], exec
	s_and_b64 s[8:9], s[8:9], exec
	s_or_b64 s[4:5], s[4:5], s[8:9]
	s_or_b64 exec, exec, s[6:7]
	s_and_saveexec_b64 s[6:7], s[4:5]
	s_cbranch_execnz .LBB2_1343
	s_branch .LBB2_1344
.LBB2_3393:
	s_movk_i32 s4, 0x80
	v_cmp_eq_u16_sdwa s[12:13], v8, s4 src0_sel:BYTE_0 src1_sel:DWORD
	s_mov_b64 s[4:5], -1
                                        ; implicit-def: $sgpr10
	s_and_saveexec_b64 s[8:9], s[12:13]
; %bb.3394:
	s_mov_b32 s10, 0x7f800001
	s_xor_b64 s[4:5], exec, -1
; %bb.3395:
	s_or_b64 exec, exec, s[8:9]
	s_and_b64 s[4:5], s[4:5], exec
	s_or_saveexec_b64 s[6:7], s[6:7]
	v_mov_b32_e32 v2, s10
	s_xor_b64 exec, exec, s[6:7]
	s_cbranch_execz .LBB2_1346
.LBB2_3396:
	v_mov_b32_e32 v2, 0
	v_cmp_ne_u16_sdwa s[8:9], v8, v2 src0_sel:BYTE_0 src1_sel:DWORD
	s_andn2_b64 s[4:5], s[4:5], exec
	s_and_b64 s[8:9], s[8:9], exec
	s_or_b64 s[4:5], s[4:5], s[8:9]
	s_or_b64 exec, exec, s[6:7]
	s_and_saveexec_b64 s[6:7], s[4:5]
	s_cbranch_execnz .LBB2_1347
	s_branch .LBB2_1348
.LBB2_3397:
	s_movk_i32 s4, 0x80
	v_cmp_eq_u16_sdwa s[12:13], v4, s4 src0_sel:BYTE_0 src1_sel:DWORD
	s_mov_b64 s[4:5], -1
                                        ; implicit-def: $sgpr10
	s_and_saveexec_b64 s[8:9], s[12:13]
; %bb.3398:
	s_mov_b32 s10, 0x7f800001
	s_xor_b64 s[4:5], exec, -1
; %bb.3399:
	s_or_b64 exec, exec, s[8:9]
	s_and_b64 s[4:5], s[4:5], exec
	s_or_saveexec_b64 s[6:7], s[6:7]
	v_mov_b32_e32 v3, s10
	s_xor_b64 exec, exec, s[6:7]
	s_cbranch_execz .LBB2_1350
.LBB2_3400:
	v_mov_b32_e32 v3, 0
	v_cmp_ne_u16_sdwa s[8:9], v4, v3 src0_sel:BYTE_0 src1_sel:DWORD
	s_andn2_b64 s[4:5], s[4:5], exec
	s_and_b64 s[8:9], s[8:9], exec
	s_or_b64 s[4:5], s[4:5], s[8:9]
	s_or_b64 exec, exec, s[6:7]
	s_and_saveexec_b64 s[6:7], s[4:5]
	s_cbranch_execnz .LBB2_1351
	s_branch .LBB2_1352
.LBB2_3401:
	s_movk_i32 s4, 0x80
	v_cmp_eq_u16_sdwa s[12:13], v3, s4 src0_sel:BYTE_0 src1_sel:DWORD
	s_mov_b64 s[4:5], -1
                                        ; implicit-def: $sgpr10
	s_and_saveexec_b64 s[8:9], s[12:13]
; %bb.3402:
	s_mov_b32 s10, 0x7f800001
	s_xor_b64 s[4:5], exec, -1
; %bb.3403:
	s_or_b64 exec, exec, s[8:9]
	s_and_b64 s[4:5], s[4:5], exec
	s_or_saveexec_b64 s[6:7], s[6:7]
	v_mov_b32_e32 v2, s10
	s_xor_b64 exec, exec, s[6:7]
	s_cbranch_execz .LBB2_1354
.LBB2_3404:
	v_mov_b32_e32 v2, 0
	v_cmp_ne_u16_sdwa s[8:9], v3, v2 src0_sel:BYTE_0 src1_sel:DWORD
	s_andn2_b64 s[4:5], s[4:5], exec
	s_and_b64 s[8:9], s[8:9], exec
	s_or_b64 s[4:5], s[4:5], s[8:9]
	s_or_b64 exec, exec, s[6:7]
	s_and_saveexec_b64 s[6:7], s[4:5]
	s_cbranch_execnz .LBB2_1355
	s_branch .LBB2_1356
.LBB2_3405:
	s_movk_i32 s4, 0x80
	v_cmp_eq_u16_sdwa s[12:13], v3, s4 src0_sel:BYTE_0 src1_sel:DWORD
	s_mov_b64 s[4:5], -1
                                        ; implicit-def: $sgpr10
	s_and_saveexec_b64 s[8:9], s[12:13]
; %bb.3406:
	s_mov_b32 s10, 0x7f800001
	s_xor_b64 s[4:5], exec, -1
; %bb.3407:
	s_or_b64 exec, exec, s[8:9]
	s_and_b64 s[4:5], s[4:5], exec
	s_or_saveexec_b64 s[6:7], s[6:7]
	v_mov_b32_e32 v6, s10
	s_xor_b64 exec, exec, s[6:7]
	s_cbranch_execz .LBB2_1358
.LBB2_3408:
	v_mov_b32_e32 v6, 0
	v_cmp_ne_u16_sdwa s[8:9], v3, v6 src0_sel:BYTE_0 src1_sel:DWORD
	s_andn2_b64 s[4:5], s[4:5], exec
	s_and_b64 s[8:9], s[8:9], exec
	s_or_b64 s[4:5], s[4:5], s[8:9]
	s_or_b64 exec, exec, s[6:7]
	s_and_saveexec_b64 s[6:7], s[4:5]
	s_cbranch_execnz .LBB2_1359
	s_branch .LBB2_1360
.LBB2_3409:
	s_movk_i32 s4, 0x80
	v_cmp_eq_u16_e32 vcc, s4, v3
	s_mov_b64 s[4:5], -1
                                        ; implicit-def: $sgpr10
	s_and_saveexec_b64 s[8:9], vcc
; %bb.3410:
	s_mov_b32 s10, 0x7f800001
	s_xor_b64 s[4:5], exec, -1
; %bb.3411:
	s_or_b64 exec, exec, s[8:9]
	s_and_b64 s[4:5], s[4:5], exec
                                        ; implicit-def: $vgpr3
	s_or_saveexec_b64 s[6:7], s[6:7]
	v_mov_b32_e32 v2, s10
	s_xor_b64 exec, exec, s[6:7]
	s_cbranch_execz .LBB2_1362
.LBB2_3412:
	v_cmp_ne_u16_e32 vcc, 0, v3
	s_andn2_b64 s[4:5], s[4:5], exec
	s_and_b64 s[8:9], vcc, exec
	v_mov_b32_e32 v2, 0
	s_or_b64 s[4:5], s[4:5], s[8:9]
	s_or_b64 exec, exec, s[6:7]
	s_and_saveexec_b64 s[6:7], s[4:5]
	s_cbranch_execnz .LBB2_1363
	s_branch .LBB2_1364
.LBB2_3413:
	s_movk_i32 s4, 0x80
	v_cmp_eq_u16_e32 vcc, s4, v3
	s_mov_b64 s[4:5], -1
                                        ; implicit-def: $sgpr10
	s_and_saveexec_b64 s[8:9], vcc
; %bb.3414:
	s_mov_b32 s10, 0x7f800001
	s_xor_b64 s[4:5], exec, -1
; %bb.3415:
	s_or_b64 exec, exec, s[8:9]
	s_and_b64 s[4:5], s[4:5], exec
                                        ; implicit-def: $vgpr3
	s_or_saveexec_b64 s[6:7], s[6:7]
	v_mov_b32_e32 v6, s10
	s_xor_b64 exec, exec, s[6:7]
	s_cbranch_execz .LBB2_1366
.LBB2_3416:
	v_cmp_ne_u16_e32 vcc, 0, v3
	s_andn2_b64 s[4:5], s[4:5], exec
	s_and_b64 s[8:9], vcc, exec
	v_mov_b32_e32 v6, 0
	s_or_b64 s[4:5], s[4:5], s[8:9]
	s_or_b64 exec, exec, s[6:7]
	s_and_saveexec_b64 s[6:7], s[4:5]
	s_cbranch_execnz .LBB2_1367
	s_branch .LBB2_1368
.LBB2_3417:
	s_movk_i32 s4, 0x80
	v_cmp_eq_u16_sdwa s[12:13], v8, s4 src0_sel:BYTE_3 src1_sel:DWORD
	s_mov_b64 s[4:5], -1
                                        ; implicit-def: $sgpr10
	s_and_saveexec_b64 s[8:9], s[12:13]
; %bb.3418:
	s_mov_b32 s10, 0x7f800001
	s_xor_b64 s[4:5], exec, -1
; %bb.3419:
	s_or_b64 exec, exec, s[8:9]
	s_and_b64 s[4:5], s[4:5], exec
	s_or_saveexec_b64 s[6:7], s[6:7]
	v_mov_b32_e32 v2, s10
	s_xor_b64 exec, exec, s[6:7]
	s_cbranch_execz .LBB2_1370
.LBB2_3420:
	v_mov_b32_e32 v2, 0
	v_cmp_ne_u16_sdwa s[8:9], v8, v2 src0_sel:BYTE_3 src1_sel:DWORD
	s_andn2_b64 s[4:5], s[4:5], exec
	s_and_b64 s[8:9], s[8:9], exec
	s_or_b64 s[4:5], s[4:5], s[8:9]
	s_or_b64 exec, exec, s[6:7]
	s_and_saveexec_b64 s[6:7], s[4:5]
	s_cbranch_execnz .LBB2_1371
	s_branch .LBB2_1372
.LBB2_3421:
	s_movk_i32 s4, 0x80
	v_cmp_eq_u16_sdwa s[12:13], v4, s4 src0_sel:BYTE_3 src1_sel:DWORD
	s_mov_b64 s[4:5], -1
                                        ; implicit-def: $sgpr10
	s_and_saveexec_b64 s[8:9], s[12:13]
; %bb.3422:
	s_mov_b32 s10, 0x7f800001
	s_xor_b64 s[4:5], exec, -1
; %bb.3423:
	s_or_b64 exec, exec, s[8:9]
	s_and_b64 s[4:5], s[4:5], exec
	s_or_saveexec_b64 s[6:7], s[6:7]
	v_mov_b32_e32 v3, s10
	s_xor_b64 exec, exec, s[6:7]
	s_cbranch_execz .LBB2_1374
.LBB2_3424:
	v_mov_b32_e32 v3, 0
	v_cmp_ne_u16_sdwa s[8:9], v4, v3 src0_sel:BYTE_3 src1_sel:DWORD
	s_andn2_b64 s[4:5], s[4:5], exec
	s_and_b64 s[8:9], s[8:9], exec
	s_or_b64 s[4:5], s[4:5], s[8:9]
	s_or_b64 exec, exec, s[6:7]
	s_and_saveexec_b64 s[6:7], s[4:5]
	s_cbranch_execnz .LBB2_1375
	s_branch .LBB2_1376
.LBB2_3425:
	s_movk_i32 s4, 0x80
	v_cmp_eq_u16_sdwa s[12:13], v9, s4 src0_sel:BYTE_0 src1_sel:DWORD
	s_mov_b64 s[4:5], -1
                                        ; implicit-def: $sgpr10
	s_and_saveexec_b64 s[8:9], s[12:13]
; %bb.3426:
	s_mov_b32 s10, 0x7f800001
	s_xor_b64 s[4:5], exec, -1
; %bb.3427:
	s_or_b64 exec, exec, s[8:9]
	s_and_b64 s[4:5], s[4:5], exec
	s_or_saveexec_b64 s[6:7], s[6:7]
	v_mov_b32_e32 v2, s10
	s_xor_b64 exec, exec, s[6:7]
	s_cbranch_execz .LBB2_1378
.LBB2_3428:
	v_mov_b32_e32 v2, 0
	v_cmp_ne_u16_sdwa s[8:9], v9, v2 src0_sel:BYTE_0 src1_sel:DWORD
	s_andn2_b64 s[4:5], s[4:5], exec
	s_and_b64 s[8:9], s[8:9], exec
	s_or_b64 s[4:5], s[4:5], s[8:9]
	s_or_b64 exec, exec, s[6:7]
	s_and_saveexec_b64 s[6:7], s[4:5]
	s_cbranch_execnz .LBB2_1379
	s_branch .LBB2_1380
.LBB2_3429:
	s_movk_i32 s4, 0x80
	v_cmp_eq_u16_sdwa s[12:13], v5, s4 src0_sel:BYTE_0 src1_sel:DWORD
	s_mov_b64 s[4:5], -1
                                        ; implicit-def: $sgpr10
	s_and_saveexec_b64 s[8:9], s[12:13]
; %bb.3430:
	s_mov_b32 s10, 0x7f800001
	s_xor_b64 s[4:5], exec, -1
; %bb.3431:
	s_or_b64 exec, exec, s[8:9]
	s_and_b64 s[4:5], s[4:5], exec
	s_or_saveexec_b64 s[6:7], s[6:7]
	v_mov_b32_e32 v3, s10
	s_xor_b64 exec, exec, s[6:7]
	s_cbranch_execz .LBB2_1382
.LBB2_3432:
	v_mov_b32_e32 v3, 0
	v_cmp_ne_u16_sdwa s[8:9], v5, v3 src0_sel:BYTE_0 src1_sel:DWORD
	s_andn2_b64 s[4:5], s[4:5], exec
	s_and_b64 s[8:9], s[8:9], exec
	s_or_b64 s[4:5], s[4:5], s[8:9]
	s_or_b64 exec, exec, s[6:7]
	s_and_saveexec_b64 s[6:7], s[4:5]
	s_cbranch_execnz .LBB2_1383
	s_branch .LBB2_1384
.LBB2_3433:
	s_movk_i32 s4, 0x80
	v_cmp_eq_u16_sdwa s[12:13], v3, s4 src0_sel:BYTE_0 src1_sel:DWORD
	s_mov_b64 s[4:5], -1
                                        ; implicit-def: $sgpr10
	s_and_saveexec_b64 s[8:9], s[12:13]
; %bb.3434:
	s_mov_b32 s10, 0x7f800001
	s_xor_b64 s[4:5], exec, -1
; %bb.3435:
	s_or_b64 exec, exec, s[8:9]
	s_and_b64 s[4:5], s[4:5], exec
	s_or_saveexec_b64 s[6:7], s[6:7]
	v_mov_b32_e32 v2, s10
	s_xor_b64 exec, exec, s[6:7]
	s_cbranch_execz .LBB2_1386
.LBB2_3436:
	v_mov_b32_e32 v2, 0
	v_cmp_ne_u16_sdwa s[8:9], v3, v2 src0_sel:BYTE_0 src1_sel:DWORD
	s_andn2_b64 s[4:5], s[4:5], exec
	s_and_b64 s[8:9], s[8:9], exec
	s_or_b64 s[4:5], s[4:5], s[8:9]
	s_or_b64 exec, exec, s[6:7]
	s_and_saveexec_b64 s[6:7], s[4:5]
	s_cbranch_execnz .LBB2_1387
	s_branch .LBB2_1388
.LBB2_3437:
	s_movk_i32 s4, 0x80
	v_cmp_eq_u16_sdwa s[12:13], v3, s4 src0_sel:BYTE_0 src1_sel:DWORD
	s_mov_b64 s[4:5], -1
                                        ; implicit-def: $sgpr10
	s_and_saveexec_b64 s[8:9], s[12:13]
; %bb.3438:
	s_mov_b32 s10, 0x7f800001
	s_xor_b64 s[4:5], exec, -1
; %bb.3439:
	s_or_b64 exec, exec, s[8:9]
	s_and_b64 s[4:5], s[4:5], exec
	s_or_saveexec_b64 s[6:7], s[6:7]
	v_mov_b32_e32 v4, s10
	s_xor_b64 exec, exec, s[6:7]
	s_cbranch_execz .LBB2_1390
.LBB2_3440:
	v_mov_b32_e32 v4, 0
	v_cmp_ne_u16_sdwa s[8:9], v3, v4 src0_sel:BYTE_0 src1_sel:DWORD
	s_andn2_b64 s[4:5], s[4:5], exec
	s_and_b64 s[8:9], s[8:9], exec
	s_or_b64 s[4:5], s[4:5], s[8:9]
	s_or_b64 exec, exec, s[6:7]
	s_and_saveexec_b64 s[6:7], s[4:5]
	s_cbranch_execnz .LBB2_1391
	s_branch .LBB2_1392
.LBB2_3441:
	s_movk_i32 s4, 0x80
	v_cmp_eq_u16_e32 vcc, s4, v3
	s_mov_b64 s[4:5], -1
                                        ; implicit-def: $sgpr10
	s_and_saveexec_b64 s[8:9], vcc
; %bb.3442:
	s_mov_b32 s10, 0x7f800001
	s_xor_b64 s[4:5], exec, -1
; %bb.3443:
	s_or_b64 exec, exec, s[8:9]
	s_and_b64 s[4:5], s[4:5], exec
                                        ; implicit-def: $vgpr3
	s_or_saveexec_b64 s[6:7], s[6:7]
	v_mov_b32_e32 v2, s10
	s_xor_b64 exec, exec, s[6:7]
	s_cbranch_execz .LBB2_1394
.LBB2_3444:
	v_cmp_ne_u16_e32 vcc, 0, v3
	s_andn2_b64 s[4:5], s[4:5], exec
	s_and_b64 s[8:9], vcc, exec
	v_mov_b32_e32 v2, 0
	s_or_b64 s[4:5], s[4:5], s[8:9]
	s_or_b64 exec, exec, s[6:7]
	s_and_saveexec_b64 s[6:7], s[4:5]
	s_cbranch_execnz .LBB2_1395
	s_branch .LBB2_1396
.LBB2_3445:
	s_movk_i32 s4, 0x80
	v_cmp_eq_u16_e32 vcc, s4, v3
	s_mov_b64 s[4:5], -1
                                        ; implicit-def: $sgpr10
	s_and_saveexec_b64 s[8:9], vcc
; %bb.3446:
	s_mov_b32 s10, 0x7f800001
	s_xor_b64 s[4:5], exec, -1
; %bb.3447:
	s_or_b64 exec, exec, s[8:9]
	s_and_b64 s[4:5], s[4:5], exec
                                        ; implicit-def: $vgpr3
	s_or_saveexec_b64 s[6:7], s[6:7]
	v_mov_b32_e32 v4, s10
	s_xor_b64 exec, exec, s[6:7]
	s_cbranch_execz .LBB2_1398
.LBB2_3448:
	v_cmp_ne_u16_e32 vcc, 0, v3
	s_andn2_b64 s[4:5], s[4:5], exec
	s_and_b64 s[8:9], vcc, exec
	v_mov_b32_e32 v4, 0
	s_or_b64 s[4:5], s[4:5], s[8:9]
	s_or_b64 exec, exec, s[6:7]
	s_and_saveexec_b64 s[6:7], s[4:5]
	s_cbranch_execnz .LBB2_1399
	s_branch .LBB2_1400
.LBB2_3449:
	s_movk_i32 s4, 0x80
	v_cmp_eq_u16_sdwa s[12:13], v9, s4 src0_sel:BYTE_3 src1_sel:DWORD
	s_mov_b64 s[4:5], -1
                                        ; implicit-def: $sgpr10
	s_and_saveexec_b64 s[8:9], s[12:13]
; %bb.3450:
	s_mov_b32 s10, 0x7f800001
	s_xor_b64 s[4:5], exec, -1
; %bb.3451:
	s_or_b64 exec, exec, s[8:9]
	s_and_b64 s[4:5], s[4:5], exec
	s_or_saveexec_b64 s[6:7], s[6:7]
	v_mov_b32_e32 v2, s10
	s_xor_b64 exec, exec, s[6:7]
	s_cbranch_execz .LBB2_1402
.LBB2_3452:
	v_mov_b32_e32 v2, 0
	v_cmp_ne_u16_sdwa s[8:9], v9, v2 src0_sel:BYTE_3 src1_sel:DWORD
	s_andn2_b64 s[4:5], s[4:5], exec
	s_and_b64 s[8:9], s[8:9], exec
	s_or_b64 s[4:5], s[4:5], s[8:9]
	s_or_b64 exec, exec, s[6:7]
	s_and_saveexec_b64 s[6:7], s[4:5]
	s_cbranch_execnz .LBB2_1403
	s_branch .LBB2_1404
.LBB2_3453:
	s_movk_i32 s4, 0x80
	v_cmp_eq_u16_sdwa s[12:13], v5, s4 src0_sel:BYTE_3 src1_sel:DWORD
	s_mov_b64 s[4:5], -1
                                        ; implicit-def: $sgpr10
	s_and_saveexec_b64 s[8:9], s[12:13]
; %bb.3454:
	s_mov_b32 s10, 0x7f800001
	s_xor_b64 s[4:5], exec, -1
; %bb.3455:
	s_or_b64 exec, exec, s[8:9]
	s_and_b64 s[4:5], s[4:5], exec
	s_or_saveexec_b64 s[6:7], s[6:7]
	v_mov_b32_e32 v3, s10
	s_xor_b64 exec, exec, s[6:7]
	s_cbranch_execz .LBB2_1406
.LBB2_3456:
	v_mov_b32_e32 v3, 0
	v_cmp_ne_u16_sdwa s[8:9], v5, v3 src0_sel:BYTE_3 src1_sel:DWORD
	s_andn2_b64 s[4:5], s[4:5], exec
	s_and_b64 s[8:9], s[8:9], exec
	s_or_b64 s[4:5], s[4:5], s[8:9]
	s_or_b64 exec, exec, s[6:7]
	s_and_saveexec_b64 s[6:7], s[4:5]
	s_cbranch_execnz .LBB2_1407
	s_branch .LBB2_1408
.LBB2_3457:
	s_movk_i32 s4, 0x80
	v_cmp_eq_u16_sdwa s[12:13], v6, s4 src0_sel:BYTE_0 src1_sel:DWORD
	s_mov_b64 s[4:5], -1
                                        ; implicit-def: $sgpr10
	s_and_saveexec_b64 s[8:9], s[12:13]
; %bb.3458:
	s_mov_b32 s10, 0x7f800001
	s_xor_b64 s[4:5], exec, -1
; %bb.3459:
	s_or_b64 exec, exec, s[8:9]
	s_and_b64 s[4:5], s[4:5], exec
	s_or_saveexec_b64 s[6:7], s[6:7]
	v_mov_b32_e32 v12, s10
	s_xor_b64 exec, exec, s[6:7]
	s_cbranch_execz .LBB2_1410
.LBB2_3460:
	v_mov_b32_e32 v12, 0
	v_cmp_ne_u16_sdwa s[8:9], v6, v12 src0_sel:BYTE_0 src1_sel:DWORD
	s_andn2_b64 s[4:5], s[4:5], exec
	s_and_b64 s[8:9], s[8:9], exec
	s_or_b64 s[4:5], s[4:5], s[8:9]
	s_or_b64 exec, exec, s[6:7]
	s_and_saveexec_b64 s[6:7], s[4:5]
	s_cbranch_execnz .LBB2_1411
	s_branch .LBB2_1412
.LBB2_3461:
	s_movk_i32 s4, 0x80
	v_cmp_eq_u16_sdwa s[12:13], v2, s4 src0_sel:BYTE_0 src1_sel:DWORD
	s_mov_b64 s[4:5], -1
                                        ; implicit-def: $sgpr10
	s_and_saveexec_b64 s[8:9], s[12:13]
; %bb.3462:
	s_mov_b32 s10, 0x7f800001
	s_xor_b64 s[4:5], exec, -1
; %bb.3463:
	s_or_b64 exec, exec, s[8:9]
	s_and_b64 s[4:5], s[4:5], exec
	s_or_saveexec_b64 s[6:7], s[6:7]
	v_mov_b32_e32 v13, s10
	s_xor_b64 exec, exec, s[6:7]
	s_cbranch_execz .LBB2_1414
.LBB2_3464:
	v_mov_b32_e32 v13, 0
	v_cmp_ne_u16_sdwa s[8:9], v2, v13 src0_sel:BYTE_0 src1_sel:DWORD
	s_andn2_b64 s[4:5], s[4:5], exec
	s_and_b64 s[8:9], s[8:9], exec
	s_or_b64 s[4:5], s[4:5], s[8:9]
	s_or_b64 exec, exec, s[6:7]
	s_and_saveexec_b64 s[6:7], s[4:5]
	s_cbranch_execnz .LBB2_1415
	s_branch .LBB2_1416
.LBB2_3465:
	s_movk_i32 s4, 0x80
	v_cmp_eq_u16_sdwa s[12:13], v13, s4 src0_sel:BYTE_0 src1_sel:DWORD
	s_mov_b64 s[4:5], -1
                                        ; implicit-def: $sgpr10
	s_and_saveexec_b64 s[8:9], s[12:13]
; %bb.3466:
	s_mov_b32 s10, 0x7f800001
	s_xor_b64 s[4:5], exec, -1
; %bb.3467:
	s_or_b64 exec, exec, s[8:9]
	s_and_b64 s[4:5], s[4:5], exec
	s_or_saveexec_b64 s[6:7], s[6:7]
	v_mov_b32_e32 v12, s10
	s_xor_b64 exec, exec, s[6:7]
	s_cbranch_execz .LBB2_1418
.LBB2_3468:
	v_mov_b32_e32 v12, 0
	v_cmp_ne_u16_sdwa s[8:9], v13, v12 src0_sel:BYTE_0 src1_sel:DWORD
	s_andn2_b64 s[4:5], s[4:5], exec
	s_and_b64 s[8:9], s[8:9], exec
	s_or_b64 s[4:5], s[4:5], s[8:9]
	s_or_b64 exec, exec, s[6:7]
	s_and_saveexec_b64 s[6:7], s[4:5]
	s_cbranch_execnz .LBB2_1419
	s_branch .LBB2_1420
.LBB2_3469:
	s_movk_i32 s4, 0x80
	v_cmp_eq_u16_sdwa s[12:13], v13, s4 src0_sel:BYTE_0 src1_sel:DWORD
	s_mov_b64 s[4:5], -1
                                        ; implicit-def: $sgpr10
	s_and_saveexec_b64 s[8:9], s[12:13]
; %bb.3470:
	s_mov_b32 s10, 0x7f800001
	s_xor_b64 s[4:5], exec, -1
; %bb.3471:
	s_or_b64 exec, exec, s[8:9]
	s_and_b64 s[4:5], s[4:5], exec
	s_or_saveexec_b64 s[6:7], s[6:7]
	v_mov_b32_e32 v14, s10
	s_xor_b64 exec, exec, s[6:7]
	s_cbranch_execz .LBB2_1422
.LBB2_3472:
	v_mov_b32_e32 v14, 0
	v_cmp_ne_u16_sdwa s[8:9], v13, v14 src0_sel:BYTE_0 src1_sel:DWORD
	s_andn2_b64 s[4:5], s[4:5], exec
	s_and_b64 s[8:9], s[8:9], exec
	s_or_b64 s[4:5], s[4:5], s[8:9]
	s_or_b64 exec, exec, s[6:7]
	s_and_saveexec_b64 s[6:7], s[4:5]
	s_cbranch_execnz .LBB2_1423
	s_branch .LBB2_1424
.LBB2_3473:
	s_movk_i32 s4, 0x80
	v_cmp_eq_u16_e32 vcc, s4, v13
	s_mov_b64 s[4:5], -1
                                        ; implicit-def: $sgpr10
	s_and_saveexec_b64 s[8:9], vcc
; %bb.3474:
	s_mov_b32 s10, 0x7f800001
	s_xor_b64 s[4:5], exec, -1
; %bb.3475:
	s_or_b64 exec, exec, s[8:9]
	s_and_b64 s[4:5], s[4:5], exec
                                        ; implicit-def: $vgpr13
	s_or_saveexec_b64 s[6:7], s[6:7]
	v_mov_b32_e32 v12, s10
	s_xor_b64 exec, exec, s[6:7]
	s_cbranch_execz .LBB2_1426
.LBB2_3476:
	v_cmp_ne_u16_e32 vcc, 0, v13
	s_andn2_b64 s[4:5], s[4:5], exec
	s_and_b64 s[8:9], vcc, exec
	v_mov_b32_e32 v12, 0
	s_or_b64 s[4:5], s[4:5], s[8:9]
	s_or_b64 exec, exec, s[6:7]
	s_and_saveexec_b64 s[6:7], s[4:5]
	s_cbranch_execnz .LBB2_1427
	s_branch .LBB2_1428
.LBB2_3477:
	s_movk_i32 s4, 0x80
	v_cmp_eq_u16_e32 vcc, s4, v13
	s_mov_b64 s[4:5], -1
                                        ; implicit-def: $sgpr10
	s_and_saveexec_b64 s[8:9], vcc
; %bb.3478:
	s_mov_b32 s10, 0x7f800001
	s_xor_b64 s[4:5], exec, -1
; %bb.3479:
	s_or_b64 exec, exec, s[8:9]
	s_and_b64 s[4:5], s[4:5], exec
                                        ; implicit-def: $vgpr13
	s_or_saveexec_b64 s[6:7], s[6:7]
	v_mov_b32_e32 v14, s10
	s_xor_b64 exec, exec, s[6:7]
	s_cbranch_execz .LBB2_1430
.LBB2_3480:
	v_cmp_ne_u16_e32 vcc, 0, v13
	s_andn2_b64 s[4:5], s[4:5], exec
	s_and_b64 s[8:9], vcc, exec
	v_mov_b32_e32 v14, 0
	s_or_b64 s[4:5], s[4:5], s[8:9]
	s_or_b64 exec, exec, s[6:7]
	s_and_saveexec_b64 s[6:7], s[4:5]
	s_cbranch_execnz .LBB2_1431
	s_branch .LBB2_1432
.LBB2_3481:
	s_movk_i32 s4, 0x80
	v_cmp_eq_u16_sdwa s[12:13], v6, s4 src0_sel:BYTE_3 src1_sel:DWORD
	s_mov_b64 s[4:5], -1
                                        ; implicit-def: $sgpr10
	s_and_saveexec_b64 s[8:9], s[12:13]
; %bb.3482:
	s_mov_b32 s10, 0x7f800001
	s_xor_b64 s[4:5], exec, -1
; %bb.3483:
	s_or_b64 exec, exec, s[8:9]
	s_and_b64 s[4:5], s[4:5], exec
	s_or_saveexec_b64 s[6:7], s[6:7]
	v_mov_b32_e32 v12, s10
	s_xor_b64 exec, exec, s[6:7]
	s_cbranch_execz .LBB2_1434
.LBB2_3484:
	v_mov_b32_e32 v12, 0
	v_cmp_ne_u16_sdwa s[8:9], v6, v12 src0_sel:BYTE_3 src1_sel:DWORD
	s_andn2_b64 s[4:5], s[4:5], exec
	s_and_b64 s[8:9], s[8:9], exec
	s_or_b64 s[4:5], s[4:5], s[8:9]
	s_or_b64 exec, exec, s[6:7]
	s_and_saveexec_b64 s[6:7], s[4:5]
	s_cbranch_execnz .LBB2_1435
	s_branch .LBB2_1436
.LBB2_3485:
	s_movk_i32 s4, 0x80
	v_cmp_eq_u16_sdwa s[12:13], v2, s4 src0_sel:BYTE_3 src1_sel:DWORD
	s_mov_b64 s[4:5], -1
                                        ; implicit-def: $sgpr10
	s_and_saveexec_b64 s[8:9], s[12:13]
; %bb.3486:
	s_mov_b32 s10, 0x7f800001
	s_xor_b64 s[4:5], exec, -1
; %bb.3487:
	s_or_b64 exec, exec, s[8:9]
	s_and_b64 s[4:5], s[4:5], exec
	s_or_saveexec_b64 s[6:7], s[6:7]
	v_mov_b32_e32 v6, s10
	s_xor_b64 exec, exec, s[6:7]
	s_cbranch_execz .LBB2_1438
.LBB2_3488:
	v_mov_b32_e32 v6, 0
	v_cmp_ne_u16_sdwa s[8:9], v2, v6 src0_sel:BYTE_3 src1_sel:DWORD
	s_andn2_b64 s[4:5], s[4:5], exec
	s_and_b64 s[8:9], s[8:9], exec
	s_or_b64 s[4:5], s[4:5], s[8:9]
	s_or_b64 exec, exec, s[6:7]
	s_and_saveexec_b64 s[6:7], s[4:5]
	s_cbranch_execnz .LBB2_1439
	s_branch .LBB2_1440
.LBB2_3489:
	s_movk_i32 s4, 0x80
	v_cmp_eq_u16_sdwa s[12:13], v7, s4 src0_sel:BYTE_0 src1_sel:DWORD
	s_mov_b64 s[4:5], -1
                                        ; implicit-def: $sgpr10
	s_and_saveexec_b64 s[8:9], s[12:13]
; %bb.3490:
	s_mov_b32 s10, 0x7f800001
	s_xor_b64 s[4:5], exec, -1
; %bb.3491:
	s_or_b64 exec, exec, s[8:9]
	s_and_b64 s[4:5], s[4:5], exec
	s_or_saveexec_b64 s[6:7], s[6:7]
	v_mov_b32_e32 v2, s10
	s_xor_b64 exec, exec, s[6:7]
	s_cbranch_execz .LBB2_1442
.LBB2_3492:
	v_mov_b32_e32 v2, 0
	v_cmp_ne_u16_sdwa s[8:9], v7, v2 src0_sel:BYTE_0 src1_sel:DWORD
	s_andn2_b64 s[4:5], s[4:5], exec
	s_and_b64 s[8:9], s[8:9], exec
	s_or_b64 s[4:5], s[4:5], s[8:9]
	s_or_b64 exec, exec, s[6:7]
	s_and_saveexec_b64 s[6:7], s[4:5]
	s_cbranch_execnz .LBB2_1443
	s_branch .LBB2_1444
.LBB2_3493:
	s_movk_i32 s4, 0x80
	v_cmp_eq_u16_sdwa s[12:13], v3, s4 src0_sel:BYTE_0 src1_sel:DWORD
	s_mov_b64 s[4:5], -1
                                        ; implicit-def: $sgpr10
	s_and_saveexec_b64 s[8:9], s[12:13]
; %bb.3494:
	s_mov_b32 s10, 0x7f800001
	s_xor_b64 s[4:5], exec, -1
; %bb.3495:
	s_or_b64 exec, exec, s[8:9]
	s_and_b64 s[4:5], s[4:5], exec
	s_or_saveexec_b64 s[6:7], s[6:7]
	v_mov_b32_e32 v6, s10
	s_xor_b64 exec, exec, s[6:7]
	s_cbranch_execz .LBB2_1446
.LBB2_3496:
	v_mov_b32_e32 v6, 0
	v_cmp_ne_u16_sdwa s[8:9], v3, v6 src0_sel:BYTE_0 src1_sel:DWORD
	s_andn2_b64 s[4:5], s[4:5], exec
	s_and_b64 s[8:9], s[8:9], exec
	s_or_b64 s[4:5], s[4:5], s[8:9]
	s_or_b64 exec, exec, s[6:7]
	s_and_saveexec_b64 s[6:7], s[4:5]
	s_cbranch_execnz .LBB2_1447
	s_branch .LBB2_1448
.LBB2_3497:
	s_movk_i32 s4, 0x80
	v_cmp_eq_u16_sdwa s[12:13], v6, s4 src0_sel:BYTE_0 src1_sel:DWORD
	s_mov_b64 s[4:5], -1
                                        ; implicit-def: $sgpr10
	s_and_saveexec_b64 s[8:9], s[12:13]
; %bb.3498:
	s_mov_b32 s10, 0x7f800001
	s_xor_b64 s[4:5], exec, -1
; %bb.3499:
	s_or_b64 exec, exec, s[8:9]
	s_and_b64 s[4:5], s[4:5], exec
	s_or_saveexec_b64 s[6:7], s[6:7]
	v_mov_b32_e32 v2, s10
	s_xor_b64 exec, exec, s[6:7]
	s_cbranch_execz .LBB2_1450
.LBB2_3500:
	v_mov_b32_e32 v2, 0
	v_cmp_ne_u16_sdwa s[8:9], v6, v2 src0_sel:BYTE_0 src1_sel:DWORD
	s_andn2_b64 s[4:5], s[4:5], exec
	s_and_b64 s[8:9], s[8:9], exec
	s_or_b64 s[4:5], s[4:5], s[8:9]
	s_or_b64 exec, exec, s[6:7]
	s_and_saveexec_b64 s[6:7], s[4:5]
	s_cbranch_execnz .LBB2_1451
	s_branch .LBB2_1452
.LBB2_3501:
	s_movk_i32 s4, 0x80
	v_cmp_eq_u16_sdwa s[12:13], v6, s4 src0_sel:BYTE_0 src1_sel:DWORD
	s_mov_b64 s[4:5], -1
                                        ; implicit-def: $sgpr10
	s_and_saveexec_b64 s[8:9], s[12:13]
; %bb.3502:
	s_mov_b32 s10, 0x7f800001
	s_xor_b64 s[4:5], exec, -1
; %bb.3503:
	s_or_b64 exec, exec, s[8:9]
	s_and_b64 s[4:5], s[4:5], exec
	s_or_saveexec_b64 s[6:7], s[6:7]
	v_mov_b32_e32 v12, s10
	s_xor_b64 exec, exec, s[6:7]
	s_cbranch_execz .LBB2_1454
.LBB2_3504:
	v_mov_b32_e32 v12, 0
	v_cmp_ne_u16_sdwa s[8:9], v6, v12 src0_sel:BYTE_0 src1_sel:DWORD
	s_andn2_b64 s[4:5], s[4:5], exec
	s_and_b64 s[8:9], s[8:9], exec
	s_or_b64 s[4:5], s[4:5], s[8:9]
	s_or_b64 exec, exec, s[6:7]
	s_and_saveexec_b64 s[6:7], s[4:5]
	s_cbranch_execnz .LBB2_1455
	s_branch .LBB2_1456
.LBB2_3505:
	s_movk_i32 s4, 0x80
	v_cmp_eq_u16_e32 vcc, s4, v6
	s_mov_b64 s[4:5], -1
                                        ; implicit-def: $sgpr10
	s_and_saveexec_b64 s[8:9], vcc
; %bb.3506:
	s_mov_b32 s10, 0x7f800001
	s_xor_b64 s[4:5], exec, -1
; %bb.3507:
	s_or_b64 exec, exec, s[8:9]
	s_and_b64 s[4:5], s[4:5], exec
                                        ; implicit-def: $vgpr6
	s_or_saveexec_b64 s[6:7], s[6:7]
	v_mov_b32_e32 v2, s10
	s_xor_b64 exec, exec, s[6:7]
	s_cbranch_execz .LBB2_1458
.LBB2_3508:
	v_cmp_ne_u16_e32 vcc, 0, v6
	s_andn2_b64 s[4:5], s[4:5], exec
	s_and_b64 s[8:9], vcc, exec
	v_mov_b32_e32 v2, 0
	s_or_b64 s[4:5], s[4:5], s[8:9]
	s_or_b64 exec, exec, s[6:7]
	s_and_saveexec_b64 s[6:7], s[4:5]
	s_cbranch_execnz .LBB2_1459
	s_branch .LBB2_1460
.LBB2_3509:
	s_movk_i32 s4, 0x80
	v_cmp_eq_u16_e32 vcc, s4, v6
	s_mov_b64 s[4:5], -1
                                        ; implicit-def: $sgpr10
	s_and_saveexec_b64 s[8:9], vcc
; %bb.3510:
	s_mov_b32 s10, 0x7f800001
	s_xor_b64 s[4:5], exec, -1
; %bb.3511:
	s_or_b64 exec, exec, s[8:9]
	s_and_b64 s[4:5], s[4:5], exec
                                        ; implicit-def: $vgpr6
	s_or_saveexec_b64 s[6:7], s[6:7]
	v_mov_b32_e32 v12, s10
	s_xor_b64 exec, exec, s[6:7]
	s_cbranch_execz .LBB2_1462
.LBB2_3512:
	v_cmp_ne_u16_e32 vcc, 0, v6
	s_andn2_b64 s[4:5], s[4:5], exec
	s_and_b64 s[8:9], vcc, exec
	v_mov_b32_e32 v12, 0
	s_or_b64 s[4:5], s[4:5], s[8:9]
	s_or_b64 exec, exec, s[6:7]
	s_and_saveexec_b64 s[6:7], s[4:5]
	s_cbranch_execnz .LBB2_1463
	s_branch .LBB2_1464
.LBB2_3513:
	s_movk_i32 s4, 0x80
	v_cmp_eq_u16_sdwa s[12:13], v7, s4 src0_sel:BYTE_3 src1_sel:DWORD
	s_mov_b64 s[4:5], -1
                                        ; implicit-def: $sgpr10
	s_and_saveexec_b64 s[8:9], s[12:13]
; %bb.3514:
	s_mov_b32 s10, 0x7f800001
	s_xor_b64 s[4:5], exec, -1
; %bb.3515:
	s_or_b64 exec, exec, s[8:9]
	s_and_b64 s[4:5], s[4:5], exec
	s_or_saveexec_b64 s[6:7], s[6:7]
	v_mov_b32_e32 v2, s10
	s_xor_b64 exec, exec, s[6:7]
	s_cbranch_execz .LBB2_1466
.LBB2_3516:
	v_mov_b32_e32 v2, 0
	v_cmp_ne_u16_sdwa s[8:9], v7, v2 src0_sel:BYTE_3 src1_sel:DWORD
	s_andn2_b64 s[4:5], s[4:5], exec
	s_and_b64 s[8:9], s[8:9], exec
	s_or_b64 s[4:5], s[4:5], s[8:9]
	s_or_b64 exec, exec, s[6:7]
	s_and_saveexec_b64 s[6:7], s[4:5]
	s_cbranch_execnz .LBB2_1467
	s_branch .LBB2_1468
.LBB2_3517:
	s_movk_i32 s4, 0x80
	v_cmp_eq_u16_sdwa s[12:13], v3, s4 src0_sel:BYTE_3 src1_sel:DWORD
	s_mov_b64 s[4:5], -1
                                        ; implicit-def: $sgpr10
	s_and_saveexec_b64 s[8:9], s[12:13]
; %bb.3518:
	s_mov_b32 s10, 0x7f800001
	s_xor_b64 s[4:5], exec, -1
; %bb.3519:
	s_or_b64 exec, exec, s[8:9]
	s_and_b64 s[4:5], s[4:5], exec
	s_or_saveexec_b64 s[6:7], s[6:7]
	v_mov_b32_e32 v6, s10
	s_xor_b64 exec, exec, s[6:7]
	s_cbranch_execz .LBB2_1470
.LBB2_3520:
	v_mov_b32_e32 v6, 0
	v_cmp_ne_u16_sdwa s[8:9], v3, v6 src0_sel:BYTE_3 src1_sel:DWORD
	s_andn2_b64 s[4:5], s[4:5], exec
	s_and_b64 s[8:9], s[8:9], exec
	s_or_b64 s[4:5], s[4:5], s[8:9]
	s_or_b64 exec, exec, s[6:7]
	s_and_saveexec_b64 s[6:7], s[4:5]
	s_cbranch_execnz .LBB2_1471
	s_branch .LBB2_1472
.LBB2_3521:
	s_movk_i32 s4, 0x80
	v_cmp_eq_u16_sdwa s[12:13], v8, s4 src0_sel:BYTE_0 src1_sel:DWORD
	s_mov_b64 s[4:5], -1
                                        ; implicit-def: $sgpr10
	s_and_saveexec_b64 s[8:9], s[12:13]
; %bb.3522:
	s_mov_b32 s10, 0x7f800001
	s_xor_b64 s[4:5], exec, -1
; %bb.3523:
	s_or_b64 exec, exec, s[8:9]
	s_and_b64 s[4:5], s[4:5], exec
	s_or_saveexec_b64 s[6:7], s[6:7]
	v_mov_b32_e32 v2, s10
	s_xor_b64 exec, exec, s[6:7]
	s_cbranch_execz .LBB2_1474
.LBB2_3524:
	v_mov_b32_e32 v2, 0
	v_cmp_ne_u16_sdwa s[8:9], v8, v2 src0_sel:BYTE_0 src1_sel:DWORD
	s_andn2_b64 s[4:5], s[4:5], exec
	s_and_b64 s[8:9], s[8:9], exec
	s_or_b64 s[4:5], s[4:5], s[8:9]
	s_or_b64 exec, exec, s[6:7]
	s_and_saveexec_b64 s[6:7], s[4:5]
	s_cbranch_execnz .LBB2_1475
	s_branch .LBB2_1476
.LBB2_3525:
	s_movk_i32 s4, 0x80
	v_cmp_eq_u16_sdwa s[12:13], v4, s4 src0_sel:BYTE_0 src1_sel:DWORD
	s_mov_b64 s[4:5], -1
                                        ; implicit-def: $sgpr10
	s_and_saveexec_b64 s[8:9], s[12:13]
; %bb.3526:
	s_mov_b32 s10, 0x7f800001
	s_xor_b64 s[4:5], exec, -1
; %bb.3527:
	s_or_b64 exec, exec, s[8:9]
	s_and_b64 s[4:5], s[4:5], exec
	s_or_saveexec_b64 s[6:7], s[6:7]
	v_mov_b32_e32 v3, s10
	s_xor_b64 exec, exec, s[6:7]
	s_cbranch_execz .LBB2_1478
.LBB2_3528:
	v_mov_b32_e32 v3, 0
	v_cmp_ne_u16_sdwa s[8:9], v4, v3 src0_sel:BYTE_0 src1_sel:DWORD
	s_andn2_b64 s[4:5], s[4:5], exec
	s_and_b64 s[8:9], s[8:9], exec
	s_or_b64 s[4:5], s[4:5], s[8:9]
	s_or_b64 exec, exec, s[6:7]
	s_and_saveexec_b64 s[6:7], s[4:5]
	s_cbranch_execnz .LBB2_1479
	s_branch .LBB2_1480
.LBB2_3529:
	s_movk_i32 s4, 0x80
	v_cmp_eq_u16_sdwa s[12:13], v3, s4 src0_sel:BYTE_0 src1_sel:DWORD
	s_mov_b64 s[4:5], -1
                                        ; implicit-def: $sgpr10
	s_and_saveexec_b64 s[8:9], s[12:13]
; %bb.3530:
	s_mov_b32 s10, 0x7f800001
	s_xor_b64 s[4:5], exec, -1
; %bb.3531:
	s_or_b64 exec, exec, s[8:9]
	s_and_b64 s[4:5], s[4:5], exec
	s_or_saveexec_b64 s[6:7], s[6:7]
	v_mov_b32_e32 v2, s10
	s_xor_b64 exec, exec, s[6:7]
	s_cbranch_execz .LBB2_1482
.LBB2_3532:
	v_mov_b32_e32 v2, 0
	v_cmp_ne_u16_sdwa s[8:9], v3, v2 src0_sel:BYTE_0 src1_sel:DWORD
	s_andn2_b64 s[4:5], s[4:5], exec
	s_and_b64 s[8:9], s[8:9], exec
	s_or_b64 s[4:5], s[4:5], s[8:9]
	s_or_b64 exec, exec, s[6:7]
	s_and_saveexec_b64 s[6:7], s[4:5]
	s_cbranch_execnz .LBB2_1483
	s_branch .LBB2_1484
.LBB2_3533:
	s_movk_i32 s4, 0x80
	v_cmp_eq_u16_sdwa s[12:13], v3, s4 src0_sel:BYTE_0 src1_sel:DWORD
	s_mov_b64 s[4:5], -1
                                        ; implicit-def: $sgpr10
	s_and_saveexec_b64 s[8:9], s[12:13]
; %bb.3534:
	s_mov_b32 s10, 0x7f800001
	s_xor_b64 s[4:5], exec, -1
; %bb.3535:
	s_or_b64 exec, exec, s[8:9]
	s_and_b64 s[4:5], s[4:5], exec
	s_or_saveexec_b64 s[6:7], s[6:7]
	v_mov_b32_e32 v6, s10
	s_xor_b64 exec, exec, s[6:7]
	s_cbranch_execz .LBB2_1486
.LBB2_3536:
	v_mov_b32_e32 v6, 0
	v_cmp_ne_u16_sdwa s[8:9], v3, v6 src0_sel:BYTE_0 src1_sel:DWORD
	s_andn2_b64 s[4:5], s[4:5], exec
	s_and_b64 s[8:9], s[8:9], exec
	s_or_b64 s[4:5], s[4:5], s[8:9]
	s_or_b64 exec, exec, s[6:7]
	s_and_saveexec_b64 s[6:7], s[4:5]
	s_cbranch_execnz .LBB2_1487
	s_branch .LBB2_1488
.LBB2_3537:
	s_movk_i32 s4, 0x80
	v_cmp_eq_u16_e32 vcc, s4, v3
	s_mov_b64 s[4:5], -1
                                        ; implicit-def: $sgpr10
	s_and_saveexec_b64 s[8:9], vcc
; %bb.3538:
	s_mov_b32 s10, 0x7f800001
	s_xor_b64 s[4:5], exec, -1
; %bb.3539:
	s_or_b64 exec, exec, s[8:9]
	s_and_b64 s[4:5], s[4:5], exec
                                        ; implicit-def: $vgpr3
	s_or_saveexec_b64 s[6:7], s[6:7]
	v_mov_b32_e32 v2, s10
	s_xor_b64 exec, exec, s[6:7]
	s_cbranch_execz .LBB2_1490
.LBB2_3540:
	v_cmp_ne_u16_e32 vcc, 0, v3
	s_andn2_b64 s[4:5], s[4:5], exec
	s_and_b64 s[8:9], vcc, exec
	v_mov_b32_e32 v2, 0
	s_or_b64 s[4:5], s[4:5], s[8:9]
	s_or_b64 exec, exec, s[6:7]
	s_and_saveexec_b64 s[6:7], s[4:5]
	s_cbranch_execnz .LBB2_1491
	s_branch .LBB2_1492
.LBB2_3541:
	s_movk_i32 s4, 0x80
	v_cmp_eq_u16_e32 vcc, s4, v3
	s_mov_b64 s[4:5], -1
                                        ; implicit-def: $sgpr10
	s_and_saveexec_b64 s[8:9], vcc
; %bb.3542:
	s_mov_b32 s10, 0x7f800001
	s_xor_b64 s[4:5], exec, -1
; %bb.3543:
	s_or_b64 exec, exec, s[8:9]
	s_and_b64 s[4:5], s[4:5], exec
                                        ; implicit-def: $vgpr3
	s_or_saveexec_b64 s[6:7], s[6:7]
	v_mov_b32_e32 v6, s10
	s_xor_b64 exec, exec, s[6:7]
	s_cbranch_execz .LBB2_1494
.LBB2_3544:
	v_cmp_ne_u16_e32 vcc, 0, v3
	s_andn2_b64 s[4:5], s[4:5], exec
	s_and_b64 s[8:9], vcc, exec
	v_mov_b32_e32 v6, 0
	s_or_b64 s[4:5], s[4:5], s[8:9]
	s_or_b64 exec, exec, s[6:7]
	s_and_saveexec_b64 s[6:7], s[4:5]
	s_cbranch_execnz .LBB2_1495
	s_branch .LBB2_1496
.LBB2_3545:
	s_movk_i32 s4, 0x80
	v_cmp_eq_u16_sdwa s[12:13], v8, s4 src0_sel:BYTE_3 src1_sel:DWORD
	s_mov_b64 s[4:5], -1
                                        ; implicit-def: $sgpr10
	s_and_saveexec_b64 s[8:9], s[12:13]
; %bb.3546:
	s_mov_b32 s10, 0x7f800001
	s_xor_b64 s[4:5], exec, -1
; %bb.3547:
	s_or_b64 exec, exec, s[8:9]
	s_and_b64 s[4:5], s[4:5], exec
	s_or_saveexec_b64 s[6:7], s[6:7]
	v_mov_b32_e32 v2, s10
	s_xor_b64 exec, exec, s[6:7]
	s_cbranch_execz .LBB2_1498
.LBB2_3548:
	v_mov_b32_e32 v2, 0
	v_cmp_ne_u16_sdwa s[8:9], v8, v2 src0_sel:BYTE_3 src1_sel:DWORD
	s_andn2_b64 s[4:5], s[4:5], exec
	s_and_b64 s[8:9], s[8:9], exec
	s_or_b64 s[4:5], s[4:5], s[8:9]
	s_or_b64 exec, exec, s[6:7]
	s_and_saveexec_b64 s[6:7], s[4:5]
	s_cbranch_execnz .LBB2_1499
	s_branch .LBB2_1500
.LBB2_3549:
	s_movk_i32 s4, 0x80
	v_cmp_eq_u16_sdwa s[12:13], v4, s4 src0_sel:BYTE_3 src1_sel:DWORD
	s_mov_b64 s[4:5], -1
                                        ; implicit-def: $sgpr10
	s_and_saveexec_b64 s[8:9], s[12:13]
; %bb.3550:
	s_mov_b32 s10, 0x7f800001
	s_xor_b64 s[4:5], exec, -1
; %bb.3551:
	s_or_b64 exec, exec, s[8:9]
	s_and_b64 s[4:5], s[4:5], exec
	s_or_saveexec_b64 s[6:7], s[6:7]
	v_mov_b32_e32 v3, s10
	s_xor_b64 exec, exec, s[6:7]
	s_cbranch_execz .LBB2_1502
.LBB2_3552:
	v_mov_b32_e32 v3, 0
	v_cmp_ne_u16_sdwa s[8:9], v4, v3 src0_sel:BYTE_3 src1_sel:DWORD
	s_andn2_b64 s[4:5], s[4:5], exec
	s_and_b64 s[8:9], s[8:9], exec
	s_or_b64 s[4:5], s[4:5], s[8:9]
	s_or_b64 exec, exec, s[6:7]
	s_and_saveexec_b64 s[6:7], s[4:5]
	s_cbranch_execnz .LBB2_1503
	s_branch .LBB2_1504
.LBB2_3553:
	s_movk_i32 s4, 0x80
	v_cmp_eq_u16_sdwa s[12:13], v9, s4 src0_sel:BYTE_0 src1_sel:DWORD
	s_mov_b64 s[4:5], -1
                                        ; implicit-def: $sgpr10
	s_and_saveexec_b64 s[8:9], s[12:13]
; %bb.3554:
	s_mov_b32 s10, 0x7f800001
	s_xor_b64 s[4:5], exec, -1
; %bb.3555:
	s_or_b64 exec, exec, s[8:9]
	s_and_b64 s[4:5], s[4:5], exec
	s_or_saveexec_b64 s[6:7], s[6:7]
	v_mov_b32_e32 v2, s10
	s_xor_b64 exec, exec, s[6:7]
	s_cbranch_execz .LBB2_1506
.LBB2_3556:
	v_mov_b32_e32 v2, 0
	v_cmp_ne_u16_sdwa s[8:9], v9, v2 src0_sel:BYTE_0 src1_sel:DWORD
	s_andn2_b64 s[4:5], s[4:5], exec
	s_and_b64 s[8:9], s[8:9], exec
	s_or_b64 s[4:5], s[4:5], s[8:9]
	s_or_b64 exec, exec, s[6:7]
	s_and_saveexec_b64 s[6:7], s[4:5]
	s_cbranch_execnz .LBB2_1507
	s_branch .LBB2_1508
.LBB2_3557:
	s_movk_i32 s4, 0x80
	v_cmp_eq_u16_sdwa s[12:13], v5, s4 src0_sel:BYTE_0 src1_sel:DWORD
	s_mov_b64 s[4:5], -1
                                        ; implicit-def: $sgpr10
	s_and_saveexec_b64 s[8:9], s[12:13]
; %bb.3558:
	s_mov_b32 s10, 0x7f800001
	s_xor_b64 s[4:5], exec, -1
; %bb.3559:
	s_or_b64 exec, exec, s[8:9]
	s_and_b64 s[4:5], s[4:5], exec
	s_or_saveexec_b64 s[6:7], s[6:7]
	v_mov_b32_e32 v3, s10
	s_xor_b64 exec, exec, s[6:7]
	s_cbranch_execz .LBB2_1510
.LBB2_3560:
	v_mov_b32_e32 v3, 0
	v_cmp_ne_u16_sdwa s[8:9], v5, v3 src0_sel:BYTE_0 src1_sel:DWORD
	s_andn2_b64 s[4:5], s[4:5], exec
	s_and_b64 s[8:9], s[8:9], exec
	s_or_b64 s[4:5], s[4:5], s[8:9]
	s_or_b64 exec, exec, s[6:7]
	s_and_saveexec_b64 s[6:7], s[4:5]
	s_cbranch_execnz .LBB2_1511
	s_branch .LBB2_1512
.LBB2_3561:
	s_movk_i32 s4, 0x80
	v_cmp_eq_u16_sdwa s[12:13], v3, s4 src0_sel:BYTE_0 src1_sel:DWORD
	s_mov_b64 s[4:5], -1
                                        ; implicit-def: $sgpr10
	s_and_saveexec_b64 s[8:9], s[12:13]
; %bb.3562:
	s_mov_b32 s10, 0x7f800001
	s_xor_b64 s[4:5], exec, -1
; %bb.3563:
	s_or_b64 exec, exec, s[8:9]
	s_and_b64 s[4:5], s[4:5], exec
	s_or_saveexec_b64 s[6:7], s[6:7]
	v_mov_b32_e32 v2, s10
	s_xor_b64 exec, exec, s[6:7]
	s_cbranch_execz .LBB2_1514
.LBB2_3564:
	v_mov_b32_e32 v2, 0
	v_cmp_ne_u16_sdwa s[8:9], v3, v2 src0_sel:BYTE_0 src1_sel:DWORD
	s_andn2_b64 s[4:5], s[4:5], exec
	s_and_b64 s[8:9], s[8:9], exec
	s_or_b64 s[4:5], s[4:5], s[8:9]
	s_or_b64 exec, exec, s[6:7]
	s_and_saveexec_b64 s[6:7], s[4:5]
	s_cbranch_execnz .LBB2_1515
	s_branch .LBB2_1516
.LBB2_3565:
	s_movk_i32 s4, 0x80
	v_cmp_eq_u16_sdwa s[12:13], v3, s4 src0_sel:BYTE_0 src1_sel:DWORD
	s_mov_b64 s[4:5], -1
                                        ; implicit-def: $sgpr10
	s_and_saveexec_b64 s[8:9], s[12:13]
; %bb.3566:
	s_mov_b32 s10, 0x7f800001
	s_xor_b64 s[4:5], exec, -1
; %bb.3567:
	s_or_b64 exec, exec, s[8:9]
	s_and_b64 s[4:5], s[4:5], exec
	s_or_saveexec_b64 s[6:7], s[6:7]
	v_mov_b32_e32 v4, s10
	s_xor_b64 exec, exec, s[6:7]
	s_cbranch_execz .LBB2_1518
.LBB2_3568:
	v_mov_b32_e32 v4, 0
	v_cmp_ne_u16_sdwa s[8:9], v3, v4 src0_sel:BYTE_0 src1_sel:DWORD
	s_andn2_b64 s[4:5], s[4:5], exec
	s_and_b64 s[8:9], s[8:9], exec
	s_or_b64 s[4:5], s[4:5], s[8:9]
	s_or_b64 exec, exec, s[6:7]
	s_and_saveexec_b64 s[6:7], s[4:5]
	s_cbranch_execnz .LBB2_1519
	s_branch .LBB2_1520
.LBB2_3569:
	s_movk_i32 s4, 0x80
	v_cmp_eq_u16_e32 vcc, s4, v3
	s_mov_b64 s[4:5], -1
                                        ; implicit-def: $sgpr10
	s_and_saveexec_b64 s[8:9], vcc
; %bb.3570:
	s_mov_b32 s10, 0x7f800001
	s_xor_b64 s[4:5], exec, -1
; %bb.3571:
	s_or_b64 exec, exec, s[8:9]
	s_and_b64 s[4:5], s[4:5], exec
                                        ; implicit-def: $vgpr3
	s_or_saveexec_b64 s[6:7], s[6:7]
	v_mov_b32_e32 v2, s10
	s_xor_b64 exec, exec, s[6:7]
	s_cbranch_execz .LBB2_1522
.LBB2_3572:
	v_cmp_ne_u16_e32 vcc, 0, v3
	s_andn2_b64 s[4:5], s[4:5], exec
	s_and_b64 s[8:9], vcc, exec
	v_mov_b32_e32 v2, 0
	s_or_b64 s[4:5], s[4:5], s[8:9]
	s_or_b64 exec, exec, s[6:7]
	s_and_saveexec_b64 s[6:7], s[4:5]
	s_cbranch_execnz .LBB2_1523
	s_branch .LBB2_1524
.LBB2_3573:
	s_movk_i32 s4, 0x80
	v_cmp_eq_u16_e32 vcc, s4, v3
	s_mov_b64 s[4:5], -1
                                        ; implicit-def: $sgpr10
	s_and_saveexec_b64 s[8:9], vcc
; %bb.3574:
	s_mov_b32 s10, 0x7f800001
	s_xor_b64 s[4:5], exec, -1
; %bb.3575:
	s_or_b64 exec, exec, s[8:9]
	s_and_b64 s[4:5], s[4:5], exec
                                        ; implicit-def: $vgpr3
	s_or_saveexec_b64 s[6:7], s[6:7]
	v_mov_b32_e32 v4, s10
	s_xor_b64 exec, exec, s[6:7]
	s_cbranch_execz .LBB2_1526
.LBB2_3576:
	v_cmp_ne_u16_e32 vcc, 0, v3
	s_andn2_b64 s[4:5], s[4:5], exec
	s_and_b64 s[8:9], vcc, exec
	v_mov_b32_e32 v4, 0
	s_or_b64 s[4:5], s[4:5], s[8:9]
	s_or_b64 exec, exec, s[6:7]
	s_and_saveexec_b64 s[6:7], s[4:5]
	s_cbranch_execnz .LBB2_1527
	s_branch .LBB2_1528
.LBB2_3577:
	s_movk_i32 s4, 0x80
	v_cmp_eq_u16_sdwa s[12:13], v9, s4 src0_sel:BYTE_3 src1_sel:DWORD
	s_mov_b64 s[4:5], -1
                                        ; implicit-def: $sgpr10
	s_and_saveexec_b64 s[8:9], s[12:13]
; %bb.3578:
	s_mov_b32 s10, 0x7f800001
	s_xor_b64 s[4:5], exec, -1
; %bb.3579:
	s_or_b64 exec, exec, s[8:9]
	s_and_b64 s[4:5], s[4:5], exec
	s_or_saveexec_b64 s[6:7], s[6:7]
	v_mov_b32_e32 v2, s10
	s_xor_b64 exec, exec, s[6:7]
	s_cbranch_execz .LBB2_1530
.LBB2_3580:
	v_mov_b32_e32 v2, 0
	v_cmp_ne_u16_sdwa s[8:9], v9, v2 src0_sel:BYTE_3 src1_sel:DWORD
	s_andn2_b64 s[4:5], s[4:5], exec
	s_and_b64 s[8:9], s[8:9], exec
	s_or_b64 s[4:5], s[4:5], s[8:9]
	s_or_b64 exec, exec, s[6:7]
	s_and_saveexec_b64 s[6:7], s[4:5]
	s_cbranch_execnz .LBB2_1531
	s_branch .LBB2_1532
.LBB2_3581:
	s_movk_i32 s4, 0x80
	v_cmp_eq_u16_sdwa s[12:13], v5, s4 src0_sel:BYTE_3 src1_sel:DWORD
	s_mov_b64 s[4:5], -1
                                        ; implicit-def: $sgpr10
	s_and_saveexec_b64 s[8:9], s[12:13]
; %bb.3582:
	s_mov_b32 s10, 0x7f800001
	s_xor_b64 s[4:5], exec, -1
; %bb.3583:
	s_or_b64 exec, exec, s[8:9]
	s_and_b64 s[4:5], s[4:5], exec
	s_or_saveexec_b64 s[6:7], s[6:7]
	v_mov_b32_e32 v3, s10
	s_xor_b64 exec, exec, s[6:7]
	s_cbranch_execz .LBB2_1534
.LBB2_3584:
	v_mov_b32_e32 v3, 0
	v_cmp_ne_u16_sdwa s[8:9], v5, v3 src0_sel:BYTE_3 src1_sel:DWORD
	s_andn2_b64 s[4:5], s[4:5], exec
	s_and_b64 s[8:9], s[8:9], exec
	s_or_b64 s[4:5], s[4:5], s[8:9]
	s_or_b64 exec, exec, s[6:7]
	s_and_saveexec_b64 s[6:7], s[4:5]
	s_cbranch_execnz .LBB2_1535
	s_branch .LBB2_1536
.LBB2_3585:
	s_movk_i32 s4, 0x80
	v_cmp_eq_u16_sdwa s[12:13], v6, s4 src0_sel:BYTE_0 src1_sel:DWORD
	s_mov_b64 s[4:5], -1
                                        ; implicit-def: $sgpr10
	s_and_saveexec_b64 s[8:9], s[12:13]
; %bb.3586:
	s_mov_b32 s10, 0x7f800001
	s_xor_b64 s[4:5], exec, -1
; %bb.3587:
	s_or_b64 exec, exec, s[8:9]
	s_and_b64 s[4:5], s[4:5], exec
	s_or_saveexec_b64 s[6:7], s[6:7]
	v_mov_b32_e32 v12, s10
	s_xor_b64 exec, exec, s[6:7]
	s_cbranch_execz .LBB2_1538
.LBB2_3588:
	v_mov_b32_e32 v12, 0
	v_cmp_ne_u16_sdwa s[8:9], v6, v12 src0_sel:BYTE_0 src1_sel:DWORD
	s_andn2_b64 s[4:5], s[4:5], exec
	s_and_b64 s[8:9], s[8:9], exec
	s_or_b64 s[4:5], s[4:5], s[8:9]
	s_or_b64 exec, exec, s[6:7]
	s_and_saveexec_b64 s[6:7], s[4:5]
	s_cbranch_execnz .LBB2_1539
	s_branch .LBB2_1540
.LBB2_3589:
	s_movk_i32 s4, 0x80
	v_cmp_eq_u16_sdwa s[12:13], v2, s4 src0_sel:BYTE_0 src1_sel:DWORD
	s_mov_b64 s[4:5], -1
                                        ; implicit-def: $sgpr10
	s_and_saveexec_b64 s[8:9], s[12:13]
; %bb.3590:
	s_mov_b32 s10, 0x7f800001
	s_xor_b64 s[4:5], exec, -1
; %bb.3591:
	s_or_b64 exec, exec, s[8:9]
	s_and_b64 s[4:5], s[4:5], exec
	s_or_saveexec_b64 s[6:7], s[6:7]
	v_mov_b32_e32 v13, s10
	s_xor_b64 exec, exec, s[6:7]
	s_cbranch_execz .LBB2_1542
.LBB2_3592:
	v_mov_b32_e32 v13, 0
	v_cmp_ne_u16_sdwa s[8:9], v2, v13 src0_sel:BYTE_0 src1_sel:DWORD
	s_andn2_b64 s[4:5], s[4:5], exec
	s_and_b64 s[8:9], s[8:9], exec
	s_or_b64 s[4:5], s[4:5], s[8:9]
	s_or_b64 exec, exec, s[6:7]
	s_and_saveexec_b64 s[6:7], s[4:5]
	s_cbranch_execnz .LBB2_1543
	s_branch .LBB2_1544
.LBB2_3593:
	s_movk_i32 s4, 0x80
	v_cmp_eq_u16_sdwa s[12:13], v13, s4 src0_sel:BYTE_0 src1_sel:DWORD
	s_mov_b64 s[4:5], -1
                                        ; implicit-def: $sgpr10
	s_and_saveexec_b64 s[8:9], s[12:13]
; %bb.3594:
	s_mov_b32 s10, 0x7f800001
	s_xor_b64 s[4:5], exec, -1
; %bb.3595:
	s_or_b64 exec, exec, s[8:9]
	s_and_b64 s[4:5], s[4:5], exec
	s_or_saveexec_b64 s[6:7], s[6:7]
	v_mov_b32_e32 v12, s10
	s_xor_b64 exec, exec, s[6:7]
	s_cbranch_execz .LBB2_1546
.LBB2_3596:
	v_mov_b32_e32 v12, 0
	v_cmp_ne_u16_sdwa s[8:9], v13, v12 src0_sel:BYTE_0 src1_sel:DWORD
	s_andn2_b64 s[4:5], s[4:5], exec
	s_and_b64 s[8:9], s[8:9], exec
	s_or_b64 s[4:5], s[4:5], s[8:9]
	s_or_b64 exec, exec, s[6:7]
	s_and_saveexec_b64 s[6:7], s[4:5]
	s_cbranch_execnz .LBB2_1547
	s_branch .LBB2_1548
.LBB2_3597:
	s_movk_i32 s4, 0x80
	v_cmp_eq_u16_sdwa s[12:13], v13, s4 src0_sel:BYTE_0 src1_sel:DWORD
	s_mov_b64 s[4:5], -1
                                        ; implicit-def: $sgpr10
	s_and_saveexec_b64 s[8:9], s[12:13]
; %bb.3598:
	s_mov_b32 s10, 0x7f800001
	s_xor_b64 s[4:5], exec, -1
; %bb.3599:
	s_or_b64 exec, exec, s[8:9]
	s_and_b64 s[4:5], s[4:5], exec
	s_or_saveexec_b64 s[6:7], s[6:7]
	v_mov_b32_e32 v14, s10
	s_xor_b64 exec, exec, s[6:7]
	s_cbranch_execz .LBB2_1550
.LBB2_3600:
	v_mov_b32_e32 v14, 0
	v_cmp_ne_u16_sdwa s[8:9], v13, v14 src0_sel:BYTE_0 src1_sel:DWORD
	s_andn2_b64 s[4:5], s[4:5], exec
	s_and_b64 s[8:9], s[8:9], exec
	s_or_b64 s[4:5], s[4:5], s[8:9]
	s_or_b64 exec, exec, s[6:7]
	s_and_saveexec_b64 s[6:7], s[4:5]
	s_cbranch_execnz .LBB2_1551
	s_branch .LBB2_1552
.LBB2_3601:
	s_movk_i32 s4, 0x80
	v_cmp_eq_u16_e32 vcc, s4, v13
	s_mov_b64 s[4:5], -1
                                        ; implicit-def: $sgpr10
	s_and_saveexec_b64 s[8:9], vcc
; %bb.3602:
	s_mov_b32 s10, 0x7f800001
	s_xor_b64 s[4:5], exec, -1
; %bb.3603:
	s_or_b64 exec, exec, s[8:9]
	s_and_b64 s[4:5], s[4:5], exec
                                        ; implicit-def: $vgpr13
	s_or_saveexec_b64 s[6:7], s[6:7]
	v_mov_b32_e32 v12, s10
	s_xor_b64 exec, exec, s[6:7]
	s_cbranch_execz .LBB2_1554
.LBB2_3604:
	v_cmp_ne_u16_e32 vcc, 0, v13
	s_andn2_b64 s[4:5], s[4:5], exec
	s_and_b64 s[8:9], vcc, exec
	v_mov_b32_e32 v12, 0
	s_or_b64 s[4:5], s[4:5], s[8:9]
	s_or_b64 exec, exec, s[6:7]
	s_and_saveexec_b64 s[6:7], s[4:5]
	s_cbranch_execnz .LBB2_1555
	s_branch .LBB2_1556
.LBB2_3605:
	s_movk_i32 s4, 0x80
	v_cmp_eq_u16_e32 vcc, s4, v13
	s_mov_b64 s[4:5], -1
                                        ; implicit-def: $sgpr10
	s_and_saveexec_b64 s[8:9], vcc
; %bb.3606:
	s_mov_b32 s10, 0x7f800001
	s_xor_b64 s[4:5], exec, -1
; %bb.3607:
	s_or_b64 exec, exec, s[8:9]
	s_and_b64 s[4:5], s[4:5], exec
                                        ; implicit-def: $vgpr13
	s_or_saveexec_b64 s[6:7], s[6:7]
	v_mov_b32_e32 v14, s10
	s_xor_b64 exec, exec, s[6:7]
	s_cbranch_execz .LBB2_1558
.LBB2_3608:
	v_cmp_ne_u16_e32 vcc, 0, v13
	s_andn2_b64 s[4:5], s[4:5], exec
	s_and_b64 s[8:9], vcc, exec
	v_mov_b32_e32 v14, 0
	s_or_b64 s[4:5], s[4:5], s[8:9]
	s_or_b64 exec, exec, s[6:7]
	s_and_saveexec_b64 s[6:7], s[4:5]
	s_cbranch_execnz .LBB2_1559
	s_branch .LBB2_1560
.LBB2_3609:
	s_movk_i32 s4, 0x80
	v_cmp_eq_u16_sdwa s[12:13], v6, s4 src0_sel:BYTE_3 src1_sel:DWORD
	s_mov_b64 s[4:5], -1
                                        ; implicit-def: $sgpr10
	s_and_saveexec_b64 s[8:9], s[12:13]
; %bb.3610:
	s_mov_b32 s10, 0x7f800001
	s_xor_b64 s[4:5], exec, -1
; %bb.3611:
	s_or_b64 exec, exec, s[8:9]
	s_and_b64 s[4:5], s[4:5], exec
	s_or_saveexec_b64 s[6:7], s[6:7]
	v_mov_b32_e32 v12, s10
	s_xor_b64 exec, exec, s[6:7]
	s_cbranch_execz .LBB2_1562
.LBB2_3612:
	v_mov_b32_e32 v12, 0
	v_cmp_ne_u16_sdwa s[8:9], v6, v12 src0_sel:BYTE_3 src1_sel:DWORD
	s_andn2_b64 s[4:5], s[4:5], exec
	s_and_b64 s[8:9], s[8:9], exec
	s_or_b64 s[4:5], s[4:5], s[8:9]
	s_or_b64 exec, exec, s[6:7]
	s_and_saveexec_b64 s[6:7], s[4:5]
	s_cbranch_execnz .LBB2_1563
	s_branch .LBB2_1564
.LBB2_3613:
	s_movk_i32 s4, 0x80
	v_cmp_eq_u16_sdwa s[12:13], v2, s4 src0_sel:BYTE_3 src1_sel:DWORD
	s_mov_b64 s[4:5], -1
                                        ; implicit-def: $sgpr10
	s_and_saveexec_b64 s[8:9], s[12:13]
; %bb.3614:
	s_mov_b32 s10, 0x7f800001
	s_xor_b64 s[4:5], exec, -1
; %bb.3615:
	s_or_b64 exec, exec, s[8:9]
	s_and_b64 s[4:5], s[4:5], exec
	s_or_saveexec_b64 s[6:7], s[6:7]
	v_mov_b32_e32 v6, s10
	s_xor_b64 exec, exec, s[6:7]
	s_cbranch_execz .LBB2_1566
.LBB2_3616:
	v_mov_b32_e32 v6, 0
	v_cmp_ne_u16_sdwa s[8:9], v2, v6 src0_sel:BYTE_3 src1_sel:DWORD
	s_andn2_b64 s[4:5], s[4:5], exec
	s_and_b64 s[8:9], s[8:9], exec
	s_or_b64 s[4:5], s[4:5], s[8:9]
	s_or_b64 exec, exec, s[6:7]
	s_and_saveexec_b64 s[6:7], s[4:5]
	s_cbranch_execnz .LBB2_1567
	s_branch .LBB2_1568
.LBB2_3617:
	s_movk_i32 s4, 0x80
	v_cmp_eq_u16_sdwa s[12:13], v7, s4 src0_sel:BYTE_0 src1_sel:DWORD
	s_mov_b64 s[4:5], -1
                                        ; implicit-def: $sgpr10
	s_and_saveexec_b64 s[8:9], s[12:13]
; %bb.3618:
	s_mov_b32 s10, 0x7f800001
	s_xor_b64 s[4:5], exec, -1
; %bb.3619:
	s_or_b64 exec, exec, s[8:9]
	s_and_b64 s[4:5], s[4:5], exec
	s_or_saveexec_b64 s[6:7], s[6:7]
	v_mov_b32_e32 v2, s10
	s_xor_b64 exec, exec, s[6:7]
	s_cbranch_execz .LBB2_1570
.LBB2_3620:
	v_mov_b32_e32 v2, 0
	v_cmp_ne_u16_sdwa s[8:9], v7, v2 src0_sel:BYTE_0 src1_sel:DWORD
	s_andn2_b64 s[4:5], s[4:5], exec
	s_and_b64 s[8:9], s[8:9], exec
	s_or_b64 s[4:5], s[4:5], s[8:9]
	s_or_b64 exec, exec, s[6:7]
	s_and_saveexec_b64 s[6:7], s[4:5]
	s_cbranch_execnz .LBB2_1571
	s_branch .LBB2_1572
.LBB2_3621:
	s_movk_i32 s4, 0x80
	v_cmp_eq_u16_sdwa s[12:13], v3, s4 src0_sel:BYTE_0 src1_sel:DWORD
	s_mov_b64 s[4:5], -1
                                        ; implicit-def: $sgpr10
	s_and_saveexec_b64 s[8:9], s[12:13]
; %bb.3622:
	s_mov_b32 s10, 0x7f800001
	s_xor_b64 s[4:5], exec, -1
; %bb.3623:
	s_or_b64 exec, exec, s[8:9]
	s_and_b64 s[4:5], s[4:5], exec
	s_or_saveexec_b64 s[6:7], s[6:7]
	v_mov_b32_e32 v6, s10
	s_xor_b64 exec, exec, s[6:7]
	s_cbranch_execz .LBB2_1574
.LBB2_3624:
	v_mov_b32_e32 v6, 0
	v_cmp_ne_u16_sdwa s[8:9], v3, v6 src0_sel:BYTE_0 src1_sel:DWORD
	s_andn2_b64 s[4:5], s[4:5], exec
	s_and_b64 s[8:9], s[8:9], exec
	s_or_b64 s[4:5], s[4:5], s[8:9]
	s_or_b64 exec, exec, s[6:7]
	s_and_saveexec_b64 s[6:7], s[4:5]
	s_cbranch_execnz .LBB2_1575
	s_branch .LBB2_1576
.LBB2_3625:
	s_movk_i32 s4, 0x80
	v_cmp_eq_u16_sdwa s[12:13], v6, s4 src0_sel:BYTE_0 src1_sel:DWORD
	s_mov_b64 s[4:5], -1
                                        ; implicit-def: $sgpr10
	s_and_saveexec_b64 s[8:9], s[12:13]
; %bb.3626:
	s_mov_b32 s10, 0x7f800001
	s_xor_b64 s[4:5], exec, -1
; %bb.3627:
	s_or_b64 exec, exec, s[8:9]
	s_and_b64 s[4:5], s[4:5], exec
	s_or_saveexec_b64 s[6:7], s[6:7]
	v_mov_b32_e32 v2, s10
	s_xor_b64 exec, exec, s[6:7]
	s_cbranch_execz .LBB2_1578
.LBB2_3628:
	v_mov_b32_e32 v2, 0
	v_cmp_ne_u16_sdwa s[8:9], v6, v2 src0_sel:BYTE_0 src1_sel:DWORD
	s_andn2_b64 s[4:5], s[4:5], exec
	s_and_b64 s[8:9], s[8:9], exec
	s_or_b64 s[4:5], s[4:5], s[8:9]
	s_or_b64 exec, exec, s[6:7]
	s_and_saveexec_b64 s[6:7], s[4:5]
	s_cbranch_execnz .LBB2_1579
	s_branch .LBB2_1580
.LBB2_3629:
	s_movk_i32 s4, 0x80
	v_cmp_eq_u16_sdwa s[12:13], v6, s4 src0_sel:BYTE_0 src1_sel:DWORD
	s_mov_b64 s[4:5], -1
                                        ; implicit-def: $sgpr10
	s_and_saveexec_b64 s[8:9], s[12:13]
; %bb.3630:
	s_mov_b32 s10, 0x7f800001
	s_xor_b64 s[4:5], exec, -1
; %bb.3631:
	s_or_b64 exec, exec, s[8:9]
	s_and_b64 s[4:5], s[4:5], exec
	s_or_saveexec_b64 s[6:7], s[6:7]
	v_mov_b32_e32 v12, s10
	s_xor_b64 exec, exec, s[6:7]
	s_cbranch_execz .LBB2_1582
.LBB2_3632:
	v_mov_b32_e32 v12, 0
	v_cmp_ne_u16_sdwa s[8:9], v6, v12 src0_sel:BYTE_0 src1_sel:DWORD
	s_andn2_b64 s[4:5], s[4:5], exec
	s_and_b64 s[8:9], s[8:9], exec
	s_or_b64 s[4:5], s[4:5], s[8:9]
	s_or_b64 exec, exec, s[6:7]
	s_and_saveexec_b64 s[6:7], s[4:5]
	s_cbranch_execnz .LBB2_1583
	s_branch .LBB2_1584
.LBB2_3633:
	s_movk_i32 s4, 0x80
	v_cmp_eq_u16_e32 vcc, s4, v6
	s_mov_b64 s[4:5], -1
                                        ; implicit-def: $sgpr10
	s_and_saveexec_b64 s[8:9], vcc
; %bb.3634:
	s_mov_b32 s10, 0x7f800001
	s_xor_b64 s[4:5], exec, -1
; %bb.3635:
	s_or_b64 exec, exec, s[8:9]
	s_and_b64 s[4:5], s[4:5], exec
                                        ; implicit-def: $vgpr6
	s_or_saveexec_b64 s[6:7], s[6:7]
	v_mov_b32_e32 v2, s10
	s_xor_b64 exec, exec, s[6:7]
	s_cbranch_execz .LBB2_1586
.LBB2_3636:
	v_cmp_ne_u16_e32 vcc, 0, v6
	s_andn2_b64 s[4:5], s[4:5], exec
	s_and_b64 s[8:9], vcc, exec
	v_mov_b32_e32 v2, 0
	s_or_b64 s[4:5], s[4:5], s[8:9]
	s_or_b64 exec, exec, s[6:7]
	s_and_saveexec_b64 s[6:7], s[4:5]
	s_cbranch_execnz .LBB2_1587
	s_branch .LBB2_1588
.LBB2_3637:
	s_movk_i32 s4, 0x80
	v_cmp_eq_u16_e32 vcc, s4, v6
	s_mov_b64 s[4:5], -1
                                        ; implicit-def: $sgpr10
	s_and_saveexec_b64 s[8:9], vcc
; %bb.3638:
	s_mov_b32 s10, 0x7f800001
	s_xor_b64 s[4:5], exec, -1
; %bb.3639:
	s_or_b64 exec, exec, s[8:9]
	s_and_b64 s[4:5], s[4:5], exec
                                        ; implicit-def: $vgpr6
	s_or_saveexec_b64 s[6:7], s[6:7]
	v_mov_b32_e32 v12, s10
	s_xor_b64 exec, exec, s[6:7]
	s_cbranch_execz .LBB2_1590
.LBB2_3640:
	v_cmp_ne_u16_e32 vcc, 0, v6
	s_andn2_b64 s[4:5], s[4:5], exec
	s_and_b64 s[8:9], vcc, exec
	v_mov_b32_e32 v12, 0
	s_or_b64 s[4:5], s[4:5], s[8:9]
	s_or_b64 exec, exec, s[6:7]
	s_and_saveexec_b64 s[6:7], s[4:5]
	s_cbranch_execnz .LBB2_1591
	s_branch .LBB2_1592
.LBB2_3641:
	s_movk_i32 s4, 0x80
	v_cmp_eq_u16_sdwa s[12:13], v7, s4 src0_sel:BYTE_3 src1_sel:DWORD
	s_mov_b64 s[4:5], -1
                                        ; implicit-def: $sgpr10
	s_and_saveexec_b64 s[8:9], s[12:13]
; %bb.3642:
	s_mov_b32 s10, 0x7f800001
	s_xor_b64 s[4:5], exec, -1
; %bb.3643:
	s_or_b64 exec, exec, s[8:9]
	s_and_b64 s[4:5], s[4:5], exec
	s_or_saveexec_b64 s[6:7], s[6:7]
	v_mov_b32_e32 v2, s10
	s_xor_b64 exec, exec, s[6:7]
	s_cbranch_execz .LBB2_1594
.LBB2_3644:
	v_mov_b32_e32 v2, 0
	v_cmp_ne_u16_sdwa s[8:9], v7, v2 src0_sel:BYTE_3 src1_sel:DWORD
	s_andn2_b64 s[4:5], s[4:5], exec
	s_and_b64 s[8:9], s[8:9], exec
	s_or_b64 s[4:5], s[4:5], s[8:9]
	s_or_b64 exec, exec, s[6:7]
	s_and_saveexec_b64 s[6:7], s[4:5]
	s_cbranch_execnz .LBB2_1595
	s_branch .LBB2_1596
.LBB2_3645:
	s_movk_i32 s4, 0x80
	v_cmp_eq_u16_sdwa s[12:13], v3, s4 src0_sel:BYTE_3 src1_sel:DWORD
	s_mov_b64 s[4:5], -1
                                        ; implicit-def: $sgpr10
	s_and_saveexec_b64 s[8:9], s[12:13]
; %bb.3646:
	s_mov_b32 s10, 0x7f800001
	s_xor_b64 s[4:5], exec, -1
; %bb.3647:
	s_or_b64 exec, exec, s[8:9]
	s_and_b64 s[4:5], s[4:5], exec
	s_or_saveexec_b64 s[6:7], s[6:7]
	v_mov_b32_e32 v6, s10
	s_xor_b64 exec, exec, s[6:7]
	s_cbranch_execz .LBB2_1598
.LBB2_3648:
	v_mov_b32_e32 v6, 0
	v_cmp_ne_u16_sdwa s[8:9], v3, v6 src0_sel:BYTE_3 src1_sel:DWORD
	s_andn2_b64 s[4:5], s[4:5], exec
	s_and_b64 s[8:9], s[8:9], exec
	s_or_b64 s[4:5], s[4:5], s[8:9]
	s_or_b64 exec, exec, s[6:7]
	s_and_saveexec_b64 s[6:7], s[4:5]
	s_cbranch_execnz .LBB2_1599
	s_branch .LBB2_1600
.LBB2_3649:
	s_movk_i32 s4, 0x80
	v_cmp_eq_u16_sdwa s[12:13], v8, s4 src0_sel:BYTE_0 src1_sel:DWORD
	s_mov_b64 s[4:5], -1
                                        ; implicit-def: $sgpr10
	s_and_saveexec_b64 s[8:9], s[12:13]
; %bb.3650:
	s_mov_b32 s10, 0x7f800001
	s_xor_b64 s[4:5], exec, -1
; %bb.3651:
	s_or_b64 exec, exec, s[8:9]
	s_and_b64 s[4:5], s[4:5], exec
	s_or_saveexec_b64 s[6:7], s[6:7]
	v_mov_b32_e32 v2, s10
	s_xor_b64 exec, exec, s[6:7]
	s_cbranch_execz .LBB2_1602
.LBB2_3652:
	v_mov_b32_e32 v2, 0
	v_cmp_ne_u16_sdwa s[8:9], v8, v2 src0_sel:BYTE_0 src1_sel:DWORD
	s_andn2_b64 s[4:5], s[4:5], exec
	s_and_b64 s[8:9], s[8:9], exec
	s_or_b64 s[4:5], s[4:5], s[8:9]
	s_or_b64 exec, exec, s[6:7]
	s_and_saveexec_b64 s[6:7], s[4:5]
	s_cbranch_execnz .LBB2_1603
	s_branch .LBB2_1604
.LBB2_3653:
	s_movk_i32 s4, 0x80
	v_cmp_eq_u16_sdwa s[12:13], v4, s4 src0_sel:BYTE_0 src1_sel:DWORD
	s_mov_b64 s[4:5], -1
                                        ; implicit-def: $sgpr10
	s_and_saveexec_b64 s[8:9], s[12:13]
; %bb.3654:
	s_mov_b32 s10, 0x7f800001
	s_xor_b64 s[4:5], exec, -1
; %bb.3655:
	s_or_b64 exec, exec, s[8:9]
	s_and_b64 s[4:5], s[4:5], exec
	s_or_saveexec_b64 s[6:7], s[6:7]
	v_mov_b32_e32 v3, s10
	s_xor_b64 exec, exec, s[6:7]
	s_cbranch_execz .LBB2_1606
.LBB2_3656:
	v_mov_b32_e32 v3, 0
	v_cmp_ne_u16_sdwa s[8:9], v4, v3 src0_sel:BYTE_0 src1_sel:DWORD
	s_andn2_b64 s[4:5], s[4:5], exec
	s_and_b64 s[8:9], s[8:9], exec
	s_or_b64 s[4:5], s[4:5], s[8:9]
	s_or_b64 exec, exec, s[6:7]
	s_and_saveexec_b64 s[6:7], s[4:5]
	s_cbranch_execnz .LBB2_1607
	s_branch .LBB2_1608
.LBB2_3657:
	s_movk_i32 s4, 0x80
	v_cmp_eq_u16_sdwa s[12:13], v3, s4 src0_sel:BYTE_0 src1_sel:DWORD
	s_mov_b64 s[4:5], -1
                                        ; implicit-def: $sgpr10
	s_and_saveexec_b64 s[8:9], s[12:13]
; %bb.3658:
	s_mov_b32 s10, 0x7f800001
	s_xor_b64 s[4:5], exec, -1
; %bb.3659:
	s_or_b64 exec, exec, s[8:9]
	s_and_b64 s[4:5], s[4:5], exec
	s_or_saveexec_b64 s[6:7], s[6:7]
	v_mov_b32_e32 v2, s10
	s_xor_b64 exec, exec, s[6:7]
	s_cbranch_execz .LBB2_1610
.LBB2_3660:
	v_mov_b32_e32 v2, 0
	v_cmp_ne_u16_sdwa s[8:9], v3, v2 src0_sel:BYTE_0 src1_sel:DWORD
	s_andn2_b64 s[4:5], s[4:5], exec
	s_and_b64 s[8:9], s[8:9], exec
	s_or_b64 s[4:5], s[4:5], s[8:9]
	s_or_b64 exec, exec, s[6:7]
	s_and_saveexec_b64 s[6:7], s[4:5]
	s_cbranch_execnz .LBB2_1611
	s_branch .LBB2_1612
.LBB2_3661:
	s_movk_i32 s4, 0x80
	v_cmp_eq_u16_sdwa s[12:13], v3, s4 src0_sel:BYTE_0 src1_sel:DWORD
	s_mov_b64 s[4:5], -1
                                        ; implicit-def: $sgpr10
	s_and_saveexec_b64 s[8:9], s[12:13]
; %bb.3662:
	s_mov_b32 s10, 0x7f800001
	s_xor_b64 s[4:5], exec, -1
; %bb.3663:
	s_or_b64 exec, exec, s[8:9]
	s_and_b64 s[4:5], s[4:5], exec
	s_or_saveexec_b64 s[6:7], s[6:7]
	v_mov_b32_e32 v6, s10
	s_xor_b64 exec, exec, s[6:7]
	s_cbranch_execz .LBB2_1614
.LBB2_3664:
	v_mov_b32_e32 v6, 0
	v_cmp_ne_u16_sdwa s[8:9], v3, v6 src0_sel:BYTE_0 src1_sel:DWORD
	s_andn2_b64 s[4:5], s[4:5], exec
	s_and_b64 s[8:9], s[8:9], exec
	s_or_b64 s[4:5], s[4:5], s[8:9]
	s_or_b64 exec, exec, s[6:7]
	s_and_saveexec_b64 s[6:7], s[4:5]
	s_cbranch_execnz .LBB2_1615
	s_branch .LBB2_1616
.LBB2_3665:
	s_movk_i32 s4, 0x80
	v_cmp_eq_u16_e32 vcc, s4, v3
	s_mov_b64 s[4:5], -1
                                        ; implicit-def: $sgpr10
	s_and_saveexec_b64 s[8:9], vcc
; %bb.3666:
	s_mov_b32 s10, 0x7f800001
	s_xor_b64 s[4:5], exec, -1
; %bb.3667:
	s_or_b64 exec, exec, s[8:9]
	s_and_b64 s[4:5], s[4:5], exec
                                        ; implicit-def: $vgpr3
	s_or_saveexec_b64 s[6:7], s[6:7]
	v_mov_b32_e32 v2, s10
	s_xor_b64 exec, exec, s[6:7]
	s_cbranch_execz .LBB2_1618
.LBB2_3668:
	v_cmp_ne_u16_e32 vcc, 0, v3
	s_andn2_b64 s[4:5], s[4:5], exec
	s_and_b64 s[8:9], vcc, exec
	v_mov_b32_e32 v2, 0
	s_or_b64 s[4:5], s[4:5], s[8:9]
	s_or_b64 exec, exec, s[6:7]
	s_and_saveexec_b64 s[6:7], s[4:5]
	s_cbranch_execnz .LBB2_1619
	s_branch .LBB2_1620
.LBB2_3669:
	s_movk_i32 s4, 0x80
	v_cmp_eq_u16_e32 vcc, s4, v3
	s_mov_b64 s[4:5], -1
                                        ; implicit-def: $sgpr10
	s_and_saveexec_b64 s[8:9], vcc
; %bb.3670:
	s_mov_b32 s10, 0x7f800001
	s_xor_b64 s[4:5], exec, -1
; %bb.3671:
	s_or_b64 exec, exec, s[8:9]
	s_and_b64 s[4:5], s[4:5], exec
                                        ; implicit-def: $vgpr3
	s_or_saveexec_b64 s[6:7], s[6:7]
	v_mov_b32_e32 v6, s10
	s_xor_b64 exec, exec, s[6:7]
	s_cbranch_execz .LBB2_1622
.LBB2_3672:
	v_cmp_ne_u16_e32 vcc, 0, v3
	s_andn2_b64 s[4:5], s[4:5], exec
	s_and_b64 s[8:9], vcc, exec
	v_mov_b32_e32 v6, 0
	s_or_b64 s[4:5], s[4:5], s[8:9]
	s_or_b64 exec, exec, s[6:7]
	s_and_saveexec_b64 s[6:7], s[4:5]
	s_cbranch_execnz .LBB2_1623
	s_branch .LBB2_1624
.LBB2_3673:
	s_movk_i32 s4, 0x80
	v_cmp_eq_u16_sdwa s[12:13], v8, s4 src0_sel:BYTE_3 src1_sel:DWORD
	s_mov_b64 s[4:5], -1
                                        ; implicit-def: $sgpr10
	s_and_saveexec_b64 s[8:9], s[12:13]
; %bb.3674:
	s_mov_b32 s10, 0x7f800001
	s_xor_b64 s[4:5], exec, -1
; %bb.3675:
	s_or_b64 exec, exec, s[8:9]
	s_and_b64 s[4:5], s[4:5], exec
	s_or_saveexec_b64 s[6:7], s[6:7]
	v_mov_b32_e32 v2, s10
	s_xor_b64 exec, exec, s[6:7]
	s_cbranch_execz .LBB2_1626
.LBB2_3676:
	v_mov_b32_e32 v2, 0
	v_cmp_ne_u16_sdwa s[8:9], v8, v2 src0_sel:BYTE_3 src1_sel:DWORD
	s_andn2_b64 s[4:5], s[4:5], exec
	s_and_b64 s[8:9], s[8:9], exec
	s_or_b64 s[4:5], s[4:5], s[8:9]
	s_or_b64 exec, exec, s[6:7]
	s_and_saveexec_b64 s[6:7], s[4:5]
	s_cbranch_execnz .LBB2_1627
	s_branch .LBB2_1628
.LBB2_3677:
	s_movk_i32 s4, 0x80
	v_cmp_eq_u16_sdwa s[12:13], v4, s4 src0_sel:BYTE_3 src1_sel:DWORD
	s_mov_b64 s[4:5], -1
                                        ; implicit-def: $sgpr10
	s_and_saveexec_b64 s[8:9], s[12:13]
; %bb.3678:
	s_mov_b32 s10, 0x7f800001
	s_xor_b64 s[4:5], exec, -1
; %bb.3679:
	s_or_b64 exec, exec, s[8:9]
	s_and_b64 s[4:5], s[4:5], exec
	s_or_saveexec_b64 s[6:7], s[6:7]
	v_mov_b32_e32 v3, s10
	s_xor_b64 exec, exec, s[6:7]
	s_cbranch_execz .LBB2_1630
.LBB2_3680:
	v_mov_b32_e32 v3, 0
	v_cmp_ne_u16_sdwa s[8:9], v4, v3 src0_sel:BYTE_3 src1_sel:DWORD
	s_andn2_b64 s[4:5], s[4:5], exec
	s_and_b64 s[8:9], s[8:9], exec
	s_or_b64 s[4:5], s[4:5], s[8:9]
	s_or_b64 exec, exec, s[6:7]
	s_and_saveexec_b64 s[6:7], s[4:5]
	s_cbranch_execnz .LBB2_1631
	s_branch .LBB2_1632
.LBB2_3681:
	s_movk_i32 s4, 0x80
	v_cmp_eq_u16_sdwa s[12:13], v9, s4 src0_sel:BYTE_0 src1_sel:DWORD
	s_mov_b64 s[4:5], -1
                                        ; implicit-def: $sgpr10
	s_and_saveexec_b64 s[8:9], s[12:13]
; %bb.3682:
	s_mov_b32 s10, 0x7f800001
	s_xor_b64 s[4:5], exec, -1
; %bb.3683:
	s_or_b64 exec, exec, s[8:9]
	s_and_b64 s[4:5], s[4:5], exec
	s_or_saveexec_b64 s[6:7], s[6:7]
	v_mov_b32_e32 v2, s10
	s_xor_b64 exec, exec, s[6:7]
	s_cbranch_execz .LBB2_1634
.LBB2_3684:
	v_mov_b32_e32 v2, 0
	v_cmp_ne_u16_sdwa s[8:9], v9, v2 src0_sel:BYTE_0 src1_sel:DWORD
	s_andn2_b64 s[4:5], s[4:5], exec
	s_and_b64 s[8:9], s[8:9], exec
	s_or_b64 s[4:5], s[4:5], s[8:9]
	s_or_b64 exec, exec, s[6:7]
	s_and_saveexec_b64 s[6:7], s[4:5]
	s_cbranch_execnz .LBB2_1635
	s_branch .LBB2_1636
.LBB2_3685:
	s_movk_i32 s4, 0x80
	v_cmp_eq_u16_sdwa s[12:13], v5, s4 src0_sel:BYTE_0 src1_sel:DWORD
	s_mov_b64 s[4:5], -1
                                        ; implicit-def: $sgpr10
	s_and_saveexec_b64 s[8:9], s[12:13]
; %bb.3686:
	s_mov_b32 s10, 0x7f800001
	s_xor_b64 s[4:5], exec, -1
; %bb.3687:
	s_or_b64 exec, exec, s[8:9]
	s_and_b64 s[4:5], s[4:5], exec
	s_or_saveexec_b64 s[6:7], s[6:7]
	v_mov_b32_e32 v3, s10
	s_xor_b64 exec, exec, s[6:7]
	s_cbranch_execz .LBB2_1638
.LBB2_3688:
	v_mov_b32_e32 v3, 0
	v_cmp_ne_u16_sdwa s[8:9], v5, v3 src0_sel:BYTE_0 src1_sel:DWORD
	s_andn2_b64 s[4:5], s[4:5], exec
	s_and_b64 s[8:9], s[8:9], exec
	s_or_b64 s[4:5], s[4:5], s[8:9]
	s_or_b64 exec, exec, s[6:7]
	s_and_saveexec_b64 s[6:7], s[4:5]
	s_cbranch_execnz .LBB2_1639
	s_branch .LBB2_1640
.LBB2_3689:
	s_movk_i32 s4, 0x80
	v_cmp_eq_u16_sdwa s[12:13], v3, s4 src0_sel:BYTE_0 src1_sel:DWORD
	s_mov_b64 s[4:5], -1
                                        ; implicit-def: $sgpr10
	s_and_saveexec_b64 s[8:9], s[12:13]
; %bb.3690:
	s_mov_b32 s10, 0x7f800001
	s_xor_b64 s[4:5], exec, -1
; %bb.3691:
	s_or_b64 exec, exec, s[8:9]
	s_and_b64 s[4:5], s[4:5], exec
	s_or_saveexec_b64 s[6:7], s[6:7]
	v_mov_b32_e32 v2, s10
	s_xor_b64 exec, exec, s[6:7]
	s_cbranch_execz .LBB2_1642
.LBB2_3692:
	v_mov_b32_e32 v2, 0
	v_cmp_ne_u16_sdwa s[8:9], v3, v2 src0_sel:BYTE_0 src1_sel:DWORD
	s_andn2_b64 s[4:5], s[4:5], exec
	s_and_b64 s[8:9], s[8:9], exec
	s_or_b64 s[4:5], s[4:5], s[8:9]
	s_or_b64 exec, exec, s[6:7]
	s_and_saveexec_b64 s[6:7], s[4:5]
	s_cbranch_execnz .LBB2_1643
	s_branch .LBB2_1644
.LBB2_3693:
	s_movk_i32 s4, 0x80
	v_cmp_eq_u16_sdwa s[12:13], v3, s4 src0_sel:BYTE_0 src1_sel:DWORD
	s_mov_b64 s[4:5], -1
                                        ; implicit-def: $sgpr10
	s_and_saveexec_b64 s[8:9], s[12:13]
; %bb.3694:
	s_mov_b32 s10, 0x7f800001
	s_xor_b64 s[4:5], exec, -1
; %bb.3695:
	s_or_b64 exec, exec, s[8:9]
	s_and_b64 s[4:5], s[4:5], exec
	s_or_saveexec_b64 s[6:7], s[6:7]
	v_mov_b32_e32 v4, s10
	s_xor_b64 exec, exec, s[6:7]
	s_cbranch_execz .LBB2_1646
.LBB2_3696:
	v_mov_b32_e32 v4, 0
	v_cmp_ne_u16_sdwa s[8:9], v3, v4 src0_sel:BYTE_0 src1_sel:DWORD
	s_andn2_b64 s[4:5], s[4:5], exec
	s_and_b64 s[8:9], s[8:9], exec
	s_or_b64 s[4:5], s[4:5], s[8:9]
	s_or_b64 exec, exec, s[6:7]
	s_and_saveexec_b64 s[6:7], s[4:5]
	s_cbranch_execnz .LBB2_1647
	s_branch .LBB2_1648
.LBB2_3697:
	s_movk_i32 s4, 0x80
	v_cmp_eq_u16_e32 vcc, s4, v3
	s_mov_b64 s[4:5], -1
                                        ; implicit-def: $sgpr10
	s_and_saveexec_b64 s[8:9], vcc
; %bb.3698:
	s_mov_b32 s10, 0x7f800001
	s_xor_b64 s[4:5], exec, -1
; %bb.3699:
	s_or_b64 exec, exec, s[8:9]
	s_and_b64 s[4:5], s[4:5], exec
                                        ; implicit-def: $vgpr3
	s_or_saveexec_b64 s[6:7], s[6:7]
	v_mov_b32_e32 v2, s10
	s_xor_b64 exec, exec, s[6:7]
	s_cbranch_execz .LBB2_1650
.LBB2_3700:
	v_cmp_ne_u16_e32 vcc, 0, v3
	s_andn2_b64 s[4:5], s[4:5], exec
	s_and_b64 s[8:9], vcc, exec
	v_mov_b32_e32 v2, 0
	s_or_b64 s[4:5], s[4:5], s[8:9]
	s_or_b64 exec, exec, s[6:7]
	s_and_saveexec_b64 s[6:7], s[4:5]
	s_cbranch_execnz .LBB2_1651
	s_branch .LBB2_1652
.LBB2_3701:
	s_movk_i32 s4, 0x80
	v_cmp_eq_u16_e32 vcc, s4, v3
	s_mov_b64 s[4:5], -1
                                        ; implicit-def: $sgpr10
	s_and_saveexec_b64 s[8:9], vcc
; %bb.3702:
	s_mov_b32 s10, 0x7f800001
	s_xor_b64 s[4:5], exec, -1
; %bb.3703:
	s_or_b64 exec, exec, s[8:9]
	s_and_b64 s[4:5], s[4:5], exec
                                        ; implicit-def: $vgpr3
	s_or_saveexec_b64 s[6:7], s[6:7]
	v_mov_b32_e32 v4, s10
	s_xor_b64 exec, exec, s[6:7]
	s_cbranch_execz .LBB2_1654
.LBB2_3704:
	v_cmp_ne_u16_e32 vcc, 0, v3
	s_andn2_b64 s[4:5], s[4:5], exec
	s_and_b64 s[8:9], vcc, exec
	v_mov_b32_e32 v4, 0
	s_or_b64 s[4:5], s[4:5], s[8:9]
	s_or_b64 exec, exec, s[6:7]
	s_and_saveexec_b64 s[6:7], s[4:5]
	s_cbranch_execnz .LBB2_1655
	s_branch .LBB2_1656
.LBB2_3705:
	s_movk_i32 s4, 0x80
	v_cmp_eq_u16_sdwa s[12:13], v9, s4 src0_sel:BYTE_3 src1_sel:DWORD
	s_mov_b64 s[4:5], -1
                                        ; implicit-def: $sgpr10
	s_and_saveexec_b64 s[8:9], s[12:13]
; %bb.3706:
	s_mov_b32 s10, 0x7f800001
	s_xor_b64 s[4:5], exec, -1
; %bb.3707:
	s_or_b64 exec, exec, s[8:9]
	s_and_b64 s[4:5], s[4:5], exec
	s_or_saveexec_b64 s[6:7], s[6:7]
	v_mov_b32_e32 v2, s10
	s_xor_b64 exec, exec, s[6:7]
	s_cbranch_execz .LBB2_1658
.LBB2_3708:
	v_mov_b32_e32 v2, 0
	v_cmp_ne_u16_sdwa s[8:9], v9, v2 src0_sel:BYTE_3 src1_sel:DWORD
	s_andn2_b64 s[4:5], s[4:5], exec
	s_and_b64 s[8:9], s[8:9], exec
	s_or_b64 s[4:5], s[4:5], s[8:9]
	s_or_b64 exec, exec, s[6:7]
	s_and_saveexec_b64 s[6:7], s[4:5]
	s_cbranch_execnz .LBB2_1659
	s_branch .LBB2_1660
.LBB2_3709:
	s_movk_i32 s4, 0x80
	v_cmp_eq_u16_sdwa s[12:13], v5, s4 src0_sel:BYTE_3 src1_sel:DWORD
	s_mov_b64 s[4:5], -1
                                        ; implicit-def: $sgpr10
	s_and_saveexec_b64 s[8:9], s[12:13]
; %bb.3710:
	s_mov_b32 s10, 0x7f800001
	s_xor_b64 s[4:5], exec, -1
; %bb.3711:
	s_or_b64 exec, exec, s[8:9]
	s_and_b64 s[4:5], s[4:5], exec
	s_or_saveexec_b64 s[6:7], s[6:7]
	v_mov_b32_e32 v3, s10
	s_xor_b64 exec, exec, s[6:7]
	s_cbranch_execz .LBB2_1662
.LBB2_3712:
	v_mov_b32_e32 v3, 0
	v_cmp_ne_u16_sdwa s[8:9], v5, v3 src0_sel:BYTE_3 src1_sel:DWORD
	s_andn2_b64 s[4:5], s[4:5], exec
	s_and_b64 s[8:9], s[8:9], exec
	s_or_b64 s[4:5], s[4:5], s[8:9]
	s_or_b64 exec, exec, s[6:7]
	s_and_saveexec_b64 s[6:7], s[4:5]
	s_cbranch_execnz .LBB2_1663
	s_branch .LBB2_1664
.LBB2_3713:
	s_movk_i32 s4, 0x80
	v_cmp_eq_u16_sdwa s[12:13], v6, s4 src0_sel:BYTE_0 src1_sel:DWORD
	s_mov_b64 s[4:5], -1
                                        ; implicit-def: $sgpr10
	s_and_saveexec_b64 s[8:9], s[12:13]
; %bb.3714:
	s_mov_b32 s10, 0x7f800001
	s_xor_b64 s[4:5], exec, -1
; %bb.3715:
	s_or_b64 exec, exec, s[8:9]
	s_and_b64 s[4:5], s[4:5], exec
	s_or_saveexec_b64 s[6:7], s[6:7]
	v_mov_b32_e32 v12, s10
	s_xor_b64 exec, exec, s[6:7]
	s_cbranch_execz .LBB2_1666
.LBB2_3716:
	v_mov_b32_e32 v12, 0
	v_cmp_ne_u16_sdwa s[8:9], v6, v12 src0_sel:BYTE_0 src1_sel:DWORD
	s_andn2_b64 s[4:5], s[4:5], exec
	s_and_b64 s[8:9], s[8:9], exec
	s_or_b64 s[4:5], s[4:5], s[8:9]
	s_or_b64 exec, exec, s[6:7]
	s_and_saveexec_b64 s[6:7], s[4:5]
	s_cbranch_execnz .LBB2_1667
	s_branch .LBB2_1668
.LBB2_3717:
	s_movk_i32 s4, 0x80
	v_cmp_eq_u16_sdwa s[12:13], v2, s4 src0_sel:BYTE_0 src1_sel:DWORD
	s_mov_b64 s[4:5], -1
                                        ; implicit-def: $sgpr10
	s_and_saveexec_b64 s[8:9], s[12:13]
; %bb.3718:
	s_mov_b32 s10, 0x7f800001
	s_xor_b64 s[4:5], exec, -1
; %bb.3719:
	s_or_b64 exec, exec, s[8:9]
	s_and_b64 s[4:5], s[4:5], exec
	s_or_saveexec_b64 s[6:7], s[6:7]
	v_mov_b32_e32 v13, s10
	s_xor_b64 exec, exec, s[6:7]
	s_cbranch_execz .LBB2_1670
.LBB2_3720:
	v_mov_b32_e32 v13, 0
	v_cmp_ne_u16_sdwa s[8:9], v2, v13 src0_sel:BYTE_0 src1_sel:DWORD
	s_andn2_b64 s[4:5], s[4:5], exec
	s_and_b64 s[8:9], s[8:9], exec
	s_or_b64 s[4:5], s[4:5], s[8:9]
	s_or_b64 exec, exec, s[6:7]
	s_and_saveexec_b64 s[6:7], s[4:5]
	s_cbranch_execnz .LBB2_1671
	s_branch .LBB2_1672
.LBB2_3721:
	s_movk_i32 s4, 0x80
	v_cmp_eq_u16_sdwa s[12:13], v13, s4 src0_sel:BYTE_0 src1_sel:DWORD
	s_mov_b64 s[4:5], -1
                                        ; implicit-def: $sgpr10
	s_and_saveexec_b64 s[8:9], s[12:13]
; %bb.3722:
	s_mov_b32 s10, 0x7f800001
	s_xor_b64 s[4:5], exec, -1
; %bb.3723:
	s_or_b64 exec, exec, s[8:9]
	s_and_b64 s[4:5], s[4:5], exec
	s_or_saveexec_b64 s[6:7], s[6:7]
	v_mov_b32_e32 v12, s10
	s_xor_b64 exec, exec, s[6:7]
	s_cbranch_execz .LBB2_1674
.LBB2_3724:
	v_mov_b32_e32 v12, 0
	v_cmp_ne_u16_sdwa s[8:9], v13, v12 src0_sel:BYTE_0 src1_sel:DWORD
	s_andn2_b64 s[4:5], s[4:5], exec
	s_and_b64 s[8:9], s[8:9], exec
	s_or_b64 s[4:5], s[4:5], s[8:9]
	s_or_b64 exec, exec, s[6:7]
	s_and_saveexec_b64 s[6:7], s[4:5]
	s_cbranch_execnz .LBB2_1675
	s_branch .LBB2_1676
.LBB2_3725:
	s_movk_i32 s4, 0x80
	v_cmp_eq_u16_sdwa s[12:13], v13, s4 src0_sel:BYTE_0 src1_sel:DWORD
	s_mov_b64 s[4:5], -1
                                        ; implicit-def: $sgpr10
	s_and_saveexec_b64 s[8:9], s[12:13]
; %bb.3726:
	s_mov_b32 s10, 0x7f800001
	s_xor_b64 s[4:5], exec, -1
; %bb.3727:
	s_or_b64 exec, exec, s[8:9]
	s_and_b64 s[4:5], s[4:5], exec
	s_or_saveexec_b64 s[6:7], s[6:7]
	v_mov_b32_e32 v14, s10
	s_xor_b64 exec, exec, s[6:7]
	s_cbranch_execz .LBB2_1678
.LBB2_3728:
	v_mov_b32_e32 v14, 0
	v_cmp_ne_u16_sdwa s[8:9], v13, v14 src0_sel:BYTE_0 src1_sel:DWORD
	s_andn2_b64 s[4:5], s[4:5], exec
	s_and_b64 s[8:9], s[8:9], exec
	s_or_b64 s[4:5], s[4:5], s[8:9]
	s_or_b64 exec, exec, s[6:7]
	s_and_saveexec_b64 s[6:7], s[4:5]
	s_cbranch_execnz .LBB2_1679
	s_branch .LBB2_1680
.LBB2_3729:
	s_movk_i32 s4, 0x80
	v_cmp_eq_u16_e32 vcc, s4, v13
	s_mov_b64 s[4:5], -1
                                        ; implicit-def: $sgpr10
	s_and_saveexec_b64 s[8:9], vcc
; %bb.3730:
	s_mov_b32 s10, 0x7f800001
	s_xor_b64 s[4:5], exec, -1
; %bb.3731:
	s_or_b64 exec, exec, s[8:9]
	s_and_b64 s[4:5], s[4:5], exec
                                        ; implicit-def: $vgpr13
	s_or_saveexec_b64 s[6:7], s[6:7]
	v_mov_b32_e32 v12, s10
	s_xor_b64 exec, exec, s[6:7]
	s_cbranch_execz .LBB2_1682
.LBB2_3732:
	v_cmp_ne_u16_e32 vcc, 0, v13
	s_andn2_b64 s[4:5], s[4:5], exec
	s_and_b64 s[8:9], vcc, exec
	v_mov_b32_e32 v12, 0
	s_or_b64 s[4:5], s[4:5], s[8:9]
	s_or_b64 exec, exec, s[6:7]
	s_and_saveexec_b64 s[6:7], s[4:5]
	s_cbranch_execnz .LBB2_1683
	s_branch .LBB2_1684
.LBB2_3733:
	s_movk_i32 s4, 0x80
	v_cmp_eq_u16_e32 vcc, s4, v13
	s_mov_b64 s[4:5], -1
                                        ; implicit-def: $sgpr10
	s_and_saveexec_b64 s[8:9], vcc
; %bb.3734:
	s_mov_b32 s10, 0x7f800001
	s_xor_b64 s[4:5], exec, -1
; %bb.3735:
	s_or_b64 exec, exec, s[8:9]
	s_and_b64 s[4:5], s[4:5], exec
                                        ; implicit-def: $vgpr13
	s_or_saveexec_b64 s[6:7], s[6:7]
	v_mov_b32_e32 v14, s10
	s_xor_b64 exec, exec, s[6:7]
	s_cbranch_execz .LBB2_1686
.LBB2_3736:
	v_cmp_ne_u16_e32 vcc, 0, v13
	s_andn2_b64 s[4:5], s[4:5], exec
	s_and_b64 s[8:9], vcc, exec
	v_mov_b32_e32 v14, 0
	s_or_b64 s[4:5], s[4:5], s[8:9]
	s_or_b64 exec, exec, s[6:7]
	s_and_saveexec_b64 s[6:7], s[4:5]
	s_cbranch_execnz .LBB2_1687
	s_branch .LBB2_1688
.LBB2_3737:
	s_movk_i32 s4, 0x80
	v_cmp_eq_u16_sdwa s[12:13], v6, s4 src0_sel:BYTE_3 src1_sel:DWORD
	s_mov_b64 s[4:5], -1
                                        ; implicit-def: $sgpr10
	s_and_saveexec_b64 s[8:9], s[12:13]
; %bb.3738:
	s_mov_b32 s10, 0x7f800001
	s_xor_b64 s[4:5], exec, -1
; %bb.3739:
	s_or_b64 exec, exec, s[8:9]
	s_and_b64 s[4:5], s[4:5], exec
	s_or_saveexec_b64 s[6:7], s[6:7]
	v_mov_b32_e32 v12, s10
	s_xor_b64 exec, exec, s[6:7]
	s_cbranch_execz .LBB2_1690
.LBB2_3740:
	v_mov_b32_e32 v12, 0
	v_cmp_ne_u16_sdwa s[8:9], v6, v12 src0_sel:BYTE_3 src1_sel:DWORD
	s_andn2_b64 s[4:5], s[4:5], exec
	s_and_b64 s[8:9], s[8:9], exec
	s_or_b64 s[4:5], s[4:5], s[8:9]
	s_or_b64 exec, exec, s[6:7]
	s_and_saveexec_b64 s[6:7], s[4:5]
	s_cbranch_execnz .LBB2_1691
	s_branch .LBB2_1692
.LBB2_3741:
	s_movk_i32 s4, 0x80
	v_cmp_eq_u16_sdwa s[12:13], v2, s4 src0_sel:BYTE_3 src1_sel:DWORD
	s_mov_b64 s[4:5], -1
                                        ; implicit-def: $sgpr10
	s_and_saveexec_b64 s[8:9], s[12:13]
; %bb.3742:
	s_mov_b32 s10, 0x7f800001
	s_xor_b64 s[4:5], exec, -1
; %bb.3743:
	s_or_b64 exec, exec, s[8:9]
	s_and_b64 s[4:5], s[4:5], exec
	s_or_saveexec_b64 s[6:7], s[6:7]
	v_mov_b32_e32 v6, s10
	s_xor_b64 exec, exec, s[6:7]
	s_cbranch_execz .LBB2_1694
.LBB2_3744:
	v_mov_b32_e32 v6, 0
	v_cmp_ne_u16_sdwa s[8:9], v2, v6 src0_sel:BYTE_3 src1_sel:DWORD
	s_andn2_b64 s[4:5], s[4:5], exec
	s_and_b64 s[8:9], s[8:9], exec
	s_or_b64 s[4:5], s[4:5], s[8:9]
	s_or_b64 exec, exec, s[6:7]
	s_and_saveexec_b64 s[6:7], s[4:5]
	s_cbranch_execnz .LBB2_1695
	s_branch .LBB2_1696
.LBB2_3745:
	s_movk_i32 s4, 0x80
	v_cmp_eq_u16_sdwa s[12:13], v7, s4 src0_sel:BYTE_0 src1_sel:DWORD
	s_mov_b64 s[4:5], -1
                                        ; implicit-def: $sgpr10
	s_and_saveexec_b64 s[8:9], s[12:13]
; %bb.3746:
	s_mov_b32 s10, 0x7f800001
	s_xor_b64 s[4:5], exec, -1
; %bb.3747:
	s_or_b64 exec, exec, s[8:9]
	s_and_b64 s[4:5], s[4:5], exec
	s_or_saveexec_b64 s[6:7], s[6:7]
	v_mov_b32_e32 v2, s10
	s_xor_b64 exec, exec, s[6:7]
	s_cbranch_execz .LBB2_1698
.LBB2_3748:
	v_mov_b32_e32 v2, 0
	v_cmp_ne_u16_sdwa s[8:9], v7, v2 src0_sel:BYTE_0 src1_sel:DWORD
	s_andn2_b64 s[4:5], s[4:5], exec
	s_and_b64 s[8:9], s[8:9], exec
	s_or_b64 s[4:5], s[4:5], s[8:9]
	s_or_b64 exec, exec, s[6:7]
	s_and_saveexec_b64 s[6:7], s[4:5]
	s_cbranch_execnz .LBB2_1699
	s_branch .LBB2_1700
.LBB2_3749:
	s_movk_i32 s4, 0x80
	v_cmp_eq_u16_sdwa s[12:13], v3, s4 src0_sel:BYTE_0 src1_sel:DWORD
	s_mov_b64 s[4:5], -1
                                        ; implicit-def: $sgpr10
	s_and_saveexec_b64 s[8:9], s[12:13]
; %bb.3750:
	s_mov_b32 s10, 0x7f800001
	s_xor_b64 s[4:5], exec, -1
; %bb.3751:
	s_or_b64 exec, exec, s[8:9]
	s_and_b64 s[4:5], s[4:5], exec
	s_or_saveexec_b64 s[6:7], s[6:7]
	v_mov_b32_e32 v6, s10
	s_xor_b64 exec, exec, s[6:7]
	s_cbranch_execz .LBB2_1702
.LBB2_3752:
	v_mov_b32_e32 v6, 0
	v_cmp_ne_u16_sdwa s[8:9], v3, v6 src0_sel:BYTE_0 src1_sel:DWORD
	s_andn2_b64 s[4:5], s[4:5], exec
	s_and_b64 s[8:9], s[8:9], exec
	s_or_b64 s[4:5], s[4:5], s[8:9]
	s_or_b64 exec, exec, s[6:7]
	s_and_saveexec_b64 s[6:7], s[4:5]
	s_cbranch_execnz .LBB2_1703
	s_branch .LBB2_1704
.LBB2_3753:
	s_movk_i32 s4, 0x80
	v_cmp_eq_u16_sdwa s[12:13], v6, s4 src0_sel:BYTE_0 src1_sel:DWORD
	s_mov_b64 s[4:5], -1
                                        ; implicit-def: $sgpr10
	s_and_saveexec_b64 s[8:9], s[12:13]
; %bb.3754:
	s_mov_b32 s10, 0x7f800001
	s_xor_b64 s[4:5], exec, -1
; %bb.3755:
	s_or_b64 exec, exec, s[8:9]
	s_and_b64 s[4:5], s[4:5], exec
	s_or_saveexec_b64 s[6:7], s[6:7]
	v_mov_b32_e32 v2, s10
	s_xor_b64 exec, exec, s[6:7]
	s_cbranch_execz .LBB2_1706
.LBB2_3756:
	v_mov_b32_e32 v2, 0
	v_cmp_ne_u16_sdwa s[8:9], v6, v2 src0_sel:BYTE_0 src1_sel:DWORD
	s_andn2_b64 s[4:5], s[4:5], exec
	s_and_b64 s[8:9], s[8:9], exec
	s_or_b64 s[4:5], s[4:5], s[8:9]
	s_or_b64 exec, exec, s[6:7]
	s_and_saveexec_b64 s[6:7], s[4:5]
	s_cbranch_execnz .LBB2_1707
	s_branch .LBB2_1708
.LBB2_3757:
	s_movk_i32 s4, 0x80
	v_cmp_eq_u16_sdwa s[12:13], v6, s4 src0_sel:BYTE_0 src1_sel:DWORD
	s_mov_b64 s[4:5], -1
                                        ; implicit-def: $sgpr10
	s_and_saveexec_b64 s[8:9], s[12:13]
; %bb.3758:
	s_mov_b32 s10, 0x7f800001
	s_xor_b64 s[4:5], exec, -1
; %bb.3759:
	s_or_b64 exec, exec, s[8:9]
	s_and_b64 s[4:5], s[4:5], exec
	s_or_saveexec_b64 s[6:7], s[6:7]
	v_mov_b32_e32 v12, s10
	s_xor_b64 exec, exec, s[6:7]
	s_cbranch_execz .LBB2_1710
.LBB2_3760:
	v_mov_b32_e32 v12, 0
	v_cmp_ne_u16_sdwa s[8:9], v6, v12 src0_sel:BYTE_0 src1_sel:DWORD
	s_andn2_b64 s[4:5], s[4:5], exec
	s_and_b64 s[8:9], s[8:9], exec
	s_or_b64 s[4:5], s[4:5], s[8:9]
	s_or_b64 exec, exec, s[6:7]
	s_and_saveexec_b64 s[6:7], s[4:5]
	s_cbranch_execnz .LBB2_1711
	s_branch .LBB2_1712
.LBB2_3761:
	s_movk_i32 s4, 0x80
	v_cmp_eq_u16_e32 vcc, s4, v6
	s_mov_b64 s[4:5], -1
                                        ; implicit-def: $sgpr10
	s_and_saveexec_b64 s[8:9], vcc
; %bb.3762:
	s_mov_b32 s10, 0x7f800001
	s_xor_b64 s[4:5], exec, -1
; %bb.3763:
	s_or_b64 exec, exec, s[8:9]
	s_and_b64 s[4:5], s[4:5], exec
                                        ; implicit-def: $vgpr6
	s_or_saveexec_b64 s[6:7], s[6:7]
	v_mov_b32_e32 v2, s10
	s_xor_b64 exec, exec, s[6:7]
	s_cbranch_execz .LBB2_1714
.LBB2_3764:
	v_cmp_ne_u16_e32 vcc, 0, v6
	s_andn2_b64 s[4:5], s[4:5], exec
	s_and_b64 s[8:9], vcc, exec
	v_mov_b32_e32 v2, 0
	s_or_b64 s[4:5], s[4:5], s[8:9]
	s_or_b64 exec, exec, s[6:7]
	s_and_saveexec_b64 s[6:7], s[4:5]
	s_cbranch_execnz .LBB2_1715
	s_branch .LBB2_1716
.LBB2_3765:
	s_movk_i32 s4, 0x80
	v_cmp_eq_u16_e32 vcc, s4, v6
	s_mov_b64 s[4:5], -1
                                        ; implicit-def: $sgpr10
	s_and_saveexec_b64 s[8:9], vcc
; %bb.3766:
	s_mov_b32 s10, 0x7f800001
	s_xor_b64 s[4:5], exec, -1
; %bb.3767:
	s_or_b64 exec, exec, s[8:9]
	s_and_b64 s[4:5], s[4:5], exec
                                        ; implicit-def: $vgpr6
	s_or_saveexec_b64 s[6:7], s[6:7]
	v_mov_b32_e32 v12, s10
	s_xor_b64 exec, exec, s[6:7]
	s_cbranch_execz .LBB2_1718
.LBB2_3768:
	v_cmp_ne_u16_e32 vcc, 0, v6
	s_andn2_b64 s[4:5], s[4:5], exec
	s_and_b64 s[8:9], vcc, exec
	v_mov_b32_e32 v12, 0
	s_or_b64 s[4:5], s[4:5], s[8:9]
	s_or_b64 exec, exec, s[6:7]
	s_and_saveexec_b64 s[6:7], s[4:5]
	s_cbranch_execnz .LBB2_1719
	s_branch .LBB2_1720
.LBB2_3769:
	s_movk_i32 s4, 0x80
	v_cmp_eq_u16_sdwa s[12:13], v7, s4 src0_sel:BYTE_3 src1_sel:DWORD
	s_mov_b64 s[4:5], -1
                                        ; implicit-def: $sgpr10
	s_and_saveexec_b64 s[8:9], s[12:13]
; %bb.3770:
	s_mov_b32 s10, 0x7f800001
	s_xor_b64 s[4:5], exec, -1
; %bb.3771:
	s_or_b64 exec, exec, s[8:9]
	s_and_b64 s[4:5], s[4:5], exec
	s_or_saveexec_b64 s[6:7], s[6:7]
	v_mov_b32_e32 v2, s10
	s_xor_b64 exec, exec, s[6:7]
	s_cbranch_execz .LBB2_1722
.LBB2_3772:
	v_mov_b32_e32 v2, 0
	v_cmp_ne_u16_sdwa s[8:9], v7, v2 src0_sel:BYTE_3 src1_sel:DWORD
	s_andn2_b64 s[4:5], s[4:5], exec
	s_and_b64 s[8:9], s[8:9], exec
	s_or_b64 s[4:5], s[4:5], s[8:9]
	s_or_b64 exec, exec, s[6:7]
	s_and_saveexec_b64 s[6:7], s[4:5]
	s_cbranch_execnz .LBB2_1723
	s_branch .LBB2_1724
.LBB2_3773:
	s_movk_i32 s4, 0x80
	v_cmp_eq_u16_sdwa s[12:13], v3, s4 src0_sel:BYTE_3 src1_sel:DWORD
	s_mov_b64 s[4:5], -1
                                        ; implicit-def: $sgpr10
	s_and_saveexec_b64 s[8:9], s[12:13]
; %bb.3774:
	s_mov_b32 s10, 0x7f800001
	s_xor_b64 s[4:5], exec, -1
; %bb.3775:
	s_or_b64 exec, exec, s[8:9]
	s_and_b64 s[4:5], s[4:5], exec
	s_or_saveexec_b64 s[6:7], s[6:7]
	v_mov_b32_e32 v6, s10
	s_xor_b64 exec, exec, s[6:7]
	s_cbranch_execz .LBB2_1726
.LBB2_3776:
	v_mov_b32_e32 v6, 0
	v_cmp_ne_u16_sdwa s[8:9], v3, v6 src0_sel:BYTE_3 src1_sel:DWORD
	s_andn2_b64 s[4:5], s[4:5], exec
	s_and_b64 s[8:9], s[8:9], exec
	s_or_b64 s[4:5], s[4:5], s[8:9]
	s_or_b64 exec, exec, s[6:7]
	s_and_saveexec_b64 s[6:7], s[4:5]
	s_cbranch_execnz .LBB2_1727
	s_branch .LBB2_1728
.LBB2_3777:
	s_movk_i32 s4, 0x80
	v_cmp_eq_u16_sdwa s[12:13], v8, s4 src0_sel:BYTE_0 src1_sel:DWORD
	s_mov_b64 s[4:5], -1
                                        ; implicit-def: $sgpr10
	s_and_saveexec_b64 s[8:9], s[12:13]
; %bb.3778:
	s_mov_b32 s10, 0x7f800001
	s_xor_b64 s[4:5], exec, -1
; %bb.3779:
	s_or_b64 exec, exec, s[8:9]
	s_and_b64 s[4:5], s[4:5], exec
	s_or_saveexec_b64 s[6:7], s[6:7]
	v_mov_b32_e32 v2, s10
	s_xor_b64 exec, exec, s[6:7]
	s_cbranch_execz .LBB2_1730
.LBB2_3780:
	v_mov_b32_e32 v2, 0
	v_cmp_ne_u16_sdwa s[8:9], v8, v2 src0_sel:BYTE_0 src1_sel:DWORD
	s_andn2_b64 s[4:5], s[4:5], exec
	s_and_b64 s[8:9], s[8:9], exec
	s_or_b64 s[4:5], s[4:5], s[8:9]
	s_or_b64 exec, exec, s[6:7]
	s_and_saveexec_b64 s[6:7], s[4:5]
	s_cbranch_execnz .LBB2_1731
	s_branch .LBB2_1732
.LBB2_3781:
	s_movk_i32 s4, 0x80
	v_cmp_eq_u16_sdwa s[12:13], v4, s4 src0_sel:BYTE_0 src1_sel:DWORD
	s_mov_b64 s[4:5], -1
                                        ; implicit-def: $sgpr10
	s_and_saveexec_b64 s[8:9], s[12:13]
; %bb.3782:
	s_mov_b32 s10, 0x7f800001
	s_xor_b64 s[4:5], exec, -1
; %bb.3783:
	s_or_b64 exec, exec, s[8:9]
	s_and_b64 s[4:5], s[4:5], exec
	s_or_saveexec_b64 s[6:7], s[6:7]
	v_mov_b32_e32 v3, s10
	s_xor_b64 exec, exec, s[6:7]
	s_cbranch_execz .LBB2_1734
.LBB2_3784:
	v_mov_b32_e32 v3, 0
	v_cmp_ne_u16_sdwa s[8:9], v4, v3 src0_sel:BYTE_0 src1_sel:DWORD
	s_andn2_b64 s[4:5], s[4:5], exec
	s_and_b64 s[8:9], s[8:9], exec
	s_or_b64 s[4:5], s[4:5], s[8:9]
	s_or_b64 exec, exec, s[6:7]
	s_and_saveexec_b64 s[6:7], s[4:5]
	s_cbranch_execnz .LBB2_1735
	s_branch .LBB2_1736
.LBB2_3785:
	s_movk_i32 s4, 0x80
	v_cmp_eq_u16_sdwa s[12:13], v3, s4 src0_sel:BYTE_0 src1_sel:DWORD
	s_mov_b64 s[4:5], -1
                                        ; implicit-def: $sgpr10
	s_and_saveexec_b64 s[8:9], s[12:13]
; %bb.3786:
	s_mov_b32 s10, 0x7f800001
	s_xor_b64 s[4:5], exec, -1
; %bb.3787:
	s_or_b64 exec, exec, s[8:9]
	s_and_b64 s[4:5], s[4:5], exec
	s_or_saveexec_b64 s[6:7], s[6:7]
	v_mov_b32_e32 v2, s10
	s_xor_b64 exec, exec, s[6:7]
	s_cbranch_execz .LBB2_1738
.LBB2_3788:
	v_mov_b32_e32 v2, 0
	v_cmp_ne_u16_sdwa s[8:9], v3, v2 src0_sel:BYTE_0 src1_sel:DWORD
	s_andn2_b64 s[4:5], s[4:5], exec
	s_and_b64 s[8:9], s[8:9], exec
	s_or_b64 s[4:5], s[4:5], s[8:9]
	s_or_b64 exec, exec, s[6:7]
	s_and_saveexec_b64 s[6:7], s[4:5]
	s_cbranch_execnz .LBB2_1739
	s_branch .LBB2_1740
.LBB2_3789:
	s_movk_i32 s4, 0x80
	v_cmp_eq_u16_sdwa s[12:13], v3, s4 src0_sel:BYTE_0 src1_sel:DWORD
	s_mov_b64 s[4:5], -1
                                        ; implicit-def: $sgpr10
	s_and_saveexec_b64 s[8:9], s[12:13]
; %bb.3790:
	s_mov_b32 s10, 0x7f800001
	s_xor_b64 s[4:5], exec, -1
; %bb.3791:
	s_or_b64 exec, exec, s[8:9]
	s_and_b64 s[4:5], s[4:5], exec
	s_or_saveexec_b64 s[6:7], s[6:7]
	v_mov_b32_e32 v6, s10
	s_xor_b64 exec, exec, s[6:7]
	s_cbranch_execz .LBB2_1742
.LBB2_3792:
	v_mov_b32_e32 v6, 0
	v_cmp_ne_u16_sdwa s[8:9], v3, v6 src0_sel:BYTE_0 src1_sel:DWORD
	s_andn2_b64 s[4:5], s[4:5], exec
	s_and_b64 s[8:9], s[8:9], exec
	s_or_b64 s[4:5], s[4:5], s[8:9]
	s_or_b64 exec, exec, s[6:7]
	s_and_saveexec_b64 s[6:7], s[4:5]
	s_cbranch_execnz .LBB2_1743
	s_branch .LBB2_1744
.LBB2_3793:
	s_movk_i32 s4, 0x80
	v_cmp_eq_u16_e32 vcc, s4, v3
	s_mov_b64 s[4:5], -1
                                        ; implicit-def: $sgpr10
	s_and_saveexec_b64 s[8:9], vcc
; %bb.3794:
	s_mov_b32 s10, 0x7f800001
	s_xor_b64 s[4:5], exec, -1
; %bb.3795:
	s_or_b64 exec, exec, s[8:9]
	s_and_b64 s[4:5], s[4:5], exec
                                        ; implicit-def: $vgpr3
	s_or_saveexec_b64 s[6:7], s[6:7]
	v_mov_b32_e32 v2, s10
	s_xor_b64 exec, exec, s[6:7]
	s_cbranch_execz .LBB2_1746
.LBB2_3796:
	v_cmp_ne_u16_e32 vcc, 0, v3
	s_andn2_b64 s[4:5], s[4:5], exec
	s_and_b64 s[8:9], vcc, exec
	v_mov_b32_e32 v2, 0
	s_or_b64 s[4:5], s[4:5], s[8:9]
	s_or_b64 exec, exec, s[6:7]
	s_and_saveexec_b64 s[6:7], s[4:5]
	s_cbranch_execnz .LBB2_1747
	s_branch .LBB2_1748
.LBB2_3797:
	s_movk_i32 s4, 0x80
	v_cmp_eq_u16_e32 vcc, s4, v3
	s_mov_b64 s[4:5], -1
                                        ; implicit-def: $sgpr10
	s_and_saveexec_b64 s[8:9], vcc
; %bb.3798:
	s_mov_b32 s10, 0x7f800001
	s_xor_b64 s[4:5], exec, -1
; %bb.3799:
	s_or_b64 exec, exec, s[8:9]
	s_and_b64 s[4:5], s[4:5], exec
                                        ; implicit-def: $vgpr3
	s_or_saveexec_b64 s[6:7], s[6:7]
	v_mov_b32_e32 v6, s10
	s_xor_b64 exec, exec, s[6:7]
	s_cbranch_execz .LBB2_1750
.LBB2_3800:
	v_cmp_ne_u16_e32 vcc, 0, v3
	s_andn2_b64 s[4:5], s[4:5], exec
	s_and_b64 s[8:9], vcc, exec
	v_mov_b32_e32 v6, 0
	s_or_b64 s[4:5], s[4:5], s[8:9]
	s_or_b64 exec, exec, s[6:7]
	s_and_saveexec_b64 s[6:7], s[4:5]
	s_cbranch_execnz .LBB2_1751
	s_branch .LBB2_1752
.LBB2_3801:
	s_movk_i32 s4, 0x80
	v_cmp_eq_u16_sdwa s[12:13], v8, s4 src0_sel:BYTE_3 src1_sel:DWORD
	s_mov_b64 s[4:5], -1
                                        ; implicit-def: $sgpr10
	s_and_saveexec_b64 s[8:9], s[12:13]
; %bb.3802:
	s_mov_b32 s10, 0x7f800001
	s_xor_b64 s[4:5], exec, -1
; %bb.3803:
	s_or_b64 exec, exec, s[8:9]
	s_and_b64 s[4:5], s[4:5], exec
	s_or_saveexec_b64 s[6:7], s[6:7]
	v_mov_b32_e32 v2, s10
	s_xor_b64 exec, exec, s[6:7]
	s_cbranch_execz .LBB2_1754
.LBB2_3804:
	v_mov_b32_e32 v2, 0
	v_cmp_ne_u16_sdwa s[8:9], v8, v2 src0_sel:BYTE_3 src1_sel:DWORD
	s_andn2_b64 s[4:5], s[4:5], exec
	s_and_b64 s[8:9], s[8:9], exec
	s_or_b64 s[4:5], s[4:5], s[8:9]
	s_or_b64 exec, exec, s[6:7]
	s_and_saveexec_b64 s[6:7], s[4:5]
	s_cbranch_execnz .LBB2_1755
	s_branch .LBB2_1756
.LBB2_3805:
	s_movk_i32 s4, 0x80
	v_cmp_eq_u16_sdwa s[12:13], v4, s4 src0_sel:BYTE_3 src1_sel:DWORD
	s_mov_b64 s[4:5], -1
                                        ; implicit-def: $sgpr10
	s_and_saveexec_b64 s[8:9], s[12:13]
; %bb.3806:
	s_mov_b32 s10, 0x7f800001
	s_xor_b64 s[4:5], exec, -1
; %bb.3807:
	s_or_b64 exec, exec, s[8:9]
	s_and_b64 s[4:5], s[4:5], exec
	s_or_saveexec_b64 s[6:7], s[6:7]
	v_mov_b32_e32 v3, s10
	s_xor_b64 exec, exec, s[6:7]
	s_cbranch_execz .LBB2_1758
.LBB2_3808:
	v_mov_b32_e32 v3, 0
	v_cmp_ne_u16_sdwa s[8:9], v4, v3 src0_sel:BYTE_3 src1_sel:DWORD
	s_andn2_b64 s[4:5], s[4:5], exec
	s_and_b64 s[8:9], s[8:9], exec
	s_or_b64 s[4:5], s[4:5], s[8:9]
	s_or_b64 exec, exec, s[6:7]
	s_and_saveexec_b64 s[6:7], s[4:5]
	s_cbranch_execnz .LBB2_1759
	s_branch .LBB2_1760
.LBB2_3809:
	s_movk_i32 s4, 0x80
	v_cmp_eq_u16_sdwa s[12:13], v9, s4 src0_sel:BYTE_0 src1_sel:DWORD
	s_mov_b64 s[4:5], -1
                                        ; implicit-def: $sgpr10
	s_and_saveexec_b64 s[8:9], s[12:13]
; %bb.3810:
	s_mov_b32 s10, 0x7f800001
	s_xor_b64 s[4:5], exec, -1
; %bb.3811:
	s_or_b64 exec, exec, s[8:9]
	s_and_b64 s[4:5], s[4:5], exec
	s_or_saveexec_b64 s[6:7], s[6:7]
	v_mov_b32_e32 v2, s10
	s_xor_b64 exec, exec, s[6:7]
	s_cbranch_execz .LBB2_1762
.LBB2_3812:
	v_mov_b32_e32 v2, 0
	v_cmp_ne_u16_sdwa s[8:9], v9, v2 src0_sel:BYTE_0 src1_sel:DWORD
	s_andn2_b64 s[4:5], s[4:5], exec
	s_and_b64 s[8:9], s[8:9], exec
	s_or_b64 s[4:5], s[4:5], s[8:9]
	s_or_b64 exec, exec, s[6:7]
	s_and_saveexec_b64 s[6:7], s[4:5]
	s_cbranch_execnz .LBB2_1763
	s_branch .LBB2_1764
.LBB2_3813:
	s_movk_i32 s4, 0x80
	v_cmp_eq_u16_sdwa s[12:13], v5, s4 src0_sel:BYTE_0 src1_sel:DWORD
	s_mov_b64 s[4:5], -1
                                        ; implicit-def: $sgpr10
	s_and_saveexec_b64 s[8:9], s[12:13]
; %bb.3814:
	s_mov_b32 s10, 0x7f800001
	s_xor_b64 s[4:5], exec, -1
; %bb.3815:
	s_or_b64 exec, exec, s[8:9]
	s_and_b64 s[4:5], s[4:5], exec
	s_or_saveexec_b64 s[6:7], s[6:7]
	v_mov_b32_e32 v3, s10
	s_xor_b64 exec, exec, s[6:7]
	s_cbranch_execz .LBB2_1766
.LBB2_3816:
	v_mov_b32_e32 v3, 0
	v_cmp_ne_u16_sdwa s[8:9], v5, v3 src0_sel:BYTE_0 src1_sel:DWORD
	s_andn2_b64 s[4:5], s[4:5], exec
	s_and_b64 s[8:9], s[8:9], exec
	s_or_b64 s[4:5], s[4:5], s[8:9]
	s_or_b64 exec, exec, s[6:7]
	s_and_saveexec_b64 s[6:7], s[4:5]
	s_cbranch_execnz .LBB2_1767
	s_branch .LBB2_1768
.LBB2_3817:
	s_movk_i32 s4, 0x80
	v_cmp_eq_u16_sdwa s[12:13], v3, s4 src0_sel:BYTE_0 src1_sel:DWORD
	s_mov_b64 s[4:5], -1
                                        ; implicit-def: $sgpr10
	s_and_saveexec_b64 s[8:9], s[12:13]
; %bb.3818:
	s_mov_b32 s10, 0x7f800001
	s_xor_b64 s[4:5], exec, -1
; %bb.3819:
	s_or_b64 exec, exec, s[8:9]
	s_and_b64 s[4:5], s[4:5], exec
	s_or_saveexec_b64 s[6:7], s[6:7]
	v_mov_b32_e32 v2, s10
	s_xor_b64 exec, exec, s[6:7]
	s_cbranch_execz .LBB2_1770
.LBB2_3820:
	v_mov_b32_e32 v2, 0
	v_cmp_ne_u16_sdwa s[8:9], v3, v2 src0_sel:BYTE_0 src1_sel:DWORD
	s_andn2_b64 s[4:5], s[4:5], exec
	s_and_b64 s[8:9], s[8:9], exec
	s_or_b64 s[4:5], s[4:5], s[8:9]
	s_or_b64 exec, exec, s[6:7]
	s_and_saveexec_b64 s[6:7], s[4:5]
	s_cbranch_execnz .LBB2_1771
	s_branch .LBB2_1772
.LBB2_3821:
	s_movk_i32 s4, 0x80
	v_cmp_eq_u16_sdwa s[12:13], v3, s4 src0_sel:BYTE_0 src1_sel:DWORD
	s_mov_b64 s[4:5], -1
                                        ; implicit-def: $sgpr10
	s_and_saveexec_b64 s[8:9], s[12:13]
; %bb.3822:
	s_mov_b32 s10, 0x7f800001
	s_xor_b64 s[4:5], exec, -1
; %bb.3823:
	s_or_b64 exec, exec, s[8:9]
	s_and_b64 s[4:5], s[4:5], exec
	s_or_saveexec_b64 s[6:7], s[6:7]
	v_mov_b32_e32 v4, s10
	s_xor_b64 exec, exec, s[6:7]
	s_cbranch_execz .LBB2_1774
.LBB2_3824:
	v_mov_b32_e32 v4, 0
	v_cmp_ne_u16_sdwa s[8:9], v3, v4 src0_sel:BYTE_0 src1_sel:DWORD
	s_andn2_b64 s[4:5], s[4:5], exec
	s_and_b64 s[8:9], s[8:9], exec
	s_or_b64 s[4:5], s[4:5], s[8:9]
	s_or_b64 exec, exec, s[6:7]
	s_and_saveexec_b64 s[6:7], s[4:5]
	s_cbranch_execnz .LBB2_1775
	s_branch .LBB2_1776
.LBB2_3825:
	s_movk_i32 s4, 0x80
	v_cmp_eq_u16_e32 vcc, s4, v3
	s_mov_b64 s[4:5], -1
                                        ; implicit-def: $sgpr10
	s_and_saveexec_b64 s[8:9], vcc
; %bb.3826:
	s_mov_b32 s10, 0x7f800001
	s_xor_b64 s[4:5], exec, -1
; %bb.3827:
	s_or_b64 exec, exec, s[8:9]
	s_and_b64 s[4:5], s[4:5], exec
                                        ; implicit-def: $vgpr3
	s_or_saveexec_b64 s[6:7], s[6:7]
	v_mov_b32_e32 v2, s10
	s_xor_b64 exec, exec, s[6:7]
	s_cbranch_execz .LBB2_1778
.LBB2_3828:
	v_cmp_ne_u16_e32 vcc, 0, v3
	s_andn2_b64 s[4:5], s[4:5], exec
	s_and_b64 s[8:9], vcc, exec
	v_mov_b32_e32 v2, 0
	s_or_b64 s[4:5], s[4:5], s[8:9]
	s_or_b64 exec, exec, s[6:7]
	s_and_saveexec_b64 s[6:7], s[4:5]
	s_cbranch_execnz .LBB2_1779
	s_branch .LBB2_1780
.LBB2_3829:
	s_movk_i32 s4, 0x80
	v_cmp_eq_u16_e32 vcc, s4, v3
	s_mov_b64 s[4:5], -1
                                        ; implicit-def: $sgpr10
	s_and_saveexec_b64 s[8:9], vcc
; %bb.3830:
	s_mov_b32 s10, 0x7f800001
	s_xor_b64 s[4:5], exec, -1
; %bb.3831:
	s_or_b64 exec, exec, s[8:9]
	s_and_b64 s[4:5], s[4:5], exec
                                        ; implicit-def: $vgpr3
	s_or_saveexec_b64 s[6:7], s[6:7]
	v_mov_b32_e32 v4, s10
	s_xor_b64 exec, exec, s[6:7]
	s_cbranch_execz .LBB2_1782
.LBB2_3832:
	v_cmp_ne_u16_e32 vcc, 0, v3
	s_andn2_b64 s[4:5], s[4:5], exec
	s_and_b64 s[8:9], vcc, exec
	v_mov_b32_e32 v4, 0
	s_or_b64 s[4:5], s[4:5], s[8:9]
	s_or_b64 exec, exec, s[6:7]
	s_and_saveexec_b64 s[6:7], s[4:5]
	s_cbranch_execnz .LBB2_1783
	s_branch .LBB2_1784
.LBB2_3833:
	s_movk_i32 s4, 0x80
	v_cmp_eq_u16_sdwa s[12:13], v9, s4 src0_sel:BYTE_3 src1_sel:DWORD
	s_mov_b64 s[4:5], -1
                                        ; implicit-def: $sgpr10
	s_and_saveexec_b64 s[8:9], s[12:13]
; %bb.3834:
	s_mov_b32 s10, 0x7f800001
	s_xor_b64 s[4:5], exec, -1
; %bb.3835:
	s_or_b64 exec, exec, s[8:9]
	s_and_b64 s[4:5], s[4:5], exec
	s_or_saveexec_b64 s[6:7], s[6:7]
	v_mov_b32_e32 v2, s10
	s_xor_b64 exec, exec, s[6:7]
	s_cbranch_execz .LBB2_1786
.LBB2_3836:
	v_mov_b32_e32 v2, 0
	v_cmp_ne_u16_sdwa s[8:9], v9, v2 src0_sel:BYTE_3 src1_sel:DWORD
	s_andn2_b64 s[4:5], s[4:5], exec
	s_and_b64 s[8:9], s[8:9], exec
	s_or_b64 s[4:5], s[4:5], s[8:9]
	s_or_b64 exec, exec, s[6:7]
	s_and_saveexec_b64 s[6:7], s[4:5]
	s_cbranch_execnz .LBB2_1787
	s_branch .LBB2_1788
.LBB2_3837:
	s_movk_i32 s4, 0x80
	v_cmp_eq_u16_sdwa s[12:13], v5, s4 src0_sel:BYTE_3 src1_sel:DWORD
	s_mov_b64 s[4:5], -1
                                        ; implicit-def: $sgpr10
	s_and_saveexec_b64 s[8:9], s[12:13]
; %bb.3838:
	s_mov_b32 s10, 0x7f800001
	s_xor_b64 s[4:5], exec, -1
; %bb.3839:
	s_or_b64 exec, exec, s[8:9]
	s_and_b64 s[4:5], s[4:5], exec
	s_or_saveexec_b64 s[6:7], s[6:7]
	v_mov_b32_e32 v3, s10
	s_xor_b64 exec, exec, s[6:7]
	s_cbranch_execz .LBB2_1790
.LBB2_3840:
	v_mov_b32_e32 v3, 0
	v_cmp_ne_u16_sdwa s[8:9], v5, v3 src0_sel:BYTE_3 src1_sel:DWORD
	s_andn2_b64 s[4:5], s[4:5], exec
	s_and_b64 s[8:9], s[8:9], exec
	s_or_b64 s[4:5], s[4:5], s[8:9]
	s_or_b64 exec, exec, s[6:7]
	s_and_saveexec_b64 s[6:7], s[4:5]
	s_cbranch_execnz .LBB2_1791
	s_branch .LBB2_1792
.LBB2_3841:
	s_movk_i32 s4, 0x80
	v_cmp_eq_u16_sdwa s[12:13], v6, s4 src0_sel:BYTE_0 src1_sel:DWORD
	s_mov_b64 s[4:5], -1
                                        ; implicit-def: $sgpr10
	s_and_saveexec_b64 s[8:9], s[12:13]
; %bb.3842:
	s_mov_b32 s10, 0x7f800001
	s_xor_b64 s[4:5], exec, -1
; %bb.3843:
	s_or_b64 exec, exec, s[8:9]
	s_and_b64 s[4:5], s[4:5], exec
	s_or_saveexec_b64 s[6:7], s[6:7]
	v_mov_b32_e32 v12, s10
	s_xor_b64 exec, exec, s[6:7]
	s_cbranch_execz .LBB2_1794
.LBB2_3844:
	v_mov_b32_e32 v12, 0
	v_cmp_ne_u16_sdwa s[8:9], v6, v12 src0_sel:BYTE_0 src1_sel:DWORD
	s_andn2_b64 s[4:5], s[4:5], exec
	s_and_b64 s[8:9], s[8:9], exec
	s_or_b64 s[4:5], s[4:5], s[8:9]
	s_or_b64 exec, exec, s[6:7]
	s_and_saveexec_b64 s[6:7], s[4:5]
	s_cbranch_execnz .LBB2_1795
	s_branch .LBB2_1796
.LBB2_3845:
	s_movk_i32 s4, 0x80
	v_cmp_eq_u16_sdwa s[12:13], v2, s4 src0_sel:BYTE_0 src1_sel:DWORD
	s_mov_b64 s[4:5], -1
                                        ; implicit-def: $sgpr10
	s_and_saveexec_b64 s[8:9], s[12:13]
; %bb.3846:
	s_mov_b32 s10, 0x7f800001
	s_xor_b64 s[4:5], exec, -1
; %bb.3847:
	s_or_b64 exec, exec, s[8:9]
	s_and_b64 s[4:5], s[4:5], exec
	s_or_saveexec_b64 s[6:7], s[6:7]
	v_mov_b32_e32 v13, s10
	s_xor_b64 exec, exec, s[6:7]
	s_cbranch_execz .LBB2_1798
.LBB2_3848:
	v_mov_b32_e32 v13, 0
	v_cmp_ne_u16_sdwa s[8:9], v2, v13 src0_sel:BYTE_0 src1_sel:DWORD
	s_andn2_b64 s[4:5], s[4:5], exec
	s_and_b64 s[8:9], s[8:9], exec
	s_or_b64 s[4:5], s[4:5], s[8:9]
	s_or_b64 exec, exec, s[6:7]
	s_and_saveexec_b64 s[6:7], s[4:5]
	s_cbranch_execnz .LBB2_1799
	s_branch .LBB2_1800
.LBB2_3849:
	s_movk_i32 s4, 0x80
	v_cmp_eq_u16_sdwa s[12:13], v13, s4 src0_sel:BYTE_0 src1_sel:DWORD
	s_mov_b64 s[4:5], -1
                                        ; implicit-def: $sgpr10
	s_and_saveexec_b64 s[8:9], s[12:13]
; %bb.3850:
	s_mov_b32 s10, 0x7f800001
	s_xor_b64 s[4:5], exec, -1
; %bb.3851:
	s_or_b64 exec, exec, s[8:9]
	s_and_b64 s[4:5], s[4:5], exec
	s_or_saveexec_b64 s[6:7], s[6:7]
	v_mov_b32_e32 v12, s10
	s_xor_b64 exec, exec, s[6:7]
	s_cbranch_execz .LBB2_1802
.LBB2_3852:
	v_mov_b32_e32 v12, 0
	v_cmp_ne_u16_sdwa s[8:9], v13, v12 src0_sel:BYTE_0 src1_sel:DWORD
	s_andn2_b64 s[4:5], s[4:5], exec
	s_and_b64 s[8:9], s[8:9], exec
	s_or_b64 s[4:5], s[4:5], s[8:9]
	s_or_b64 exec, exec, s[6:7]
	s_and_saveexec_b64 s[6:7], s[4:5]
	s_cbranch_execnz .LBB2_1803
	s_branch .LBB2_1804
.LBB2_3853:
	s_movk_i32 s4, 0x80
	v_cmp_eq_u16_sdwa s[12:13], v13, s4 src0_sel:BYTE_0 src1_sel:DWORD
	s_mov_b64 s[4:5], -1
                                        ; implicit-def: $sgpr10
	s_and_saveexec_b64 s[8:9], s[12:13]
; %bb.3854:
	s_mov_b32 s10, 0x7f800001
	s_xor_b64 s[4:5], exec, -1
; %bb.3855:
	s_or_b64 exec, exec, s[8:9]
	s_and_b64 s[4:5], s[4:5], exec
	s_or_saveexec_b64 s[6:7], s[6:7]
	v_mov_b32_e32 v14, s10
	s_xor_b64 exec, exec, s[6:7]
	s_cbranch_execz .LBB2_1806
.LBB2_3856:
	v_mov_b32_e32 v14, 0
	v_cmp_ne_u16_sdwa s[8:9], v13, v14 src0_sel:BYTE_0 src1_sel:DWORD
	s_andn2_b64 s[4:5], s[4:5], exec
	s_and_b64 s[8:9], s[8:9], exec
	s_or_b64 s[4:5], s[4:5], s[8:9]
	s_or_b64 exec, exec, s[6:7]
	s_and_saveexec_b64 s[6:7], s[4:5]
	s_cbranch_execnz .LBB2_1807
	s_branch .LBB2_1808
.LBB2_3857:
	s_movk_i32 s4, 0x80
	v_cmp_eq_u16_e32 vcc, s4, v13
	s_mov_b64 s[4:5], -1
                                        ; implicit-def: $sgpr10
	s_and_saveexec_b64 s[8:9], vcc
; %bb.3858:
	s_mov_b32 s10, 0x7f800001
	s_xor_b64 s[4:5], exec, -1
; %bb.3859:
	s_or_b64 exec, exec, s[8:9]
	s_and_b64 s[4:5], s[4:5], exec
                                        ; implicit-def: $vgpr13
	s_or_saveexec_b64 s[6:7], s[6:7]
	v_mov_b32_e32 v12, s10
	s_xor_b64 exec, exec, s[6:7]
	s_cbranch_execz .LBB2_1810
.LBB2_3860:
	v_cmp_ne_u16_e32 vcc, 0, v13
	s_andn2_b64 s[4:5], s[4:5], exec
	s_and_b64 s[8:9], vcc, exec
	v_mov_b32_e32 v12, 0
	s_or_b64 s[4:5], s[4:5], s[8:9]
	s_or_b64 exec, exec, s[6:7]
	s_and_saveexec_b64 s[6:7], s[4:5]
	s_cbranch_execnz .LBB2_1811
	s_branch .LBB2_1812
.LBB2_3861:
	s_movk_i32 s4, 0x80
	v_cmp_eq_u16_e32 vcc, s4, v13
	s_mov_b64 s[4:5], -1
                                        ; implicit-def: $sgpr10
	s_and_saveexec_b64 s[8:9], vcc
; %bb.3862:
	s_mov_b32 s10, 0x7f800001
	s_xor_b64 s[4:5], exec, -1
; %bb.3863:
	s_or_b64 exec, exec, s[8:9]
	s_and_b64 s[4:5], s[4:5], exec
                                        ; implicit-def: $vgpr13
	s_or_saveexec_b64 s[6:7], s[6:7]
	v_mov_b32_e32 v14, s10
	s_xor_b64 exec, exec, s[6:7]
	s_cbranch_execz .LBB2_1814
.LBB2_3864:
	v_cmp_ne_u16_e32 vcc, 0, v13
	s_andn2_b64 s[4:5], s[4:5], exec
	s_and_b64 s[8:9], vcc, exec
	v_mov_b32_e32 v14, 0
	s_or_b64 s[4:5], s[4:5], s[8:9]
	s_or_b64 exec, exec, s[6:7]
	s_and_saveexec_b64 s[6:7], s[4:5]
	s_cbranch_execnz .LBB2_1815
	s_branch .LBB2_1816
.LBB2_3865:
	s_movk_i32 s4, 0x80
	v_cmp_eq_u16_sdwa s[12:13], v6, s4 src0_sel:BYTE_3 src1_sel:DWORD
	s_mov_b64 s[4:5], -1
                                        ; implicit-def: $sgpr10
	s_and_saveexec_b64 s[8:9], s[12:13]
; %bb.3866:
	s_mov_b32 s10, 0x7f800001
	s_xor_b64 s[4:5], exec, -1
; %bb.3867:
	s_or_b64 exec, exec, s[8:9]
	s_and_b64 s[4:5], s[4:5], exec
	s_or_saveexec_b64 s[6:7], s[6:7]
	v_mov_b32_e32 v12, s10
	s_xor_b64 exec, exec, s[6:7]
	s_cbranch_execz .LBB2_1818
.LBB2_3868:
	v_mov_b32_e32 v12, 0
	v_cmp_ne_u16_sdwa s[8:9], v6, v12 src0_sel:BYTE_3 src1_sel:DWORD
	s_andn2_b64 s[4:5], s[4:5], exec
	s_and_b64 s[8:9], s[8:9], exec
	s_or_b64 s[4:5], s[4:5], s[8:9]
	s_or_b64 exec, exec, s[6:7]
	s_and_saveexec_b64 s[6:7], s[4:5]
	s_cbranch_execnz .LBB2_1819
	s_branch .LBB2_1820
.LBB2_3869:
	s_movk_i32 s4, 0x80
	v_cmp_eq_u16_sdwa s[12:13], v2, s4 src0_sel:BYTE_3 src1_sel:DWORD
	s_mov_b64 s[4:5], -1
                                        ; implicit-def: $sgpr10
	s_and_saveexec_b64 s[8:9], s[12:13]
; %bb.3870:
	s_mov_b32 s10, 0x7f800001
	s_xor_b64 s[4:5], exec, -1
; %bb.3871:
	s_or_b64 exec, exec, s[8:9]
	s_and_b64 s[4:5], s[4:5], exec
	s_or_saveexec_b64 s[6:7], s[6:7]
	v_mov_b32_e32 v6, s10
	s_xor_b64 exec, exec, s[6:7]
	s_cbranch_execz .LBB2_1822
.LBB2_3872:
	v_mov_b32_e32 v6, 0
	v_cmp_ne_u16_sdwa s[8:9], v2, v6 src0_sel:BYTE_3 src1_sel:DWORD
	s_andn2_b64 s[4:5], s[4:5], exec
	s_and_b64 s[8:9], s[8:9], exec
	s_or_b64 s[4:5], s[4:5], s[8:9]
	s_or_b64 exec, exec, s[6:7]
	s_and_saveexec_b64 s[6:7], s[4:5]
	s_cbranch_execnz .LBB2_1823
	s_branch .LBB2_1824
.LBB2_3873:
	s_movk_i32 s4, 0x80
	v_cmp_eq_u16_sdwa s[12:13], v7, s4 src0_sel:BYTE_0 src1_sel:DWORD
	s_mov_b64 s[4:5], -1
                                        ; implicit-def: $sgpr10
	s_and_saveexec_b64 s[8:9], s[12:13]
; %bb.3874:
	s_mov_b32 s10, 0x7f800001
	s_xor_b64 s[4:5], exec, -1
; %bb.3875:
	s_or_b64 exec, exec, s[8:9]
	s_and_b64 s[4:5], s[4:5], exec
	s_or_saveexec_b64 s[6:7], s[6:7]
	v_mov_b32_e32 v2, s10
	s_xor_b64 exec, exec, s[6:7]
	s_cbranch_execz .LBB2_1826
.LBB2_3876:
	v_mov_b32_e32 v2, 0
	v_cmp_ne_u16_sdwa s[8:9], v7, v2 src0_sel:BYTE_0 src1_sel:DWORD
	s_andn2_b64 s[4:5], s[4:5], exec
	s_and_b64 s[8:9], s[8:9], exec
	s_or_b64 s[4:5], s[4:5], s[8:9]
	s_or_b64 exec, exec, s[6:7]
	s_and_saveexec_b64 s[6:7], s[4:5]
	s_cbranch_execnz .LBB2_1827
	s_branch .LBB2_1828
.LBB2_3877:
	s_movk_i32 s4, 0x80
	v_cmp_eq_u16_sdwa s[12:13], v3, s4 src0_sel:BYTE_0 src1_sel:DWORD
	s_mov_b64 s[4:5], -1
                                        ; implicit-def: $sgpr10
	s_and_saveexec_b64 s[8:9], s[12:13]
; %bb.3878:
	s_mov_b32 s10, 0x7f800001
	s_xor_b64 s[4:5], exec, -1
; %bb.3879:
	s_or_b64 exec, exec, s[8:9]
	s_and_b64 s[4:5], s[4:5], exec
	s_or_saveexec_b64 s[6:7], s[6:7]
	v_mov_b32_e32 v6, s10
	s_xor_b64 exec, exec, s[6:7]
	s_cbranch_execz .LBB2_1830
.LBB2_3880:
	v_mov_b32_e32 v6, 0
	v_cmp_ne_u16_sdwa s[8:9], v3, v6 src0_sel:BYTE_0 src1_sel:DWORD
	s_andn2_b64 s[4:5], s[4:5], exec
	s_and_b64 s[8:9], s[8:9], exec
	s_or_b64 s[4:5], s[4:5], s[8:9]
	s_or_b64 exec, exec, s[6:7]
	s_and_saveexec_b64 s[6:7], s[4:5]
	s_cbranch_execnz .LBB2_1831
	s_branch .LBB2_1832
.LBB2_3881:
	s_movk_i32 s4, 0x80
	v_cmp_eq_u16_sdwa s[12:13], v6, s4 src0_sel:BYTE_0 src1_sel:DWORD
	s_mov_b64 s[4:5], -1
                                        ; implicit-def: $sgpr10
	s_and_saveexec_b64 s[8:9], s[12:13]
; %bb.3882:
	s_mov_b32 s10, 0x7f800001
	s_xor_b64 s[4:5], exec, -1
; %bb.3883:
	s_or_b64 exec, exec, s[8:9]
	s_and_b64 s[4:5], s[4:5], exec
	s_or_saveexec_b64 s[6:7], s[6:7]
	v_mov_b32_e32 v2, s10
	s_xor_b64 exec, exec, s[6:7]
	s_cbranch_execz .LBB2_1834
.LBB2_3884:
	v_mov_b32_e32 v2, 0
	v_cmp_ne_u16_sdwa s[8:9], v6, v2 src0_sel:BYTE_0 src1_sel:DWORD
	s_andn2_b64 s[4:5], s[4:5], exec
	s_and_b64 s[8:9], s[8:9], exec
	s_or_b64 s[4:5], s[4:5], s[8:9]
	s_or_b64 exec, exec, s[6:7]
	s_and_saveexec_b64 s[6:7], s[4:5]
	s_cbranch_execnz .LBB2_1835
	s_branch .LBB2_1836
.LBB2_3885:
	s_movk_i32 s4, 0x80
	v_cmp_eq_u16_sdwa s[12:13], v6, s4 src0_sel:BYTE_0 src1_sel:DWORD
	s_mov_b64 s[4:5], -1
                                        ; implicit-def: $sgpr10
	s_and_saveexec_b64 s[8:9], s[12:13]
; %bb.3886:
	s_mov_b32 s10, 0x7f800001
	s_xor_b64 s[4:5], exec, -1
; %bb.3887:
	s_or_b64 exec, exec, s[8:9]
	s_and_b64 s[4:5], s[4:5], exec
	s_or_saveexec_b64 s[6:7], s[6:7]
	v_mov_b32_e32 v12, s10
	s_xor_b64 exec, exec, s[6:7]
	s_cbranch_execz .LBB2_1838
.LBB2_3888:
	v_mov_b32_e32 v12, 0
	v_cmp_ne_u16_sdwa s[8:9], v6, v12 src0_sel:BYTE_0 src1_sel:DWORD
	s_andn2_b64 s[4:5], s[4:5], exec
	s_and_b64 s[8:9], s[8:9], exec
	s_or_b64 s[4:5], s[4:5], s[8:9]
	s_or_b64 exec, exec, s[6:7]
	s_and_saveexec_b64 s[6:7], s[4:5]
	s_cbranch_execnz .LBB2_1839
	s_branch .LBB2_1840
.LBB2_3889:
	s_movk_i32 s4, 0x80
	v_cmp_eq_u16_e32 vcc, s4, v6
	s_mov_b64 s[4:5], -1
                                        ; implicit-def: $sgpr10
	s_and_saveexec_b64 s[8:9], vcc
; %bb.3890:
	s_mov_b32 s10, 0x7f800001
	s_xor_b64 s[4:5], exec, -1
; %bb.3891:
	s_or_b64 exec, exec, s[8:9]
	s_and_b64 s[4:5], s[4:5], exec
                                        ; implicit-def: $vgpr6
	s_or_saveexec_b64 s[6:7], s[6:7]
	v_mov_b32_e32 v2, s10
	s_xor_b64 exec, exec, s[6:7]
	s_cbranch_execz .LBB2_1842
.LBB2_3892:
	v_cmp_ne_u16_e32 vcc, 0, v6
	s_andn2_b64 s[4:5], s[4:5], exec
	s_and_b64 s[8:9], vcc, exec
	v_mov_b32_e32 v2, 0
	s_or_b64 s[4:5], s[4:5], s[8:9]
	s_or_b64 exec, exec, s[6:7]
	s_and_saveexec_b64 s[6:7], s[4:5]
	s_cbranch_execnz .LBB2_1843
	s_branch .LBB2_1844
.LBB2_3893:
	s_movk_i32 s4, 0x80
	v_cmp_eq_u16_e32 vcc, s4, v6
	s_mov_b64 s[4:5], -1
                                        ; implicit-def: $sgpr10
	s_and_saveexec_b64 s[8:9], vcc
; %bb.3894:
	s_mov_b32 s10, 0x7f800001
	s_xor_b64 s[4:5], exec, -1
; %bb.3895:
	s_or_b64 exec, exec, s[8:9]
	s_and_b64 s[4:5], s[4:5], exec
                                        ; implicit-def: $vgpr6
	s_or_saveexec_b64 s[6:7], s[6:7]
	v_mov_b32_e32 v12, s10
	s_xor_b64 exec, exec, s[6:7]
	s_cbranch_execz .LBB2_1846
.LBB2_3896:
	v_cmp_ne_u16_e32 vcc, 0, v6
	s_andn2_b64 s[4:5], s[4:5], exec
	s_and_b64 s[8:9], vcc, exec
	v_mov_b32_e32 v12, 0
	s_or_b64 s[4:5], s[4:5], s[8:9]
	s_or_b64 exec, exec, s[6:7]
	s_and_saveexec_b64 s[6:7], s[4:5]
	s_cbranch_execnz .LBB2_1847
	s_branch .LBB2_1848
.LBB2_3897:
	s_movk_i32 s4, 0x80
	v_cmp_eq_u16_sdwa s[12:13], v7, s4 src0_sel:BYTE_3 src1_sel:DWORD
	s_mov_b64 s[4:5], -1
                                        ; implicit-def: $sgpr10
	s_and_saveexec_b64 s[8:9], s[12:13]
; %bb.3898:
	s_mov_b32 s10, 0x7f800001
	s_xor_b64 s[4:5], exec, -1
; %bb.3899:
	s_or_b64 exec, exec, s[8:9]
	s_and_b64 s[4:5], s[4:5], exec
	s_or_saveexec_b64 s[6:7], s[6:7]
	v_mov_b32_e32 v2, s10
	s_xor_b64 exec, exec, s[6:7]
	s_cbranch_execz .LBB2_1850
.LBB2_3900:
	v_mov_b32_e32 v2, 0
	v_cmp_ne_u16_sdwa s[8:9], v7, v2 src0_sel:BYTE_3 src1_sel:DWORD
	s_andn2_b64 s[4:5], s[4:5], exec
	s_and_b64 s[8:9], s[8:9], exec
	s_or_b64 s[4:5], s[4:5], s[8:9]
	s_or_b64 exec, exec, s[6:7]
	s_and_saveexec_b64 s[6:7], s[4:5]
	s_cbranch_execnz .LBB2_1851
	s_branch .LBB2_1852
.LBB2_3901:
	s_movk_i32 s4, 0x80
	v_cmp_eq_u16_sdwa s[12:13], v3, s4 src0_sel:BYTE_3 src1_sel:DWORD
	s_mov_b64 s[4:5], -1
                                        ; implicit-def: $sgpr10
	s_and_saveexec_b64 s[8:9], s[12:13]
; %bb.3902:
	s_mov_b32 s10, 0x7f800001
	s_xor_b64 s[4:5], exec, -1
; %bb.3903:
	s_or_b64 exec, exec, s[8:9]
	s_and_b64 s[4:5], s[4:5], exec
	s_or_saveexec_b64 s[6:7], s[6:7]
	v_mov_b32_e32 v6, s10
	s_xor_b64 exec, exec, s[6:7]
	s_cbranch_execz .LBB2_1854
.LBB2_3904:
	v_mov_b32_e32 v6, 0
	v_cmp_ne_u16_sdwa s[8:9], v3, v6 src0_sel:BYTE_3 src1_sel:DWORD
	s_andn2_b64 s[4:5], s[4:5], exec
	s_and_b64 s[8:9], s[8:9], exec
	s_or_b64 s[4:5], s[4:5], s[8:9]
	s_or_b64 exec, exec, s[6:7]
	s_and_saveexec_b64 s[6:7], s[4:5]
	s_cbranch_execnz .LBB2_1855
	s_branch .LBB2_1856
.LBB2_3905:
	s_movk_i32 s4, 0x80
	v_cmp_eq_u16_sdwa s[12:13], v8, s4 src0_sel:BYTE_0 src1_sel:DWORD
	s_mov_b64 s[4:5], -1
                                        ; implicit-def: $sgpr10
	s_and_saveexec_b64 s[8:9], s[12:13]
; %bb.3906:
	s_mov_b32 s10, 0x7f800001
	s_xor_b64 s[4:5], exec, -1
; %bb.3907:
	s_or_b64 exec, exec, s[8:9]
	s_and_b64 s[4:5], s[4:5], exec
	s_or_saveexec_b64 s[6:7], s[6:7]
	v_mov_b32_e32 v2, s10
	s_xor_b64 exec, exec, s[6:7]
	s_cbranch_execz .LBB2_1858
.LBB2_3908:
	v_mov_b32_e32 v2, 0
	v_cmp_ne_u16_sdwa s[8:9], v8, v2 src0_sel:BYTE_0 src1_sel:DWORD
	s_andn2_b64 s[4:5], s[4:5], exec
	s_and_b64 s[8:9], s[8:9], exec
	s_or_b64 s[4:5], s[4:5], s[8:9]
	s_or_b64 exec, exec, s[6:7]
	s_and_saveexec_b64 s[6:7], s[4:5]
	s_cbranch_execnz .LBB2_1859
	s_branch .LBB2_1860
.LBB2_3909:
	s_movk_i32 s4, 0x80
	v_cmp_eq_u16_sdwa s[12:13], v4, s4 src0_sel:BYTE_0 src1_sel:DWORD
	s_mov_b64 s[4:5], -1
                                        ; implicit-def: $sgpr10
	s_and_saveexec_b64 s[8:9], s[12:13]
; %bb.3910:
	s_mov_b32 s10, 0x7f800001
	s_xor_b64 s[4:5], exec, -1
; %bb.3911:
	s_or_b64 exec, exec, s[8:9]
	s_and_b64 s[4:5], s[4:5], exec
	s_or_saveexec_b64 s[6:7], s[6:7]
	v_mov_b32_e32 v3, s10
	s_xor_b64 exec, exec, s[6:7]
	s_cbranch_execz .LBB2_1862
.LBB2_3912:
	v_mov_b32_e32 v3, 0
	v_cmp_ne_u16_sdwa s[8:9], v4, v3 src0_sel:BYTE_0 src1_sel:DWORD
	s_andn2_b64 s[4:5], s[4:5], exec
	s_and_b64 s[8:9], s[8:9], exec
	s_or_b64 s[4:5], s[4:5], s[8:9]
	s_or_b64 exec, exec, s[6:7]
	s_and_saveexec_b64 s[6:7], s[4:5]
	s_cbranch_execnz .LBB2_1863
	s_branch .LBB2_1864
.LBB2_3913:
	s_movk_i32 s4, 0x80
	v_cmp_eq_u16_sdwa s[12:13], v3, s4 src0_sel:BYTE_0 src1_sel:DWORD
	s_mov_b64 s[4:5], -1
                                        ; implicit-def: $sgpr10
	s_and_saveexec_b64 s[8:9], s[12:13]
; %bb.3914:
	s_mov_b32 s10, 0x7f800001
	s_xor_b64 s[4:5], exec, -1
; %bb.3915:
	s_or_b64 exec, exec, s[8:9]
	s_and_b64 s[4:5], s[4:5], exec
	s_or_saveexec_b64 s[6:7], s[6:7]
	v_mov_b32_e32 v2, s10
	s_xor_b64 exec, exec, s[6:7]
	s_cbranch_execz .LBB2_1866
.LBB2_3916:
	v_mov_b32_e32 v2, 0
	v_cmp_ne_u16_sdwa s[8:9], v3, v2 src0_sel:BYTE_0 src1_sel:DWORD
	s_andn2_b64 s[4:5], s[4:5], exec
	s_and_b64 s[8:9], s[8:9], exec
	s_or_b64 s[4:5], s[4:5], s[8:9]
	s_or_b64 exec, exec, s[6:7]
	s_and_saveexec_b64 s[6:7], s[4:5]
	s_cbranch_execnz .LBB2_1867
	s_branch .LBB2_1868
.LBB2_3917:
	s_movk_i32 s4, 0x80
	v_cmp_eq_u16_sdwa s[12:13], v3, s4 src0_sel:BYTE_0 src1_sel:DWORD
	s_mov_b64 s[4:5], -1
                                        ; implicit-def: $sgpr10
	s_and_saveexec_b64 s[8:9], s[12:13]
; %bb.3918:
	s_mov_b32 s10, 0x7f800001
	s_xor_b64 s[4:5], exec, -1
; %bb.3919:
	s_or_b64 exec, exec, s[8:9]
	s_and_b64 s[4:5], s[4:5], exec
	s_or_saveexec_b64 s[6:7], s[6:7]
	v_mov_b32_e32 v6, s10
	s_xor_b64 exec, exec, s[6:7]
	s_cbranch_execz .LBB2_1870
.LBB2_3920:
	v_mov_b32_e32 v6, 0
	v_cmp_ne_u16_sdwa s[8:9], v3, v6 src0_sel:BYTE_0 src1_sel:DWORD
	s_andn2_b64 s[4:5], s[4:5], exec
	s_and_b64 s[8:9], s[8:9], exec
	s_or_b64 s[4:5], s[4:5], s[8:9]
	s_or_b64 exec, exec, s[6:7]
	s_and_saveexec_b64 s[6:7], s[4:5]
	s_cbranch_execnz .LBB2_1871
	s_branch .LBB2_1872
.LBB2_3921:
	s_movk_i32 s4, 0x80
	v_cmp_eq_u16_e32 vcc, s4, v3
	s_mov_b64 s[4:5], -1
                                        ; implicit-def: $sgpr10
	s_and_saveexec_b64 s[8:9], vcc
; %bb.3922:
	s_mov_b32 s10, 0x7f800001
	s_xor_b64 s[4:5], exec, -1
; %bb.3923:
	s_or_b64 exec, exec, s[8:9]
	s_and_b64 s[4:5], s[4:5], exec
                                        ; implicit-def: $vgpr3
	s_or_saveexec_b64 s[6:7], s[6:7]
	v_mov_b32_e32 v2, s10
	s_xor_b64 exec, exec, s[6:7]
	s_cbranch_execz .LBB2_1874
.LBB2_3924:
	v_cmp_ne_u16_e32 vcc, 0, v3
	s_andn2_b64 s[4:5], s[4:5], exec
	s_and_b64 s[8:9], vcc, exec
	v_mov_b32_e32 v2, 0
	s_or_b64 s[4:5], s[4:5], s[8:9]
	s_or_b64 exec, exec, s[6:7]
	s_and_saveexec_b64 s[6:7], s[4:5]
	s_cbranch_execnz .LBB2_1875
	s_branch .LBB2_1876
.LBB2_3925:
	s_movk_i32 s4, 0x80
	v_cmp_eq_u16_e32 vcc, s4, v3
	s_mov_b64 s[4:5], -1
                                        ; implicit-def: $sgpr10
	s_and_saveexec_b64 s[8:9], vcc
; %bb.3926:
	s_mov_b32 s10, 0x7f800001
	s_xor_b64 s[4:5], exec, -1
; %bb.3927:
	s_or_b64 exec, exec, s[8:9]
	s_and_b64 s[4:5], s[4:5], exec
                                        ; implicit-def: $vgpr3
	s_or_saveexec_b64 s[6:7], s[6:7]
	v_mov_b32_e32 v6, s10
	s_xor_b64 exec, exec, s[6:7]
	s_cbranch_execz .LBB2_1878
.LBB2_3928:
	v_cmp_ne_u16_e32 vcc, 0, v3
	s_andn2_b64 s[4:5], s[4:5], exec
	s_and_b64 s[8:9], vcc, exec
	v_mov_b32_e32 v6, 0
	s_or_b64 s[4:5], s[4:5], s[8:9]
	s_or_b64 exec, exec, s[6:7]
	s_and_saveexec_b64 s[6:7], s[4:5]
	s_cbranch_execnz .LBB2_1879
	s_branch .LBB2_1880
.LBB2_3929:
	s_movk_i32 s4, 0x80
	v_cmp_eq_u16_sdwa s[12:13], v8, s4 src0_sel:BYTE_3 src1_sel:DWORD
	s_mov_b64 s[4:5], -1
                                        ; implicit-def: $sgpr10
	s_and_saveexec_b64 s[8:9], s[12:13]
; %bb.3930:
	s_mov_b32 s10, 0x7f800001
	s_xor_b64 s[4:5], exec, -1
; %bb.3931:
	s_or_b64 exec, exec, s[8:9]
	s_and_b64 s[4:5], s[4:5], exec
	s_or_saveexec_b64 s[6:7], s[6:7]
	v_mov_b32_e32 v2, s10
	s_xor_b64 exec, exec, s[6:7]
	s_cbranch_execz .LBB2_1882
.LBB2_3932:
	v_mov_b32_e32 v2, 0
	v_cmp_ne_u16_sdwa s[8:9], v8, v2 src0_sel:BYTE_3 src1_sel:DWORD
	s_andn2_b64 s[4:5], s[4:5], exec
	s_and_b64 s[8:9], s[8:9], exec
	s_or_b64 s[4:5], s[4:5], s[8:9]
	s_or_b64 exec, exec, s[6:7]
	s_and_saveexec_b64 s[6:7], s[4:5]
	s_cbranch_execnz .LBB2_1883
	s_branch .LBB2_1884
.LBB2_3933:
	s_movk_i32 s4, 0x80
	v_cmp_eq_u16_sdwa s[12:13], v4, s4 src0_sel:BYTE_3 src1_sel:DWORD
	s_mov_b64 s[4:5], -1
                                        ; implicit-def: $sgpr10
	s_and_saveexec_b64 s[8:9], s[12:13]
; %bb.3934:
	s_mov_b32 s10, 0x7f800001
	s_xor_b64 s[4:5], exec, -1
; %bb.3935:
	s_or_b64 exec, exec, s[8:9]
	s_and_b64 s[4:5], s[4:5], exec
	s_or_saveexec_b64 s[6:7], s[6:7]
	v_mov_b32_e32 v3, s10
	s_xor_b64 exec, exec, s[6:7]
	s_cbranch_execz .LBB2_1886
.LBB2_3936:
	v_mov_b32_e32 v3, 0
	v_cmp_ne_u16_sdwa s[8:9], v4, v3 src0_sel:BYTE_3 src1_sel:DWORD
	s_andn2_b64 s[4:5], s[4:5], exec
	s_and_b64 s[8:9], s[8:9], exec
	s_or_b64 s[4:5], s[4:5], s[8:9]
	s_or_b64 exec, exec, s[6:7]
	s_and_saveexec_b64 s[6:7], s[4:5]
	s_cbranch_execnz .LBB2_1887
	s_branch .LBB2_1888
.LBB2_3937:
	s_movk_i32 s4, 0x80
	v_cmp_eq_u16_sdwa s[12:13], v9, s4 src0_sel:BYTE_0 src1_sel:DWORD
	s_mov_b64 s[4:5], -1
                                        ; implicit-def: $sgpr10
	s_and_saveexec_b64 s[8:9], s[12:13]
; %bb.3938:
	s_mov_b32 s10, 0x7f800001
	s_xor_b64 s[4:5], exec, -1
; %bb.3939:
	s_or_b64 exec, exec, s[8:9]
	s_and_b64 s[4:5], s[4:5], exec
	s_or_saveexec_b64 s[6:7], s[6:7]
	v_mov_b32_e32 v2, s10
	s_xor_b64 exec, exec, s[6:7]
	s_cbranch_execz .LBB2_1890
.LBB2_3940:
	v_mov_b32_e32 v2, 0
	v_cmp_ne_u16_sdwa s[8:9], v9, v2 src0_sel:BYTE_0 src1_sel:DWORD
	s_andn2_b64 s[4:5], s[4:5], exec
	s_and_b64 s[8:9], s[8:9], exec
	s_or_b64 s[4:5], s[4:5], s[8:9]
	s_or_b64 exec, exec, s[6:7]
	s_and_saveexec_b64 s[6:7], s[4:5]
	s_cbranch_execnz .LBB2_1891
	s_branch .LBB2_1892
.LBB2_3941:
	s_movk_i32 s4, 0x80
	v_cmp_eq_u16_sdwa s[12:13], v5, s4 src0_sel:BYTE_0 src1_sel:DWORD
	s_mov_b64 s[4:5], -1
                                        ; implicit-def: $sgpr10
	s_and_saveexec_b64 s[8:9], s[12:13]
; %bb.3942:
	s_mov_b32 s10, 0x7f800001
	s_xor_b64 s[4:5], exec, -1
; %bb.3943:
	s_or_b64 exec, exec, s[8:9]
	s_and_b64 s[4:5], s[4:5], exec
	s_or_saveexec_b64 s[6:7], s[6:7]
	v_mov_b32_e32 v3, s10
	s_xor_b64 exec, exec, s[6:7]
	s_cbranch_execz .LBB2_1894
.LBB2_3944:
	v_mov_b32_e32 v3, 0
	v_cmp_ne_u16_sdwa s[8:9], v5, v3 src0_sel:BYTE_0 src1_sel:DWORD
	s_andn2_b64 s[4:5], s[4:5], exec
	s_and_b64 s[8:9], s[8:9], exec
	s_or_b64 s[4:5], s[4:5], s[8:9]
	s_or_b64 exec, exec, s[6:7]
	s_and_saveexec_b64 s[6:7], s[4:5]
	s_cbranch_execnz .LBB2_1895
	s_branch .LBB2_1896
.LBB2_3945:
	s_movk_i32 s4, 0x80
	v_cmp_eq_u16_sdwa s[12:13], v3, s4 src0_sel:BYTE_0 src1_sel:DWORD
	s_mov_b64 s[4:5], -1
                                        ; implicit-def: $sgpr10
	s_and_saveexec_b64 s[8:9], s[12:13]
; %bb.3946:
	s_mov_b32 s10, 0x7f800001
	s_xor_b64 s[4:5], exec, -1
; %bb.3947:
	s_or_b64 exec, exec, s[8:9]
	s_and_b64 s[4:5], s[4:5], exec
	s_or_saveexec_b64 s[6:7], s[6:7]
	v_mov_b32_e32 v2, s10
	s_xor_b64 exec, exec, s[6:7]
	s_cbranch_execz .LBB2_1898
.LBB2_3948:
	v_mov_b32_e32 v2, 0
	v_cmp_ne_u16_sdwa s[8:9], v3, v2 src0_sel:BYTE_0 src1_sel:DWORD
	s_andn2_b64 s[4:5], s[4:5], exec
	s_and_b64 s[8:9], s[8:9], exec
	s_or_b64 s[4:5], s[4:5], s[8:9]
	s_or_b64 exec, exec, s[6:7]
	s_and_saveexec_b64 s[6:7], s[4:5]
	s_cbranch_execnz .LBB2_1899
	s_branch .LBB2_1900
.LBB2_3949:
	s_movk_i32 s4, 0x80
	v_cmp_eq_u16_sdwa s[12:13], v3, s4 src0_sel:BYTE_0 src1_sel:DWORD
	s_mov_b64 s[4:5], -1
                                        ; implicit-def: $sgpr10
	s_and_saveexec_b64 s[8:9], s[12:13]
; %bb.3950:
	s_mov_b32 s10, 0x7f800001
	s_xor_b64 s[4:5], exec, -1
; %bb.3951:
	s_or_b64 exec, exec, s[8:9]
	s_and_b64 s[4:5], s[4:5], exec
	s_or_saveexec_b64 s[6:7], s[6:7]
	v_mov_b32_e32 v4, s10
	s_xor_b64 exec, exec, s[6:7]
	s_cbranch_execz .LBB2_1902
.LBB2_3952:
	v_mov_b32_e32 v4, 0
	v_cmp_ne_u16_sdwa s[8:9], v3, v4 src0_sel:BYTE_0 src1_sel:DWORD
	s_andn2_b64 s[4:5], s[4:5], exec
	s_and_b64 s[8:9], s[8:9], exec
	s_or_b64 s[4:5], s[4:5], s[8:9]
	s_or_b64 exec, exec, s[6:7]
	s_and_saveexec_b64 s[6:7], s[4:5]
	s_cbranch_execnz .LBB2_1903
	s_branch .LBB2_1904
.LBB2_3953:
	s_movk_i32 s4, 0x80
	v_cmp_eq_u16_e32 vcc, s4, v3
	s_mov_b64 s[4:5], -1
                                        ; implicit-def: $sgpr10
	s_and_saveexec_b64 s[8:9], vcc
; %bb.3954:
	s_mov_b32 s10, 0x7f800001
	s_xor_b64 s[4:5], exec, -1
; %bb.3955:
	s_or_b64 exec, exec, s[8:9]
	s_and_b64 s[4:5], s[4:5], exec
                                        ; implicit-def: $vgpr3
	s_or_saveexec_b64 s[6:7], s[6:7]
	v_mov_b32_e32 v2, s10
	s_xor_b64 exec, exec, s[6:7]
	s_cbranch_execz .LBB2_1906
.LBB2_3956:
	v_cmp_ne_u16_e32 vcc, 0, v3
	s_andn2_b64 s[4:5], s[4:5], exec
	s_and_b64 s[8:9], vcc, exec
	v_mov_b32_e32 v2, 0
	s_or_b64 s[4:5], s[4:5], s[8:9]
	s_or_b64 exec, exec, s[6:7]
	s_and_saveexec_b64 s[6:7], s[4:5]
	s_cbranch_execnz .LBB2_1907
	s_branch .LBB2_1908
.LBB2_3957:
	s_movk_i32 s4, 0x80
	v_cmp_eq_u16_e32 vcc, s4, v3
	s_mov_b64 s[4:5], -1
                                        ; implicit-def: $sgpr10
	s_and_saveexec_b64 s[8:9], vcc
; %bb.3958:
	s_mov_b32 s10, 0x7f800001
	s_xor_b64 s[4:5], exec, -1
; %bb.3959:
	s_or_b64 exec, exec, s[8:9]
	s_and_b64 s[4:5], s[4:5], exec
                                        ; implicit-def: $vgpr3
	s_or_saveexec_b64 s[6:7], s[6:7]
	v_mov_b32_e32 v4, s10
	s_xor_b64 exec, exec, s[6:7]
	s_cbranch_execz .LBB2_1910
.LBB2_3960:
	v_cmp_ne_u16_e32 vcc, 0, v3
	s_andn2_b64 s[4:5], s[4:5], exec
	s_and_b64 s[8:9], vcc, exec
	v_mov_b32_e32 v4, 0
	s_or_b64 s[4:5], s[4:5], s[8:9]
	s_or_b64 exec, exec, s[6:7]
	s_and_saveexec_b64 s[6:7], s[4:5]
	s_cbranch_execnz .LBB2_1911
	s_branch .LBB2_1912
.LBB2_3961:
	s_movk_i32 s4, 0x80
	v_cmp_eq_u16_sdwa s[12:13], v9, s4 src0_sel:BYTE_3 src1_sel:DWORD
	s_mov_b64 s[4:5], -1
                                        ; implicit-def: $sgpr10
	s_and_saveexec_b64 s[8:9], s[12:13]
; %bb.3962:
	s_mov_b32 s10, 0x7f800001
	s_xor_b64 s[4:5], exec, -1
; %bb.3963:
	s_or_b64 exec, exec, s[8:9]
	s_and_b64 s[4:5], s[4:5], exec
	s_or_saveexec_b64 s[6:7], s[6:7]
	v_mov_b32_e32 v2, s10
	s_xor_b64 exec, exec, s[6:7]
	s_cbranch_execz .LBB2_1914
.LBB2_3964:
	v_mov_b32_e32 v2, 0
	v_cmp_ne_u16_sdwa s[8:9], v9, v2 src0_sel:BYTE_3 src1_sel:DWORD
	s_andn2_b64 s[4:5], s[4:5], exec
	s_and_b64 s[8:9], s[8:9], exec
	s_or_b64 s[4:5], s[4:5], s[8:9]
	s_or_b64 exec, exec, s[6:7]
	s_and_saveexec_b64 s[6:7], s[4:5]
	s_cbranch_execnz .LBB2_1915
	s_branch .LBB2_1916
.LBB2_3965:
	s_movk_i32 s4, 0x80
	v_cmp_eq_u16_sdwa s[12:13], v5, s4 src0_sel:BYTE_3 src1_sel:DWORD
	s_mov_b64 s[4:5], -1
                                        ; implicit-def: $sgpr10
	s_and_saveexec_b64 s[8:9], s[12:13]
; %bb.3966:
	s_mov_b32 s10, 0x7f800001
	s_xor_b64 s[4:5], exec, -1
; %bb.3967:
	s_or_b64 exec, exec, s[8:9]
	s_and_b64 s[4:5], s[4:5], exec
	s_or_saveexec_b64 s[6:7], s[6:7]
	v_mov_b32_e32 v3, s10
	s_xor_b64 exec, exec, s[6:7]
	s_cbranch_execz .LBB2_1918
.LBB2_3968:
	v_mov_b32_e32 v3, 0
	v_cmp_ne_u16_sdwa s[8:9], v5, v3 src0_sel:BYTE_3 src1_sel:DWORD
	s_andn2_b64 s[4:5], s[4:5], exec
	s_and_b64 s[8:9], s[8:9], exec
	s_or_b64 s[4:5], s[4:5], s[8:9]
	s_or_b64 exec, exec, s[6:7]
	s_and_saveexec_b64 s[6:7], s[4:5]
	s_cbranch_execnz .LBB2_1919
	s_branch .LBB2_1920
.LBB2_3969:
	s_movk_i32 s4, 0x80
	v_cmp_eq_u16_sdwa s[12:13], v6, s4 src0_sel:BYTE_0 src1_sel:DWORD
	s_mov_b64 s[4:5], -1
                                        ; implicit-def: $sgpr10
	s_and_saveexec_b64 s[8:9], s[12:13]
; %bb.3970:
	s_mov_b32 s10, 0x7f800001
	s_xor_b64 s[4:5], exec, -1
; %bb.3971:
	s_or_b64 exec, exec, s[8:9]
	s_and_b64 s[4:5], s[4:5], exec
	s_or_saveexec_b64 s[6:7], s[6:7]
	v_mov_b32_e32 v10, s10
	s_xor_b64 exec, exec, s[6:7]
	s_cbranch_execz .LBB2_1922
.LBB2_3972:
	v_mov_b32_e32 v10, 0
	v_cmp_ne_u16_sdwa s[8:9], v6, v10 src0_sel:BYTE_0 src1_sel:DWORD
	s_andn2_b64 s[4:5], s[4:5], exec
	s_and_b64 s[8:9], s[8:9], exec
	s_or_b64 s[4:5], s[4:5], s[8:9]
	s_or_b64 exec, exec, s[6:7]
	s_and_saveexec_b64 s[6:7], s[4:5]
	s_cbranch_execnz .LBB2_1923
	s_branch .LBB2_1924
.LBB2_3973:
	s_movk_i32 s4, 0x80
	v_cmp_eq_u16_sdwa s[12:13], v2, s4 src0_sel:BYTE_0 src1_sel:DWORD
	s_mov_b64 s[4:5], -1
                                        ; implicit-def: $sgpr10
	s_and_saveexec_b64 s[8:9], s[12:13]
; %bb.3974:
	s_mov_b32 s10, 0x7f800001
	s_xor_b64 s[4:5], exec, -1
; %bb.3975:
	s_or_b64 exec, exec, s[8:9]
	s_and_b64 s[4:5], s[4:5], exec
	s_or_saveexec_b64 s[6:7], s[6:7]
	v_mov_b32_e32 v11, s10
	s_xor_b64 exec, exec, s[6:7]
	s_cbranch_execz .LBB2_1926
.LBB2_3976:
	v_mov_b32_e32 v11, 0
	v_cmp_ne_u16_sdwa s[8:9], v2, v11 src0_sel:BYTE_0 src1_sel:DWORD
	s_andn2_b64 s[4:5], s[4:5], exec
	s_and_b64 s[8:9], s[8:9], exec
	s_or_b64 s[4:5], s[4:5], s[8:9]
	s_or_b64 exec, exec, s[6:7]
	s_and_saveexec_b64 s[6:7], s[4:5]
	s_cbranch_execnz .LBB2_1927
	s_branch .LBB2_1928
.LBB2_3977:
	s_movk_i32 s4, 0x80
	v_cmp_eq_u16_sdwa s[12:13], v11, s4 src0_sel:BYTE_0 src1_sel:DWORD
	s_mov_b64 s[4:5], -1
                                        ; implicit-def: $sgpr10
	s_and_saveexec_b64 s[8:9], s[12:13]
; %bb.3978:
	s_mov_b32 s10, 0x7f800001
	s_xor_b64 s[4:5], exec, -1
; %bb.3979:
	s_or_b64 exec, exec, s[8:9]
	s_and_b64 s[4:5], s[4:5], exec
	s_or_saveexec_b64 s[6:7], s[6:7]
	v_mov_b32_e32 v10, s10
	s_xor_b64 exec, exec, s[6:7]
	s_cbranch_execz .LBB2_1930
.LBB2_3980:
	v_mov_b32_e32 v10, 0
	v_cmp_ne_u16_sdwa s[8:9], v11, v10 src0_sel:BYTE_0 src1_sel:DWORD
	s_andn2_b64 s[4:5], s[4:5], exec
	s_and_b64 s[8:9], s[8:9], exec
	s_or_b64 s[4:5], s[4:5], s[8:9]
	s_or_b64 exec, exec, s[6:7]
	s_and_saveexec_b64 s[6:7], s[4:5]
	s_cbranch_execnz .LBB2_1931
	s_branch .LBB2_1932
.LBB2_3981:
	s_movk_i32 s4, 0x80
	v_cmp_eq_u16_sdwa s[12:13], v11, s4 src0_sel:BYTE_0 src1_sel:DWORD
	s_mov_b64 s[4:5], -1
                                        ; implicit-def: $sgpr10
	s_and_saveexec_b64 s[8:9], s[12:13]
; %bb.3982:
	s_mov_b32 s10, 0x7f800001
	s_xor_b64 s[4:5], exec, -1
; %bb.3983:
	s_or_b64 exec, exec, s[8:9]
	s_and_b64 s[4:5], s[4:5], exec
	s_or_saveexec_b64 s[6:7], s[6:7]
	v_mov_b32_e32 v12, s10
	s_xor_b64 exec, exec, s[6:7]
	s_cbranch_execz .LBB2_1934
.LBB2_3984:
	v_mov_b32_e32 v12, 0
	v_cmp_ne_u16_sdwa s[8:9], v11, v12 src0_sel:BYTE_0 src1_sel:DWORD
	s_andn2_b64 s[4:5], s[4:5], exec
	s_and_b64 s[8:9], s[8:9], exec
	s_or_b64 s[4:5], s[4:5], s[8:9]
	s_or_b64 exec, exec, s[6:7]
	s_and_saveexec_b64 s[6:7], s[4:5]
	s_cbranch_execnz .LBB2_1935
	s_branch .LBB2_1936
.LBB2_3985:
	s_movk_i32 s4, 0x80
	v_cmp_eq_u16_e32 vcc, s4, v11
	s_mov_b64 s[4:5], -1
                                        ; implicit-def: $sgpr10
	s_and_saveexec_b64 s[8:9], vcc
; %bb.3986:
	s_mov_b32 s10, 0x7f800001
	s_xor_b64 s[4:5], exec, -1
; %bb.3987:
	s_or_b64 exec, exec, s[8:9]
	s_and_b64 s[4:5], s[4:5], exec
                                        ; implicit-def: $vgpr11
	s_or_saveexec_b64 s[6:7], s[6:7]
	v_mov_b32_e32 v10, s10
	s_xor_b64 exec, exec, s[6:7]
	s_cbranch_execz .LBB2_1938
.LBB2_3988:
	v_cmp_ne_u16_e32 vcc, 0, v11
	s_andn2_b64 s[4:5], s[4:5], exec
	s_and_b64 s[8:9], vcc, exec
	v_mov_b32_e32 v10, 0
	s_or_b64 s[4:5], s[4:5], s[8:9]
	s_or_b64 exec, exec, s[6:7]
	s_and_saveexec_b64 s[6:7], s[4:5]
	s_cbranch_execnz .LBB2_1939
	s_branch .LBB2_1940
.LBB2_3989:
	s_movk_i32 s4, 0x80
	v_cmp_eq_u16_e32 vcc, s4, v11
	s_mov_b64 s[4:5], -1
                                        ; implicit-def: $sgpr10
	s_and_saveexec_b64 s[8:9], vcc
; %bb.3990:
	s_mov_b32 s10, 0x7f800001
	s_xor_b64 s[4:5], exec, -1
; %bb.3991:
	s_or_b64 exec, exec, s[8:9]
	s_and_b64 s[4:5], s[4:5], exec
                                        ; implicit-def: $vgpr11
	s_or_saveexec_b64 s[6:7], s[6:7]
	v_mov_b32_e32 v12, s10
	s_xor_b64 exec, exec, s[6:7]
	s_cbranch_execz .LBB2_1942
.LBB2_3992:
	v_cmp_ne_u16_e32 vcc, 0, v11
	s_andn2_b64 s[4:5], s[4:5], exec
	s_and_b64 s[8:9], vcc, exec
	v_mov_b32_e32 v12, 0
	s_or_b64 s[4:5], s[4:5], s[8:9]
	s_or_b64 exec, exec, s[6:7]
	s_and_saveexec_b64 s[6:7], s[4:5]
	s_cbranch_execnz .LBB2_1943
	s_branch .LBB2_1944
.LBB2_3993:
	s_movk_i32 s4, 0x80
	v_cmp_eq_u16_sdwa s[12:13], v6, s4 src0_sel:BYTE_3 src1_sel:DWORD
	s_mov_b64 s[4:5], -1
                                        ; implicit-def: $sgpr10
	s_and_saveexec_b64 s[8:9], s[12:13]
; %bb.3994:
	s_mov_b32 s10, 0x7f800001
	s_xor_b64 s[4:5], exec, -1
; %bb.3995:
	s_or_b64 exec, exec, s[8:9]
	s_and_b64 s[4:5], s[4:5], exec
	s_or_saveexec_b64 s[6:7], s[6:7]
	v_mov_b32_e32 v10, s10
	s_xor_b64 exec, exec, s[6:7]
	s_cbranch_execz .LBB2_1946
.LBB2_3996:
	v_mov_b32_e32 v10, 0
	v_cmp_ne_u16_sdwa s[8:9], v6, v10 src0_sel:BYTE_3 src1_sel:DWORD
	s_andn2_b64 s[4:5], s[4:5], exec
	s_and_b64 s[8:9], s[8:9], exec
	s_or_b64 s[4:5], s[4:5], s[8:9]
	s_or_b64 exec, exec, s[6:7]
	s_and_saveexec_b64 s[6:7], s[4:5]
	s_cbranch_execnz .LBB2_1947
	s_branch .LBB2_1948
.LBB2_3997:
	s_movk_i32 s4, 0x80
	v_cmp_eq_u16_sdwa s[12:13], v2, s4 src0_sel:BYTE_3 src1_sel:DWORD
	s_mov_b64 s[4:5], -1
                                        ; implicit-def: $sgpr10
	s_and_saveexec_b64 s[8:9], s[12:13]
; %bb.3998:
	s_mov_b32 s10, 0x7f800001
	s_xor_b64 s[4:5], exec, -1
; %bb.3999:
	s_or_b64 exec, exec, s[8:9]
	s_and_b64 s[4:5], s[4:5], exec
	s_or_saveexec_b64 s[6:7], s[6:7]
	v_mov_b32_e32 v6, s10
	s_xor_b64 exec, exec, s[6:7]
	s_cbranch_execz .LBB2_1950
.LBB2_4000:
	v_mov_b32_e32 v6, 0
	v_cmp_ne_u16_sdwa s[8:9], v2, v6 src0_sel:BYTE_3 src1_sel:DWORD
	s_andn2_b64 s[4:5], s[4:5], exec
	s_and_b64 s[8:9], s[8:9], exec
	s_or_b64 s[4:5], s[4:5], s[8:9]
	s_or_b64 exec, exec, s[6:7]
	s_and_saveexec_b64 s[6:7], s[4:5]
	s_cbranch_execnz .LBB2_1951
	s_branch .LBB2_1952
.LBB2_4001:
	s_movk_i32 s4, 0x80
	v_cmp_eq_u16_sdwa s[12:13], v7, s4 src0_sel:BYTE_0 src1_sel:DWORD
	s_mov_b64 s[4:5], -1
                                        ; implicit-def: $sgpr10
	s_and_saveexec_b64 s[8:9], s[12:13]
; %bb.4002:
	s_mov_b32 s10, 0x7f800001
	s_xor_b64 s[4:5], exec, -1
; %bb.4003:
	s_or_b64 exec, exec, s[8:9]
	s_and_b64 s[4:5], s[4:5], exec
	s_or_saveexec_b64 s[6:7], s[6:7]
	v_mov_b32_e32 v2, s10
	s_xor_b64 exec, exec, s[6:7]
	s_cbranch_execz .LBB2_1954
.LBB2_4004:
	v_mov_b32_e32 v2, 0
	v_cmp_ne_u16_sdwa s[8:9], v7, v2 src0_sel:BYTE_0 src1_sel:DWORD
	s_andn2_b64 s[4:5], s[4:5], exec
	s_and_b64 s[8:9], s[8:9], exec
	s_or_b64 s[4:5], s[4:5], s[8:9]
	s_or_b64 exec, exec, s[6:7]
	s_and_saveexec_b64 s[6:7], s[4:5]
	s_cbranch_execnz .LBB2_1955
	s_branch .LBB2_1956
.LBB2_4005:
	s_movk_i32 s4, 0x80
	v_cmp_eq_u16_sdwa s[12:13], v3, s4 src0_sel:BYTE_0 src1_sel:DWORD
	s_mov_b64 s[4:5], -1
                                        ; implicit-def: $sgpr10
	s_and_saveexec_b64 s[8:9], s[12:13]
; %bb.4006:
	s_mov_b32 s10, 0x7f800001
	s_xor_b64 s[4:5], exec, -1
; %bb.4007:
	s_or_b64 exec, exec, s[8:9]
	s_and_b64 s[4:5], s[4:5], exec
	s_or_saveexec_b64 s[6:7], s[6:7]
	v_mov_b32_e32 v6, s10
	s_xor_b64 exec, exec, s[6:7]
	s_cbranch_execz .LBB2_1958
.LBB2_4008:
	v_mov_b32_e32 v6, 0
	v_cmp_ne_u16_sdwa s[8:9], v3, v6 src0_sel:BYTE_0 src1_sel:DWORD
	s_andn2_b64 s[4:5], s[4:5], exec
	s_and_b64 s[8:9], s[8:9], exec
	s_or_b64 s[4:5], s[4:5], s[8:9]
	s_or_b64 exec, exec, s[6:7]
	s_and_saveexec_b64 s[6:7], s[4:5]
	s_cbranch_execnz .LBB2_1959
	s_branch .LBB2_1960
.LBB2_4009:
	s_movk_i32 s4, 0x80
	v_cmp_eq_u16_sdwa s[12:13], v6, s4 src0_sel:BYTE_0 src1_sel:DWORD
	s_mov_b64 s[4:5], -1
                                        ; implicit-def: $sgpr10
	s_and_saveexec_b64 s[8:9], s[12:13]
; %bb.4010:
	s_mov_b32 s10, 0x7f800001
	s_xor_b64 s[4:5], exec, -1
; %bb.4011:
	s_or_b64 exec, exec, s[8:9]
	s_and_b64 s[4:5], s[4:5], exec
	s_or_saveexec_b64 s[6:7], s[6:7]
	v_mov_b32_e32 v2, s10
	s_xor_b64 exec, exec, s[6:7]
	s_cbranch_execz .LBB2_1962
.LBB2_4012:
	v_mov_b32_e32 v2, 0
	v_cmp_ne_u16_sdwa s[8:9], v6, v2 src0_sel:BYTE_0 src1_sel:DWORD
	s_andn2_b64 s[4:5], s[4:5], exec
	s_and_b64 s[8:9], s[8:9], exec
	s_or_b64 s[4:5], s[4:5], s[8:9]
	s_or_b64 exec, exec, s[6:7]
	s_and_saveexec_b64 s[6:7], s[4:5]
	s_cbranch_execnz .LBB2_1963
	s_branch .LBB2_1964
.LBB2_4013:
	s_movk_i32 s4, 0x80
	v_cmp_eq_u16_sdwa s[12:13], v6, s4 src0_sel:BYTE_0 src1_sel:DWORD
	s_mov_b64 s[4:5], -1
                                        ; implicit-def: $sgpr10
	s_and_saveexec_b64 s[8:9], s[12:13]
; %bb.4014:
	s_mov_b32 s10, 0x7f800001
	s_xor_b64 s[4:5], exec, -1
; %bb.4015:
	s_or_b64 exec, exec, s[8:9]
	s_and_b64 s[4:5], s[4:5], exec
	s_or_saveexec_b64 s[6:7], s[6:7]
	v_mov_b32_e32 v10, s10
	s_xor_b64 exec, exec, s[6:7]
	s_cbranch_execz .LBB2_1966
.LBB2_4016:
	v_mov_b32_e32 v10, 0
	v_cmp_ne_u16_sdwa s[8:9], v6, v10 src0_sel:BYTE_0 src1_sel:DWORD
	s_andn2_b64 s[4:5], s[4:5], exec
	s_and_b64 s[8:9], s[8:9], exec
	s_or_b64 s[4:5], s[4:5], s[8:9]
	s_or_b64 exec, exec, s[6:7]
	s_and_saveexec_b64 s[6:7], s[4:5]
	s_cbranch_execnz .LBB2_1967
	s_branch .LBB2_1968
.LBB2_4017:
	s_movk_i32 s4, 0x80
	v_cmp_eq_u16_e32 vcc, s4, v6
	s_mov_b64 s[4:5], -1
                                        ; implicit-def: $sgpr10
	s_and_saveexec_b64 s[8:9], vcc
; %bb.4018:
	s_mov_b32 s10, 0x7f800001
	s_xor_b64 s[4:5], exec, -1
; %bb.4019:
	s_or_b64 exec, exec, s[8:9]
	s_and_b64 s[4:5], s[4:5], exec
                                        ; implicit-def: $vgpr6
	s_or_saveexec_b64 s[6:7], s[6:7]
	v_mov_b32_e32 v2, s10
	s_xor_b64 exec, exec, s[6:7]
	s_cbranch_execz .LBB2_1970
.LBB2_4020:
	v_cmp_ne_u16_e32 vcc, 0, v6
	s_andn2_b64 s[4:5], s[4:5], exec
	s_and_b64 s[8:9], vcc, exec
	v_mov_b32_e32 v2, 0
	s_or_b64 s[4:5], s[4:5], s[8:9]
	s_or_b64 exec, exec, s[6:7]
	s_and_saveexec_b64 s[6:7], s[4:5]
	s_cbranch_execnz .LBB2_1971
	s_branch .LBB2_1972
.LBB2_4021:
	s_movk_i32 s4, 0x80
	v_cmp_eq_u16_e32 vcc, s4, v6
	s_mov_b64 s[4:5], -1
                                        ; implicit-def: $sgpr10
	s_and_saveexec_b64 s[8:9], vcc
; %bb.4022:
	s_mov_b32 s10, 0x7f800001
	s_xor_b64 s[4:5], exec, -1
; %bb.4023:
	s_or_b64 exec, exec, s[8:9]
	s_and_b64 s[4:5], s[4:5], exec
                                        ; implicit-def: $vgpr6
	s_or_saveexec_b64 s[6:7], s[6:7]
	v_mov_b32_e32 v10, s10
	s_xor_b64 exec, exec, s[6:7]
	s_cbranch_execz .LBB2_1974
.LBB2_4024:
	v_cmp_ne_u16_e32 vcc, 0, v6
	s_andn2_b64 s[4:5], s[4:5], exec
	s_and_b64 s[8:9], vcc, exec
	v_mov_b32_e32 v10, 0
	s_or_b64 s[4:5], s[4:5], s[8:9]
	s_or_b64 exec, exec, s[6:7]
	s_and_saveexec_b64 s[6:7], s[4:5]
	s_cbranch_execnz .LBB2_1975
	s_branch .LBB2_1976
.LBB2_4025:
	s_movk_i32 s4, 0x80
	v_cmp_eq_u16_sdwa s[12:13], v7, s4 src0_sel:BYTE_3 src1_sel:DWORD
	s_mov_b64 s[4:5], -1
                                        ; implicit-def: $sgpr10
	s_and_saveexec_b64 s[8:9], s[12:13]
; %bb.4026:
	s_mov_b32 s10, 0x7f800001
	s_xor_b64 s[4:5], exec, -1
; %bb.4027:
	s_or_b64 exec, exec, s[8:9]
	s_and_b64 s[4:5], s[4:5], exec
	s_or_saveexec_b64 s[6:7], s[6:7]
	v_mov_b32_e32 v2, s10
	s_xor_b64 exec, exec, s[6:7]
	s_cbranch_execz .LBB2_1978
.LBB2_4028:
	v_mov_b32_e32 v2, 0
	v_cmp_ne_u16_sdwa s[8:9], v7, v2 src0_sel:BYTE_3 src1_sel:DWORD
	s_andn2_b64 s[4:5], s[4:5], exec
	s_and_b64 s[8:9], s[8:9], exec
	s_or_b64 s[4:5], s[4:5], s[8:9]
	s_or_b64 exec, exec, s[6:7]
	s_and_saveexec_b64 s[6:7], s[4:5]
	s_cbranch_execnz .LBB2_1979
	s_branch .LBB2_1980
.LBB2_4029:
	s_movk_i32 s4, 0x80
	v_cmp_eq_u16_sdwa s[12:13], v3, s4 src0_sel:BYTE_3 src1_sel:DWORD
	s_mov_b64 s[4:5], -1
                                        ; implicit-def: $sgpr10
	s_and_saveexec_b64 s[8:9], s[12:13]
; %bb.4030:
	s_mov_b32 s10, 0x7f800001
	s_xor_b64 s[4:5], exec, -1
; %bb.4031:
	s_or_b64 exec, exec, s[8:9]
	s_and_b64 s[4:5], s[4:5], exec
	s_or_saveexec_b64 s[6:7], s[6:7]
	v_mov_b32_e32 v6, s10
	s_xor_b64 exec, exec, s[6:7]
	s_cbranch_execz .LBB2_1982
.LBB2_4032:
	v_mov_b32_e32 v6, 0
	v_cmp_ne_u16_sdwa s[8:9], v3, v6 src0_sel:BYTE_3 src1_sel:DWORD
	s_andn2_b64 s[4:5], s[4:5], exec
	s_and_b64 s[8:9], s[8:9], exec
	s_or_b64 s[4:5], s[4:5], s[8:9]
	s_or_b64 exec, exec, s[6:7]
	s_and_saveexec_b64 s[6:7], s[4:5]
	s_cbranch_execnz .LBB2_1983
	s_branch .LBB2_1984
.LBB2_4033:
	s_movk_i32 s4, 0x80
	v_cmp_eq_u16_sdwa s[12:13], v8, s4 src0_sel:BYTE_0 src1_sel:DWORD
	s_mov_b64 s[4:5], -1
                                        ; implicit-def: $sgpr10
	s_and_saveexec_b64 s[8:9], s[12:13]
; %bb.4034:
	s_mov_b32 s10, 0x7f800001
	s_xor_b64 s[4:5], exec, -1
; %bb.4035:
	s_or_b64 exec, exec, s[8:9]
	s_and_b64 s[4:5], s[4:5], exec
	s_or_saveexec_b64 s[6:7], s[6:7]
	v_mov_b32_e32 v2, s10
	s_xor_b64 exec, exec, s[6:7]
	s_cbranch_execz .LBB2_1986
.LBB2_4036:
	v_mov_b32_e32 v2, 0
	v_cmp_ne_u16_sdwa s[8:9], v8, v2 src0_sel:BYTE_0 src1_sel:DWORD
	s_andn2_b64 s[4:5], s[4:5], exec
	s_and_b64 s[8:9], s[8:9], exec
	s_or_b64 s[4:5], s[4:5], s[8:9]
	s_or_b64 exec, exec, s[6:7]
	s_and_saveexec_b64 s[6:7], s[4:5]
	s_cbranch_execnz .LBB2_1987
	s_branch .LBB2_1988
.LBB2_4037:
	s_movk_i32 s4, 0x80
	v_cmp_eq_u16_sdwa s[12:13], v4, s4 src0_sel:BYTE_0 src1_sel:DWORD
	s_mov_b64 s[4:5], -1
                                        ; implicit-def: $sgpr10
	s_and_saveexec_b64 s[8:9], s[12:13]
; %bb.4038:
	s_mov_b32 s10, 0x7f800001
	s_xor_b64 s[4:5], exec, -1
; %bb.4039:
	s_or_b64 exec, exec, s[8:9]
	s_and_b64 s[4:5], s[4:5], exec
	s_or_saveexec_b64 s[6:7], s[6:7]
	v_mov_b32_e32 v3, s10
	s_xor_b64 exec, exec, s[6:7]
	s_cbranch_execz .LBB2_1990
.LBB2_4040:
	v_mov_b32_e32 v3, 0
	v_cmp_ne_u16_sdwa s[8:9], v4, v3 src0_sel:BYTE_0 src1_sel:DWORD
	s_andn2_b64 s[4:5], s[4:5], exec
	s_and_b64 s[8:9], s[8:9], exec
	s_or_b64 s[4:5], s[4:5], s[8:9]
	s_or_b64 exec, exec, s[6:7]
	s_and_saveexec_b64 s[6:7], s[4:5]
	s_cbranch_execnz .LBB2_1991
	s_branch .LBB2_1992
.LBB2_4041:
	s_movk_i32 s4, 0x80
	v_cmp_eq_u16_sdwa s[12:13], v3, s4 src0_sel:BYTE_0 src1_sel:DWORD
	s_mov_b64 s[4:5], -1
                                        ; implicit-def: $sgpr10
	s_and_saveexec_b64 s[8:9], s[12:13]
; %bb.4042:
	s_mov_b32 s10, 0x7f800001
	s_xor_b64 s[4:5], exec, -1
; %bb.4043:
	s_or_b64 exec, exec, s[8:9]
	s_and_b64 s[4:5], s[4:5], exec
	s_or_saveexec_b64 s[6:7], s[6:7]
	v_mov_b32_e32 v2, s10
	s_xor_b64 exec, exec, s[6:7]
	s_cbranch_execz .LBB2_1994
.LBB2_4044:
	v_mov_b32_e32 v2, 0
	v_cmp_ne_u16_sdwa s[8:9], v3, v2 src0_sel:BYTE_0 src1_sel:DWORD
	s_andn2_b64 s[4:5], s[4:5], exec
	s_and_b64 s[8:9], s[8:9], exec
	s_or_b64 s[4:5], s[4:5], s[8:9]
	s_or_b64 exec, exec, s[6:7]
	s_and_saveexec_b64 s[6:7], s[4:5]
	s_cbranch_execnz .LBB2_1995
	s_branch .LBB2_1996
.LBB2_4045:
	s_movk_i32 s4, 0x80
	v_cmp_eq_u16_sdwa s[12:13], v3, s4 src0_sel:BYTE_0 src1_sel:DWORD
	s_mov_b64 s[4:5], -1
                                        ; implicit-def: $sgpr10
	s_and_saveexec_b64 s[8:9], s[12:13]
; %bb.4046:
	s_mov_b32 s10, 0x7f800001
	s_xor_b64 s[4:5], exec, -1
; %bb.4047:
	s_or_b64 exec, exec, s[8:9]
	s_and_b64 s[4:5], s[4:5], exec
	s_or_saveexec_b64 s[6:7], s[6:7]
	v_mov_b32_e32 v6, s10
	s_xor_b64 exec, exec, s[6:7]
	s_cbranch_execz .LBB2_1998
.LBB2_4048:
	v_mov_b32_e32 v6, 0
	v_cmp_ne_u16_sdwa s[8:9], v3, v6 src0_sel:BYTE_0 src1_sel:DWORD
	s_andn2_b64 s[4:5], s[4:5], exec
	s_and_b64 s[8:9], s[8:9], exec
	s_or_b64 s[4:5], s[4:5], s[8:9]
	s_or_b64 exec, exec, s[6:7]
	s_and_saveexec_b64 s[6:7], s[4:5]
	s_cbranch_execnz .LBB2_1999
	s_branch .LBB2_2000
.LBB2_4049:
	s_movk_i32 s4, 0x80
	v_cmp_eq_u16_e32 vcc, s4, v3
	s_mov_b64 s[4:5], -1
                                        ; implicit-def: $sgpr10
	s_and_saveexec_b64 s[8:9], vcc
; %bb.4050:
	s_mov_b32 s10, 0x7f800001
	s_xor_b64 s[4:5], exec, -1
; %bb.4051:
	s_or_b64 exec, exec, s[8:9]
	s_and_b64 s[4:5], s[4:5], exec
                                        ; implicit-def: $vgpr3
	s_or_saveexec_b64 s[6:7], s[6:7]
	v_mov_b32_e32 v2, s10
	s_xor_b64 exec, exec, s[6:7]
	s_cbranch_execz .LBB2_2002
.LBB2_4052:
	v_cmp_ne_u16_e32 vcc, 0, v3
	s_andn2_b64 s[4:5], s[4:5], exec
	s_and_b64 s[8:9], vcc, exec
	v_mov_b32_e32 v2, 0
	s_or_b64 s[4:5], s[4:5], s[8:9]
	s_or_b64 exec, exec, s[6:7]
	s_and_saveexec_b64 s[6:7], s[4:5]
	s_cbranch_execnz .LBB2_2003
	s_branch .LBB2_2004
.LBB2_4053:
	s_movk_i32 s4, 0x80
	v_cmp_eq_u16_e32 vcc, s4, v3
	s_mov_b64 s[4:5], -1
                                        ; implicit-def: $sgpr10
	s_and_saveexec_b64 s[8:9], vcc
; %bb.4054:
	s_mov_b32 s10, 0x7f800001
	s_xor_b64 s[4:5], exec, -1
; %bb.4055:
	s_or_b64 exec, exec, s[8:9]
	s_and_b64 s[4:5], s[4:5], exec
                                        ; implicit-def: $vgpr3
	s_or_saveexec_b64 s[6:7], s[6:7]
	v_mov_b32_e32 v6, s10
	s_xor_b64 exec, exec, s[6:7]
	s_cbranch_execz .LBB2_2006
.LBB2_4056:
	v_cmp_ne_u16_e32 vcc, 0, v3
	s_andn2_b64 s[4:5], s[4:5], exec
	s_and_b64 s[8:9], vcc, exec
	v_mov_b32_e32 v6, 0
	s_or_b64 s[4:5], s[4:5], s[8:9]
	s_or_b64 exec, exec, s[6:7]
	s_and_saveexec_b64 s[6:7], s[4:5]
	s_cbranch_execnz .LBB2_2007
	s_branch .LBB2_2008
.LBB2_4057:
	s_movk_i32 s4, 0x80
	v_cmp_eq_u16_sdwa s[12:13], v8, s4 src0_sel:BYTE_3 src1_sel:DWORD
	s_mov_b64 s[4:5], -1
                                        ; implicit-def: $sgpr10
	s_and_saveexec_b64 s[8:9], s[12:13]
; %bb.4058:
	s_mov_b32 s10, 0x7f800001
	s_xor_b64 s[4:5], exec, -1
; %bb.4059:
	s_or_b64 exec, exec, s[8:9]
	s_and_b64 s[4:5], s[4:5], exec
	s_or_saveexec_b64 s[6:7], s[6:7]
	v_mov_b32_e32 v2, s10
	s_xor_b64 exec, exec, s[6:7]
	s_cbranch_execz .LBB2_2010
.LBB2_4060:
	v_mov_b32_e32 v2, 0
	v_cmp_ne_u16_sdwa s[8:9], v8, v2 src0_sel:BYTE_3 src1_sel:DWORD
	s_andn2_b64 s[4:5], s[4:5], exec
	s_and_b64 s[8:9], s[8:9], exec
	s_or_b64 s[4:5], s[4:5], s[8:9]
	s_or_b64 exec, exec, s[6:7]
	s_and_saveexec_b64 s[6:7], s[4:5]
	s_cbranch_execnz .LBB2_2011
	s_branch .LBB2_2012
.LBB2_4061:
	s_movk_i32 s4, 0x80
	v_cmp_eq_u16_sdwa s[12:13], v4, s4 src0_sel:BYTE_3 src1_sel:DWORD
	s_mov_b64 s[4:5], -1
                                        ; implicit-def: $sgpr10
	s_and_saveexec_b64 s[8:9], s[12:13]
; %bb.4062:
	s_mov_b32 s10, 0x7f800001
	s_xor_b64 s[4:5], exec, -1
; %bb.4063:
	s_or_b64 exec, exec, s[8:9]
	s_and_b64 s[4:5], s[4:5], exec
	s_or_saveexec_b64 s[6:7], s[6:7]
	v_mov_b32_e32 v3, s10
	s_xor_b64 exec, exec, s[6:7]
	s_cbranch_execz .LBB2_2014
.LBB2_4064:
	v_mov_b32_e32 v3, 0
	v_cmp_ne_u16_sdwa s[8:9], v4, v3 src0_sel:BYTE_3 src1_sel:DWORD
	s_andn2_b64 s[4:5], s[4:5], exec
	s_and_b64 s[8:9], s[8:9], exec
	s_or_b64 s[4:5], s[4:5], s[8:9]
	s_or_b64 exec, exec, s[6:7]
	s_and_saveexec_b64 s[6:7], s[4:5]
	s_cbranch_execnz .LBB2_2015
	s_branch .LBB2_2016
.LBB2_4065:
	s_movk_i32 s4, 0x80
	v_cmp_eq_u16_sdwa s[12:13], v9, s4 src0_sel:BYTE_0 src1_sel:DWORD
	s_mov_b64 s[4:5], -1
                                        ; implicit-def: $sgpr10
	s_and_saveexec_b64 s[8:9], s[12:13]
; %bb.4066:
	s_mov_b32 s10, 0x7f800001
	s_xor_b64 s[4:5], exec, -1
; %bb.4067:
	s_or_b64 exec, exec, s[8:9]
	s_and_b64 s[4:5], s[4:5], exec
	s_or_saveexec_b64 s[6:7], s[6:7]
	v_mov_b32_e32 v2, s10
	s_xor_b64 exec, exec, s[6:7]
	s_cbranch_execz .LBB2_2018
.LBB2_4068:
	v_mov_b32_e32 v2, 0
	v_cmp_ne_u16_sdwa s[8:9], v9, v2 src0_sel:BYTE_0 src1_sel:DWORD
	s_andn2_b64 s[4:5], s[4:5], exec
	s_and_b64 s[8:9], s[8:9], exec
	s_or_b64 s[4:5], s[4:5], s[8:9]
	s_or_b64 exec, exec, s[6:7]
	s_and_saveexec_b64 s[6:7], s[4:5]
	s_cbranch_execnz .LBB2_2019
	s_branch .LBB2_2020
.LBB2_4069:
	s_movk_i32 s4, 0x80
	v_cmp_eq_u16_sdwa s[12:13], v5, s4 src0_sel:BYTE_0 src1_sel:DWORD
	s_mov_b64 s[4:5], -1
                                        ; implicit-def: $sgpr10
	s_and_saveexec_b64 s[8:9], s[12:13]
; %bb.4070:
	s_mov_b32 s10, 0x7f800001
	s_xor_b64 s[4:5], exec, -1
; %bb.4071:
	s_or_b64 exec, exec, s[8:9]
	s_and_b64 s[4:5], s[4:5], exec
	s_or_saveexec_b64 s[6:7], s[6:7]
	v_mov_b32_e32 v3, s10
	s_xor_b64 exec, exec, s[6:7]
	s_cbranch_execz .LBB2_2022
.LBB2_4072:
	v_mov_b32_e32 v3, 0
	v_cmp_ne_u16_sdwa s[8:9], v5, v3 src0_sel:BYTE_0 src1_sel:DWORD
	s_andn2_b64 s[4:5], s[4:5], exec
	s_and_b64 s[8:9], s[8:9], exec
	s_or_b64 s[4:5], s[4:5], s[8:9]
	s_or_b64 exec, exec, s[6:7]
	s_and_saveexec_b64 s[6:7], s[4:5]
	s_cbranch_execnz .LBB2_2023
	s_branch .LBB2_2024
.LBB2_4073:
	s_movk_i32 s4, 0x80
	v_cmp_eq_u16_sdwa s[12:13], v3, s4 src0_sel:BYTE_0 src1_sel:DWORD
	s_mov_b64 s[4:5], -1
                                        ; implicit-def: $sgpr10
	s_and_saveexec_b64 s[8:9], s[12:13]
; %bb.4074:
	s_mov_b32 s10, 0x7f800001
	s_xor_b64 s[4:5], exec, -1
; %bb.4075:
	s_or_b64 exec, exec, s[8:9]
	s_and_b64 s[4:5], s[4:5], exec
	s_or_saveexec_b64 s[6:7], s[6:7]
	v_mov_b32_e32 v2, s10
	s_xor_b64 exec, exec, s[6:7]
	s_cbranch_execz .LBB2_2026
.LBB2_4076:
	v_mov_b32_e32 v2, 0
	v_cmp_ne_u16_sdwa s[8:9], v3, v2 src0_sel:BYTE_0 src1_sel:DWORD
	s_andn2_b64 s[4:5], s[4:5], exec
	s_and_b64 s[8:9], s[8:9], exec
	s_or_b64 s[4:5], s[4:5], s[8:9]
	s_or_b64 exec, exec, s[6:7]
	s_and_saveexec_b64 s[6:7], s[4:5]
	s_cbranch_execnz .LBB2_2027
	s_branch .LBB2_2028
.LBB2_4077:
	s_movk_i32 s4, 0x80
	v_cmp_eq_u16_sdwa s[12:13], v3, s4 src0_sel:BYTE_0 src1_sel:DWORD
	s_mov_b64 s[4:5], -1
                                        ; implicit-def: $sgpr10
	s_and_saveexec_b64 s[8:9], s[12:13]
; %bb.4078:
	s_mov_b32 s10, 0x7f800001
	s_xor_b64 s[4:5], exec, -1
; %bb.4079:
	s_or_b64 exec, exec, s[8:9]
	s_and_b64 s[4:5], s[4:5], exec
	s_or_saveexec_b64 s[6:7], s[6:7]
	v_mov_b32_e32 v4, s10
	s_xor_b64 exec, exec, s[6:7]
	s_cbranch_execz .LBB2_2030
.LBB2_4080:
	v_mov_b32_e32 v4, 0
	v_cmp_ne_u16_sdwa s[8:9], v3, v4 src0_sel:BYTE_0 src1_sel:DWORD
	s_andn2_b64 s[4:5], s[4:5], exec
	s_and_b64 s[8:9], s[8:9], exec
	s_or_b64 s[4:5], s[4:5], s[8:9]
	s_or_b64 exec, exec, s[6:7]
	s_and_saveexec_b64 s[6:7], s[4:5]
	s_cbranch_execnz .LBB2_2031
	s_branch .LBB2_2032
.LBB2_4081:
	s_movk_i32 s4, 0x80
	v_cmp_eq_u16_e32 vcc, s4, v3
	s_mov_b64 s[4:5], -1
                                        ; implicit-def: $sgpr10
	s_and_saveexec_b64 s[8:9], vcc
; %bb.4082:
	s_mov_b32 s10, 0x7f800001
	s_xor_b64 s[4:5], exec, -1
; %bb.4083:
	s_or_b64 exec, exec, s[8:9]
	s_and_b64 s[4:5], s[4:5], exec
                                        ; implicit-def: $vgpr3
	s_or_saveexec_b64 s[6:7], s[6:7]
	v_mov_b32_e32 v2, s10
	s_xor_b64 exec, exec, s[6:7]
	s_cbranch_execz .LBB2_2034
.LBB2_4084:
	v_cmp_ne_u16_e32 vcc, 0, v3
	s_andn2_b64 s[4:5], s[4:5], exec
	s_and_b64 s[8:9], vcc, exec
	v_mov_b32_e32 v2, 0
	s_or_b64 s[4:5], s[4:5], s[8:9]
	s_or_b64 exec, exec, s[6:7]
	s_and_saveexec_b64 s[6:7], s[4:5]
	s_cbranch_execnz .LBB2_2035
	s_branch .LBB2_2036
.LBB2_4085:
	s_movk_i32 s4, 0x80
	v_cmp_eq_u16_e32 vcc, s4, v3
	s_mov_b64 s[4:5], -1
                                        ; implicit-def: $sgpr10
	s_and_saveexec_b64 s[8:9], vcc
; %bb.4086:
	s_mov_b32 s10, 0x7f800001
	s_xor_b64 s[4:5], exec, -1
; %bb.4087:
	s_or_b64 exec, exec, s[8:9]
	s_and_b64 s[4:5], s[4:5], exec
                                        ; implicit-def: $vgpr3
	s_or_saveexec_b64 s[6:7], s[6:7]
	v_mov_b32_e32 v4, s10
	s_xor_b64 exec, exec, s[6:7]
	s_cbranch_execz .LBB2_2038
.LBB2_4088:
	v_cmp_ne_u16_e32 vcc, 0, v3
	s_andn2_b64 s[4:5], s[4:5], exec
	s_and_b64 s[8:9], vcc, exec
	v_mov_b32_e32 v4, 0
	s_or_b64 s[4:5], s[4:5], s[8:9]
	s_or_b64 exec, exec, s[6:7]
	s_and_saveexec_b64 s[6:7], s[4:5]
	s_cbranch_execnz .LBB2_2039
	s_branch .LBB2_2040
.LBB2_4089:
	s_movk_i32 s4, 0x80
	v_cmp_eq_u16_sdwa s[12:13], v9, s4 src0_sel:BYTE_3 src1_sel:DWORD
	s_mov_b64 s[4:5], -1
                                        ; implicit-def: $sgpr10
	s_and_saveexec_b64 s[8:9], s[12:13]
; %bb.4090:
	s_mov_b32 s10, 0x7f800001
	s_xor_b64 s[4:5], exec, -1
; %bb.4091:
	s_or_b64 exec, exec, s[8:9]
	s_and_b64 s[4:5], s[4:5], exec
	s_or_saveexec_b64 s[6:7], s[6:7]
	v_mov_b32_e32 v2, s10
	s_xor_b64 exec, exec, s[6:7]
	s_cbranch_execz .LBB2_2042
.LBB2_4092:
	v_mov_b32_e32 v2, 0
	v_cmp_ne_u16_sdwa s[8:9], v9, v2 src0_sel:BYTE_3 src1_sel:DWORD
	s_andn2_b64 s[4:5], s[4:5], exec
	s_and_b64 s[8:9], s[8:9], exec
	s_or_b64 s[4:5], s[4:5], s[8:9]
	s_or_b64 exec, exec, s[6:7]
	s_and_saveexec_b64 s[6:7], s[4:5]
	s_cbranch_execnz .LBB2_2043
	s_branch .LBB2_2044
.LBB2_4093:
	s_movk_i32 s4, 0x80
	v_cmp_eq_u16_sdwa s[12:13], v5, s4 src0_sel:BYTE_3 src1_sel:DWORD
	s_mov_b64 s[4:5], -1
                                        ; implicit-def: $sgpr10
	s_and_saveexec_b64 s[8:9], s[12:13]
; %bb.4094:
	s_mov_b32 s10, 0x7f800001
	s_xor_b64 s[4:5], exec, -1
; %bb.4095:
	s_or_b64 exec, exec, s[8:9]
	s_and_b64 s[4:5], s[4:5], exec
	s_or_saveexec_b64 s[6:7], s[6:7]
	v_mov_b32_e32 v3, s10
	s_xor_b64 exec, exec, s[6:7]
	s_cbranch_execz .LBB2_2046
.LBB2_4096:
	v_mov_b32_e32 v3, 0
	v_cmp_ne_u16_sdwa s[8:9], v5, v3 src0_sel:BYTE_3 src1_sel:DWORD
	s_andn2_b64 s[4:5], s[4:5], exec
	s_and_b64 s[8:9], s[8:9], exec
	s_or_b64 s[4:5], s[4:5], s[8:9]
	s_or_b64 exec, exec, s[6:7]
	s_and_saveexec_b64 s[6:7], s[4:5]
	s_cbranch_execnz .LBB2_2047
	s_branch .LBB2_2048
.Lfunc_end2:
	.size	_ZNK2ck6detail7applierIiJLi0ELi1ELi2ELi3ELi4ELi5ELi6ELi7ELi8ELi9ELi10ELi11ELi12ELi13ELi14ELi15EEEclIZNKS_11static_fordINS_8SequenceIJLi4ELi4EEEENS5_IJLi0ELi1EEEEEclIZZZZNKS_31BlockwiseGemmXdlops_pipeline_v2ILNS_26BlockGemmPipelineSchedulerE1ELi256ENS_9f8_fnuz_tENS_7pk_i4_tESC_fNS_16TensorDescriptorINS_5TupleIJNS_5EmbedINSF_IJNS_17integral_constantIiLi8EEENSH_IiLi128EEENSH_IiLi16EEEEEENSF_IJSK_SJ_NSH_IiLi1EEEEEELb0EEENS_3XorINSF_IJSJ_SI_EEELb1EEENS_11PassThroughISK_EENS_7UnMergeINSF_IJSI_SM_EEELb0EEENSS_ISJ_EEST_NSS_ISI_EENS_21Merge_v3_division_modINSF_IJSJ_SM_EEEEEST_EEENSF_IJNS5_IJLi0EEEENS5_IJLi2ELi1EEEENS5_IJLi3EEEENS5_IJLi5EEEENS5_IJLi4EEEENS5_IJLi6EEEENS5_IJLi7EEEENS5_IJLi9ELi8EEEENS5_IJLi10EEEEEEENSF_IJNS5_IJLi1ELi2ELi3EEEENS5_IJLi4ELi5EEEES18_NS5_IJLi7ELi8EEEENS5_IJLi9EEEES1B_NS5_IJLi11EEEENS5_IJLi12EEEENS5_IJLi13EEEEEEENS5_IJLi11ELi12ELi13EEEENSH_IlLl16384EEEEENSE_INSF_IJNSG_INSF_IJSK_NSH_IiLi64EEESK_EEENSF_IJSK_NSH_IiLi256EEESM_EEELb0EEENSP_INSF_IJS1O_SK_EEELb1EEEST_NSU_INSF_IJSI_NSH_IiLi2EEEEEELb0EEENSS_IS1O_EEST_SY_NSZ_INSF_IJS1O_S1V_EEEEEST_EEES1C_S1K_S1L_S1M_EENSE_INSF_IJSO_SR_ST_SW_SX_ST_SY_S11_ST_NSZ_INSF_IJSI_SK_EEEEENSU_INSF_IJNSH_IiLi4EEES1V_SK_EEELb0EEEEEENSF_IJS13_S14_S15_S16_S17_S18_S19_S1A_S1B_NS5_IJLi11ELi13EEEES1I_EEENSF_IJS1D_S1E_S18_S1F_S1G_S1B_S1H_S1I_S1J_NS5_IJLi14EEEENS5_IJLi15ELi16ELi17EEEEEEENS5_IJLi15ELi16ELi17ELi14EEEES1M_EENSE_INSF_IJS1S_S1U_ST_S1X_S1Y_ST_SY_S20_ST_S24_S27_EEES2A_S2D_S2E_S1M_EELi16ELi16ELi128ELi128ELi128ELi16ELi16ELi4ELi4ELi16ELb0EE3RunILb1ELNS_10TailNumberE2ENSE_INSF_IJNSG_INSF_IJiiEEENSF_IJiSM_EEELb0EEENSU_IS2L_Lb0EEENSS_IiEEEEENSF_IJS13_NS5_IJLi2EEEENS5_IJLi1EEEEEEENSF_IJNS5_IJLi1ELi2EEEENS5_IJLi3ELi4EEEES16_EEENS5_IJLi3ELi5ELi4EEEElEES1N_NS_35ThreadGroupTensorSliceTransfer_v4r1INS_15ThisThreadBlockILi256EEENS_16tensor_operation12element_wise11PassThroughES34_LNS_25InMemoryDataOperationEnumE0ENS5_IJLi8ELi128ELi16EEEENS5_IJLi8ELi32ELi1EEEENS5_IJLi1ELi0ELi2EEEESC_SC_RKS2Y_KS1N_S38_NS5_IJLi0ELi1ELi2EEEELi2ELi2ELi16ELi16ELi1ELi1ELb0ELb1ELi2EiEENS_13DynamicBufferILNS_16AddressSpaceEnumE1EKSC_lLb1ELNS_22AmdBufferCoherenceEnumE0EiEENS3E_ILS3F_2ESC_S1M_Lb1ELS3H_0EiEENSF_IJiiiEEENSE_INSF_IJNSU_INSF_IJiiiiEEELb0EEENS_23Merge_v2_magic_divisionIS2L_EENSS_INSF_IJiEEEEES2P_EEENSF_IJS13_NS5_IJLi1ELi3EEEES2R_S17_EEENSF_IJNS5_IJLi1ELi2ELi3ELi4EEEES16_S18_S19_EEENS5_IJLi5ELi6ELi7EEEElEES22_NS2Z_IS31_S34_S34_LS35_0ES36_NS5_IJLi4ELi64ELi1EEEES38_SD_SD_RKS3X_KS22_S38_S3C_Li2ELi2ELi16ELi16ELi1ELi1ELb0ELb1ELi2EiEENS3E_ILS3F_1EKSD_lLb1ELS3H_0EiEENS3E_ILS3F_2ESD_S1M_Lb1ELS3H_0EiEES3K_NS_25StaticBufferTupleOfVectorILS3F_4EfLi16ELi4ELb1ELb0EEEEEvRKT1_RKT2_RT3_RKT4_RT5_RKT6_RKT7_RKT8_RT9_RKT10_RT11_RKT12_RT13_iENKUlT_E0_clINSH_IiLi0EEEEEDaS56_ENKUlS56_E_clIS59_EEDaS56_ENKUlS56_E1_clISK_EEDaS56_EUlS56_E_EEvS56_EUlS56_E_EEvS56_, .Lfunc_end2-_ZNK2ck6detail7applierIiJLi0ELi1ELi2ELi3ELi4ELi5ELi6ELi7ELi8ELi9ELi10ELi11ELi12ELi13ELi14ELi15EEEclIZNKS_11static_fordINS_8SequenceIJLi4ELi4EEEENS5_IJLi0ELi1EEEEEclIZZZZNKS_31BlockwiseGemmXdlops_pipeline_v2ILNS_26BlockGemmPipelineSchedulerE1ELi256ENS_9f8_fnuz_tENS_7pk_i4_tESC_fNS_16TensorDescriptorINS_5TupleIJNS_5EmbedINSF_IJNS_17integral_constantIiLi8EEENSH_IiLi128EEENSH_IiLi16EEEEEENSF_IJSK_SJ_NSH_IiLi1EEEEEELb0EEENS_3XorINSF_IJSJ_SI_EEELb1EEENS_11PassThroughISK_EENS_7UnMergeINSF_IJSI_SM_EEELb0EEENSS_ISJ_EEST_NSS_ISI_EENS_21Merge_v3_division_modINSF_IJSJ_SM_EEEEEST_EEENSF_IJNS5_IJLi0EEEENS5_IJLi2ELi1EEEENS5_IJLi3EEEENS5_IJLi5EEEENS5_IJLi4EEEENS5_IJLi6EEEENS5_IJLi7EEEENS5_IJLi9ELi8EEEENS5_IJLi10EEEEEEENSF_IJNS5_IJLi1ELi2ELi3EEEENS5_IJLi4ELi5EEEES18_NS5_IJLi7ELi8EEEENS5_IJLi9EEEES1B_NS5_IJLi11EEEENS5_IJLi12EEEENS5_IJLi13EEEEEEENS5_IJLi11ELi12ELi13EEEENSH_IlLl16384EEEEENSE_INSF_IJNSG_INSF_IJSK_NSH_IiLi64EEESK_EEENSF_IJSK_NSH_IiLi256EEESM_EEELb0EEENSP_INSF_IJS1O_SK_EEELb1EEEST_NSU_INSF_IJSI_NSH_IiLi2EEEEEELb0EEENSS_IS1O_EEST_SY_NSZ_INSF_IJS1O_S1V_EEEEEST_EEES1C_S1K_S1L_S1M_EENSE_INSF_IJSO_SR_ST_SW_SX_ST_SY_S11_ST_NSZ_INSF_IJSI_SK_EEEEENSU_INSF_IJNSH_IiLi4EEES1V_SK_EEELb0EEEEEENSF_IJS13_S14_S15_S16_S17_S18_S19_S1A_S1B_NS5_IJLi11ELi13EEEES1I_EEENSF_IJS1D_S1E_S18_S1F_S1G_S1B_S1H_S1I_S1J_NS5_IJLi14EEEENS5_IJLi15ELi16ELi17EEEEEEENS5_IJLi15ELi16ELi17ELi14EEEES1M_EENSE_INSF_IJS1S_S1U_ST_S1X_S1Y_ST_SY_S20_ST_S24_S27_EEES2A_S2D_S2E_S1M_EELi16ELi16ELi128ELi128ELi128ELi16ELi16ELi4ELi4ELi16ELb0EE3RunILb1ELNS_10TailNumberE2ENSE_INSF_IJNSG_INSF_IJiiEEENSF_IJiSM_EEELb0EEENSU_IS2L_Lb0EEENSS_IiEEEEENSF_IJS13_NS5_IJLi2EEEENS5_IJLi1EEEEEEENSF_IJNS5_IJLi1ELi2EEEENS5_IJLi3ELi4EEEES16_EEENS5_IJLi3ELi5ELi4EEEElEES1N_NS_35ThreadGroupTensorSliceTransfer_v4r1INS_15ThisThreadBlockILi256EEENS_16tensor_operation12element_wise11PassThroughES34_LNS_25InMemoryDataOperationEnumE0ENS5_IJLi8ELi128ELi16EEEENS5_IJLi8ELi32ELi1EEEENS5_IJLi1ELi0ELi2EEEESC_SC_RKS2Y_KS1N_S38_NS5_IJLi0ELi1ELi2EEEELi2ELi2ELi16ELi16ELi1ELi1ELb0ELb1ELi2EiEENS_13DynamicBufferILNS_16AddressSpaceEnumE1EKSC_lLb1ELNS_22AmdBufferCoherenceEnumE0EiEENS3E_ILS3F_2ESC_S1M_Lb1ELS3H_0EiEENSF_IJiiiEEENSE_INSF_IJNSU_INSF_IJiiiiEEELb0EEENS_23Merge_v2_magic_divisionIS2L_EENSS_INSF_IJiEEEEES2P_EEENSF_IJS13_NS5_IJLi1ELi3EEEES2R_S17_EEENSF_IJNS5_IJLi1ELi2ELi3ELi4EEEES16_S18_S19_EEENS5_IJLi5ELi6ELi7EEEElEES22_NS2Z_IS31_S34_S34_LS35_0ES36_NS5_IJLi4ELi64ELi1EEEES38_SD_SD_RKS3X_KS22_S38_S3C_Li2ELi2ELi16ELi16ELi1ELi1ELb0ELb1ELi2EiEENS3E_ILS3F_1EKSD_lLb1ELS3H_0EiEENS3E_ILS3F_2ESD_S1M_Lb1ELS3H_0EiEES3K_NS_25StaticBufferTupleOfVectorILS3F_4EfLi16ELi4ELb1ELb0EEEEEvRKT1_RKT2_RT3_RKT4_RT5_RKT6_RKT7_RKT8_RT9_RKT10_RT11_RKT12_RT13_iENKUlT_E0_clINSH_IiLi0EEEEEDaS56_ENKUlS56_E_clIS59_EEDaS56_ENKUlS56_E1_clISK_EEDaS56_EUlS56_E_EEvS56_EUlS56_E_EEvS56_
                                        ; -- End function
	.section	.AMDGPU.csdata,"",@progbits
; Function info:
; codeLenInByte = 134352
; NumSgprs: 36
; NumVgprs: 18
; NumAgprs: 4
; TotalNumVgprs: 24
; ScratchSize: 0
; MemoryBound: 1
	.text
	.p2align	2                               ; -- Begin function _ZNK2ck6detail7applierIiJLi0ELi1ELi2ELi3ELi4ELi5ELi6ELi7ELi8ELi9ELi10ELi11ELi12ELi13ELi14ELi15EEEclIZNKS_11static_fordINS_8SequenceIJLi4ELi4EEEENS5_IJLi0ELi1EEEEEclIZZZZNKS_31BlockwiseGemmXdlops_pipeline_v2ILNS_26BlockGemmPipelineSchedulerE1ELi256ENS_9f8_fnuz_tENS_7pk_i4_tESC_fNS_16TensorDescriptorINS_5TupleIJNS_5EmbedINSF_IJNS_17integral_constantIiLi8EEENSH_IiLi128EEENSH_IiLi16EEEEEENSF_IJSK_SJ_NSH_IiLi1EEEEEELb0EEENS_3XorINSF_IJSJ_SI_EEELb1EEENS_11PassThroughISK_EENS_7UnMergeINSF_IJSI_SM_EEELb0EEENSS_ISJ_EEST_NSS_ISI_EENS_21Merge_v3_division_modINSF_IJSJ_SM_EEEEEST_EEENSF_IJNS5_IJLi0EEEENS5_IJLi2ELi1EEEENS5_IJLi3EEEENS5_IJLi5EEEENS5_IJLi4EEEENS5_IJLi6EEEENS5_IJLi7EEEENS5_IJLi9ELi8EEEENS5_IJLi10EEEEEEENSF_IJNS5_IJLi1ELi2ELi3EEEENS5_IJLi4ELi5EEEES18_NS5_IJLi7ELi8EEEENS5_IJLi9EEEES1B_NS5_IJLi11EEEENS5_IJLi12EEEENS5_IJLi13EEEEEEENS5_IJLi11ELi12ELi13EEEENSH_IlLl16384EEEEENSE_INSF_IJNSG_INSF_IJSK_NSH_IiLi64EEESK_EEENSF_IJSK_NSH_IiLi256EEESM_EEELb0EEENSP_INSF_IJS1O_SK_EEELb1EEEST_NSU_INSF_IJSI_NSH_IiLi2EEEEEELb0EEENSS_IS1O_EEST_SY_NSZ_INSF_IJS1O_S1V_EEEEEST_EEES1C_S1K_S1L_S1M_EENSE_INSF_IJSO_SR_ST_SW_SX_ST_SY_S11_ST_NSZ_INSF_IJSI_SK_EEEEENSU_INSF_IJNSH_IiLi4EEES1V_SK_EEELb0EEEEEENSF_IJS13_S14_S15_S16_S17_S18_S19_S1A_S1B_NS5_IJLi11ELi13EEEES1I_EEENSF_IJS1D_S1E_S18_S1F_S1G_S1B_S1H_S1I_S1J_NS5_IJLi14EEEENS5_IJLi15ELi16ELi17EEEEEEENS5_IJLi15ELi16ELi17ELi14EEEES1M_EENSE_INSF_IJS1S_S1U_ST_S1X_S1Y_ST_SY_S20_ST_S24_S27_EEES2A_S2D_S2E_S1M_EELi16ELi16ELi128ELi128ELi128ELi16ELi16ELi4ELi4ELi16ELb0EE3RunILb1ELNS_10TailNumberE2ENSE_INSF_IJNSG_INSF_IJiiEEENSF_IJiSM_EEELb0EEENSU_IS2L_Lb0EEENSS_IiEEEEENSF_IJS13_NS5_IJLi2EEEENS5_IJLi1EEEEEEENSF_IJNS5_IJLi1ELi2EEEENS5_IJLi3ELi4EEEES16_EEENS5_IJLi3ELi5ELi4EEEElEES1N_NS_35ThreadGroupTensorSliceTransfer_v4r1INS_15ThisThreadBlockILi256EEENS_16tensor_operation12element_wise11PassThroughES34_LNS_25InMemoryDataOperationEnumE0ENS5_IJLi8ELi128ELi16EEEENS5_IJLi8ELi32ELi1EEEENS5_IJLi1ELi0ELi2EEEESC_SC_RKS2Y_KS1N_S38_NS5_IJLi0ELi1ELi2EEEELi2ELi2ELi16ELi16ELi1ELi1ELb0ELb1ELi2EiEENS_13DynamicBufferILNS_16AddressSpaceEnumE1EKSC_lLb1ELNS_22AmdBufferCoherenceEnumE0EiEENS3E_ILS3F_2ESC_S1M_Lb1ELS3H_0EiEENSF_IJiiiEEENSE_INSF_IJNSU_INSF_IJiiiiEEELb0EEENS_23Merge_v2_magic_divisionIS2L_EENSS_INSF_IJiEEEEES2P_EEENSF_IJS13_NS5_IJLi1ELi3EEEES2R_S17_EEENSF_IJNS5_IJLi1ELi2ELi3ELi4EEEES16_S18_S19_EEENS5_IJLi5ELi6ELi7EEEElEES22_NS2Z_IS31_S34_S34_LS35_0ES36_NS5_IJLi4ELi64ELi1EEEES38_SD_SD_RKS3X_KS22_S38_S3C_Li2ELi2ELi16ELi16ELi1ELi1ELb0ELb1ELi2EiEENS3E_ILS3F_1EKSD_lLb1ELS3H_0EiEENS3E_ILS3F_2ESD_S1M_Lb1ELS3H_0EiEES3K_NS_25StaticBufferTupleOfVectorILS3F_4EfLi16ELi4ELb1ELb0EEEEEvRKT1_RKT2_RT3_RKT4_RT5_RKT6_RKT7_RKT8_RT9_RKT10_RT11_RKT12_RT13_iENKUlT_E0_clISM_EEDaS56_ENKUlS56_E_clINSH_IiLi0EEEEEDaS56_ENKUlS56_E1_clIS5B_EEDaS56_EUlS56_E_EEvS56_EUlS56_E_EEvS56_
	.type	_ZNK2ck6detail7applierIiJLi0ELi1ELi2ELi3ELi4ELi5ELi6ELi7ELi8ELi9ELi10ELi11ELi12ELi13ELi14ELi15EEEclIZNKS_11static_fordINS_8SequenceIJLi4ELi4EEEENS5_IJLi0ELi1EEEEEclIZZZZNKS_31BlockwiseGemmXdlops_pipeline_v2ILNS_26BlockGemmPipelineSchedulerE1ELi256ENS_9f8_fnuz_tENS_7pk_i4_tESC_fNS_16TensorDescriptorINS_5TupleIJNS_5EmbedINSF_IJNS_17integral_constantIiLi8EEENSH_IiLi128EEENSH_IiLi16EEEEEENSF_IJSK_SJ_NSH_IiLi1EEEEEELb0EEENS_3XorINSF_IJSJ_SI_EEELb1EEENS_11PassThroughISK_EENS_7UnMergeINSF_IJSI_SM_EEELb0EEENSS_ISJ_EEST_NSS_ISI_EENS_21Merge_v3_division_modINSF_IJSJ_SM_EEEEEST_EEENSF_IJNS5_IJLi0EEEENS5_IJLi2ELi1EEEENS5_IJLi3EEEENS5_IJLi5EEEENS5_IJLi4EEEENS5_IJLi6EEEENS5_IJLi7EEEENS5_IJLi9ELi8EEEENS5_IJLi10EEEEEEENSF_IJNS5_IJLi1ELi2ELi3EEEENS5_IJLi4ELi5EEEES18_NS5_IJLi7ELi8EEEENS5_IJLi9EEEES1B_NS5_IJLi11EEEENS5_IJLi12EEEENS5_IJLi13EEEEEEENS5_IJLi11ELi12ELi13EEEENSH_IlLl16384EEEEENSE_INSF_IJNSG_INSF_IJSK_NSH_IiLi64EEESK_EEENSF_IJSK_NSH_IiLi256EEESM_EEELb0EEENSP_INSF_IJS1O_SK_EEELb1EEEST_NSU_INSF_IJSI_NSH_IiLi2EEEEEELb0EEENSS_IS1O_EEST_SY_NSZ_INSF_IJS1O_S1V_EEEEEST_EEES1C_S1K_S1L_S1M_EENSE_INSF_IJSO_SR_ST_SW_SX_ST_SY_S11_ST_NSZ_INSF_IJSI_SK_EEEEENSU_INSF_IJNSH_IiLi4EEES1V_SK_EEELb0EEEEEENSF_IJS13_S14_S15_S16_S17_S18_S19_S1A_S1B_NS5_IJLi11ELi13EEEES1I_EEENSF_IJS1D_S1E_S18_S1F_S1G_S1B_S1H_S1I_S1J_NS5_IJLi14EEEENS5_IJLi15ELi16ELi17EEEEEEENS5_IJLi15ELi16ELi17ELi14EEEES1M_EENSE_INSF_IJS1S_S1U_ST_S1X_S1Y_ST_SY_S20_ST_S24_S27_EEES2A_S2D_S2E_S1M_EELi16ELi16ELi128ELi128ELi128ELi16ELi16ELi4ELi4ELi16ELb0EE3RunILb1ELNS_10TailNumberE2ENSE_INSF_IJNSG_INSF_IJiiEEENSF_IJiSM_EEELb0EEENSU_IS2L_Lb0EEENSS_IiEEEEENSF_IJS13_NS5_IJLi2EEEENS5_IJLi1EEEEEEENSF_IJNS5_IJLi1ELi2EEEENS5_IJLi3ELi4EEEES16_EEENS5_IJLi3ELi5ELi4EEEElEES1N_NS_35ThreadGroupTensorSliceTransfer_v4r1INS_15ThisThreadBlockILi256EEENS_16tensor_operation12element_wise11PassThroughES34_LNS_25InMemoryDataOperationEnumE0ENS5_IJLi8ELi128ELi16EEEENS5_IJLi8ELi32ELi1EEEENS5_IJLi1ELi0ELi2EEEESC_SC_RKS2Y_KS1N_S38_NS5_IJLi0ELi1ELi2EEEELi2ELi2ELi16ELi16ELi1ELi1ELb0ELb1ELi2EiEENS_13DynamicBufferILNS_16AddressSpaceEnumE1EKSC_lLb1ELNS_22AmdBufferCoherenceEnumE0EiEENS3E_ILS3F_2ESC_S1M_Lb1ELS3H_0EiEENSF_IJiiiEEENSE_INSF_IJNSU_INSF_IJiiiiEEELb0EEENS_23Merge_v2_magic_divisionIS2L_EENSS_INSF_IJiEEEEES2P_EEENSF_IJS13_NS5_IJLi1ELi3EEEES2R_S17_EEENSF_IJNS5_IJLi1ELi2ELi3ELi4EEEES16_S18_S19_EEENS5_IJLi5ELi6ELi7EEEElEES22_NS2Z_IS31_S34_S34_LS35_0ES36_NS5_IJLi4ELi64ELi1EEEES38_SD_SD_RKS3X_KS22_S38_S3C_Li2ELi2ELi16ELi16ELi1ELi1ELb0ELb1ELi2EiEENS3E_ILS3F_1EKSD_lLb1ELS3H_0EiEENS3E_ILS3F_2ESD_S1M_Lb1ELS3H_0EiEES3K_NS_25StaticBufferTupleOfVectorILS3F_4EfLi16ELi4ELb1ELb0EEEEEvRKT1_RKT2_RT3_RKT4_RT5_RKT6_RKT7_RKT8_RT9_RKT10_RT11_RKT12_RT13_iENKUlT_E0_clISM_EEDaS56_ENKUlS56_E_clINSH_IiLi0EEEEEDaS56_ENKUlS56_E1_clIS5B_EEDaS56_EUlS56_E_EEvS56_EUlS56_E_EEvS56_,@function
_ZNK2ck6detail7applierIiJLi0ELi1ELi2ELi3ELi4ELi5ELi6ELi7ELi8ELi9ELi10ELi11ELi12ELi13ELi14ELi15EEEclIZNKS_11static_fordINS_8SequenceIJLi4ELi4EEEENS5_IJLi0ELi1EEEEEclIZZZZNKS_31BlockwiseGemmXdlops_pipeline_v2ILNS_26BlockGemmPipelineSchedulerE1ELi256ENS_9f8_fnuz_tENS_7pk_i4_tESC_fNS_16TensorDescriptorINS_5TupleIJNS_5EmbedINSF_IJNS_17integral_constantIiLi8EEENSH_IiLi128EEENSH_IiLi16EEEEEENSF_IJSK_SJ_NSH_IiLi1EEEEEELb0EEENS_3XorINSF_IJSJ_SI_EEELb1EEENS_11PassThroughISK_EENS_7UnMergeINSF_IJSI_SM_EEELb0EEENSS_ISJ_EEST_NSS_ISI_EENS_21Merge_v3_division_modINSF_IJSJ_SM_EEEEEST_EEENSF_IJNS5_IJLi0EEEENS5_IJLi2ELi1EEEENS5_IJLi3EEEENS5_IJLi5EEEENS5_IJLi4EEEENS5_IJLi6EEEENS5_IJLi7EEEENS5_IJLi9ELi8EEEENS5_IJLi10EEEEEEENSF_IJNS5_IJLi1ELi2ELi3EEEENS5_IJLi4ELi5EEEES18_NS5_IJLi7ELi8EEEENS5_IJLi9EEEES1B_NS5_IJLi11EEEENS5_IJLi12EEEENS5_IJLi13EEEEEEENS5_IJLi11ELi12ELi13EEEENSH_IlLl16384EEEEENSE_INSF_IJNSG_INSF_IJSK_NSH_IiLi64EEESK_EEENSF_IJSK_NSH_IiLi256EEESM_EEELb0EEENSP_INSF_IJS1O_SK_EEELb1EEEST_NSU_INSF_IJSI_NSH_IiLi2EEEEEELb0EEENSS_IS1O_EEST_SY_NSZ_INSF_IJS1O_S1V_EEEEEST_EEES1C_S1K_S1L_S1M_EENSE_INSF_IJSO_SR_ST_SW_SX_ST_SY_S11_ST_NSZ_INSF_IJSI_SK_EEEEENSU_INSF_IJNSH_IiLi4EEES1V_SK_EEELb0EEEEEENSF_IJS13_S14_S15_S16_S17_S18_S19_S1A_S1B_NS5_IJLi11ELi13EEEES1I_EEENSF_IJS1D_S1E_S18_S1F_S1G_S1B_S1H_S1I_S1J_NS5_IJLi14EEEENS5_IJLi15ELi16ELi17EEEEEEENS5_IJLi15ELi16ELi17ELi14EEEES1M_EENSE_INSF_IJS1S_S1U_ST_S1X_S1Y_ST_SY_S20_ST_S24_S27_EEES2A_S2D_S2E_S1M_EELi16ELi16ELi128ELi128ELi128ELi16ELi16ELi4ELi4ELi16ELb0EE3RunILb1ELNS_10TailNumberE2ENSE_INSF_IJNSG_INSF_IJiiEEENSF_IJiSM_EEELb0EEENSU_IS2L_Lb0EEENSS_IiEEEEENSF_IJS13_NS5_IJLi2EEEENS5_IJLi1EEEEEEENSF_IJNS5_IJLi1ELi2EEEENS5_IJLi3ELi4EEEES16_EEENS5_IJLi3ELi5ELi4EEEElEES1N_NS_35ThreadGroupTensorSliceTransfer_v4r1INS_15ThisThreadBlockILi256EEENS_16tensor_operation12element_wise11PassThroughES34_LNS_25InMemoryDataOperationEnumE0ENS5_IJLi8ELi128ELi16EEEENS5_IJLi8ELi32ELi1EEEENS5_IJLi1ELi0ELi2EEEESC_SC_RKS2Y_KS1N_S38_NS5_IJLi0ELi1ELi2EEEELi2ELi2ELi16ELi16ELi1ELi1ELb0ELb1ELi2EiEENS_13DynamicBufferILNS_16AddressSpaceEnumE1EKSC_lLb1ELNS_22AmdBufferCoherenceEnumE0EiEENS3E_ILS3F_2ESC_S1M_Lb1ELS3H_0EiEENSF_IJiiiEEENSE_INSF_IJNSU_INSF_IJiiiiEEELb0EEENS_23Merge_v2_magic_divisionIS2L_EENSS_INSF_IJiEEEEES2P_EEENSF_IJS13_NS5_IJLi1ELi3EEEES2R_S17_EEENSF_IJNS5_IJLi1ELi2ELi3ELi4EEEES16_S18_S19_EEENS5_IJLi5ELi6ELi7EEEElEES22_NS2Z_IS31_S34_S34_LS35_0ES36_NS5_IJLi4ELi64ELi1EEEES38_SD_SD_RKS3X_KS22_S38_S3C_Li2ELi2ELi16ELi16ELi1ELi1ELb0ELb1ELi2EiEENS3E_ILS3F_1EKSD_lLb1ELS3H_0EiEENS3E_ILS3F_2ESD_S1M_Lb1ELS3H_0EiEES3K_NS_25StaticBufferTupleOfVectorILS3F_4EfLi16ELi4ELb1ELb0EEEEEvRKT1_RKT2_RT3_RKT4_RT5_RKT6_RKT7_RKT8_RT9_RKT10_RT11_RKT12_RT13_iENKUlT_E0_clISM_EEDaS56_ENKUlS56_E_clINSH_IiLi0EEEEEDaS56_ENKUlS56_E1_clIS5B_EEDaS56_EUlS56_E_EEvS56_EUlS56_E_EEvS56_: ; @_ZNK2ck6detail7applierIiJLi0ELi1ELi2ELi3ELi4ELi5ELi6ELi7ELi8ELi9ELi10ELi11ELi12ELi13ELi14ELi15EEEclIZNKS_11static_fordINS_8SequenceIJLi4ELi4EEEENS5_IJLi0ELi1EEEEEclIZZZZNKS_31BlockwiseGemmXdlops_pipeline_v2ILNS_26BlockGemmPipelineSchedulerE1ELi256ENS_9f8_fnuz_tENS_7pk_i4_tESC_fNS_16TensorDescriptorINS_5TupleIJNS_5EmbedINSF_IJNS_17integral_constantIiLi8EEENSH_IiLi128EEENSH_IiLi16EEEEEENSF_IJSK_SJ_NSH_IiLi1EEEEEELb0EEENS_3XorINSF_IJSJ_SI_EEELb1EEENS_11PassThroughISK_EENS_7UnMergeINSF_IJSI_SM_EEELb0EEENSS_ISJ_EEST_NSS_ISI_EENS_21Merge_v3_division_modINSF_IJSJ_SM_EEEEEST_EEENSF_IJNS5_IJLi0EEEENS5_IJLi2ELi1EEEENS5_IJLi3EEEENS5_IJLi5EEEENS5_IJLi4EEEENS5_IJLi6EEEENS5_IJLi7EEEENS5_IJLi9ELi8EEEENS5_IJLi10EEEEEEENSF_IJNS5_IJLi1ELi2ELi3EEEENS5_IJLi4ELi5EEEES18_NS5_IJLi7ELi8EEEENS5_IJLi9EEEES1B_NS5_IJLi11EEEENS5_IJLi12EEEENS5_IJLi13EEEEEEENS5_IJLi11ELi12ELi13EEEENSH_IlLl16384EEEEENSE_INSF_IJNSG_INSF_IJSK_NSH_IiLi64EEESK_EEENSF_IJSK_NSH_IiLi256EEESM_EEELb0EEENSP_INSF_IJS1O_SK_EEELb1EEEST_NSU_INSF_IJSI_NSH_IiLi2EEEEEELb0EEENSS_IS1O_EEST_SY_NSZ_INSF_IJS1O_S1V_EEEEEST_EEES1C_S1K_S1L_S1M_EENSE_INSF_IJSO_SR_ST_SW_SX_ST_SY_S11_ST_NSZ_INSF_IJSI_SK_EEEEENSU_INSF_IJNSH_IiLi4EEES1V_SK_EEELb0EEEEEENSF_IJS13_S14_S15_S16_S17_S18_S19_S1A_S1B_NS5_IJLi11ELi13EEEES1I_EEENSF_IJS1D_S1E_S18_S1F_S1G_S1B_S1H_S1I_S1J_NS5_IJLi14EEEENS5_IJLi15ELi16ELi17EEEEEEENS5_IJLi15ELi16ELi17ELi14EEEES1M_EENSE_INSF_IJS1S_S1U_ST_S1X_S1Y_ST_SY_S20_ST_S24_S27_EEES2A_S2D_S2E_S1M_EELi16ELi16ELi128ELi128ELi128ELi16ELi16ELi4ELi4ELi16ELb0EE3RunILb1ELNS_10TailNumberE2ENSE_INSF_IJNSG_INSF_IJiiEEENSF_IJiSM_EEELb0EEENSU_IS2L_Lb0EEENSS_IiEEEEENSF_IJS13_NS5_IJLi2EEEENS5_IJLi1EEEEEEENSF_IJNS5_IJLi1ELi2EEEENS5_IJLi3ELi4EEEES16_EEENS5_IJLi3ELi5ELi4EEEElEES1N_NS_35ThreadGroupTensorSliceTransfer_v4r1INS_15ThisThreadBlockILi256EEENS_16tensor_operation12element_wise11PassThroughES34_LNS_25InMemoryDataOperationEnumE0ENS5_IJLi8ELi128ELi16EEEENS5_IJLi8ELi32ELi1EEEENS5_IJLi1ELi0ELi2EEEESC_SC_RKS2Y_KS1N_S38_NS5_IJLi0ELi1ELi2EEEELi2ELi2ELi16ELi16ELi1ELi1ELb0ELb1ELi2EiEENS_13DynamicBufferILNS_16AddressSpaceEnumE1EKSC_lLb1ELNS_22AmdBufferCoherenceEnumE0EiEENS3E_ILS3F_2ESC_S1M_Lb1ELS3H_0EiEENSF_IJiiiEEENSE_INSF_IJNSU_INSF_IJiiiiEEELb0EEENS_23Merge_v2_magic_divisionIS2L_EENSS_INSF_IJiEEEEES2P_EEENSF_IJS13_NS5_IJLi1ELi3EEEES2R_S17_EEENSF_IJNS5_IJLi1ELi2ELi3ELi4EEEES16_S18_S19_EEENS5_IJLi5ELi6ELi7EEEElEES22_NS2Z_IS31_S34_S34_LS35_0ES36_NS5_IJLi4ELi64ELi1EEEES38_SD_SD_RKS3X_KS22_S38_S3C_Li2ELi2ELi16ELi16ELi1ELi1ELb0ELb1ELi2EiEENS3E_ILS3F_1EKSD_lLb1ELS3H_0EiEENS3E_ILS3F_2ESD_S1M_Lb1ELS3H_0EiEES3K_NS_25StaticBufferTupleOfVectorILS3F_4EfLi16ELi4ELb1ELb0EEEEEvRKT1_RKT2_RT3_RKT4_RT5_RKT6_RKT7_RKT8_RT9_RKT10_RT11_RKT12_RT13_iENKUlT_E0_clISM_EEDaS56_ENKUlS56_E_clINSH_IiLi0EEEEEDaS56_ENKUlS56_E1_clIS5B_EEDaS56_EUlS56_E_EEvS56_EUlS56_E_EEvS56_
; %bb.0:
	s_waitcnt vmcnt(0) expcnt(0) lgkmcnt(0)
	flat_load_dwordx4 v[12:15], v[0:1] offset:8
	flat_load_dwordx2 v[10:11], v[0:1] offset:32
	s_movk_i32 s4, 0x7f
                                        ; implicit-def: $sgpr10
	s_waitcnt vmcnt(0) lgkmcnt(0)
	flat_load_dwordx4 v[6:9], v[12:13]
	flat_load_dwordx4 v[2:5], v[14:15]
	s_waitcnt vmcnt(0) lgkmcnt(0)
	v_cmp_gt_i16_sdwa s[6:7], v6, s4 src0_sel:BYTE_0 src1_sel:DWORD
	s_mov_b64 s[4:5], 0
	s_and_saveexec_b64 s[8:9], s[6:7]
	s_xor_b64 s[6:7], exec, s[8:9]
	s_cbranch_execnz .LBB3_2049
; %bb.1:
	s_or_saveexec_b64 s[6:7], s[6:7]
	v_mov_b32_e32 v12, s10
	s_xor_b64 exec, exec, s[6:7]
	s_cbranch_execnz .LBB3_2052
.LBB3_2:
	s_or_b64 exec, exec, s[6:7]
	s_and_saveexec_b64 s[6:7], s[4:5]
	s_cbranch_execz .LBB3_4
.LBB3_3:
	v_and_b32_e32 v12, 7, v6
	v_ffbh_u32_e32 v14, v12
	v_min_u32_e32 v14, 32, v14
	v_lshrrev_b16_e32 v13, 3, v6
	v_subrev_u32_e32 v15, 28, v14
	v_and_b32_e32 v13, 15, v13
	v_lshlrev_b32_e32 v15, v15, v6
	v_sub_u32_e32 v14, 29, v14
	v_and_b32_e32 v15, 7, v15
	v_cmp_eq_u16_e32 vcc, 0, v13
	v_cndmask_b32_e32 v12, v12, v15, vcc
	v_cndmask_b32_e32 v13, v13, v14, vcc
	v_lshlrev_b32_e32 v14, 24, v6
	v_mov_b32_e32 v15, 0x3b800000
	v_lshlrev_b32_e32 v12, 20, v12
	v_and_b32_e32 v14, 0x80000000, v14
	v_lshl_add_u32 v13, v13, 23, v15
	v_or3_b32 v12, v14, v13, v12
.LBB3_4:
	s_or_b64 exec, exec, s[6:7]
	s_movk_i32 s4, 0x7f
	v_cmp_gt_i16_sdwa s[6:7], v2, s4 src0_sel:BYTE_0 src1_sel:DWORD
	s_mov_b64 s[4:5], 0
                                        ; implicit-def: $sgpr10
	s_and_saveexec_b64 s[8:9], s[6:7]
	s_xor_b64 s[6:7], exec, s[8:9]
	s_cbranch_execnz .LBB3_2053
; %bb.5:
	s_or_saveexec_b64 s[6:7], s[6:7]
	v_mov_b32_e32 v13, s10
	s_xor_b64 exec, exec, s[6:7]
	s_cbranch_execnz .LBB3_2056
.LBB3_6:
	s_or_b64 exec, exec, s[6:7]
	s_and_saveexec_b64 s[6:7], s[4:5]
	s_cbranch_execz .LBB3_8
.LBB3_7:
	v_and_b32_e32 v13, 7, v2
	v_ffbh_u32_e32 v15, v13
	v_min_u32_e32 v15, 32, v15
	v_lshrrev_b16_e32 v14, 3, v2
	v_subrev_u32_e32 v16, 28, v15
	v_and_b32_e32 v14, 15, v14
	v_lshlrev_b32_e32 v16, v16, v2
	v_sub_u32_e32 v15, 29, v15
	v_and_b32_e32 v16, 7, v16
	v_cmp_eq_u16_e32 vcc, 0, v14
	v_cndmask_b32_e32 v13, v13, v16, vcc
	v_cndmask_b32_e32 v14, v14, v15, vcc
	v_lshlrev_b32_e32 v15, 24, v2
	v_mov_b32_e32 v16, 0x3b800000
	v_lshlrev_b32_e32 v13, 20, v13
	v_and_b32_e32 v15, 0x80000000, v15
	v_lshl_add_u32 v14, v14, 23, v16
	v_or3_b32 v13, v15, v14, v13
.LBB3_8:
	s_or_b64 exec, exec, s[6:7]
	flat_load_dwordx4 a[0:3], v[10:11]
	s_movk_i32 s4, 0x7f
                                        ; implicit-def: $sgpr10
	s_waitcnt vmcnt(0) lgkmcnt(0)
	v_mfma_f32_16x16x4f32 a[0:3], v12, v13, a[0:3]
	v_lshrrev_b32_e32 v13, 8, v6
	v_cmp_gt_i16_sdwa s[6:7], v13, s4 src0_sel:BYTE_0 src1_sel:DWORD
	s_mov_b64 s[4:5], 0
	s_and_saveexec_b64 s[8:9], s[6:7]
	s_xor_b64 s[6:7], exec, s[8:9]
	s_cbranch_execnz .LBB3_2057
; %bb.9:
	s_or_saveexec_b64 s[6:7], s[6:7]
	v_mov_b32_e32 v12, s10
	s_xor_b64 exec, exec, s[6:7]
	s_cbranch_execnz .LBB3_2060
.LBB3_10:
	s_or_b64 exec, exec, s[6:7]
	s_and_saveexec_b64 s[6:7], s[4:5]
	s_cbranch_execz .LBB3_12
.LBB3_11:
	v_bfe_u32 v12, v6, 8, 3
	v_ffbh_u32_e32 v15, v12
	v_min_u32_e32 v15, 32, v15
	v_lshrrev_b16_e32 v14, 3, v13
	v_subrev_u32_e32 v16, 28, v15
	v_and_b32_e32 v14, 15, v14
	v_lshlrev_b32_e32 v13, v16, v13
	v_sub_u32_e32 v15, 29, v15
	v_and_b32_e32 v13, 7, v13
	v_cmp_eq_u16_e32 vcc, 0, v14
	v_cndmask_b32_e32 v12, v12, v13, vcc
	v_cndmask_b32_e32 v13, v14, v15, vcc
	v_lshlrev_b32_e32 v14, 16, v6
	v_mov_b32_e32 v15, 0x3b800000
	v_lshlrev_b32_e32 v12, 20, v12
	v_and_b32_e32 v14, 0x80000000, v14
	v_lshl_add_u32 v13, v13, 23, v15
	v_or3_b32 v12, v14, v13, v12
.LBB3_12:
	s_or_b64 exec, exec, s[6:7]
	v_lshrrev_b32_e32 v13, 8, v2
	s_movk_i32 s4, 0x7f
	v_cmp_gt_i16_sdwa s[6:7], v13, s4 src0_sel:BYTE_0 src1_sel:DWORD
	s_mov_b64 s[4:5], 0
                                        ; implicit-def: $sgpr10
	s_and_saveexec_b64 s[8:9], s[6:7]
	s_xor_b64 s[6:7], exec, s[8:9]
	s_cbranch_execnz .LBB3_2061
; %bb.13:
	s_or_saveexec_b64 s[6:7], s[6:7]
	v_mov_b32_e32 v14, s10
	s_xor_b64 exec, exec, s[6:7]
	s_cbranch_execnz .LBB3_2064
.LBB3_14:
	s_or_b64 exec, exec, s[6:7]
	s_and_saveexec_b64 s[6:7], s[4:5]
	s_cbranch_execz .LBB3_16
.LBB3_15:
	v_bfe_u32 v14, v2, 8, 3
	v_ffbh_u32_e32 v16, v14
	v_min_u32_e32 v16, 32, v16
	v_lshrrev_b16_e32 v15, 3, v13
	v_subrev_u32_e32 v17, 28, v16
	v_and_b32_e32 v15, 15, v15
	v_lshlrev_b32_e32 v13, v17, v13
	v_sub_u32_e32 v16, 29, v16
	v_and_b32_e32 v13, 7, v13
	v_cmp_eq_u16_e32 vcc, 0, v15
	v_cndmask_b32_e32 v13, v14, v13, vcc
	v_cndmask_b32_e32 v14, v15, v16, vcc
	v_lshlrev_b32_e32 v15, 16, v2
	v_mov_b32_e32 v16, 0x3b800000
	v_lshlrev_b32_e32 v13, 20, v13
	v_and_b32_e32 v15, 0x80000000, v15
	v_lshl_add_u32 v14, v14, 23, v16
	v_or3_b32 v14, v15, v14, v13
.LBB3_16:
	s_or_b64 exec, exec, s[6:7]
	s_nop 0
	v_mfma_f32_16x16x4f32 a[0:3], v12, v14, a[0:3]
	s_movk_i32 s4, 0xff
	v_and_b32_sdwa v13, v6, s4 dst_sel:DWORD dst_unused:UNUSED_PAD src0_sel:WORD_1 src1_sel:DWORD
	s_movk_i32 s4, 0x7f
	v_cmp_lt_i16_e32 vcc, s4, v13
	s_mov_b64 s[4:5], 0
                                        ; implicit-def: $sgpr10
	s_and_saveexec_b64 s[6:7], vcc
	s_xor_b64 s[6:7], exec, s[6:7]
	s_cbranch_execnz .LBB3_2065
; %bb.17:
	s_or_saveexec_b64 s[6:7], s[6:7]
	v_mov_b32_e32 v12, s10
	s_xor_b64 exec, exec, s[6:7]
	s_cbranch_execnz .LBB3_2068
.LBB3_18:
	s_or_b64 exec, exec, s[6:7]
	s_and_saveexec_b64 s[6:7], s[4:5]
	s_cbranch_execz .LBB3_20
.LBB3_19:
	v_bfe_u32 v12, v6, 16, 3
	v_ffbh_u32_e32 v15, v12
	v_min_u32_e32 v15, 32, v15
	v_lshrrev_b32_e32 v13, 19, v6
	v_subrev_u32_e32 v16, 28, v15
	v_and_b32_e32 v13, 15, v13
	v_lshlrev_b32_sdwa v16, v16, v6 dst_sel:DWORD dst_unused:UNUSED_PAD src0_sel:DWORD src1_sel:WORD_1
	v_bfe_u32 v14, v6, 19, 4
	v_sub_u32_e32 v15, 29, v15
	v_and_b32_e32 v16, 7, v16
	v_cmp_eq_u16_e32 vcc, 0, v13
	v_cndmask_b32_e32 v12, v12, v16, vcc
	v_cndmask_b32_e32 v13, v14, v15, vcc
	v_lshlrev_b32_e32 v14, 8, v6
	v_mov_b32_e32 v15, 0x3b800000
	v_lshlrev_b32_e32 v12, 20, v12
	v_and_b32_e32 v14, 0x80000000, v14
	v_lshl_add_u32 v13, v13, 23, v15
	v_or3_b32 v12, v14, v13, v12
.LBB3_20:
	s_or_b64 exec, exec, s[6:7]
	s_movk_i32 s4, 0xff
	v_and_b32_sdwa v13, v2, s4 dst_sel:DWORD dst_unused:UNUSED_PAD src0_sel:WORD_1 src1_sel:DWORD
	s_movk_i32 s4, 0x7f
	v_cmp_lt_i16_e32 vcc, s4, v13
	s_mov_b64 s[4:5], 0
                                        ; implicit-def: $sgpr10
	s_and_saveexec_b64 s[6:7], vcc
	s_xor_b64 s[6:7], exec, s[6:7]
	s_cbranch_execnz .LBB3_2069
; %bb.21:
	s_or_saveexec_b64 s[6:7], s[6:7]
	v_mov_b32_e32 v14, s10
	s_xor_b64 exec, exec, s[6:7]
	s_cbranch_execnz .LBB3_2072
.LBB3_22:
	s_or_b64 exec, exec, s[6:7]
	s_and_saveexec_b64 s[6:7], s[4:5]
	s_cbranch_execz .LBB3_24
.LBB3_23:
	v_bfe_u32 v13, v2, 16, 3
	v_ffbh_u32_e32 v16, v13
	v_min_u32_e32 v16, 32, v16
	v_lshrrev_b32_e32 v14, 19, v2
	v_subrev_u32_e32 v17, 28, v16
	v_and_b32_e32 v14, 15, v14
	v_lshlrev_b32_sdwa v17, v17, v2 dst_sel:DWORD dst_unused:UNUSED_PAD src0_sel:DWORD src1_sel:WORD_1
	v_bfe_u32 v15, v2, 19, 4
	v_sub_u32_e32 v16, 29, v16
	v_and_b32_e32 v17, 7, v17
	v_cmp_eq_u16_e32 vcc, 0, v14
	v_cndmask_b32_e32 v13, v13, v17, vcc
	v_cndmask_b32_e32 v14, v15, v16, vcc
	v_lshlrev_b32_e32 v15, 8, v2
	v_mov_b32_e32 v16, 0x3b800000
	v_lshlrev_b32_e32 v13, 20, v13
	v_and_b32_e32 v15, 0x80000000, v15
	v_lshl_add_u32 v14, v14, 23, v16
	v_or3_b32 v14, v15, v14, v13
.LBB3_24:
	s_or_b64 exec, exec, s[6:7]
	s_nop 0
	v_mfma_f32_16x16x4f32 a[0:3], v12, v14, a[0:3]
	s_movk_i32 s4, 0x7f
	v_cmp_gt_i16_sdwa s[6:7], v6, s4 src0_sel:BYTE_3 src1_sel:DWORD
	s_mov_b64 s[4:5], 0
                                        ; implicit-def: $sgpr10
	s_and_saveexec_b64 s[8:9], s[6:7]
	s_xor_b64 s[6:7], exec, s[8:9]
	s_cbranch_execnz .LBB3_2073
; %bb.25:
	s_or_saveexec_b64 s[6:7], s[6:7]
	v_mov_b32_e32 v12, s10
	s_xor_b64 exec, exec, s[6:7]
	s_cbranch_execnz .LBB3_2076
.LBB3_26:
	s_or_b64 exec, exec, s[6:7]
	s_and_saveexec_b64 s[6:7], s[4:5]
	s_cbranch_execz .LBB3_28
.LBB3_27:
	v_bfe_u32 v12, v6, 24, 3
	v_ffbh_u32_e32 v16, v12
	v_min_u32_e32 v16, 32, v16
	v_lshrrev_b32_e32 v14, 27, v6
	v_subrev_u32_e32 v17, 28, v16
	v_and_b32_e32 v13, 0x80000000, v6
	v_and_b32_e32 v14, 15, v14
	v_bfe_u32 v15, v6, 27, 4
	v_lshlrev_b32_sdwa v6, v17, v6 dst_sel:DWORD dst_unused:UNUSED_PAD src0_sel:DWORD src1_sel:BYTE_3
	v_sub_u32_e32 v16, 29, v16
	v_and_b32_e32 v6, 7, v6
	v_cmp_eq_u16_e32 vcc, 0, v14
	v_cndmask_b32_e32 v6, v12, v6, vcc
	v_cndmask_b32_e32 v12, v15, v16, vcc
	v_mov_b32_e32 v14, 0x3b800000
	v_lshlrev_b32_e32 v6, 20, v6
	v_lshl_add_u32 v12, v12, 23, v14
	v_or3_b32 v12, v13, v12, v6
.LBB3_28:
	s_or_b64 exec, exec, s[6:7]
	s_movk_i32 s4, 0x7f
	v_cmp_gt_i16_sdwa s[6:7], v2, s4 src0_sel:BYTE_3 src1_sel:DWORD
	s_mov_b64 s[4:5], 0
                                        ; implicit-def: $sgpr10
	s_and_saveexec_b64 s[8:9], s[6:7]
	s_xor_b64 s[6:7], exec, s[8:9]
	s_cbranch_execnz .LBB3_2077
; %bb.29:
	s_or_saveexec_b64 s[6:7], s[6:7]
	v_mov_b32_e32 v6, s10
	s_xor_b64 exec, exec, s[6:7]
	s_cbranch_execnz .LBB3_2080
.LBB3_30:
	s_or_b64 exec, exec, s[6:7]
	s_and_saveexec_b64 s[6:7], s[4:5]
	s_cbranch_execz .LBB3_32
.LBB3_31:
	v_bfe_u32 v6, v2, 24, 3
	v_ffbh_u32_e32 v16, v6
	v_min_u32_e32 v16, 32, v16
	v_lshrrev_b32_e32 v14, 27, v2
	v_subrev_u32_e32 v17, 28, v16
	v_and_b32_e32 v13, 0x80000000, v2
	v_and_b32_e32 v14, 15, v14
	v_bfe_u32 v15, v2, 27, 4
	v_lshlrev_b32_sdwa v2, v17, v2 dst_sel:DWORD dst_unused:UNUSED_PAD src0_sel:DWORD src1_sel:BYTE_3
	v_sub_u32_e32 v16, 29, v16
	v_and_b32_e32 v2, 7, v2
	v_cmp_eq_u16_e32 vcc, 0, v14
	v_cndmask_b32_e32 v2, v6, v2, vcc
	v_cndmask_b32_e32 v6, v15, v16, vcc
	v_mov_b32_e32 v14, 0x3b800000
	v_lshlrev_b32_e32 v2, 20, v2
	v_lshl_add_u32 v6, v6, 23, v14
	v_or3_b32 v6, v13, v6, v2
.LBB3_32:
	s_or_b64 exec, exec, s[6:7]
	s_nop 0
	v_mfma_f32_16x16x4f32 a[0:3], v12, v6, a[0:3]
	s_movk_i32 s4, 0x7f
	v_cmp_gt_i16_sdwa s[6:7], v7, s4 src0_sel:BYTE_0 src1_sel:DWORD
	s_mov_b64 s[4:5], 0
                                        ; implicit-def: $sgpr10
	s_and_saveexec_b64 s[8:9], s[6:7]
	s_xor_b64 s[6:7], exec, s[8:9]
	s_cbranch_execnz .LBB3_2081
; %bb.33:
	s_or_saveexec_b64 s[6:7], s[6:7]
	v_mov_b32_e32 v2, s10
	s_xor_b64 exec, exec, s[6:7]
	s_cbranch_execnz .LBB3_2084
.LBB3_34:
	s_or_b64 exec, exec, s[6:7]
	s_and_saveexec_b64 s[6:7], s[4:5]
	s_cbranch_execz .LBB3_36
.LBB3_35:
	v_and_b32_e32 v2, 7, v7
	v_ffbh_u32_e32 v12, v2
	v_min_u32_e32 v12, 32, v12
	v_lshrrev_b16_e32 v6, 3, v7
	v_subrev_u32_e32 v13, 28, v12
	v_and_b32_e32 v6, 15, v6
	v_lshlrev_b32_e32 v13, v13, v7
	v_sub_u32_e32 v12, 29, v12
	v_and_b32_e32 v13, 7, v13
	v_cmp_eq_u16_e32 vcc, 0, v6
	v_cndmask_b32_e32 v2, v2, v13, vcc
	v_cndmask_b32_e32 v6, v6, v12, vcc
	v_lshlrev_b32_e32 v12, 24, v7
	v_mov_b32_e32 v13, 0x3b800000
	v_lshlrev_b32_e32 v2, 20, v2
	v_and_b32_e32 v12, 0x80000000, v12
	v_lshl_add_u32 v6, v6, 23, v13
	v_or3_b32 v2, v12, v6, v2
.LBB3_36:
	s_or_b64 exec, exec, s[6:7]
	s_movk_i32 s4, 0x7f
	v_cmp_gt_i16_sdwa s[6:7], v3, s4 src0_sel:BYTE_0 src1_sel:DWORD
	s_mov_b64 s[4:5], 0
                                        ; implicit-def: $sgpr10
	s_and_saveexec_b64 s[8:9], s[6:7]
	s_xor_b64 s[6:7], exec, s[8:9]
	s_cbranch_execnz .LBB3_2085
; %bb.37:
	s_or_saveexec_b64 s[6:7], s[6:7]
	v_mov_b32_e32 v6, s10
	s_xor_b64 exec, exec, s[6:7]
	s_cbranch_execnz .LBB3_2088
.LBB3_38:
	s_or_b64 exec, exec, s[6:7]
	s_and_saveexec_b64 s[6:7], s[4:5]
	s_cbranch_execz .LBB3_40
.LBB3_39:
	v_and_b32_e32 v6, 7, v3
	v_ffbh_u32_e32 v13, v6
	v_min_u32_e32 v13, 32, v13
	v_lshrrev_b16_e32 v12, 3, v3
	v_subrev_u32_e32 v14, 28, v13
	v_and_b32_e32 v12, 15, v12
	v_lshlrev_b32_e32 v14, v14, v3
	v_sub_u32_e32 v13, 29, v13
	v_and_b32_e32 v14, 7, v14
	v_cmp_eq_u16_e32 vcc, 0, v12
	v_cndmask_b32_e32 v6, v6, v14, vcc
	v_cndmask_b32_e32 v12, v12, v13, vcc
	v_lshlrev_b32_e32 v13, 24, v3
	v_mov_b32_e32 v14, 0x3b800000
	v_lshlrev_b32_e32 v6, 20, v6
	v_and_b32_e32 v13, 0x80000000, v13
	v_lshl_add_u32 v12, v12, 23, v14
	v_or3_b32 v6, v13, v12, v6
.LBB3_40:
	s_or_b64 exec, exec, s[6:7]
	s_nop 0
	v_mfma_f32_16x16x4f32 a[0:3], v2, v6, a[0:3]
	v_lshrrev_b32_e32 v6, 8, v7
	s_movk_i32 s4, 0x7f
	v_cmp_gt_i16_sdwa s[6:7], v6, s4 src0_sel:BYTE_0 src1_sel:DWORD
	s_mov_b64 s[4:5], 0
                                        ; implicit-def: $sgpr10
	s_and_saveexec_b64 s[8:9], s[6:7]
	s_xor_b64 s[6:7], exec, s[8:9]
	s_cbranch_execnz .LBB3_2089
; %bb.41:
	s_or_saveexec_b64 s[6:7], s[6:7]
	v_mov_b32_e32 v2, s10
	s_xor_b64 exec, exec, s[6:7]
	s_cbranch_execnz .LBB3_2092
.LBB3_42:
	s_or_b64 exec, exec, s[6:7]
	s_and_saveexec_b64 s[6:7], s[4:5]
	s_cbranch_execz .LBB3_44
.LBB3_43:
	v_bfe_u32 v2, v7, 8, 3
	v_ffbh_u32_e32 v13, v2
	v_min_u32_e32 v13, 32, v13
	v_lshrrev_b16_e32 v12, 3, v6
	v_subrev_u32_e32 v14, 28, v13
	v_and_b32_e32 v12, 15, v12
	v_lshlrev_b32_e32 v6, v14, v6
	v_sub_u32_e32 v13, 29, v13
	v_and_b32_e32 v6, 7, v6
	v_cmp_eq_u16_e32 vcc, 0, v12
	v_cndmask_b32_e32 v2, v2, v6, vcc
	v_cndmask_b32_e32 v6, v12, v13, vcc
	v_lshlrev_b32_e32 v12, 16, v7
	v_mov_b32_e32 v13, 0x3b800000
	v_lshlrev_b32_e32 v2, 20, v2
	v_and_b32_e32 v12, 0x80000000, v12
	v_lshl_add_u32 v6, v6, 23, v13
	v_or3_b32 v2, v12, v6, v2
.LBB3_44:
	s_or_b64 exec, exec, s[6:7]
	v_lshrrev_b32_e32 v6, 8, v3
	s_movk_i32 s4, 0x7f
	v_cmp_gt_i16_sdwa s[6:7], v6, s4 src0_sel:BYTE_0 src1_sel:DWORD
	s_mov_b64 s[4:5], 0
                                        ; implicit-def: $sgpr10
	s_and_saveexec_b64 s[8:9], s[6:7]
	s_xor_b64 s[6:7], exec, s[8:9]
	s_cbranch_execnz .LBB3_2093
; %bb.45:
	s_or_saveexec_b64 s[6:7], s[6:7]
	v_mov_b32_e32 v12, s10
	s_xor_b64 exec, exec, s[6:7]
	s_cbranch_execnz .LBB3_2096
.LBB3_46:
	s_or_b64 exec, exec, s[6:7]
	s_and_saveexec_b64 s[6:7], s[4:5]
	s_cbranch_execz .LBB3_48
.LBB3_47:
	v_bfe_u32 v12, v3, 8, 3
	v_ffbh_u32_e32 v14, v12
	v_min_u32_e32 v14, 32, v14
	v_lshrrev_b16_e32 v13, 3, v6
	v_subrev_u32_e32 v15, 28, v14
	v_and_b32_e32 v13, 15, v13
	v_lshlrev_b32_e32 v6, v15, v6
	v_sub_u32_e32 v14, 29, v14
	v_and_b32_e32 v6, 7, v6
	v_cmp_eq_u16_e32 vcc, 0, v13
	v_cndmask_b32_e32 v6, v12, v6, vcc
	v_cndmask_b32_e32 v12, v13, v14, vcc
	v_lshlrev_b32_e32 v13, 16, v3
	v_mov_b32_e32 v14, 0x3b800000
	v_lshlrev_b32_e32 v6, 20, v6
	v_and_b32_e32 v13, 0x80000000, v13
	v_lshl_add_u32 v12, v12, 23, v14
	v_or3_b32 v12, v13, v12, v6
.LBB3_48:
	s_or_b64 exec, exec, s[6:7]
	s_nop 0
	v_mfma_f32_16x16x4f32 a[0:3], v2, v12, a[0:3]
	s_movk_i32 s4, 0xff
	v_and_b32_sdwa v6, v7, s4 dst_sel:DWORD dst_unused:UNUSED_PAD src0_sel:WORD_1 src1_sel:DWORD
	s_movk_i32 s4, 0x7f
	v_cmp_lt_i16_e32 vcc, s4, v6
	s_mov_b64 s[4:5], 0
                                        ; implicit-def: $sgpr10
	s_and_saveexec_b64 s[6:7], vcc
	s_xor_b64 s[6:7], exec, s[6:7]
	s_cbranch_execnz .LBB3_2097
; %bb.49:
	s_or_saveexec_b64 s[6:7], s[6:7]
	v_mov_b32_e32 v2, s10
	s_xor_b64 exec, exec, s[6:7]
	s_cbranch_execnz .LBB3_2100
.LBB3_50:
	s_or_b64 exec, exec, s[6:7]
	s_and_saveexec_b64 s[6:7], s[4:5]
	s_cbranch_execz .LBB3_52
.LBB3_51:
	v_bfe_u32 v2, v7, 16, 3
	v_ffbh_u32_e32 v13, v2
	v_min_u32_e32 v13, 32, v13
	v_lshrrev_b32_e32 v6, 19, v7
	v_subrev_u32_e32 v14, 28, v13
	v_and_b32_e32 v6, 15, v6
	v_lshlrev_b32_sdwa v14, v14, v7 dst_sel:DWORD dst_unused:UNUSED_PAD src0_sel:DWORD src1_sel:WORD_1
	v_bfe_u32 v12, v7, 19, 4
	v_sub_u32_e32 v13, 29, v13
	v_and_b32_e32 v14, 7, v14
	v_cmp_eq_u16_e32 vcc, 0, v6
	v_cndmask_b32_e32 v2, v2, v14, vcc
	v_cndmask_b32_e32 v6, v12, v13, vcc
	v_lshlrev_b32_e32 v12, 8, v7
	v_mov_b32_e32 v13, 0x3b800000
	v_lshlrev_b32_e32 v2, 20, v2
	v_and_b32_e32 v12, 0x80000000, v12
	v_lshl_add_u32 v6, v6, 23, v13
	v_or3_b32 v2, v12, v6, v2
.LBB3_52:
	s_or_b64 exec, exec, s[6:7]
	s_movk_i32 s4, 0xff
	v_and_b32_sdwa v6, v3, s4 dst_sel:DWORD dst_unused:UNUSED_PAD src0_sel:WORD_1 src1_sel:DWORD
	s_movk_i32 s4, 0x7f
	v_cmp_lt_i16_e32 vcc, s4, v6
	s_mov_b64 s[4:5], 0
                                        ; implicit-def: $sgpr10
	s_and_saveexec_b64 s[6:7], vcc
	s_xor_b64 s[6:7], exec, s[6:7]
	s_cbranch_execnz .LBB3_2101
; %bb.53:
	s_or_saveexec_b64 s[6:7], s[6:7]
	v_mov_b32_e32 v12, s10
	s_xor_b64 exec, exec, s[6:7]
	s_cbranch_execnz .LBB3_2104
.LBB3_54:
	s_or_b64 exec, exec, s[6:7]
	s_and_saveexec_b64 s[6:7], s[4:5]
	s_cbranch_execz .LBB3_56
.LBB3_55:
	v_bfe_u32 v6, v3, 16, 3
	v_ffbh_u32_e32 v14, v6
	v_min_u32_e32 v14, 32, v14
	v_lshrrev_b32_e32 v12, 19, v3
	v_subrev_u32_e32 v15, 28, v14
	v_and_b32_e32 v12, 15, v12
	v_lshlrev_b32_sdwa v15, v15, v3 dst_sel:DWORD dst_unused:UNUSED_PAD src0_sel:DWORD src1_sel:WORD_1
	v_bfe_u32 v13, v3, 19, 4
	v_sub_u32_e32 v14, 29, v14
	v_and_b32_e32 v15, 7, v15
	v_cmp_eq_u16_e32 vcc, 0, v12
	v_cndmask_b32_e32 v6, v6, v15, vcc
	v_cndmask_b32_e32 v12, v13, v14, vcc
	v_lshlrev_b32_e32 v13, 8, v3
	v_mov_b32_e32 v14, 0x3b800000
	v_lshlrev_b32_e32 v6, 20, v6
	v_and_b32_e32 v13, 0x80000000, v13
	v_lshl_add_u32 v12, v12, 23, v14
	v_or3_b32 v12, v13, v12, v6
.LBB3_56:
	s_or_b64 exec, exec, s[6:7]
	s_nop 0
	v_mfma_f32_16x16x4f32 a[0:3], v2, v12, a[0:3]
	s_movk_i32 s4, 0x7f
	v_cmp_gt_i16_sdwa s[6:7], v7, s4 src0_sel:BYTE_3 src1_sel:DWORD
	s_mov_b64 s[4:5], 0
                                        ; implicit-def: $sgpr10
	s_and_saveexec_b64 s[8:9], s[6:7]
	s_xor_b64 s[6:7], exec, s[8:9]
	s_cbranch_execnz .LBB3_2105
; %bb.57:
	s_or_saveexec_b64 s[6:7], s[6:7]
	v_mov_b32_e32 v2, s10
	s_xor_b64 exec, exec, s[6:7]
	s_cbranch_execnz .LBB3_2108
.LBB3_58:
	s_or_b64 exec, exec, s[6:7]
	s_and_saveexec_b64 s[6:7], s[4:5]
	s_cbranch_execz .LBB3_60
.LBB3_59:
	v_bfe_u32 v2, v7, 24, 3
	v_ffbh_u32_e32 v14, v2
	v_min_u32_e32 v14, 32, v14
	v_lshrrev_b32_e32 v12, 27, v7
	v_subrev_u32_e32 v15, 28, v14
	v_and_b32_e32 v6, 0x80000000, v7
	v_and_b32_e32 v12, 15, v12
	v_bfe_u32 v13, v7, 27, 4
	v_lshlrev_b32_sdwa v7, v15, v7 dst_sel:DWORD dst_unused:UNUSED_PAD src0_sel:DWORD src1_sel:BYTE_3
	v_sub_u32_e32 v14, 29, v14
	v_and_b32_e32 v7, 7, v7
	v_cmp_eq_u16_e32 vcc, 0, v12
	v_cndmask_b32_e32 v2, v2, v7, vcc
	v_cndmask_b32_e32 v7, v13, v14, vcc
	v_mov_b32_e32 v12, 0x3b800000
	v_lshlrev_b32_e32 v2, 20, v2
	v_lshl_add_u32 v7, v7, 23, v12
	v_or3_b32 v2, v6, v7, v2
.LBB3_60:
	s_or_b64 exec, exec, s[6:7]
	s_movk_i32 s4, 0x7f
	v_cmp_gt_i16_sdwa s[6:7], v3, s4 src0_sel:BYTE_3 src1_sel:DWORD
	s_mov_b64 s[4:5], 0
                                        ; implicit-def: $sgpr10
	s_and_saveexec_b64 s[8:9], s[6:7]
	s_xor_b64 s[6:7], exec, s[8:9]
	s_cbranch_execnz .LBB3_2109
; %bb.61:
	s_or_saveexec_b64 s[6:7], s[6:7]
	v_mov_b32_e32 v6, s10
	s_xor_b64 exec, exec, s[6:7]
	s_cbranch_execnz .LBB3_2112
.LBB3_62:
	s_or_b64 exec, exec, s[6:7]
	s_and_saveexec_b64 s[6:7], s[4:5]
	s_cbranch_execz .LBB3_64
.LBB3_63:
	v_bfe_u32 v6, v3, 24, 3
	v_ffbh_u32_e32 v14, v6
	v_min_u32_e32 v14, 32, v14
	v_lshrrev_b32_e32 v12, 27, v3
	v_subrev_u32_e32 v15, 28, v14
	v_and_b32_e32 v7, 0x80000000, v3
	v_and_b32_e32 v12, 15, v12
	v_bfe_u32 v13, v3, 27, 4
	v_lshlrev_b32_sdwa v3, v15, v3 dst_sel:DWORD dst_unused:UNUSED_PAD src0_sel:DWORD src1_sel:BYTE_3
	v_sub_u32_e32 v14, 29, v14
	v_and_b32_e32 v3, 7, v3
	v_cmp_eq_u16_e32 vcc, 0, v12
	v_cndmask_b32_e32 v3, v6, v3, vcc
	v_cndmask_b32_e32 v6, v13, v14, vcc
	v_mov_b32_e32 v12, 0x3b800000
	v_lshlrev_b32_e32 v3, 20, v3
	v_lshl_add_u32 v6, v6, 23, v12
	v_or3_b32 v6, v7, v6, v3
.LBB3_64:
	s_or_b64 exec, exec, s[6:7]
	s_nop 0
	v_mfma_f32_16x16x4f32 a[0:3], v2, v6, a[0:3]
	s_movk_i32 s4, 0x7f
	v_cmp_gt_i16_sdwa s[6:7], v8, s4 src0_sel:BYTE_0 src1_sel:DWORD
	s_mov_b64 s[4:5], 0
                                        ; implicit-def: $sgpr10
	s_and_saveexec_b64 s[8:9], s[6:7]
	s_xor_b64 s[6:7], exec, s[8:9]
	s_cbranch_execnz .LBB3_2113
; %bb.65:
	s_or_saveexec_b64 s[6:7], s[6:7]
	v_mov_b32_e32 v2, s10
	s_xor_b64 exec, exec, s[6:7]
	s_cbranch_execnz .LBB3_2116
.LBB3_66:
	s_or_b64 exec, exec, s[6:7]
	s_and_saveexec_b64 s[6:7], s[4:5]
	s_cbranch_execz .LBB3_68
.LBB3_67:
	v_and_b32_e32 v2, 7, v8
	v_ffbh_u32_e32 v6, v2
	v_min_u32_e32 v6, 32, v6
	v_lshrrev_b16_e32 v3, 3, v8
	v_subrev_u32_e32 v7, 28, v6
	v_and_b32_e32 v3, 15, v3
	v_lshlrev_b32_e32 v7, v7, v8
	v_sub_u32_e32 v6, 29, v6
	v_and_b32_e32 v7, 7, v7
	v_cmp_eq_u16_e32 vcc, 0, v3
	v_cndmask_b32_e32 v2, v2, v7, vcc
	v_cndmask_b32_e32 v3, v3, v6, vcc
	v_lshlrev_b32_e32 v6, 24, v8
	v_mov_b32_e32 v7, 0x3b800000
	v_lshlrev_b32_e32 v2, 20, v2
	v_and_b32_e32 v6, 0x80000000, v6
	v_lshl_add_u32 v3, v3, 23, v7
	v_or3_b32 v2, v6, v3, v2
.LBB3_68:
	s_or_b64 exec, exec, s[6:7]
	s_movk_i32 s4, 0x7f
	v_cmp_gt_i16_sdwa s[6:7], v4, s4 src0_sel:BYTE_0 src1_sel:DWORD
	s_mov_b64 s[4:5], 0
                                        ; implicit-def: $sgpr10
	s_and_saveexec_b64 s[8:9], s[6:7]
	s_xor_b64 s[6:7], exec, s[8:9]
	s_cbranch_execnz .LBB3_2117
; %bb.69:
	s_or_saveexec_b64 s[6:7], s[6:7]
	v_mov_b32_e32 v3, s10
	s_xor_b64 exec, exec, s[6:7]
	s_cbranch_execnz .LBB3_2120
.LBB3_70:
	s_or_b64 exec, exec, s[6:7]
	s_and_saveexec_b64 s[6:7], s[4:5]
	s_cbranch_execz .LBB3_72
.LBB3_71:
	v_and_b32_e32 v3, 7, v4
	v_ffbh_u32_e32 v7, v3
	v_min_u32_e32 v7, 32, v7
	v_lshrrev_b16_e32 v6, 3, v4
	v_subrev_u32_e32 v12, 28, v7
	v_and_b32_e32 v6, 15, v6
	v_lshlrev_b32_e32 v12, v12, v4
	v_sub_u32_e32 v7, 29, v7
	v_and_b32_e32 v12, 7, v12
	v_cmp_eq_u16_e32 vcc, 0, v6
	v_cndmask_b32_e32 v3, v3, v12, vcc
	v_cndmask_b32_e32 v6, v6, v7, vcc
	v_lshlrev_b32_e32 v7, 24, v4
	v_mov_b32_e32 v12, 0x3b800000
	v_lshlrev_b32_e32 v3, 20, v3
	v_and_b32_e32 v7, 0x80000000, v7
	v_lshl_add_u32 v6, v6, 23, v12
	v_or3_b32 v3, v7, v6, v3
.LBB3_72:
	s_or_b64 exec, exec, s[6:7]
	s_nop 0
	v_mfma_f32_16x16x4f32 a[0:3], v2, v3, a[0:3]
	v_lshrrev_b32_e32 v3, 8, v8
	s_movk_i32 s4, 0x7f
	v_cmp_gt_i16_sdwa s[6:7], v3, s4 src0_sel:BYTE_0 src1_sel:DWORD
	s_mov_b64 s[4:5], 0
                                        ; implicit-def: $sgpr10
	s_and_saveexec_b64 s[8:9], s[6:7]
	s_xor_b64 s[6:7], exec, s[8:9]
	s_cbranch_execnz .LBB3_2121
; %bb.73:
	s_or_saveexec_b64 s[6:7], s[6:7]
	v_mov_b32_e32 v2, s10
	s_xor_b64 exec, exec, s[6:7]
	s_cbranch_execnz .LBB3_2124
.LBB3_74:
	s_or_b64 exec, exec, s[6:7]
	s_and_saveexec_b64 s[6:7], s[4:5]
	s_cbranch_execz .LBB3_76
.LBB3_75:
	v_bfe_u32 v2, v8, 8, 3
	v_ffbh_u32_e32 v7, v2
	v_min_u32_e32 v7, 32, v7
	v_lshrrev_b16_e32 v6, 3, v3
	v_subrev_u32_e32 v12, 28, v7
	v_and_b32_e32 v6, 15, v6
	v_lshlrev_b32_e32 v3, v12, v3
	v_sub_u32_e32 v7, 29, v7
	v_and_b32_e32 v3, 7, v3
	v_cmp_eq_u16_e32 vcc, 0, v6
	v_cndmask_b32_e32 v2, v2, v3, vcc
	v_cndmask_b32_e32 v3, v6, v7, vcc
	v_lshlrev_b32_e32 v6, 16, v8
	v_mov_b32_e32 v7, 0x3b800000
	v_lshlrev_b32_e32 v2, 20, v2
	v_and_b32_e32 v6, 0x80000000, v6
	v_lshl_add_u32 v3, v3, 23, v7
	v_or3_b32 v2, v6, v3, v2
.LBB3_76:
	s_or_b64 exec, exec, s[6:7]
	v_lshrrev_b32_e32 v3, 8, v4
	s_movk_i32 s4, 0x7f
	v_cmp_gt_i16_sdwa s[6:7], v3, s4 src0_sel:BYTE_0 src1_sel:DWORD
	s_mov_b64 s[4:5], 0
                                        ; implicit-def: $sgpr10
	s_and_saveexec_b64 s[8:9], s[6:7]
	s_xor_b64 s[6:7], exec, s[8:9]
	s_cbranch_execnz .LBB3_2125
; %bb.77:
	s_or_saveexec_b64 s[6:7], s[6:7]
	v_mov_b32_e32 v6, s10
	s_xor_b64 exec, exec, s[6:7]
	s_cbranch_execnz .LBB3_2128
.LBB3_78:
	s_or_b64 exec, exec, s[6:7]
	s_and_saveexec_b64 s[6:7], s[4:5]
	s_cbranch_execz .LBB3_80
.LBB3_79:
	v_bfe_u32 v6, v4, 8, 3
	v_ffbh_u32_e32 v12, v6
	v_min_u32_e32 v12, 32, v12
	v_lshrrev_b16_e32 v7, 3, v3
	v_subrev_u32_e32 v13, 28, v12
	v_and_b32_e32 v7, 15, v7
	v_lshlrev_b32_e32 v3, v13, v3
	v_sub_u32_e32 v12, 29, v12
	v_and_b32_e32 v3, 7, v3
	v_cmp_eq_u16_e32 vcc, 0, v7
	v_cndmask_b32_e32 v3, v6, v3, vcc
	v_cndmask_b32_e32 v6, v7, v12, vcc
	v_lshlrev_b32_e32 v7, 16, v4
	v_mov_b32_e32 v12, 0x3b800000
	v_lshlrev_b32_e32 v3, 20, v3
	v_and_b32_e32 v7, 0x80000000, v7
	v_lshl_add_u32 v6, v6, 23, v12
	v_or3_b32 v6, v7, v6, v3
.LBB3_80:
	s_or_b64 exec, exec, s[6:7]
	s_nop 0
	v_mfma_f32_16x16x4f32 a[0:3], v2, v6, a[0:3]
	s_movk_i32 s4, 0xff
	v_and_b32_sdwa v3, v8, s4 dst_sel:DWORD dst_unused:UNUSED_PAD src0_sel:WORD_1 src1_sel:DWORD
	s_movk_i32 s4, 0x7f
	v_cmp_lt_i16_e32 vcc, s4, v3
	s_mov_b64 s[4:5], 0
                                        ; implicit-def: $sgpr10
	s_and_saveexec_b64 s[6:7], vcc
	s_xor_b64 s[6:7], exec, s[6:7]
	s_cbranch_execnz .LBB3_2129
; %bb.81:
	s_or_saveexec_b64 s[6:7], s[6:7]
	v_mov_b32_e32 v2, s10
	s_xor_b64 exec, exec, s[6:7]
	s_cbranch_execnz .LBB3_2132
.LBB3_82:
	s_or_b64 exec, exec, s[6:7]
	s_and_saveexec_b64 s[6:7], s[4:5]
	s_cbranch_execz .LBB3_84
.LBB3_83:
	v_bfe_u32 v2, v8, 16, 3
	v_ffbh_u32_e32 v7, v2
	v_min_u32_e32 v7, 32, v7
	v_lshrrev_b32_e32 v3, 19, v8
	v_subrev_u32_e32 v12, 28, v7
	v_and_b32_e32 v3, 15, v3
	v_lshlrev_b32_sdwa v12, v12, v8 dst_sel:DWORD dst_unused:UNUSED_PAD src0_sel:DWORD src1_sel:WORD_1
	v_bfe_u32 v6, v8, 19, 4
	v_sub_u32_e32 v7, 29, v7
	v_and_b32_e32 v12, 7, v12
	v_cmp_eq_u16_e32 vcc, 0, v3
	v_cndmask_b32_e32 v2, v2, v12, vcc
	v_cndmask_b32_e32 v3, v6, v7, vcc
	v_lshlrev_b32_e32 v6, 8, v8
	v_mov_b32_e32 v7, 0x3b800000
	v_lshlrev_b32_e32 v2, 20, v2
	v_and_b32_e32 v6, 0x80000000, v6
	v_lshl_add_u32 v3, v3, 23, v7
	v_or3_b32 v2, v6, v3, v2
.LBB3_84:
	s_or_b64 exec, exec, s[6:7]
	s_movk_i32 s4, 0xff
	v_and_b32_sdwa v3, v4, s4 dst_sel:DWORD dst_unused:UNUSED_PAD src0_sel:WORD_1 src1_sel:DWORD
	s_movk_i32 s4, 0x7f
	v_cmp_lt_i16_e32 vcc, s4, v3
	s_mov_b64 s[4:5], 0
                                        ; implicit-def: $sgpr10
	s_and_saveexec_b64 s[6:7], vcc
	s_xor_b64 s[6:7], exec, s[6:7]
	s_cbranch_execnz .LBB3_2133
; %bb.85:
	s_or_saveexec_b64 s[6:7], s[6:7]
	v_mov_b32_e32 v6, s10
	s_xor_b64 exec, exec, s[6:7]
	s_cbranch_execnz .LBB3_2136
.LBB3_86:
	s_or_b64 exec, exec, s[6:7]
	s_and_saveexec_b64 s[6:7], s[4:5]
	s_cbranch_execz .LBB3_88
.LBB3_87:
	v_bfe_u32 v3, v4, 16, 3
	v_ffbh_u32_e32 v12, v3
	v_min_u32_e32 v12, 32, v12
	v_lshrrev_b32_e32 v6, 19, v4
	v_subrev_u32_e32 v13, 28, v12
	v_and_b32_e32 v6, 15, v6
	v_lshlrev_b32_sdwa v13, v13, v4 dst_sel:DWORD dst_unused:UNUSED_PAD src0_sel:DWORD src1_sel:WORD_1
	v_bfe_u32 v7, v4, 19, 4
	v_sub_u32_e32 v12, 29, v12
	v_and_b32_e32 v13, 7, v13
	v_cmp_eq_u16_e32 vcc, 0, v6
	v_cndmask_b32_e32 v3, v3, v13, vcc
	v_cndmask_b32_e32 v6, v7, v12, vcc
	v_lshlrev_b32_e32 v7, 8, v4
	v_mov_b32_e32 v12, 0x3b800000
	v_lshlrev_b32_e32 v3, 20, v3
	v_and_b32_e32 v7, 0x80000000, v7
	v_lshl_add_u32 v6, v6, 23, v12
	v_or3_b32 v6, v7, v6, v3
.LBB3_88:
	s_or_b64 exec, exec, s[6:7]
	s_nop 0
	v_mfma_f32_16x16x4f32 a[0:3], v2, v6, a[0:3]
	s_movk_i32 s4, 0x7f
	v_cmp_gt_i16_sdwa s[6:7], v8, s4 src0_sel:BYTE_3 src1_sel:DWORD
	s_mov_b64 s[4:5], 0
                                        ; implicit-def: $sgpr10
	s_and_saveexec_b64 s[8:9], s[6:7]
	s_xor_b64 s[6:7], exec, s[8:9]
	s_cbranch_execnz .LBB3_2137
; %bb.89:
	s_or_saveexec_b64 s[6:7], s[6:7]
	v_mov_b32_e32 v2, s10
	s_xor_b64 exec, exec, s[6:7]
	s_cbranch_execnz .LBB3_2140
.LBB3_90:
	s_or_b64 exec, exec, s[6:7]
	s_and_saveexec_b64 s[6:7], s[4:5]
	s_cbranch_execz .LBB3_92
.LBB3_91:
	v_bfe_u32 v2, v8, 24, 3
	v_ffbh_u32_e32 v12, v2
	v_min_u32_e32 v12, 32, v12
	v_lshrrev_b32_e32 v6, 27, v8
	v_subrev_u32_e32 v13, 28, v12
	v_and_b32_e32 v3, 0x80000000, v8
	v_and_b32_e32 v6, 15, v6
	v_bfe_u32 v7, v8, 27, 4
	v_lshlrev_b32_sdwa v8, v13, v8 dst_sel:DWORD dst_unused:UNUSED_PAD src0_sel:DWORD src1_sel:BYTE_3
	v_sub_u32_e32 v12, 29, v12
	v_and_b32_e32 v8, 7, v8
	v_cmp_eq_u16_e32 vcc, 0, v6
	v_cndmask_b32_e32 v2, v2, v8, vcc
	v_cndmask_b32_e32 v6, v7, v12, vcc
	v_mov_b32_e32 v7, 0x3b800000
	v_lshlrev_b32_e32 v2, 20, v2
	v_lshl_add_u32 v6, v6, 23, v7
	v_or3_b32 v2, v3, v6, v2
.LBB3_92:
	s_or_b64 exec, exec, s[6:7]
	s_movk_i32 s4, 0x7f
	v_cmp_gt_i16_sdwa s[6:7], v4, s4 src0_sel:BYTE_3 src1_sel:DWORD
	s_mov_b64 s[4:5], 0
                                        ; implicit-def: $sgpr10
	s_and_saveexec_b64 s[8:9], s[6:7]
	s_xor_b64 s[6:7], exec, s[8:9]
	s_cbranch_execnz .LBB3_2141
; %bb.93:
	s_or_saveexec_b64 s[6:7], s[6:7]
	v_mov_b32_e32 v3, s10
	s_xor_b64 exec, exec, s[6:7]
	s_cbranch_execnz .LBB3_2144
.LBB3_94:
	s_or_b64 exec, exec, s[6:7]
	s_and_saveexec_b64 s[6:7], s[4:5]
	s_cbranch_execz .LBB3_96
.LBB3_95:
	v_bfe_u32 v3, v4, 24, 3
	v_ffbh_u32_e32 v12, v3
	v_min_u32_e32 v12, 32, v12
	v_lshrrev_b32_e32 v7, 27, v4
	v_subrev_u32_e32 v13, 28, v12
	v_and_b32_e32 v6, 0x80000000, v4
	v_and_b32_e32 v7, 15, v7
	v_bfe_u32 v8, v4, 27, 4
	v_lshlrev_b32_sdwa v4, v13, v4 dst_sel:DWORD dst_unused:UNUSED_PAD src0_sel:DWORD src1_sel:BYTE_3
	v_sub_u32_e32 v12, 29, v12
	v_and_b32_e32 v4, 7, v4
	v_cmp_eq_u16_e32 vcc, 0, v7
	v_cndmask_b32_e32 v3, v3, v4, vcc
	v_cndmask_b32_e32 v4, v8, v12, vcc
	v_mov_b32_e32 v7, 0x3b800000
	v_lshlrev_b32_e32 v3, 20, v3
	v_lshl_add_u32 v4, v4, 23, v7
	v_or3_b32 v3, v6, v4, v3
.LBB3_96:
	s_or_b64 exec, exec, s[6:7]
	s_nop 0
	v_mfma_f32_16x16x4f32 a[0:3], v2, v3, a[0:3]
	s_movk_i32 s4, 0x7f
	v_cmp_gt_i16_sdwa s[6:7], v9, s4 src0_sel:BYTE_0 src1_sel:DWORD
	s_mov_b64 s[4:5], 0
                                        ; implicit-def: $sgpr10
	s_and_saveexec_b64 s[8:9], s[6:7]
	s_xor_b64 s[6:7], exec, s[8:9]
	s_cbranch_execnz .LBB3_2145
; %bb.97:
	s_or_saveexec_b64 s[6:7], s[6:7]
	v_mov_b32_e32 v2, s10
	s_xor_b64 exec, exec, s[6:7]
	s_cbranch_execnz .LBB3_2148
.LBB3_98:
	s_or_b64 exec, exec, s[6:7]
	s_and_saveexec_b64 s[6:7], s[4:5]
	s_cbranch_execz .LBB3_100
.LBB3_99:
	v_mov_b32_e32 v2, 8
	v_and_b32_e32 v3, 7, v9
	v_lshrrev_b32_sdwa v2, v2, v9 dst_sel:BYTE_1 dst_unused:UNUSED_PAD src0_sel:DWORD src1_sel:DWORD
	v_ffbh_u32_e32 v4, v3
	v_or_b32_sdwa v2, v9, v2 dst_sel:DWORD dst_unused:UNUSED_PAD src0_sel:BYTE_0 src1_sel:DWORD
	v_min_u32_e32 v4, 32, v4
	v_lshrrev_b16_e32 v2, 3, v2
	v_subrev_u32_e32 v6, 28, v4
	v_and_b32_e32 v2, 15, v2
	v_lshlrev_b32_e32 v6, v6, v9
	v_sub_u32_e32 v4, 29, v4
	v_and_b32_e32 v6, 7, v6
	v_cmp_eq_u16_e32 vcc, 0, v2
	v_cndmask_b32_e32 v3, v3, v6, vcc
	v_cndmask_b32_e32 v2, v2, v4, vcc
	v_lshlrev_b32_e32 v4, 24, v9
	v_mov_b32_e32 v6, 0x3b800000
	v_lshlrev_b32_e32 v3, 20, v3
	v_and_b32_e32 v4, 0x80000000, v4
	v_lshl_add_u32 v2, v2, 23, v6
	v_or3_b32 v2, v4, v2, v3
.LBB3_100:
	s_or_b64 exec, exec, s[6:7]
	s_movk_i32 s4, 0x7f
	v_cmp_gt_i16_sdwa s[6:7], v5, s4 src0_sel:BYTE_0 src1_sel:DWORD
	s_mov_b64 s[4:5], 0
                                        ; implicit-def: $sgpr10
	s_and_saveexec_b64 s[8:9], s[6:7]
	s_xor_b64 s[6:7], exec, s[8:9]
	s_cbranch_execnz .LBB3_2149
; %bb.101:
	s_or_saveexec_b64 s[6:7], s[6:7]
	v_mov_b32_e32 v3, s10
	s_xor_b64 exec, exec, s[6:7]
	s_cbranch_execnz .LBB3_2152
.LBB3_102:
	s_or_b64 exec, exec, s[6:7]
	s_and_saveexec_b64 s[6:7], s[4:5]
	s_cbranch_execz .LBB3_104
.LBB3_103:
	v_mov_b32_e32 v3, 8
	v_and_b32_e32 v4, 7, v5
	v_lshrrev_b32_sdwa v3, v3, v5 dst_sel:BYTE_1 dst_unused:UNUSED_PAD src0_sel:DWORD src1_sel:DWORD
	v_ffbh_u32_e32 v6, v4
	v_or_b32_sdwa v3, v5, v3 dst_sel:DWORD dst_unused:UNUSED_PAD src0_sel:BYTE_0 src1_sel:DWORD
	v_min_u32_e32 v6, 32, v6
	v_lshrrev_b16_e32 v3, 3, v3
	v_subrev_u32_e32 v7, 28, v6
	v_and_b32_e32 v3, 15, v3
	v_lshlrev_b32_e32 v7, v7, v5
	v_sub_u32_e32 v6, 29, v6
	v_and_b32_e32 v7, 7, v7
	v_cmp_eq_u16_e32 vcc, 0, v3
	v_cndmask_b32_e32 v4, v4, v7, vcc
	v_cndmask_b32_e32 v3, v3, v6, vcc
	v_lshlrev_b32_e32 v6, 24, v5
	v_mov_b32_e32 v7, 0x3b800000
	v_lshlrev_b32_e32 v4, 20, v4
	v_and_b32_e32 v6, 0x80000000, v6
	v_lshl_add_u32 v3, v3, 23, v7
	v_or3_b32 v3, v6, v3, v4
.LBB3_104:
	s_or_b64 exec, exec, s[6:7]
	s_nop 0
	v_mfma_f32_16x16x4f32 a[0:3], v2, v3, a[0:3]
	v_lshrrev_b32_e32 v3, 8, v9
	s_movk_i32 s4, 0x7f
	v_cmp_gt_i16_sdwa s[6:7], v3, s4 src0_sel:BYTE_0 src1_sel:DWORD
	s_mov_b64 s[4:5], 0
                                        ; implicit-def: $sgpr10
	s_and_saveexec_b64 s[8:9], s[6:7]
	s_xor_b64 s[6:7], exec, s[8:9]
	s_cbranch_execnz .LBB3_2153
; %bb.105:
	s_or_saveexec_b64 s[6:7], s[6:7]
	v_mov_b32_e32 v2, s10
	s_xor_b64 exec, exec, s[6:7]
	s_cbranch_execnz .LBB3_2156
.LBB3_106:
	s_or_b64 exec, exec, s[6:7]
	s_and_saveexec_b64 s[6:7], s[4:5]
	s_cbranch_execz .LBB3_108
.LBB3_107:
	v_bfe_u32 v2, v9, 8, 3
	v_ffbh_u32_e32 v6, v2
	v_min_u32_e32 v6, 32, v6
	v_lshrrev_b16_e32 v4, 3, v3
	v_subrev_u32_e32 v7, 28, v6
	v_and_b32_e32 v4, 15, v4
	v_lshlrev_b32_e32 v3, v7, v3
	v_sub_u32_e32 v6, 29, v6
	v_and_b32_e32 v3, 7, v3
	v_cmp_eq_u16_e32 vcc, 0, v4
	v_cndmask_b32_e32 v2, v2, v3, vcc
	v_cndmask_b32_e32 v3, v4, v6, vcc
	v_lshlrev_b32_e32 v4, 16, v9
	v_mov_b32_e32 v6, 0x3b800000
	v_lshlrev_b32_e32 v2, 20, v2
	v_and_b32_e32 v4, 0x80000000, v4
	v_lshl_add_u32 v3, v3, 23, v6
	v_or3_b32 v2, v4, v3, v2
.LBB3_108:
	s_or_b64 exec, exec, s[6:7]
	v_lshrrev_b32_e32 v3, 8, v5
	s_movk_i32 s4, 0x7f
	v_cmp_gt_i16_sdwa s[6:7], v3, s4 src0_sel:BYTE_0 src1_sel:DWORD
	s_mov_b64 s[4:5], 0
                                        ; implicit-def: $sgpr10
	s_and_saveexec_b64 s[8:9], s[6:7]
	s_xor_b64 s[6:7], exec, s[8:9]
	s_cbranch_execnz .LBB3_2157
; %bb.109:
	s_or_saveexec_b64 s[6:7], s[6:7]
	v_mov_b32_e32 v4, s10
	s_xor_b64 exec, exec, s[6:7]
	s_cbranch_execnz .LBB3_2160
.LBB3_110:
	s_or_b64 exec, exec, s[6:7]
	s_and_saveexec_b64 s[6:7], s[4:5]
	s_cbranch_execz .LBB3_112
.LBB3_111:
	v_bfe_u32 v4, v5, 8, 3
	v_ffbh_u32_e32 v7, v4
	v_min_u32_e32 v7, 32, v7
	v_lshrrev_b16_e32 v6, 3, v3
	v_subrev_u32_e32 v8, 28, v7
	v_and_b32_e32 v6, 15, v6
	v_lshlrev_b32_e32 v3, v8, v3
	v_sub_u32_e32 v7, 29, v7
	v_and_b32_e32 v3, 7, v3
	v_cmp_eq_u16_e32 vcc, 0, v6
	v_cndmask_b32_e32 v3, v4, v3, vcc
	v_cndmask_b32_e32 v4, v6, v7, vcc
	v_lshlrev_b32_e32 v6, 16, v5
	v_mov_b32_e32 v7, 0x3b800000
	v_lshlrev_b32_e32 v3, 20, v3
	v_and_b32_e32 v6, 0x80000000, v6
	v_lshl_add_u32 v4, v4, 23, v7
	v_or3_b32 v4, v6, v4, v3
.LBB3_112:
	s_or_b64 exec, exec, s[6:7]
	s_nop 0
	v_mfma_f32_16x16x4f32 a[0:3], v2, v4, a[0:3]
	s_movk_i32 s4, 0xff
	v_and_b32_sdwa v3, v9, s4 dst_sel:DWORD dst_unused:UNUSED_PAD src0_sel:WORD_1 src1_sel:DWORD
	s_movk_i32 s4, 0x7f
	v_cmp_lt_i16_e32 vcc, s4, v3
	s_mov_b64 s[4:5], 0
                                        ; implicit-def: $sgpr10
	s_and_saveexec_b64 s[6:7], vcc
	s_xor_b64 s[6:7], exec, s[6:7]
	s_cbranch_execnz .LBB3_2161
; %bb.113:
	s_or_saveexec_b64 s[6:7], s[6:7]
	v_mov_b32_e32 v2, s10
	s_xor_b64 exec, exec, s[6:7]
	s_cbranch_execnz .LBB3_2164
.LBB3_114:
	s_or_b64 exec, exec, s[6:7]
	s_and_saveexec_b64 s[6:7], s[4:5]
	s_cbranch_execz .LBB3_116
.LBB3_115:
	v_bfe_u32 v2, v9, 16, 3
	v_ffbh_u32_e32 v6, v2
	v_min_u32_e32 v6, 32, v6
	v_lshrrev_b32_e32 v3, 19, v9
	v_subrev_u32_e32 v7, 28, v6
	v_and_b32_e32 v3, 15, v3
	v_lshlrev_b32_sdwa v7, v7, v9 dst_sel:DWORD dst_unused:UNUSED_PAD src0_sel:DWORD src1_sel:WORD_1
	v_bfe_u32 v4, v9, 19, 4
	v_sub_u32_e32 v6, 29, v6
	v_and_b32_e32 v7, 7, v7
	v_cmp_eq_u16_e32 vcc, 0, v3
	v_cndmask_b32_e32 v2, v2, v7, vcc
	v_cndmask_b32_e32 v3, v4, v6, vcc
	v_lshlrev_b32_e32 v4, 8, v9
	v_mov_b32_e32 v6, 0x3b800000
	v_lshlrev_b32_e32 v2, 20, v2
	v_and_b32_e32 v4, 0x80000000, v4
	v_lshl_add_u32 v3, v3, 23, v6
	v_or3_b32 v2, v4, v3, v2
.LBB3_116:
	s_or_b64 exec, exec, s[6:7]
	s_movk_i32 s4, 0xff
	v_and_b32_sdwa v3, v5, s4 dst_sel:DWORD dst_unused:UNUSED_PAD src0_sel:WORD_1 src1_sel:DWORD
	s_movk_i32 s4, 0x7f
	v_cmp_lt_i16_e32 vcc, s4, v3
	s_mov_b64 s[4:5], 0
                                        ; implicit-def: $sgpr10
	s_and_saveexec_b64 s[6:7], vcc
	s_xor_b64 s[6:7], exec, s[6:7]
	s_cbranch_execnz .LBB3_2165
; %bb.117:
	s_or_saveexec_b64 s[6:7], s[6:7]
	v_mov_b32_e32 v4, s10
	s_xor_b64 exec, exec, s[6:7]
	s_cbranch_execnz .LBB3_2168
.LBB3_118:
	s_or_b64 exec, exec, s[6:7]
	s_and_saveexec_b64 s[6:7], s[4:5]
	s_cbranch_execz .LBB3_120
.LBB3_119:
	v_bfe_u32 v3, v5, 16, 3
	v_ffbh_u32_e32 v7, v3
	v_min_u32_e32 v7, 32, v7
	v_lshrrev_b32_e32 v4, 19, v5
	v_subrev_u32_e32 v8, 28, v7
	v_and_b32_e32 v4, 15, v4
	v_lshlrev_b32_sdwa v8, v8, v5 dst_sel:DWORD dst_unused:UNUSED_PAD src0_sel:DWORD src1_sel:WORD_1
	v_bfe_u32 v6, v5, 19, 4
	v_sub_u32_e32 v7, 29, v7
	v_and_b32_e32 v8, 7, v8
	v_cmp_eq_u16_e32 vcc, 0, v4
	v_cndmask_b32_e32 v3, v3, v8, vcc
	v_cndmask_b32_e32 v4, v6, v7, vcc
	v_lshlrev_b32_e32 v6, 8, v5
	v_mov_b32_e32 v7, 0x3b800000
	v_lshlrev_b32_e32 v3, 20, v3
	v_and_b32_e32 v6, 0x80000000, v6
	v_lshl_add_u32 v4, v4, 23, v7
	v_or3_b32 v4, v6, v4, v3
.LBB3_120:
	s_or_b64 exec, exec, s[6:7]
	s_nop 0
	v_mfma_f32_16x16x4f32 a[0:3], v2, v4, a[0:3]
	s_movk_i32 s4, 0x7f
	v_cmp_gt_i16_sdwa s[6:7], v9, s4 src0_sel:BYTE_3 src1_sel:DWORD
	s_mov_b64 s[4:5], 0
                                        ; implicit-def: $sgpr10
	s_and_saveexec_b64 s[8:9], s[6:7]
	s_xor_b64 s[6:7], exec, s[8:9]
	s_cbranch_execnz .LBB3_2169
; %bb.121:
	s_or_saveexec_b64 s[6:7], s[6:7]
	v_mov_b32_e32 v2, s10
	s_xor_b64 exec, exec, s[6:7]
	s_cbranch_execnz .LBB3_2172
.LBB3_122:
	s_or_b64 exec, exec, s[6:7]
	s_and_saveexec_b64 s[6:7], s[4:5]
	s_cbranch_execz .LBB3_124
.LBB3_123:
	v_bfe_u32 v2, v9, 24, 3
	v_ffbh_u32_e32 v7, v2
	v_min_u32_e32 v7, 32, v7
	v_lshrrev_b32_e32 v4, 27, v9
	v_subrev_u32_e32 v8, 28, v7
	v_and_b32_e32 v4, 15, v4
	v_lshlrev_b32_sdwa v8, v8, v9 dst_sel:DWORD dst_unused:UNUSED_PAD src0_sel:DWORD src1_sel:BYTE_3
	v_bfe_u32 v6, v9, 27, 4
	v_sub_u32_e32 v7, 29, v7
	v_and_b32_e32 v8, 7, v8
	v_cmp_eq_u16_e32 vcc, 0, v4
	v_cndmask_b32_e32 v2, v2, v8, vcc
	v_cndmask_b32_e32 v4, v6, v7, vcc
	v_mov_b32_e32 v6, 0x3b800000
	v_and_b32_e32 v3, 0x80000000, v9
	v_lshlrev_b32_e32 v2, 20, v2
	v_lshl_add_u32 v4, v4, 23, v6
	v_or3_b32 v2, v3, v4, v2
.LBB3_124:
	s_or_b64 exec, exec, s[6:7]
	s_movk_i32 s4, 0x7f
	v_cmp_gt_i16_sdwa s[6:7], v5, s4 src0_sel:BYTE_3 src1_sel:DWORD
	s_mov_b64 s[4:5], 0
                                        ; implicit-def: $sgpr10
	s_and_saveexec_b64 s[8:9], s[6:7]
	s_xor_b64 s[6:7], exec, s[8:9]
	s_cbranch_execnz .LBB3_2173
; %bb.125:
	s_or_saveexec_b64 s[6:7], s[6:7]
	v_mov_b32_e32 v3, s10
	s_xor_b64 exec, exec, s[6:7]
	s_cbranch_execnz .LBB3_2176
.LBB3_126:
	s_or_b64 exec, exec, s[6:7]
	s_and_saveexec_b64 s[6:7], s[4:5]
	s_cbranch_execz .LBB3_128
.LBB3_127:
	v_bfe_u32 v3, v5, 24, 3
	v_ffbh_u32_e32 v8, v3
	v_min_u32_e32 v8, 32, v8
	v_lshrrev_b32_e32 v6, 27, v5
	v_subrev_u32_e32 v9, 28, v8
	v_and_b32_e32 v4, 0x80000000, v5
	v_and_b32_e32 v6, 15, v6
	v_bfe_u32 v7, v5, 27, 4
	v_lshlrev_b32_sdwa v5, v9, v5 dst_sel:DWORD dst_unused:UNUSED_PAD src0_sel:DWORD src1_sel:BYTE_3
	v_sub_u32_e32 v8, 29, v8
	v_and_b32_e32 v5, 7, v5
	v_cmp_eq_u16_e32 vcc, 0, v6
	v_cndmask_b32_e32 v3, v3, v5, vcc
	v_cndmask_b32_e32 v5, v7, v8, vcc
	v_mov_b32_e32 v6, 0x3b800000
	v_lshlrev_b32_e32 v3, 20, v3
	v_lshl_add_u32 v5, v5, 23, v6
	v_or3_b32 v3, v4, v5, v3
.LBB3_128:
	s_or_b64 exec, exec, s[6:7]
	s_nop 0
	v_mfma_f32_16x16x4f32 a[0:3], v2, v3, a[0:3]
	s_nop 7
	s_nop 2
	flat_store_dwordx4 v[10:11], a[0:3]
	; sched_barrier mask(0x00000000)
	s_setprio 1
	; sched_barrier mask(0x00000000)
	flat_load_dwordx4 v[12:15], v[0:1] offset:8
	flat_load_dwordx2 v[10:11], v[0:1] offset:32
	s_movk_i32 s4, 0x7f
                                        ; implicit-def: $sgpr10
	s_waitcnt vmcnt(0) lgkmcnt(0)
	flat_load_dwordx4 v[6:9], v[12:13]
	flat_load_dwordx4 v[2:5], v[14:15] offset:32
	s_waitcnt vmcnt(0) lgkmcnt(0)
	v_cmp_gt_i16_sdwa s[6:7], v6, s4 src0_sel:BYTE_0 src1_sel:DWORD
	s_mov_b64 s[4:5], 0
	s_and_saveexec_b64 s[8:9], s[6:7]
	s_xor_b64 s[6:7], exec, s[8:9]
	s_cbranch_execnz .LBB3_2177
; %bb.129:
	s_or_saveexec_b64 s[6:7], s[6:7]
	v_mov_b32_e32 v12, s10
	s_xor_b64 exec, exec, s[6:7]
	s_cbranch_execnz .LBB3_2180
.LBB3_130:
	s_or_b64 exec, exec, s[6:7]
	s_and_saveexec_b64 s[6:7], s[4:5]
	s_cbranch_execz .LBB3_132
.LBB3_131:
	v_and_b32_e32 v12, 7, v6
	v_ffbh_u32_e32 v14, v12
	v_min_u32_e32 v14, 32, v14
	v_lshrrev_b16_e32 v13, 3, v6
	v_subrev_u32_e32 v15, 28, v14
	v_and_b32_e32 v13, 15, v13
	v_lshlrev_b32_e32 v15, v15, v6
	v_sub_u32_e32 v14, 29, v14
	v_and_b32_e32 v15, 7, v15
	v_cmp_eq_u16_e32 vcc, 0, v13
	v_cndmask_b32_e32 v12, v12, v15, vcc
	v_cndmask_b32_e32 v13, v13, v14, vcc
	v_lshlrev_b32_e32 v14, 24, v6
	v_mov_b32_e32 v15, 0x3b800000
	v_lshlrev_b32_e32 v12, 20, v12
	v_and_b32_e32 v14, 0x80000000, v14
	v_lshl_add_u32 v13, v13, 23, v15
	v_or3_b32 v12, v14, v13, v12
.LBB3_132:
	s_or_b64 exec, exec, s[6:7]
	s_movk_i32 s4, 0x7f
	v_cmp_gt_i16_sdwa s[6:7], v2, s4 src0_sel:BYTE_0 src1_sel:DWORD
	s_mov_b64 s[4:5], 0
                                        ; implicit-def: $sgpr10
	s_and_saveexec_b64 s[8:9], s[6:7]
	s_xor_b64 s[6:7], exec, s[8:9]
	s_cbranch_execnz .LBB3_2181
; %bb.133:
	s_or_saveexec_b64 s[6:7], s[6:7]
	v_mov_b32_e32 v13, s10
	s_xor_b64 exec, exec, s[6:7]
	s_cbranch_execnz .LBB3_2184
.LBB3_134:
	s_or_b64 exec, exec, s[6:7]
	s_and_saveexec_b64 s[6:7], s[4:5]
	s_cbranch_execz .LBB3_136
.LBB3_135:
	v_and_b32_e32 v13, 7, v2
	v_ffbh_u32_e32 v15, v13
	v_min_u32_e32 v15, 32, v15
	v_lshrrev_b16_e32 v14, 3, v2
	v_subrev_u32_e32 v16, 28, v15
	v_and_b32_e32 v14, 15, v14
	v_lshlrev_b32_e32 v16, v16, v2
	v_sub_u32_e32 v15, 29, v15
	v_and_b32_e32 v16, 7, v16
	v_cmp_eq_u16_e32 vcc, 0, v14
	v_cndmask_b32_e32 v13, v13, v16, vcc
	v_cndmask_b32_e32 v14, v14, v15, vcc
	v_lshlrev_b32_e32 v15, 24, v2
	v_mov_b32_e32 v16, 0x3b800000
	v_lshlrev_b32_e32 v13, 20, v13
	v_and_b32_e32 v15, 0x80000000, v15
	v_lshl_add_u32 v14, v14, 23, v16
	v_or3_b32 v13, v15, v14, v13
.LBB3_136:
	s_or_b64 exec, exec, s[6:7]
	flat_load_dwordx4 a[0:3], v[10:11] offset:16
	s_movk_i32 s4, 0x7f
                                        ; implicit-def: $sgpr10
	s_waitcnt vmcnt(0) lgkmcnt(0)
	v_mfma_f32_16x16x4f32 a[0:3], v12, v13, a[0:3]
	v_lshrrev_b32_e32 v13, 8, v6
	v_cmp_gt_i16_sdwa s[6:7], v13, s4 src0_sel:BYTE_0 src1_sel:DWORD
	s_mov_b64 s[4:5], 0
	s_and_saveexec_b64 s[8:9], s[6:7]
	s_xor_b64 s[6:7], exec, s[8:9]
	s_cbranch_execnz .LBB3_2185
; %bb.137:
	s_or_saveexec_b64 s[6:7], s[6:7]
	v_mov_b32_e32 v12, s10
	s_xor_b64 exec, exec, s[6:7]
	s_cbranch_execnz .LBB3_2188
.LBB3_138:
	s_or_b64 exec, exec, s[6:7]
	s_and_saveexec_b64 s[6:7], s[4:5]
	s_cbranch_execz .LBB3_140
.LBB3_139:
	v_bfe_u32 v12, v6, 8, 3
	v_ffbh_u32_e32 v15, v12
	v_min_u32_e32 v15, 32, v15
	v_lshrrev_b16_e32 v14, 3, v13
	v_subrev_u32_e32 v16, 28, v15
	v_and_b32_e32 v14, 15, v14
	v_lshlrev_b32_e32 v13, v16, v13
	v_sub_u32_e32 v15, 29, v15
	v_and_b32_e32 v13, 7, v13
	v_cmp_eq_u16_e32 vcc, 0, v14
	v_cndmask_b32_e32 v12, v12, v13, vcc
	v_cndmask_b32_e32 v13, v14, v15, vcc
	v_lshlrev_b32_e32 v14, 16, v6
	v_mov_b32_e32 v15, 0x3b800000
	v_lshlrev_b32_e32 v12, 20, v12
	v_and_b32_e32 v14, 0x80000000, v14
	v_lshl_add_u32 v13, v13, 23, v15
	v_or3_b32 v12, v14, v13, v12
.LBB3_140:
	s_or_b64 exec, exec, s[6:7]
	v_lshrrev_b32_e32 v13, 8, v2
	s_movk_i32 s4, 0x7f
	v_cmp_gt_i16_sdwa s[6:7], v13, s4 src0_sel:BYTE_0 src1_sel:DWORD
	s_mov_b64 s[4:5], 0
                                        ; implicit-def: $sgpr10
	s_and_saveexec_b64 s[8:9], s[6:7]
	s_xor_b64 s[6:7], exec, s[8:9]
	s_cbranch_execnz .LBB3_2189
; %bb.141:
	s_or_saveexec_b64 s[6:7], s[6:7]
	v_mov_b32_e32 v14, s10
	s_xor_b64 exec, exec, s[6:7]
	s_cbranch_execnz .LBB3_2192
.LBB3_142:
	s_or_b64 exec, exec, s[6:7]
	s_and_saveexec_b64 s[6:7], s[4:5]
	s_cbranch_execz .LBB3_144
.LBB3_143:
	v_bfe_u32 v14, v2, 8, 3
	v_ffbh_u32_e32 v16, v14
	v_min_u32_e32 v16, 32, v16
	v_lshrrev_b16_e32 v15, 3, v13
	v_subrev_u32_e32 v17, 28, v16
	v_and_b32_e32 v15, 15, v15
	v_lshlrev_b32_e32 v13, v17, v13
	v_sub_u32_e32 v16, 29, v16
	v_and_b32_e32 v13, 7, v13
	v_cmp_eq_u16_e32 vcc, 0, v15
	v_cndmask_b32_e32 v13, v14, v13, vcc
	v_cndmask_b32_e32 v14, v15, v16, vcc
	v_lshlrev_b32_e32 v15, 16, v2
	v_mov_b32_e32 v16, 0x3b800000
	v_lshlrev_b32_e32 v13, 20, v13
	v_and_b32_e32 v15, 0x80000000, v15
	v_lshl_add_u32 v14, v14, 23, v16
	v_or3_b32 v14, v15, v14, v13
.LBB3_144:
	s_or_b64 exec, exec, s[6:7]
	s_nop 0
	v_mfma_f32_16x16x4f32 a[0:3], v12, v14, a[0:3]
	s_movk_i32 s4, 0xff
	v_and_b32_sdwa v13, v6, s4 dst_sel:DWORD dst_unused:UNUSED_PAD src0_sel:WORD_1 src1_sel:DWORD
	s_movk_i32 s4, 0x7f
	v_cmp_lt_i16_e32 vcc, s4, v13
	s_mov_b64 s[4:5], 0
                                        ; implicit-def: $sgpr10
	s_and_saveexec_b64 s[6:7], vcc
	s_xor_b64 s[6:7], exec, s[6:7]
	s_cbranch_execnz .LBB3_2193
; %bb.145:
	s_or_saveexec_b64 s[6:7], s[6:7]
	v_mov_b32_e32 v12, s10
	s_xor_b64 exec, exec, s[6:7]
	s_cbranch_execnz .LBB3_2196
.LBB3_146:
	s_or_b64 exec, exec, s[6:7]
	s_and_saveexec_b64 s[6:7], s[4:5]
	s_cbranch_execz .LBB3_148
.LBB3_147:
	v_bfe_u32 v12, v6, 16, 3
	v_ffbh_u32_e32 v15, v12
	v_min_u32_e32 v15, 32, v15
	v_lshrrev_b32_e32 v13, 19, v6
	v_subrev_u32_e32 v16, 28, v15
	v_and_b32_e32 v13, 15, v13
	v_lshlrev_b32_sdwa v16, v16, v6 dst_sel:DWORD dst_unused:UNUSED_PAD src0_sel:DWORD src1_sel:WORD_1
	v_bfe_u32 v14, v6, 19, 4
	v_sub_u32_e32 v15, 29, v15
	v_and_b32_e32 v16, 7, v16
	v_cmp_eq_u16_e32 vcc, 0, v13
	v_cndmask_b32_e32 v12, v12, v16, vcc
	v_cndmask_b32_e32 v13, v14, v15, vcc
	v_lshlrev_b32_e32 v14, 8, v6
	v_mov_b32_e32 v15, 0x3b800000
	v_lshlrev_b32_e32 v12, 20, v12
	v_and_b32_e32 v14, 0x80000000, v14
	v_lshl_add_u32 v13, v13, 23, v15
	v_or3_b32 v12, v14, v13, v12
.LBB3_148:
	s_or_b64 exec, exec, s[6:7]
	s_movk_i32 s4, 0xff
	v_and_b32_sdwa v13, v2, s4 dst_sel:DWORD dst_unused:UNUSED_PAD src0_sel:WORD_1 src1_sel:DWORD
	s_movk_i32 s4, 0x7f
	v_cmp_lt_i16_e32 vcc, s4, v13
	s_mov_b64 s[4:5], 0
                                        ; implicit-def: $sgpr10
	s_and_saveexec_b64 s[6:7], vcc
	s_xor_b64 s[6:7], exec, s[6:7]
	s_cbranch_execnz .LBB3_2197
; %bb.149:
	s_or_saveexec_b64 s[6:7], s[6:7]
	v_mov_b32_e32 v14, s10
	s_xor_b64 exec, exec, s[6:7]
	s_cbranch_execnz .LBB3_2200
.LBB3_150:
	s_or_b64 exec, exec, s[6:7]
	s_and_saveexec_b64 s[6:7], s[4:5]
	s_cbranch_execz .LBB3_152
.LBB3_151:
	v_bfe_u32 v13, v2, 16, 3
	v_ffbh_u32_e32 v16, v13
	v_min_u32_e32 v16, 32, v16
	v_lshrrev_b32_e32 v14, 19, v2
	v_subrev_u32_e32 v17, 28, v16
	v_and_b32_e32 v14, 15, v14
	v_lshlrev_b32_sdwa v17, v17, v2 dst_sel:DWORD dst_unused:UNUSED_PAD src0_sel:DWORD src1_sel:WORD_1
	v_bfe_u32 v15, v2, 19, 4
	v_sub_u32_e32 v16, 29, v16
	v_and_b32_e32 v17, 7, v17
	v_cmp_eq_u16_e32 vcc, 0, v14
	v_cndmask_b32_e32 v13, v13, v17, vcc
	v_cndmask_b32_e32 v14, v15, v16, vcc
	v_lshlrev_b32_e32 v15, 8, v2
	v_mov_b32_e32 v16, 0x3b800000
	v_lshlrev_b32_e32 v13, 20, v13
	v_and_b32_e32 v15, 0x80000000, v15
	v_lshl_add_u32 v14, v14, 23, v16
	v_or3_b32 v14, v15, v14, v13
.LBB3_152:
	s_or_b64 exec, exec, s[6:7]
	s_nop 0
	v_mfma_f32_16x16x4f32 a[0:3], v12, v14, a[0:3]
	s_movk_i32 s4, 0x7f
	v_cmp_gt_i16_sdwa s[6:7], v6, s4 src0_sel:BYTE_3 src1_sel:DWORD
	s_mov_b64 s[4:5], 0
                                        ; implicit-def: $sgpr10
	s_and_saveexec_b64 s[8:9], s[6:7]
	s_xor_b64 s[6:7], exec, s[8:9]
	s_cbranch_execnz .LBB3_2201
; %bb.153:
	s_or_saveexec_b64 s[6:7], s[6:7]
	v_mov_b32_e32 v12, s10
	s_xor_b64 exec, exec, s[6:7]
	s_cbranch_execnz .LBB3_2204
.LBB3_154:
	s_or_b64 exec, exec, s[6:7]
	s_and_saveexec_b64 s[6:7], s[4:5]
	s_cbranch_execz .LBB3_156
.LBB3_155:
	v_bfe_u32 v12, v6, 24, 3
	v_ffbh_u32_e32 v16, v12
	v_min_u32_e32 v16, 32, v16
	v_lshrrev_b32_e32 v14, 27, v6
	v_subrev_u32_e32 v17, 28, v16
	v_and_b32_e32 v13, 0x80000000, v6
	v_and_b32_e32 v14, 15, v14
	v_bfe_u32 v15, v6, 27, 4
	v_lshlrev_b32_sdwa v6, v17, v6 dst_sel:DWORD dst_unused:UNUSED_PAD src0_sel:DWORD src1_sel:BYTE_3
	v_sub_u32_e32 v16, 29, v16
	v_and_b32_e32 v6, 7, v6
	v_cmp_eq_u16_e32 vcc, 0, v14
	v_cndmask_b32_e32 v6, v12, v6, vcc
	v_cndmask_b32_e32 v12, v15, v16, vcc
	v_mov_b32_e32 v14, 0x3b800000
	v_lshlrev_b32_e32 v6, 20, v6
	v_lshl_add_u32 v12, v12, 23, v14
	v_or3_b32 v12, v13, v12, v6
.LBB3_156:
	s_or_b64 exec, exec, s[6:7]
	s_movk_i32 s4, 0x7f
	v_cmp_gt_i16_sdwa s[6:7], v2, s4 src0_sel:BYTE_3 src1_sel:DWORD
	s_mov_b64 s[4:5], 0
                                        ; implicit-def: $sgpr10
	s_and_saveexec_b64 s[8:9], s[6:7]
	s_xor_b64 s[6:7], exec, s[8:9]
	s_cbranch_execnz .LBB3_2205
; %bb.157:
	s_or_saveexec_b64 s[6:7], s[6:7]
	v_mov_b32_e32 v6, s10
	s_xor_b64 exec, exec, s[6:7]
	s_cbranch_execnz .LBB3_2208
.LBB3_158:
	s_or_b64 exec, exec, s[6:7]
	s_and_saveexec_b64 s[6:7], s[4:5]
	s_cbranch_execz .LBB3_160
.LBB3_159:
	v_bfe_u32 v6, v2, 24, 3
	v_ffbh_u32_e32 v16, v6
	v_min_u32_e32 v16, 32, v16
	v_lshrrev_b32_e32 v14, 27, v2
	v_subrev_u32_e32 v17, 28, v16
	v_and_b32_e32 v13, 0x80000000, v2
	v_and_b32_e32 v14, 15, v14
	v_bfe_u32 v15, v2, 27, 4
	v_lshlrev_b32_sdwa v2, v17, v2 dst_sel:DWORD dst_unused:UNUSED_PAD src0_sel:DWORD src1_sel:BYTE_3
	v_sub_u32_e32 v16, 29, v16
	v_and_b32_e32 v2, 7, v2
	v_cmp_eq_u16_e32 vcc, 0, v14
	v_cndmask_b32_e32 v2, v6, v2, vcc
	v_cndmask_b32_e32 v6, v15, v16, vcc
	v_mov_b32_e32 v14, 0x3b800000
	v_lshlrev_b32_e32 v2, 20, v2
	v_lshl_add_u32 v6, v6, 23, v14
	v_or3_b32 v6, v13, v6, v2
.LBB3_160:
	s_or_b64 exec, exec, s[6:7]
	s_nop 0
	v_mfma_f32_16x16x4f32 a[0:3], v12, v6, a[0:3]
	s_movk_i32 s4, 0x7f
	v_cmp_gt_i16_sdwa s[6:7], v7, s4 src0_sel:BYTE_0 src1_sel:DWORD
	s_mov_b64 s[4:5], 0
                                        ; implicit-def: $sgpr10
	s_and_saveexec_b64 s[8:9], s[6:7]
	s_xor_b64 s[6:7], exec, s[8:9]
	s_cbranch_execnz .LBB3_2209
; %bb.161:
	s_or_saveexec_b64 s[6:7], s[6:7]
	v_mov_b32_e32 v2, s10
	s_xor_b64 exec, exec, s[6:7]
	s_cbranch_execnz .LBB3_2212
.LBB3_162:
	s_or_b64 exec, exec, s[6:7]
	s_and_saveexec_b64 s[6:7], s[4:5]
	s_cbranch_execz .LBB3_164
.LBB3_163:
	v_and_b32_e32 v2, 7, v7
	v_ffbh_u32_e32 v12, v2
	v_min_u32_e32 v12, 32, v12
	v_lshrrev_b16_e32 v6, 3, v7
	v_subrev_u32_e32 v13, 28, v12
	v_and_b32_e32 v6, 15, v6
	v_lshlrev_b32_e32 v13, v13, v7
	v_sub_u32_e32 v12, 29, v12
	v_and_b32_e32 v13, 7, v13
	v_cmp_eq_u16_e32 vcc, 0, v6
	v_cndmask_b32_e32 v2, v2, v13, vcc
	v_cndmask_b32_e32 v6, v6, v12, vcc
	v_lshlrev_b32_e32 v12, 24, v7
	v_mov_b32_e32 v13, 0x3b800000
	v_lshlrev_b32_e32 v2, 20, v2
	v_and_b32_e32 v12, 0x80000000, v12
	v_lshl_add_u32 v6, v6, 23, v13
	v_or3_b32 v2, v12, v6, v2
.LBB3_164:
	s_or_b64 exec, exec, s[6:7]
	s_movk_i32 s4, 0x7f
	v_cmp_gt_i16_sdwa s[6:7], v3, s4 src0_sel:BYTE_0 src1_sel:DWORD
	s_mov_b64 s[4:5], 0
                                        ; implicit-def: $sgpr10
	s_and_saveexec_b64 s[8:9], s[6:7]
	s_xor_b64 s[6:7], exec, s[8:9]
	s_cbranch_execnz .LBB3_2213
; %bb.165:
	s_or_saveexec_b64 s[6:7], s[6:7]
	v_mov_b32_e32 v6, s10
	s_xor_b64 exec, exec, s[6:7]
	s_cbranch_execnz .LBB3_2216
.LBB3_166:
	s_or_b64 exec, exec, s[6:7]
	s_and_saveexec_b64 s[6:7], s[4:5]
	s_cbranch_execz .LBB3_168
.LBB3_167:
	v_and_b32_e32 v6, 7, v3
	v_ffbh_u32_e32 v13, v6
	v_min_u32_e32 v13, 32, v13
	v_lshrrev_b16_e32 v12, 3, v3
	v_subrev_u32_e32 v14, 28, v13
	v_and_b32_e32 v12, 15, v12
	v_lshlrev_b32_e32 v14, v14, v3
	v_sub_u32_e32 v13, 29, v13
	v_and_b32_e32 v14, 7, v14
	v_cmp_eq_u16_e32 vcc, 0, v12
	v_cndmask_b32_e32 v6, v6, v14, vcc
	v_cndmask_b32_e32 v12, v12, v13, vcc
	v_lshlrev_b32_e32 v13, 24, v3
	v_mov_b32_e32 v14, 0x3b800000
	v_lshlrev_b32_e32 v6, 20, v6
	v_and_b32_e32 v13, 0x80000000, v13
	v_lshl_add_u32 v12, v12, 23, v14
	v_or3_b32 v6, v13, v12, v6
.LBB3_168:
	s_or_b64 exec, exec, s[6:7]
	s_nop 0
	v_mfma_f32_16x16x4f32 a[0:3], v2, v6, a[0:3]
	v_lshrrev_b32_e32 v6, 8, v7
	s_movk_i32 s4, 0x7f
	v_cmp_gt_i16_sdwa s[6:7], v6, s4 src0_sel:BYTE_0 src1_sel:DWORD
	s_mov_b64 s[4:5], 0
                                        ; implicit-def: $sgpr10
	s_and_saveexec_b64 s[8:9], s[6:7]
	s_xor_b64 s[6:7], exec, s[8:9]
	s_cbranch_execnz .LBB3_2217
; %bb.169:
	s_or_saveexec_b64 s[6:7], s[6:7]
	v_mov_b32_e32 v2, s10
	s_xor_b64 exec, exec, s[6:7]
	s_cbranch_execnz .LBB3_2220
.LBB3_170:
	s_or_b64 exec, exec, s[6:7]
	s_and_saveexec_b64 s[6:7], s[4:5]
	s_cbranch_execz .LBB3_172
.LBB3_171:
	v_bfe_u32 v2, v7, 8, 3
	v_ffbh_u32_e32 v13, v2
	v_min_u32_e32 v13, 32, v13
	v_lshrrev_b16_e32 v12, 3, v6
	v_subrev_u32_e32 v14, 28, v13
	v_and_b32_e32 v12, 15, v12
	v_lshlrev_b32_e32 v6, v14, v6
	v_sub_u32_e32 v13, 29, v13
	v_and_b32_e32 v6, 7, v6
	v_cmp_eq_u16_e32 vcc, 0, v12
	v_cndmask_b32_e32 v2, v2, v6, vcc
	v_cndmask_b32_e32 v6, v12, v13, vcc
	v_lshlrev_b32_e32 v12, 16, v7
	v_mov_b32_e32 v13, 0x3b800000
	v_lshlrev_b32_e32 v2, 20, v2
	v_and_b32_e32 v12, 0x80000000, v12
	v_lshl_add_u32 v6, v6, 23, v13
	v_or3_b32 v2, v12, v6, v2
.LBB3_172:
	s_or_b64 exec, exec, s[6:7]
	v_lshrrev_b32_e32 v6, 8, v3
	s_movk_i32 s4, 0x7f
	v_cmp_gt_i16_sdwa s[6:7], v6, s4 src0_sel:BYTE_0 src1_sel:DWORD
	s_mov_b64 s[4:5], 0
                                        ; implicit-def: $sgpr10
	s_and_saveexec_b64 s[8:9], s[6:7]
	s_xor_b64 s[6:7], exec, s[8:9]
	s_cbranch_execnz .LBB3_2221
; %bb.173:
	s_or_saveexec_b64 s[6:7], s[6:7]
	v_mov_b32_e32 v12, s10
	s_xor_b64 exec, exec, s[6:7]
	s_cbranch_execnz .LBB3_2224
.LBB3_174:
	s_or_b64 exec, exec, s[6:7]
	s_and_saveexec_b64 s[6:7], s[4:5]
	s_cbranch_execz .LBB3_176
.LBB3_175:
	v_bfe_u32 v12, v3, 8, 3
	v_ffbh_u32_e32 v14, v12
	v_min_u32_e32 v14, 32, v14
	v_lshrrev_b16_e32 v13, 3, v6
	v_subrev_u32_e32 v15, 28, v14
	v_and_b32_e32 v13, 15, v13
	v_lshlrev_b32_e32 v6, v15, v6
	v_sub_u32_e32 v14, 29, v14
	v_and_b32_e32 v6, 7, v6
	v_cmp_eq_u16_e32 vcc, 0, v13
	v_cndmask_b32_e32 v6, v12, v6, vcc
	v_cndmask_b32_e32 v12, v13, v14, vcc
	v_lshlrev_b32_e32 v13, 16, v3
	v_mov_b32_e32 v14, 0x3b800000
	v_lshlrev_b32_e32 v6, 20, v6
	v_and_b32_e32 v13, 0x80000000, v13
	v_lshl_add_u32 v12, v12, 23, v14
	v_or3_b32 v12, v13, v12, v6
.LBB3_176:
	s_or_b64 exec, exec, s[6:7]
	s_nop 0
	v_mfma_f32_16x16x4f32 a[0:3], v2, v12, a[0:3]
	s_movk_i32 s4, 0xff
	v_and_b32_sdwa v6, v7, s4 dst_sel:DWORD dst_unused:UNUSED_PAD src0_sel:WORD_1 src1_sel:DWORD
	s_movk_i32 s4, 0x7f
	v_cmp_lt_i16_e32 vcc, s4, v6
	s_mov_b64 s[4:5], 0
                                        ; implicit-def: $sgpr10
	s_and_saveexec_b64 s[6:7], vcc
	s_xor_b64 s[6:7], exec, s[6:7]
	s_cbranch_execnz .LBB3_2225
; %bb.177:
	s_or_saveexec_b64 s[6:7], s[6:7]
	v_mov_b32_e32 v2, s10
	s_xor_b64 exec, exec, s[6:7]
	s_cbranch_execnz .LBB3_2228
.LBB3_178:
	s_or_b64 exec, exec, s[6:7]
	s_and_saveexec_b64 s[6:7], s[4:5]
	s_cbranch_execz .LBB3_180
.LBB3_179:
	v_bfe_u32 v2, v7, 16, 3
	v_ffbh_u32_e32 v13, v2
	v_min_u32_e32 v13, 32, v13
	v_lshrrev_b32_e32 v6, 19, v7
	v_subrev_u32_e32 v14, 28, v13
	v_and_b32_e32 v6, 15, v6
	v_lshlrev_b32_sdwa v14, v14, v7 dst_sel:DWORD dst_unused:UNUSED_PAD src0_sel:DWORD src1_sel:WORD_1
	v_bfe_u32 v12, v7, 19, 4
	v_sub_u32_e32 v13, 29, v13
	v_and_b32_e32 v14, 7, v14
	v_cmp_eq_u16_e32 vcc, 0, v6
	v_cndmask_b32_e32 v2, v2, v14, vcc
	v_cndmask_b32_e32 v6, v12, v13, vcc
	v_lshlrev_b32_e32 v12, 8, v7
	v_mov_b32_e32 v13, 0x3b800000
	v_lshlrev_b32_e32 v2, 20, v2
	v_and_b32_e32 v12, 0x80000000, v12
	v_lshl_add_u32 v6, v6, 23, v13
	v_or3_b32 v2, v12, v6, v2
.LBB3_180:
	s_or_b64 exec, exec, s[6:7]
	s_movk_i32 s4, 0xff
	v_and_b32_sdwa v6, v3, s4 dst_sel:DWORD dst_unused:UNUSED_PAD src0_sel:WORD_1 src1_sel:DWORD
	s_movk_i32 s4, 0x7f
	v_cmp_lt_i16_e32 vcc, s4, v6
	s_mov_b64 s[4:5], 0
                                        ; implicit-def: $sgpr10
	s_and_saveexec_b64 s[6:7], vcc
	s_xor_b64 s[6:7], exec, s[6:7]
	s_cbranch_execnz .LBB3_2229
; %bb.181:
	s_or_saveexec_b64 s[6:7], s[6:7]
	v_mov_b32_e32 v12, s10
	s_xor_b64 exec, exec, s[6:7]
	s_cbranch_execnz .LBB3_2232
.LBB3_182:
	s_or_b64 exec, exec, s[6:7]
	s_and_saveexec_b64 s[6:7], s[4:5]
	s_cbranch_execz .LBB3_184
.LBB3_183:
	v_bfe_u32 v6, v3, 16, 3
	v_ffbh_u32_e32 v14, v6
	v_min_u32_e32 v14, 32, v14
	v_lshrrev_b32_e32 v12, 19, v3
	v_subrev_u32_e32 v15, 28, v14
	v_and_b32_e32 v12, 15, v12
	v_lshlrev_b32_sdwa v15, v15, v3 dst_sel:DWORD dst_unused:UNUSED_PAD src0_sel:DWORD src1_sel:WORD_1
	v_bfe_u32 v13, v3, 19, 4
	v_sub_u32_e32 v14, 29, v14
	v_and_b32_e32 v15, 7, v15
	v_cmp_eq_u16_e32 vcc, 0, v12
	v_cndmask_b32_e32 v6, v6, v15, vcc
	v_cndmask_b32_e32 v12, v13, v14, vcc
	v_lshlrev_b32_e32 v13, 8, v3
	v_mov_b32_e32 v14, 0x3b800000
	v_lshlrev_b32_e32 v6, 20, v6
	v_and_b32_e32 v13, 0x80000000, v13
	v_lshl_add_u32 v12, v12, 23, v14
	v_or3_b32 v12, v13, v12, v6
.LBB3_184:
	s_or_b64 exec, exec, s[6:7]
	s_nop 0
	v_mfma_f32_16x16x4f32 a[0:3], v2, v12, a[0:3]
	s_movk_i32 s4, 0x7f
	v_cmp_gt_i16_sdwa s[6:7], v7, s4 src0_sel:BYTE_3 src1_sel:DWORD
	s_mov_b64 s[4:5], 0
                                        ; implicit-def: $sgpr10
	s_and_saveexec_b64 s[8:9], s[6:7]
	s_xor_b64 s[6:7], exec, s[8:9]
	s_cbranch_execnz .LBB3_2233
; %bb.185:
	s_or_saveexec_b64 s[6:7], s[6:7]
	v_mov_b32_e32 v2, s10
	s_xor_b64 exec, exec, s[6:7]
	s_cbranch_execnz .LBB3_2236
.LBB3_186:
	s_or_b64 exec, exec, s[6:7]
	s_and_saveexec_b64 s[6:7], s[4:5]
	s_cbranch_execz .LBB3_188
.LBB3_187:
	v_bfe_u32 v2, v7, 24, 3
	v_ffbh_u32_e32 v14, v2
	v_min_u32_e32 v14, 32, v14
	v_lshrrev_b32_e32 v12, 27, v7
	v_subrev_u32_e32 v15, 28, v14
	v_and_b32_e32 v6, 0x80000000, v7
	v_and_b32_e32 v12, 15, v12
	v_bfe_u32 v13, v7, 27, 4
	v_lshlrev_b32_sdwa v7, v15, v7 dst_sel:DWORD dst_unused:UNUSED_PAD src0_sel:DWORD src1_sel:BYTE_3
	v_sub_u32_e32 v14, 29, v14
	v_and_b32_e32 v7, 7, v7
	v_cmp_eq_u16_e32 vcc, 0, v12
	v_cndmask_b32_e32 v2, v2, v7, vcc
	v_cndmask_b32_e32 v7, v13, v14, vcc
	v_mov_b32_e32 v12, 0x3b800000
	v_lshlrev_b32_e32 v2, 20, v2
	v_lshl_add_u32 v7, v7, 23, v12
	v_or3_b32 v2, v6, v7, v2
.LBB3_188:
	s_or_b64 exec, exec, s[6:7]
	s_movk_i32 s4, 0x7f
	v_cmp_gt_i16_sdwa s[6:7], v3, s4 src0_sel:BYTE_3 src1_sel:DWORD
	s_mov_b64 s[4:5], 0
                                        ; implicit-def: $sgpr10
	s_and_saveexec_b64 s[8:9], s[6:7]
	s_xor_b64 s[6:7], exec, s[8:9]
	s_cbranch_execnz .LBB3_2237
; %bb.189:
	s_or_saveexec_b64 s[6:7], s[6:7]
	v_mov_b32_e32 v6, s10
	s_xor_b64 exec, exec, s[6:7]
	s_cbranch_execnz .LBB3_2240
.LBB3_190:
	s_or_b64 exec, exec, s[6:7]
	s_and_saveexec_b64 s[6:7], s[4:5]
	s_cbranch_execz .LBB3_192
.LBB3_191:
	v_bfe_u32 v6, v3, 24, 3
	v_ffbh_u32_e32 v14, v6
	v_min_u32_e32 v14, 32, v14
	v_lshrrev_b32_e32 v12, 27, v3
	v_subrev_u32_e32 v15, 28, v14
	v_and_b32_e32 v7, 0x80000000, v3
	v_and_b32_e32 v12, 15, v12
	v_bfe_u32 v13, v3, 27, 4
	v_lshlrev_b32_sdwa v3, v15, v3 dst_sel:DWORD dst_unused:UNUSED_PAD src0_sel:DWORD src1_sel:BYTE_3
	v_sub_u32_e32 v14, 29, v14
	v_and_b32_e32 v3, 7, v3
	v_cmp_eq_u16_e32 vcc, 0, v12
	v_cndmask_b32_e32 v3, v6, v3, vcc
	v_cndmask_b32_e32 v6, v13, v14, vcc
	v_mov_b32_e32 v12, 0x3b800000
	v_lshlrev_b32_e32 v3, 20, v3
	v_lshl_add_u32 v6, v6, 23, v12
	v_or3_b32 v6, v7, v6, v3
.LBB3_192:
	s_or_b64 exec, exec, s[6:7]
	s_nop 0
	v_mfma_f32_16x16x4f32 a[0:3], v2, v6, a[0:3]
	s_movk_i32 s4, 0x7f
	v_cmp_gt_i16_sdwa s[6:7], v8, s4 src0_sel:BYTE_0 src1_sel:DWORD
	s_mov_b64 s[4:5], 0
                                        ; implicit-def: $sgpr10
	s_and_saveexec_b64 s[8:9], s[6:7]
	s_xor_b64 s[6:7], exec, s[8:9]
	s_cbranch_execnz .LBB3_2241
; %bb.193:
	s_or_saveexec_b64 s[6:7], s[6:7]
	v_mov_b32_e32 v2, s10
	s_xor_b64 exec, exec, s[6:7]
	s_cbranch_execnz .LBB3_2244
.LBB3_194:
	s_or_b64 exec, exec, s[6:7]
	s_and_saveexec_b64 s[6:7], s[4:5]
	s_cbranch_execz .LBB3_196
.LBB3_195:
	v_and_b32_e32 v2, 7, v8
	v_ffbh_u32_e32 v6, v2
	v_min_u32_e32 v6, 32, v6
	v_lshrrev_b16_e32 v3, 3, v8
	v_subrev_u32_e32 v7, 28, v6
	v_and_b32_e32 v3, 15, v3
	v_lshlrev_b32_e32 v7, v7, v8
	v_sub_u32_e32 v6, 29, v6
	v_and_b32_e32 v7, 7, v7
	v_cmp_eq_u16_e32 vcc, 0, v3
	v_cndmask_b32_e32 v2, v2, v7, vcc
	v_cndmask_b32_e32 v3, v3, v6, vcc
	v_lshlrev_b32_e32 v6, 24, v8
	v_mov_b32_e32 v7, 0x3b800000
	v_lshlrev_b32_e32 v2, 20, v2
	v_and_b32_e32 v6, 0x80000000, v6
	v_lshl_add_u32 v3, v3, 23, v7
	v_or3_b32 v2, v6, v3, v2
.LBB3_196:
	s_or_b64 exec, exec, s[6:7]
	s_movk_i32 s4, 0x7f
	v_cmp_gt_i16_sdwa s[6:7], v4, s4 src0_sel:BYTE_0 src1_sel:DWORD
	s_mov_b64 s[4:5], 0
                                        ; implicit-def: $sgpr10
	s_and_saveexec_b64 s[8:9], s[6:7]
	s_xor_b64 s[6:7], exec, s[8:9]
	s_cbranch_execnz .LBB3_2245
; %bb.197:
	s_or_saveexec_b64 s[6:7], s[6:7]
	v_mov_b32_e32 v3, s10
	s_xor_b64 exec, exec, s[6:7]
	s_cbranch_execnz .LBB3_2248
.LBB3_198:
	s_or_b64 exec, exec, s[6:7]
	s_and_saveexec_b64 s[6:7], s[4:5]
	s_cbranch_execz .LBB3_200
.LBB3_199:
	v_and_b32_e32 v3, 7, v4
	v_ffbh_u32_e32 v7, v3
	v_min_u32_e32 v7, 32, v7
	v_lshrrev_b16_e32 v6, 3, v4
	v_subrev_u32_e32 v12, 28, v7
	v_and_b32_e32 v6, 15, v6
	v_lshlrev_b32_e32 v12, v12, v4
	v_sub_u32_e32 v7, 29, v7
	v_and_b32_e32 v12, 7, v12
	v_cmp_eq_u16_e32 vcc, 0, v6
	v_cndmask_b32_e32 v3, v3, v12, vcc
	v_cndmask_b32_e32 v6, v6, v7, vcc
	v_lshlrev_b32_e32 v7, 24, v4
	v_mov_b32_e32 v12, 0x3b800000
	v_lshlrev_b32_e32 v3, 20, v3
	v_and_b32_e32 v7, 0x80000000, v7
	v_lshl_add_u32 v6, v6, 23, v12
	v_or3_b32 v3, v7, v6, v3
.LBB3_200:
	s_or_b64 exec, exec, s[6:7]
	s_nop 0
	v_mfma_f32_16x16x4f32 a[0:3], v2, v3, a[0:3]
	v_lshrrev_b32_e32 v3, 8, v8
	s_movk_i32 s4, 0x7f
	v_cmp_gt_i16_sdwa s[6:7], v3, s4 src0_sel:BYTE_0 src1_sel:DWORD
	s_mov_b64 s[4:5], 0
                                        ; implicit-def: $sgpr10
	s_and_saveexec_b64 s[8:9], s[6:7]
	s_xor_b64 s[6:7], exec, s[8:9]
	s_cbranch_execnz .LBB3_2249
; %bb.201:
	s_or_saveexec_b64 s[6:7], s[6:7]
	v_mov_b32_e32 v2, s10
	s_xor_b64 exec, exec, s[6:7]
	s_cbranch_execnz .LBB3_2252
.LBB3_202:
	s_or_b64 exec, exec, s[6:7]
	s_and_saveexec_b64 s[6:7], s[4:5]
	s_cbranch_execz .LBB3_204
.LBB3_203:
	v_bfe_u32 v2, v8, 8, 3
	v_ffbh_u32_e32 v7, v2
	v_min_u32_e32 v7, 32, v7
	v_lshrrev_b16_e32 v6, 3, v3
	v_subrev_u32_e32 v12, 28, v7
	v_and_b32_e32 v6, 15, v6
	v_lshlrev_b32_e32 v3, v12, v3
	v_sub_u32_e32 v7, 29, v7
	v_and_b32_e32 v3, 7, v3
	v_cmp_eq_u16_e32 vcc, 0, v6
	v_cndmask_b32_e32 v2, v2, v3, vcc
	v_cndmask_b32_e32 v3, v6, v7, vcc
	v_lshlrev_b32_e32 v6, 16, v8
	v_mov_b32_e32 v7, 0x3b800000
	v_lshlrev_b32_e32 v2, 20, v2
	v_and_b32_e32 v6, 0x80000000, v6
	v_lshl_add_u32 v3, v3, 23, v7
	v_or3_b32 v2, v6, v3, v2
.LBB3_204:
	s_or_b64 exec, exec, s[6:7]
	v_lshrrev_b32_e32 v3, 8, v4
	s_movk_i32 s4, 0x7f
	v_cmp_gt_i16_sdwa s[6:7], v3, s4 src0_sel:BYTE_0 src1_sel:DWORD
	s_mov_b64 s[4:5], 0
                                        ; implicit-def: $sgpr10
	s_and_saveexec_b64 s[8:9], s[6:7]
	s_xor_b64 s[6:7], exec, s[8:9]
	s_cbranch_execnz .LBB3_2253
; %bb.205:
	s_or_saveexec_b64 s[6:7], s[6:7]
	v_mov_b32_e32 v6, s10
	s_xor_b64 exec, exec, s[6:7]
	s_cbranch_execnz .LBB3_2256
.LBB3_206:
	s_or_b64 exec, exec, s[6:7]
	s_and_saveexec_b64 s[6:7], s[4:5]
	s_cbranch_execz .LBB3_208
.LBB3_207:
	v_bfe_u32 v6, v4, 8, 3
	v_ffbh_u32_e32 v12, v6
	v_min_u32_e32 v12, 32, v12
	v_lshrrev_b16_e32 v7, 3, v3
	v_subrev_u32_e32 v13, 28, v12
	v_and_b32_e32 v7, 15, v7
	v_lshlrev_b32_e32 v3, v13, v3
	v_sub_u32_e32 v12, 29, v12
	v_and_b32_e32 v3, 7, v3
	v_cmp_eq_u16_e32 vcc, 0, v7
	v_cndmask_b32_e32 v3, v6, v3, vcc
	v_cndmask_b32_e32 v6, v7, v12, vcc
	v_lshlrev_b32_e32 v7, 16, v4
	v_mov_b32_e32 v12, 0x3b800000
	v_lshlrev_b32_e32 v3, 20, v3
	v_and_b32_e32 v7, 0x80000000, v7
	v_lshl_add_u32 v6, v6, 23, v12
	v_or3_b32 v6, v7, v6, v3
.LBB3_208:
	s_or_b64 exec, exec, s[6:7]
	s_nop 0
	v_mfma_f32_16x16x4f32 a[0:3], v2, v6, a[0:3]
	s_movk_i32 s4, 0xff
	v_and_b32_sdwa v3, v8, s4 dst_sel:DWORD dst_unused:UNUSED_PAD src0_sel:WORD_1 src1_sel:DWORD
	s_movk_i32 s4, 0x7f
	v_cmp_lt_i16_e32 vcc, s4, v3
	s_mov_b64 s[4:5], 0
                                        ; implicit-def: $sgpr10
	s_and_saveexec_b64 s[6:7], vcc
	s_xor_b64 s[6:7], exec, s[6:7]
	s_cbranch_execnz .LBB3_2257
; %bb.209:
	s_or_saveexec_b64 s[6:7], s[6:7]
	v_mov_b32_e32 v2, s10
	s_xor_b64 exec, exec, s[6:7]
	s_cbranch_execnz .LBB3_2260
.LBB3_210:
	s_or_b64 exec, exec, s[6:7]
	s_and_saveexec_b64 s[6:7], s[4:5]
	s_cbranch_execz .LBB3_212
.LBB3_211:
	v_bfe_u32 v2, v8, 16, 3
	v_ffbh_u32_e32 v7, v2
	v_min_u32_e32 v7, 32, v7
	v_lshrrev_b32_e32 v3, 19, v8
	v_subrev_u32_e32 v12, 28, v7
	v_and_b32_e32 v3, 15, v3
	v_lshlrev_b32_sdwa v12, v12, v8 dst_sel:DWORD dst_unused:UNUSED_PAD src0_sel:DWORD src1_sel:WORD_1
	v_bfe_u32 v6, v8, 19, 4
	v_sub_u32_e32 v7, 29, v7
	v_and_b32_e32 v12, 7, v12
	v_cmp_eq_u16_e32 vcc, 0, v3
	v_cndmask_b32_e32 v2, v2, v12, vcc
	v_cndmask_b32_e32 v3, v6, v7, vcc
	v_lshlrev_b32_e32 v6, 8, v8
	v_mov_b32_e32 v7, 0x3b800000
	v_lshlrev_b32_e32 v2, 20, v2
	v_and_b32_e32 v6, 0x80000000, v6
	v_lshl_add_u32 v3, v3, 23, v7
	v_or3_b32 v2, v6, v3, v2
.LBB3_212:
	s_or_b64 exec, exec, s[6:7]
	s_movk_i32 s4, 0xff
	v_and_b32_sdwa v3, v4, s4 dst_sel:DWORD dst_unused:UNUSED_PAD src0_sel:WORD_1 src1_sel:DWORD
	s_movk_i32 s4, 0x7f
	v_cmp_lt_i16_e32 vcc, s4, v3
	s_mov_b64 s[4:5], 0
                                        ; implicit-def: $sgpr10
	s_and_saveexec_b64 s[6:7], vcc
	s_xor_b64 s[6:7], exec, s[6:7]
	s_cbranch_execnz .LBB3_2261
; %bb.213:
	s_or_saveexec_b64 s[6:7], s[6:7]
	v_mov_b32_e32 v6, s10
	s_xor_b64 exec, exec, s[6:7]
	s_cbranch_execnz .LBB3_2264
.LBB3_214:
	s_or_b64 exec, exec, s[6:7]
	s_and_saveexec_b64 s[6:7], s[4:5]
	s_cbranch_execz .LBB3_216
.LBB3_215:
	v_bfe_u32 v3, v4, 16, 3
	v_ffbh_u32_e32 v12, v3
	v_min_u32_e32 v12, 32, v12
	v_lshrrev_b32_e32 v6, 19, v4
	v_subrev_u32_e32 v13, 28, v12
	v_and_b32_e32 v6, 15, v6
	v_lshlrev_b32_sdwa v13, v13, v4 dst_sel:DWORD dst_unused:UNUSED_PAD src0_sel:DWORD src1_sel:WORD_1
	v_bfe_u32 v7, v4, 19, 4
	v_sub_u32_e32 v12, 29, v12
	v_and_b32_e32 v13, 7, v13
	v_cmp_eq_u16_e32 vcc, 0, v6
	v_cndmask_b32_e32 v3, v3, v13, vcc
	v_cndmask_b32_e32 v6, v7, v12, vcc
	v_lshlrev_b32_e32 v7, 8, v4
	v_mov_b32_e32 v12, 0x3b800000
	v_lshlrev_b32_e32 v3, 20, v3
	v_and_b32_e32 v7, 0x80000000, v7
	v_lshl_add_u32 v6, v6, 23, v12
	v_or3_b32 v6, v7, v6, v3
.LBB3_216:
	s_or_b64 exec, exec, s[6:7]
	s_nop 0
	v_mfma_f32_16x16x4f32 a[0:3], v2, v6, a[0:3]
	s_movk_i32 s4, 0x7f
	v_cmp_gt_i16_sdwa s[6:7], v8, s4 src0_sel:BYTE_3 src1_sel:DWORD
	s_mov_b64 s[4:5], 0
                                        ; implicit-def: $sgpr10
	s_and_saveexec_b64 s[8:9], s[6:7]
	s_xor_b64 s[6:7], exec, s[8:9]
	s_cbranch_execnz .LBB3_2265
; %bb.217:
	s_or_saveexec_b64 s[6:7], s[6:7]
	v_mov_b32_e32 v2, s10
	s_xor_b64 exec, exec, s[6:7]
	s_cbranch_execnz .LBB3_2268
.LBB3_218:
	s_or_b64 exec, exec, s[6:7]
	s_and_saveexec_b64 s[6:7], s[4:5]
	s_cbranch_execz .LBB3_220
.LBB3_219:
	v_bfe_u32 v2, v8, 24, 3
	v_ffbh_u32_e32 v12, v2
	v_min_u32_e32 v12, 32, v12
	v_lshrrev_b32_e32 v6, 27, v8
	v_subrev_u32_e32 v13, 28, v12
	v_and_b32_e32 v3, 0x80000000, v8
	v_and_b32_e32 v6, 15, v6
	v_bfe_u32 v7, v8, 27, 4
	v_lshlrev_b32_sdwa v8, v13, v8 dst_sel:DWORD dst_unused:UNUSED_PAD src0_sel:DWORD src1_sel:BYTE_3
	v_sub_u32_e32 v12, 29, v12
	v_and_b32_e32 v8, 7, v8
	v_cmp_eq_u16_e32 vcc, 0, v6
	v_cndmask_b32_e32 v2, v2, v8, vcc
	v_cndmask_b32_e32 v6, v7, v12, vcc
	v_mov_b32_e32 v7, 0x3b800000
	v_lshlrev_b32_e32 v2, 20, v2
	v_lshl_add_u32 v6, v6, 23, v7
	v_or3_b32 v2, v3, v6, v2
.LBB3_220:
	s_or_b64 exec, exec, s[6:7]
	s_movk_i32 s4, 0x7f
	v_cmp_gt_i16_sdwa s[6:7], v4, s4 src0_sel:BYTE_3 src1_sel:DWORD
	s_mov_b64 s[4:5], 0
                                        ; implicit-def: $sgpr10
	s_and_saveexec_b64 s[8:9], s[6:7]
	s_xor_b64 s[6:7], exec, s[8:9]
	s_cbranch_execnz .LBB3_2269
; %bb.221:
	s_or_saveexec_b64 s[6:7], s[6:7]
	v_mov_b32_e32 v3, s10
	s_xor_b64 exec, exec, s[6:7]
	s_cbranch_execnz .LBB3_2272
.LBB3_222:
	s_or_b64 exec, exec, s[6:7]
	s_and_saveexec_b64 s[6:7], s[4:5]
	s_cbranch_execz .LBB3_224
.LBB3_223:
	v_bfe_u32 v3, v4, 24, 3
	v_ffbh_u32_e32 v12, v3
	v_min_u32_e32 v12, 32, v12
	v_lshrrev_b32_e32 v7, 27, v4
	v_subrev_u32_e32 v13, 28, v12
	v_and_b32_e32 v6, 0x80000000, v4
	v_and_b32_e32 v7, 15, v7
	v_bfe_u32 v8, v4, 27, 4
	v_lshlrev_b32_sdwa v4, v13, v4 dst_sel:DWORD dst_unused:UNUSED_PAD src0_sel:DWORD src1_sel:BYTE_3
	v_sub_u32_e32 v12, 29, v12
	v_and_b32_e32 v4, 7, v4
	v_cmp_eq_u16_e32 vcc, 0, v7
	v_cndmask_b32_e32 v3, v3, v4, vcc
	v_cndmask_b32_e32 v4, v8, v12, vcc
	v_mov_b32_e32 v7, 0x3b800000
	v_lshlrev_b32_e32 v3, 20, v3
	v_lshl_add_u32 v4, v4, 23, v7
	v_or3_b32 v3, v6, v4, v3
.LBB3_224:
	s_or_b64 exec, exec, s[6:7]
	s_nop 0
	v_mfma_f32_16x16x4f32 a[0:3], v2, v3, a[0:3]
	s_movk_i32 s4, 0x7f
	v_cmp_gt_i16_sdwa s[6:7], v9, s4 src0_sel:BYTE_0 src1_sel:DWORD
	s_mov_b64 s[4:5], 0
                                        ; implicit-def: $sgpr10
	s_and_saveexec_b64 s[8:9], s[6:7]
	s_xor_b64 s[6:7], exec, s[8:9]
	s_cbranch_execnz .LBB3_2273
; %bb.225:
	s_or_saveexec_b64 s[6:7], s[6:7]
	v_mov_b32_e32 v2, s10
	s_xor_b64 exec, exec, s[6:7]
	s_cbranch_execnz .LBB3_2276
.LBB3_226:
	s_or_b64 exec, exec, s[6:7]
	s_and_saveexec_b64 s[6:7], s[4:5]
	s_cbranch_execz .LBB3_228
.LBB3_227:
	v_mov_b32_e32 v2, 8
	v_and_b32_e32 v3, 7, v9
	v_lshrrev_b32_sdwa v2, v2, v9 dst_sel:BYTE_1 dst_unused:UNUSED_PAD src0_sel:DWORD src1_sel:DWORD
	v_ffbh_u32_e32 v4, v3
	v_or_b32_sdwa v2, v9, v2 dst_sel:DWORD dst_unused:UNUSED_PAD src0_sel:BYTE_0 src1_sel:DWORD
	v_min_u32_e32 v4, 32, v4
	v_lshrrev_b16_e32 v2, 3, v2
	v_subrev_u32_e32 v6, 28, v4
	v_and_b32_e32 v2, 15, v2
	v_lshlrev_b32_e32 v6, v6, v9
	v_sub_u32_e32 v4, 29, v4
	v_and_b32_e32 v6, 7, v6
	v_cmp_eq_u16_e32 vcc, 0, v2
	v_cndmask_b32_e32 v3, v3, v6, vcc
	v_cndmask_b32_e32 v2, v2, v4, vcc
	v_lshlrev_b32_e32 v4, 24, v9
	v_mov_b32_e32 v6, 0x3b800000
	v_lshlrev_b32_e32 v3, 20, v3
	v_and_b32_e32 v4, 0x80000000, v4
	v_lshl_add_u32 v2, v2, 23, v6
	v_or3_b32 v2, v4, v2, v3
.LBB3_228:
	s_or_b64 exec, exec, s[6:7]
	s_movk_i32 s4, 0x7f
	v_cmp_gt_i16_sdwa s[6:7], v5, s4 src0_sel:BYTE_0 src1_sel:DWORD
	s_mov_b64 s[4:5], 0
                                        ; implicit-def: $sgpr10
	s_and_saveexec_b64 s[8:9], s[6:7]
	s_xor_b64 s[6:7], exec, s[8:9]
	s_cbranch_execnz .LBB3_2277
; %bb.229:
	s_or_saveexec_b64 s[6:7], s[6:7]
	v_mov_b32_e32 v3, s10
	s_xor_b64 exec, exec, s[6:7]
	s_cbranch_execnz .LBB3_2280
.LBB3_230:
	s_or_b64 exec, exec, s[6:7]
	s_and_saveexec_b64 s[6:7], s[4:5]
	s_cbranch_execz .LBB3_232
.LBB3_231:
	v_mov_b32_e32 v3, 8
	v_and_b32_e32 v4, 7, v5
	v_lshrrev_b32_sdwa v3, v3, v5 dst_sel:BYTE_1 dst_unused:UNUSED_PAD src0_sel:DWORD src1_sel:DWORD
	v_ffbh_u32_e32 v6, v4
	v_or_b32_sdwa v3, v5, v3 dst_sel:DWORD dst_unused:UNUSED_PAD src0_sel:BYTE_0 src1_sel:DWORD
	v_min_u32_e32 v6, 32, v6
	v_lshrrev_b16_e32 v3, 3, v3
	v_subrev_u32_e32 v7, 28, v6
	v_and_b32_e32 v3, 15, v3
	v_lshlrev_b32_e32 v7, v7, v5
	v_sub_u32_e32 v6, 29, v6
	v_and_b32_e32 v7, 7, v7
	v_cmp_eq_u16_e32 vcc, 0, v3
	v_cndmask_b32_e32 v4, v4, v7, vcc
	v_cndmask_b32_e32 v3, v3, v6, vcc
	v_lshlrev_b32_e32 v6, 24, v5
	v_mov_b32_e32 v7, 0x3b800000
	v_lshlrev_b32_e32 v4, 20, v4
	v_and_b32_e32 v6, 0x80000000, v6
	v_lshl_add_u32 v3, v3, 23, v7
	v_or3_b32 v3, v6, v3, v4
.LBB3_232:
	s_or_b64 exec, exec, s[6:7]
	s_nop 0
	v_mfma_f32_16x16x4f32 a[0:3], v2, v3, a[0:3]
	v_lshrrev_b32_e32 v3, 8, v9
	s_movk_i32 s4, 0x7f
	v_cmp_gt_i16_sdwa s[6:7], v3, s4 src0_sel:BYTE_0 src1_sel:DWORD
	s_mov_b64 s[4:5], 0
                                        ; implicit-def: $sgpr10
	s_and_saveexec_b64 s[8:9], s[6:7]
	s_xor_b64 s[6:7], exec, s[8:9]
	s_cbranch_execnz .LBB3_2281
; %bb.233:
	s_or_saveexec_b64 s[6:7], s[6:7]
	v_mov_b32_e32 v2, s10
	s_xor_b64 exec, exec, s[6:7]
	s_cbranch_execnz .LBB3_2284
.LBB3_234:
	s_or_b64 exec, exec, s[6:7]
	s_and_saveexec_b64 s[6:7], s[4:5]
	s_cbranch_execz .LBB3_236
.LBB3_235:
	v_bfe_u32 v2, v9, 8, 3
	v_ffbh_u32_e32 v6, v2
	v_min_u32_e32 v6, 32, v6
	v_lshrrev_b16_e32 v4, 3, v3
	v_subrev_u32_e32 v7, 28, v6
	v_and_b32_e32 v4, 15, v4
	v_lshlrev_b32_e32 v3, v7, v3
	v_sub_u32_e32 v6, 29, v6
	v_and_b32_e32 v3, 7, v3
	v_cmp_eq_u16_e32 vcc, 0, v4
	v_cndmask_b32_e32 v2, v2, v3, vcc
	v_cndmask_b32_e32 v3, v4, v6, vcc
	v_lshlrev_b32_e32 v4, 16, v9
	v_mov_b32_e32 v6, 0x3b800000
	v_lshlrev_b32_e32 v2, 20, v2
	v_and_b32_e32 v4, 0x80000000, v4
	v_lshl_add_u32 v3, v3, 23, v6
	v_or3_b32 v2, v4, v3, v2
.LBB3_236:
	s_or_b64 exec, exec, s[6:7]
	v_lshrrev_b32_e32 v3, 8, v5
	s_movk_i32 s4, 0x7f
	v_cmp_gt_i16_sdwa s[6:7], v3, s4 src0_sel:BYTE_0 src1_sel:DWORD
	s_mov_b64 s[4:5], 0
                                        ; implicit-def: $sgpr10
	s_and_saveexec_b64 s[8:9], s[6:7]
	s_xor_b64 s[6:7], exec, s[8:9]
	s_cbranch_execnz .LBB3_2285
; %bb.237:
	s_or_saveexec_b64 s[6:7], s[6:7]
	v_mov_b32_e32 v4, s10
	s_xor_b64 exec, exec, s[6:7]
	s_cbranch_execnz .LBB3_2288
.LBB3_238:
	s_or_b64 exec, exec, s[6:7]
	s_and_saveexec_b64 s[6:7], s[4:5]
	s_cbranch_execz .LBB3_240
.LBB3_239:
	v_bfe_u32 v4, v5, 8, 3
	v_ffbh_u32_e32 v7, v4
	v_min_u32_e32 v7, 32, v7
	v_lshrrev_b16_e32 v6, 3, v3
	v_subrev_u32_e32 v8, 28, v7
	v_and_b32_e32 v6, 15, v6
	v_lshlrev_b32_e32 v3, v8, v3
	v_sub_u32_e32 v7, 29, v7
	v_and_b32_e32 v3, 7, v3
	v_cmp_eq_u16_e32 vcc, 0, v6
	v_cndmask_b32_e32 v3, v4, v3, vcc
	v_cndmask_b32_e32 v4, v6, v7, vcc
	v_lshlrev_b32_e32 v6, 16, v5
	v_mov_b32_e32 v7, 0x3b800000
	v_lshlrev_b32_e32 v3, 20, v3
	v_and_b32_e32 v6, 0x80000000, v6
	v_lshl_add_u32 v4, v4, 23, v7
	v_or3_b32 v4, v6, v4, v3
.LBB3_240:
	s_or_b64 exec, exec, s[6:7]
	s_nop 0
	v_mfma_f32_16x16x4f32 a[0:3], v2, v4, a[0:3]
	s_movk_i32 s4, 0xff
	v_and_b32_sdwa v3, v9, s4 dst_sel:DWORD dst_unused:UNUSED_PAD src0_sel:WORD_1 src1_sel:DWORD
	s_movk_i32 s4, 0x7f
	v_cmp_lt_i16_e32 vcc, s4, v3
	s_mov_b64 s[4:5], 0
                                        ; implicit-def: $sgpr10
	s_and_saveexec_b64 s[6:7], vcc
	s_xor_b64 s[6:7], exec, s[6:7]
	s_cbranch_execnz .LBB3_2289
; %bb.241:
	s_or_saveexec_b64 s[6:7], s[6:7]
	v_mov_b32_e32 v2, s10
	s_xor_b64 exec, exec, s[6:7]
	s_cbranch_execnz .LBB3_2292
.LBB3_242:
	s_or_b64 exec, exec, s[6:7]
	s_and_saveexec_b64 s[6:7], s[4:5]
	s_cbranch_execz .LBB3_244
.LBB3_243:
	v_bfe_u32 v2, v9, 16, 3
	v_ffbh_u32_e32 v6, v2
	v_min_u32_e32 v6, 32, v6
	v_lshrrev_b32_e32 v3, 19, v9
	v_subrev_u32_e32 v7, 28, v6
	v_and_b32_e32 v3, 15, v3
	v_lshlrev_b32_sdwa v7, v7, v9 dst_sel:DWORD dst_unused:UNUSED_PAD src0_sel:DWORD src1_sel:WORD_1
	v_bfe_u32 v4, v9, 19, 4
	v_sub_u32_e32 v6, 29, v6
	v_and_b32_e32 v7, 7, v7
	v_cmp_eq_u16_e32 vcc, 0, v3
	v_cndmask_b32_e32 v2, v2, v7, vcc
	v_cndmask_b32_e32 v3, v4, v6, vcc
	v_lshlrev_b32_e32 v4, 8, v9
	v_mov_b32_e32 v6, 0x3b800000
	v_lshlrev_b32_e32 v2, 20, v2
	v_and_b32_e32 v4, 0x80000000, v4
	v_lshl_add_u32 v3, v3, 23, v6
	v_or3_b32 v2, v4, v3, v2
.LBB3_244:
	s_or_b64 exec, exec, s[6:7]
	s_movk_i32 s4, 0xff
	v_and_b32_sdwa v3, v5, s4 dst_sel:DWORD dst_unused:UNUSED_PAD src0_sel:WORD_1 src1_sel:DWORD
	s_movk_i32 s4, 0x7f
	v_cmp_lt_i16_e32 vcc, s4, v3
	s_mov_b64 s[4:5], 0
                                        ; implicit-def: $sgpr10
	s_and_saveexec_b64 s[6:7], vcc
	s_xor_b64 s[6:7], exec, s[6:7]
	s_cbranch_execnz .LBB3_2293
; %bb.245:
	s_or_saveexec_b64 s[6:7], s[6:7]
	v_mov_b32_e32 v4, s10
	s_xor_b64 exec, exec, s[6:7]
	s_cbranch_execnz .LBB3_2296
.LBB3_246:
	s_or_b64 exec, exec, s[6:7]
	s_and_saveexec_b64 s[6:7], s[4:5]
	s_cbranch_execz .LBB3_248
.LBB3_247:
	v_bfe_u32 v3, v5, 16, 3
	v_ffbh_u32_e32 v7, v3
	v_min_u32_e32 v7, 32, v7
	v_lshrrev_b32_e32 v4, 19, v5
	v_subrev_u32_e32 v8, 28, v7
	v_and_b32_e32 v4, 15, v4
	v_lshlrev_b32_sdwa v8, v8, v5 dst_sel:DWORD dst_unused:UNUSED_PAD src0_sel:DWORD src1_sel:WORD_1
	v_bfe_u32 v6, v5, 19, 4
	v_sub_u32_e32 v7, 29, v7
	v_and_b32_e32 v8, 7, v8
	v_cmp_eq_u16_e32 vcc, 0, v4
	v_cndmask_b32_e32 v3, v3, v8, vcc
	v_cndmask_b32_e32 v4, v6, v7, vcc
	v_lshlrev_b32_e32 v6, 8, v5
	v_mov_b32_e32 v7, 0x3b800000
	v_lshlrev_b32_e32 v3, 20, v3
	v_and_b32_e32 v6, 0x80000000, v6
	v_lshl_add_u32 v4, v4, 23, v7
	v_or3_b32 v4, v6, v4, v3
.LBB3_248:
	s_or_b64 exec, exec, s[6:7]
	s_nop 0
	v_mfma_f32_16x16x4f32 a[0:3], v2, v4, a[0:3]
	s_movk_i32 s4, 0x7f
	v_cmp_gt_i16_sdwa s[6:7], v9, s4 src0_sel:BYTE_3 src1_sel:DWORD
	s_mov_b64 s[4:5], 0
                                        ; implicit-def: $sgpr10
	s_and_saveexec_b64 s[8:9], s[6:7]
	s_xor_b64 s[6:7], exec, s[8:9]
	s_cbranch_execnz .LBB3_2297
; %bb.249:
	s_or_saveexec_b64 s[6:7], s[6:7]
	v_mov_b32_e32 v2, s10
	s_xor_b64 exec, exec, s[6:7]
	s_cbranch_execnz .LBB3_2300
.LBB3_250:
	s_or_b64 exec, exec, s[6:7]
	s_and_saveexec_b64 s[6:7], s[4:5]
	s_cbranch_execz .LBB3_252
.LBB3_251:
	v_bfe_u32 v2, v9, 24, 3
	v_ffbh_u32_e32 v7, v2
	v_min_u32_e32 v7, 32, v7
	v_lshrrev_b32_e32 v4, 27, v9
	v_subrev_u32_e32 v8, 28, v7
	v_and_b32_e32 v4, 15, v4
	v_lshlrev_b32_sdwa v8, v8, v9 dst_sel:DWORD dst_unused:UNUSED_PAD src0_sel:DWORD src1_sel:BYTE_3
	v_bfe_u32 v6, v9, 27, 4
	v_sub_u32_e32 v7, 29, v7
	v_and_b32_e32 v8, 7, v8
	v_cmp_eq_u16_e32 vcc, 0, v4
	v_cndmask_b32_e32 v2, v2, v8, vcc
	v_cndmask_b32_e32 v4, v6, v7, vcc
	v_mov_b32_e32 v6, 0x3b800000
	v_and_b32_e32 v3, 0x80000000, v9
	v_lshlrev_b32_e32 v2, 20, v2
	v_lshl_add_u32 v4, v4, 23, v6
	v_or3_b32 v2, v3, v4, v2
.LBB3_252:
	s_or_b64 exec, exec, s[6:7]
	s_movk_i32 s4, 0x7f
	v_cmp_gt_i16_sdwa s[6:7], v5, s4 src0_sel:BYTE_3 src1_sel:DWORD
	s_mov_b64 s[4:5], 0
                                        ; implicit-def: $sgpr10
	s_and_saveexec_b64 s[8:9], s[6:7]
	s_xor_b64 s[6:7], exec, s[8:9]
	s_cbranch_execnz .LBB3_2301
; %bb.253:
	s_or_saveexec_b64 s[6:7], s[6:7]
	v_mov_b32_e32 v3, s10
	s_xor_b64 exec, exec, s[6:7]
	s_cbranch_execnz .LBB3_2304
.LBB3_254:
	s_or_b64 exec, exec, s[6:7]
	s_and_saveexec_b64 s[6:7], s[4:5]
	s_cbranch_execz .LBB3_256
.LBB3_255:
	v_bfe_u32 v3, v5, 24, 3
	v_ffbh_u32_e32 v8, v3
	v_min_u32_e32 v8, 32, v8
	v_lshrrev_b32_e32 v6, 27, v5
	v_subrev_u32_e32 v9, 28, v8
	v_and_b32_e32 v4, 0x80000000, v5
	v_and_b32_e32 v6, 15, v6
	v_bfe_u32 v7, v5, 27, 4
	v_lshlrev_b32_sdwa v5, v9, v5 dst_sel:DWORD dst_unused:UNUSED_PAD src0_sel:DWORD src1_sel:BYTE_3
	v_sub_u32_e32 v8, 29, v8
	v_and_b32_e32 v5, 7, v5
	v_cmp_eq_u16_e32 vcc, 0, v6
	v_cndmask_b32_e32 v3, v3, v5, vcc
	v_cndmask_b32_e32 v5, v7, v8, vcc
	v_mov_b32_e32 v6, 0x3b800000
	v_lshlrev_b32_e32 v3, 20, v3
	v_lshl_add_u32 v5, v5, 23, v6
	v_or3_b32 v3, v4, v5, v3
.LBB3_256:
	s_or_b64 exec, exec, s[6:7]
	s_nop 0
	v_mfma_f32_16x16x4f32 a[0:3], v2, v3, a[0:3]
	s_movk_i32 s4, 0x7f
                                        ; implicit-def: $sgpr10
	s_nop 7
	s_nop 1
	flat_store_dwordx4 v[10:11], a[0:3] offset:16
	flat_load_dwordx4 v[12:15], v[0:1] offset:8
	s_nop 0
	flat_load_dwordx2 v[10:11], v[0:1] offset:32
	s_waitcnt vmcnt(0) lgkmcnt(0)
	flat_load_dwordx4 v[6:9], v[12:13]
	flat_load_dwordx4 v[2:5], v[14:15] offset:64
	s_waitcnt vmcnt(0) lgkmcnt(0)
	v_cmp_gt_i16_sdwa s[6:7], v6, s4 src0_sel:BYTE_0 src1_sel:DWORD
	s_mov_b64 s[4:5], 0
	s_and_saveexec_b64 s[8:9], s[6:7]
	s_xor_b64 s[6:7], exec, s[8:9]
	s_cbranch_execnz .LBB3_2305
; %bb.257:
	s_or_saveexec_b64 s[6:7], s[6:7]
	v_mov_b32_e32 v12, s10
	s_xor_b64 exec, exec, s[6:7]
	s_cbranch_execnz .LBB3_2308
.LBB3_258:
	s_or_b64 exec, exec, s[6:7]
	s_and_saveexec_b64 s[6:7], s[4:5]
	s_cbranch_execz .LBB3_260
.LBB3_259:
	v_and_b32_e32 v12, 7, v6
	v_ffbh_u32_e32 v14, v12
	v_min_u32_e32 v14, 32, v14
	v_lshrrev_b16_e32 v13, 3, v6
	v_subrev_u32_e32 v15, 28, v14
	v_and_b32_e32 v13, 15, v13
	v_lshlrev_b32_e32 v15, v15, v6
	v_sub_u32_e32 v14, 29, v14
	v_and_b32_e32 v15, 7, v15
	v_cmp_eq_u16_e32 vcc, 0, v13
	v_cndmask_b32_e32 v12, v12, v15, vcc
	v_cndmask_b32_e32 v13, v13, v14, vcc
	v_lshlrev_b32_e32 v14, 24, v6
	v_mov_b32_e32 v15, 0x3b800000
	v_lshlrev_b32_e32 v12, 20, v12
	v_and_b32_e32 v14, 0x80000000, v14
	v_lshl_add_u32 v13, v13, 23, v15
	v_or3_b32 v12, v14, v13, v12
.LBB3_260:
	s_or_b64 exec, exec, s[6:7]
	s_movk_i32 s4, 0x7f
	v_cmp_gt_i16_sdwa s[6:7], v2, s4 src0_sel:BYTE_0 src1_sel:DWORD
	s_mov_b64 s[4:5], 0
                                        ; implicit-def: $sgpr10
	s_and_saveexec_b64 s[8:9], s[6:7]
	s_xor_b64 s[6:7], exec, s[8:9]
	s_cbranch_execnz .LBB3_2309
; %bb.261:
	s_or_saveexec_b64 s[6:7], s[6:7]
	v_mov_b32_e32 v13, s10
	s_xor_b64 exec, exec, s[6:7]
	s_cbranch_execnz .LBB3_2312
.LBB3_262:
	s_or_b64 exec, exec, s[6:7]
	s_and_saveexec_b64 s[6:7], s[4:5]
	s_cbranch_execz .LBB3_264
.LBB3_263:
	v_and_b32_e32 v13, 7, v2
	v_ffbh_u32_e32 v15, v13
	v_min_u32_e32 v15, 32, v15
	v_lshrrev_b16_e32 v14, 3, v2
	v_subrev_u32_e32 v16, 28, v15
	v_and_b32_e32 v14, 15, v14
	v_lshlrev_b32_e32 v16, v16, v2
	v_sub_u32_e32 v15, 29, v15
	v_and_b32_e32 v16, 7, v16
	v_cmp_eq_u16_e32 vcc, 0, v14
	v_cndmask_b32_e32 v13, v13, v16, vcc
	v_cndmask_b32_e32 v14, v14, v15, vcc
	v_lshlrev_b32_e32 v15, 24, v2
	v_mov_b32_e32 v16, 0x3b800000
	v_lshlrev_b32_e32 v13, 20, v13
	v_and_b32_e32 v15, 0x80000000, v15
	v_lshl_add_u32 v14, v14, 23, v16
	v_or3_b32 v13, v15, v14, v13
.LBB3_264:
	s_or_b64 exec, exec, s[6:7]
	flat_load_dwordx4 a[0:3], v[10:11] offset:32
	s_movk_i32 s4, 0x7f
                                        ; implicit-def: $sgpr10
	s_waitcnt vmcnt(0) lgkmcnt(0)
	v_mfma_f32_16x16x4f32 a[0:3], v12, v13, a[0:3]
	v_lshrrev_b32_e32 v13, 8, v6
	v_cmp_gt_i16_sdwa s[6:7], v13, s4 src0_sel:BYTE_0 src1_sel:DWORD
	s_mov_b64 s[4:5], 0
	s_and_saveexec_b64 s[8:9], s[6:7]
	s_xor_b64 s[6:7], exec, s[8:9]
	s_cbranch_execnz .LBB3_2313
; %bb.265:
	s_or_saveexec_b64 s[6:7], s[6:7]
	v_mov_b32_e32 v12, s10
	s_xor_b64 exec, exec, s[6:7]
	s_cbranch_execnz .LBB3_2316
.LBB3_266:
	s_or_b64 exec, exec, s[6:7]
	s_and_saveexec_b64 s[6:7], s[4:5]
	s_cbranch_execz .LBB3_268
.LBB3_267:
	v_bfe_u32 v12, v6, 8, 3
	v_ffbh_u32_e32 v15, v12
	v_min_u32_e32 v15, 32, v15
	v_lshrrev_b16_e32 v14, 3, v13
	v_subrev_u32_e32 v16, 28, v15
	v_and_b32_e32 v14, 15, v14
	v_lshlrev_b32_e32 v13, v16, v13
	v_sub_u32_e32 v15, 29, v15
	v_and_b32_e32 v13, 7, v13
	v_cmp_eq_u16_e32 vcc, 0, v14
	v_cndmask_b32_e32 v12, v12, v13, vcc
	v_cndmask_b32_e32 v13, v14, v15, vcc
	v_lshlrev_b32_e32 v14, 16, v6
	v_mov_b32_e32 v15, 0x3b800000
	v_lshlrev_b32_e32 v12, 20, v12
	v_and_b32_e32 v14, 0x80000000, v14
	v_lshl_add_u32 v13, v13, 23, v15
	v_or3_b32 v12, v14, v13, v12
.LBB3_268:
	s_or_b64 exec, exec, s[6:7]
	v_lshrrev_b32_e32 v13, 8, v2
	s_movk_i32 s4, 0x7f
	v_cmp_gt_i16_sdwa s[6:7], v13, s4 src0_sel:BYTE_0 src1_sel:DWORD
	s_mov_b64 s[4:5], 0
                                        ; implicit-def: $sgpr10
	s_and_saveexec_b64 s[8:9], s[6:7]
	s_xor_b64 s[6:7], exec, s[8:9]
	s_cbranch_execnz .LBB3_2317
; %bb.269:
	s_or_saveexec_b64 s[6:7], s[6:7]
	v_mov_b32_e32 v14, s10
	s_xor_b64 exec, exec, s[6:7]
	s_cbranch_execnz .LBB3_2320
.LBB3_270:
	s_or_b64 exec, exec, s[6:7]
	s_and_saveexec_b64 s[6:7], s[4:5]
	s_cbranch_execz .LBB3_272
.LBB3_271:
	v_bfe_u32 v14, v2, 8, 3
	v_ffbh_u32_e32 v16, v14
	v_min_u32_e32 v16, 32, v16
	v_lshrrev_b16_e32 v15, 3, v13
	v_subrev_u32_e32 v17, 28, v16
	v_and_b32_e32 v15, 15, v15
	v_lshlrev_b32_e32 v13, v17, v13
	v_sub_u32_e32 v16, 29, v16
	v_and_b32_e32 v13, 7, v13
	v_cmp_eq_u16_e32 vcc, 0, v15
	v_cndmask_b32_e32 v13, v14, v13, vcc
	v_cndmask_b32_e32 v14, v15, v16, vcc
	v_lshlrev_b32_e32 v15, 16, v2
	v_mov_b32_e32 v16, 0x3b800000
	v_lshlrev_b32_e32 v13, 20, v13
	v_and_b32_e32 v15, 0x80000000, v15
	v_lshl_add_u32 v14, v14, 23, v16
	v_or3_b32 v14, v15, v14, v13
.LBB3_272:
	s_or_b64 exec, exec, s[6:7]
	s_nop 0
	v_mfma_f32_16x16x4f32 a[0:3], v12, v14, a[0:3]
	s_movk_i32 s4, 0xff
	v_and_b32_sdwa v13, v6, s4 dst_sel:DWORD dst_unused:UNUSED_PAD src0_sel:WORD_1 src1_sel:DWORD
	s_movk_i32 s4, 0x7f
	v_cmp_lt_i16_e32 vcc, s4, v13
	s_mov_b64 s[4:5], 0
                                        ; implicit-def: $sgpr10
	s_and_saveexec_b64 s[6:7], vcc
	s_xor_b64 s[6:7], exec, s[6:7]
	s_cbranch_execnz .LBB3_2321
; %bb.273:
	s_or_saveexec_b64 s[6:7], s[6:7]
	v_mov_b32_e32 v12, s10
	s_xor_b64 exec, exec, s[6:7]
	s_cbranch_execnz .LBB3_2324
.LBB3_274:
	s_or_b64 exec, exec, s[6:7]
	s_and_saveexec_b64 s[6:7], s[4:5]
	s_cbranch_execz .LBB3_276
.LBB3_275:
	v_bfe_u32 v12, v6, 16, 3
	v_ffbh_u32_e32 v15, v12
	v_min_u32_e32 v15, 32, v15
	v_lshrrev_b32_e32 v13, 19, v6
	v_subrev_u32_e32 v16, 28, v15
	v_and_b32_e32 v13, 15, v13
	v_lshlrev_b32_sdwa v16, v16, v6 dst_sel:DWORD dst_unused:UNUSED_PAD src0_sel:DWORD src1_sel:WORD_1
	v_bfe_u32 v14, v6, 19, 4
	v_sub_u32_e32 v15, 29, v15
	v_and_b32_e32 v16, 7, v16
	v_cmp_eq_u16_e32 vcc, 0, v13
	v_cndmask_b32_e32 v12, v12, v16, vcc
	v_cndmask_b32_e32 v13, v14, v15, vcc
	v_lshlrev_b32_e32 v14, 8, v6
	v_mov_b32_e32 v15, 0x3b800000
	v_lshlrev_b32_e32 v12, 20, v12
	v_and_b32_e32 v14, 0x80000000, v14
	v_lshl_add_u32 v13, v13, 23, v15
	v_or3_b32 v12, v14, v13, v12
.LBB3_276:
	s_or_b64 exec, exec, s[6:7]
	s_movk_i32 s4, 0xff
	v_and_b32_sdwa v13, v2, s4 dst_sel:DWORD dst_unused:UNUSED_PAD src0_sel:WORD_1 src1_sel:DWORD
	s_movk_i32 s4, 0x7f
	v_cmp_lt_i16_e32 vcc, s4, v13
	s_mov_b64 s[4:5], 0
                                        ; implicit-def: $sgpr10
	s_and_saveexec_b64 s[6:7], vcc
	s_xor_b64 s[6:7], exec, s[6:7]
	s_cbranch_execnz .LBB3_2325
; %bb.277:
	s_or_saveexec_b64 s[6:7], s[6:7]
	v_mov_b32_e32 v14, s10
	s_xor_b64 exec, exec, s[6:7]
	s_cbranch_execnz .LBB3_2328
.LBB3_278:
	s_or_b64 exec, exec, s[6:7]
	s_and_saveexec_b64 s[6:7], s[4:5]
	s_cbranch_execz .LBB3_280
.LBB3_279:
	v_bfe_u32 v13, v2, 16, 3
	v_ffbh_u32_e32 v16, v13
	v_min_u32_e32 v16, 32, v16
	v_lshrrev_b32_e32 v14, 19, v2
	v_subrev_u32_e32 v17, 28, v16
	v_and_b32_e32 v14, 15, v14
	v_lshlrev_b32_sdwa v17, v17, v2 dst_sel:DWORD dst_unused:UNUSED_PAD src0_sel:DWORD src1_sel:WORD_1
	v_bfe_u32 v15, v2, 19, 4
	v_sub_u32_e32 v16, 29, v16
	v_and_b32_e32 v17, 7, v17
	v_cmp_eq_u16_e32 vcc, 0, v14
	v_cndmask_b32_e32 v13, v13, v17, vcc
	v_cndmask_b32_e32 v14, v15, v16, vcc
	v_lshlrev_b32_e32 v15, 8, v2
	v_mov_b32_e32 v16, 0x3b800000
	v_lshlrev_b32_e32 v13, 20, v13
	v_and_b32_e32 v15, 0x80000000, v15
	v_lshl_add_u32 v14, v14, 23, v16
	v_or3_b32 v14, v15, v14, v13
.LBB3_280:
	s_or_b64 exec, exec, s[6:7]
	s_nop 0
	v_mfma_f32_16x16x4f32 a[0:3], v12, v14, a[0:3]
	s_movk_i32 s4, 0x7f
	v_cmp_gt_i16_sdwa s[6:7], v6, s4 src0_sel:BYTE_3 src1_sel:DWORD
	s_mov_b64 s[4:5], 0
                                        ; implicit-def: $sgpr10
	s_and_saveexec_b64 s[8:9], s[6:7]
	s_xor_b64 s[6:7], exec, s[8:9]
	s_cbranch_execnz .LBB3_2329
; %bb.281:
	s_or_saveexec_b64 s[6:7], s[6:7]
	v_mov_b32_e32 v12, s10
	s_xor_b64 exec, exec, s[6:7]
	s_cbranch_execnz .LBB3_2332
.LBB3_282:
	s_or_b64 exec, exec, s[6:7]
	s_and_saveexec_b64 s[6:7], s[4:5]
	s_cbranch_execz .LBB3_284
.LBB3_283:
	v_bfe_u32 v12, v6, 24, 3
	v_ffbh_u32_e32 v16, v12
	v_min_u32_e32 v16, 32, v16
	v_lshrrev_b32_e32 v14, 27, v6
	v_subrev_u32_e32 v17, 28, v16
	v_and_b32_e32 v13, 0x80000000, v6
	v_and_b32_e32 v14, 15, v14
	v_bfe_u32 v15, v6, 27, 4
	v_lshlrev_b32_sdwa v6, v17, v6 dst_sel:DWORD dst_unused:UNUSED_PAD src0_sel:DWORD src1_sel:BYTE_3
	v_sub_u32_e32 v16, 29, v16
	v_and_b32_e32 v6, 7, v6
	v_cmp_eq_u16_e32 vcc, 0, v14
	v_cndmask_b32_e32 v6, v12, v6, vcc
	v_cndmask_b32_e32 v12, v15, v16, vcc
	v_mov_b32_e32 v14, 0x3b800000
	v_lshlrev_b32_e32 v6, 20, v6
	v_lshl_add_u32 v12, v12, 23, v14
	v_or3_b32 v12, v13, v12, v6
.LBB3_284:
	s_or_b64 exec, exec, s[6:7]
	s_movk_i32 s4, 0x7f
	v_cmp_gt_i16_sdwa s[6:7], v2, s4 src0_sel:BYTE_3 src1_sel:DWORD
	s_mov_b64 s[4:5], 0
                                        ; implicit-def: $sgpr10
	s_and_saveexec_b64 s[8:9], s[6:7]
	s_xor_b64 s[6:7], exec, s[8:9]
	s_cbranch_execnz .LBB3_2333
; %bb.285:
	s_or_saveexec_b64 s[6:7], s[6:7]
	v_mov_b32_e32 v6, s10
	s_xor_b64 exec, exec, s[6:7]
	s_cbranch_execnz .LBB3_2336
.LBB3_286:
	s_or_b64 exec, exec, s[6:7]
	s_and_saveexec_b64 s[6:7], s[4:5]
	s_cbranch_execz .LBB3_288
.LBB3_287:
	v_bfe_u32 v6, v2, 24, 3
	v_ffbh_u32_e32 v16, v6
	v_min_u32_e32 v16, 32, v16
	v_lshrrev_b32_e32 v14, 27, v2
	v_subrev_u32_e32 v17, 28, v16
	v_and_b32_e32 v13, 0x80000000, v2
	v_and_b32_e32 v14, 15, v14
	v_bfe_u32 v15, v2, 27, 4
	v_lshlrev_b32_sdwa v2, v17, v2 dst_sel:DWORD dst_unused:UNUSED_PAD src0_sel:DWORD src1_sel:BYTE_3
	v_sub_u32_e32 v16, 29, v16
	v_and_b32_e32 v2, 7, v2
	v_cmp_eq_u16_e32 vcc, 0, v14
	v_cndmask_b32_e32 v2, v6, v2, vcc
	v_cndmask_b32_e32 v6, v15, v16, vcc
	v_mov_b32_e32 v14, 0x3b800000
	v_lshlrev_b32_e32 v2, 20, v2
	v_lshl_add_u32 v6, v6, 23, v14
	v_or3_b32 v6, v13, v6, v2
.LBB3_288:
	s_or_b64 exec, exec, s[6:7]
	s_nop 0
	v_mfma_f32_16x16x4f32 a[0:3], v12, v6, a[0:3]
	s_movk_i32 s4, 0x7f
	v_cmp_gt_i16_sdwa s[6:7], v7, s4 src0_sel:BYTE_0 src1_sel:DWORD
	s_mov_b64 s[4:5], 0
                                        ; implicit-def: $sgpr10
	s_and_saveexec_b64 s[8:9], s[6:7]
	s_xor_b64 s[6:7], exec, s[8:9]
	s_cbranch_execnz .LBB3_2337
; %bb.289:
	s_or_saveexec_b64 s[6:7], s[6:7]
	v_mov_b32_e32 v2, s10
	s_xor_b64 exec, exec, s[6:7]
	s_cbranch_execnz .LBB3_2340
.LBB3_290:
	s_or_b64 exec, exec, s[6:7]
	s_and_saveexec_b64 s[6:7], s[4:5]
	s_cbranch_execz .LBB3_292
.LBB3_291:
	v_and_b32_e32 v2, 7, v7
	v_ffbh_u32_e32 v12, v2
	v_min_u32_e32 v12, 32, v12
	v_lshrrev_b16_e32 v6, 3, v7
	v_subrev_u32_e32 v13, 28, v12
	v_and_b32_e32 v6, 15, v6
	v_lshlrev_b32_e32 v13, v13, v7
	v_sub_u32_e32 v12, 29, v12
	v_and_b32_e32 v13, 7, v13
	v_cmp_eq_u16_e32 vcc, 0, v6
	v_cndmask_b32_e32 v2, v2, v13, vcc
	v_cndmask_b32_e32 v6, v6, v12, vcc
	v_lshlrev_b32_e32 v12, 24, v7
	v_mov_b32_e32 v13, 0x3b800000
	v_lshlrev_b32_e32 v2, 20, v2
	v_and_b32_e32 v12, 0x80000000, v12
	v_lshl_add_u32 v6, v6, 23, v13
	v_or3_b32 v2, v12, v6, v2
.LBB3_292:
	s_or_b64 exec, exec, s[6:7]
	s_movk_i32 s4, 0x7f
	v_cmp_gt_i16_sdwa s[6:7], v3, s4 src0_sel:BYTE_0 src1_sel:DWORD
	s_mov_b64 s[4:5], 0
                                        ; implicit-def: $sgpr10
	s_and_saveexec_b64 s[8:9], s[6:7]
	s_xor_b64 s[6:7], exec, s[8:9]
	s_cbranch_execnz .LBB3_2341
; %bb.293:
	s_or_saveexec_b64 s[6:7], s[6:7]
	v_mov_b32_e32 v6, s10
	s_xor_b64 exec, exec, s[6:7]
	s_cbranch_execnz .LBB3_2344
.LBB3_294:
	s_or_b64 exec, exec, s[6:7]
	s_and_saveexec_b64 s[6:7], s[4:5]
	s_cbranch_execz .LBB3_296
.LBB3_295:
	v_and_b32_e32 v6, 7, v3
	v_ffbh_u32_e32 v13, v6
	v_min_u32_e32 v13, 32, v13
	v_lshrrev_b16_e32 v12, 3, v3
	v_subrev_u32_e32 v14, 28, v13
	v_and_b32_e32 v12, 15, v12
	v_lshlrev_b32_e32 v14, v14, v3
	v_sub_u32_e32 v13, 29, v13
	v_and_b32_e32 v14, 7, v14
	v_cmp_eq_u16_e32 vcc, 0, v12
	v_cndmask_b32_e32 v6, v6, v14, vcc
	v_cndmask_b32_e32 v12, v12, v13, vcc
	v_lshlrev_b32_e32 v13, 24, v3
	v_mov_b32_e32 v14, 0x3b800000
	v_lshlrev_b32_e32 v6, 20, v6
	v_and_b32_e32 v13, 0x80000000, v13
	v_lshl_add_u32 v12, v12, 23, v14
	v_or3_b32 v6, v13, v12, v6
.LBB3_296:
	s_or_b64 exec, exec, s[6:7]
	s_nop 0
	v_mfma_f32_16x16x4f32 a[0:3], v2, v6, a[0:3]
	v_lshrrev_b32_e32 v6, 8, v7
	s_movk_i32 s4, 0x7f
	v_cmp_gt_i16_sdwa s[6:7], v6, s4 src0_sel:BYTE_0 src1_sel:DWORD
	s_mov_b64 s[4:5], 0
                                        ; implicit-def: $sgpr10
	s_and_saveexec_b64 s[8:9], s[6:7]
	s_xor_b64 s[6:7], exec, s[8:9]
	s_cbranch_execnz .LBB3_2345
; %bb.297:
	s_or_saveexec_b64 s[6:7], s[6:7]
	v_mov_b32_e32 v2, s10
	s_xor_b64 exec, exec, s[6:7]
	s_cbranch_execnz .LBB3_2348
.LBB3_298:
	s_or_b64 exec, exec, s[6:7]
	s_and_saveexec_b64 s[6:7], s[4:5]
	s_cbranch_execz .LBB3_300
.LBB3_299:
	v_bfe_u32 v2, v7, 8, 3
	v_ffbh_u32_e32 v13, v2
	v_min_u32_e32 v13, 32, v13
	v_lshrrev_b16_e32 v12, 3, v6
	v_subrev_u32_e32 v14, 28, v13
	v_and_b32_e32 v12, 15, v12
	v_lshlrev_b32_e32 v6, v14, v6
	v_sub_u32_e32 v13, 29, v13
	v_and_b32_e32 v6, 7, v6
	v_cmp_eq_u16_e32 vcc, 0, v12
	v_cndmask_b32_e32 v2, v2, v6, vcc
	v_cndmask_b32_e32 v6, v12, v13, vcc
	v_lshlrev_b32_e32 v12, 16, v7
	v_mov_b32_e32 v13, 0x3b800000
	v_lshlrev_b32_e32 v2, 20, v2
	v_and_b32_e32 v12, 0x80000000, v12
	v_lshl_add_u32 v6, v6, 23, v13
	v_or3_b32 v2, v12, v6, v2
.LBB3_300:
	s_or_b64 exec, exec, s[6:7]
	v_lshrrev_b32_e32 v6, 8, v3
	s_movk_i32 s4, 0x7f
	v_cmp_gt_i16_sdwa s[6:7], v6, s4 src0_sel:BYTE_0 src1_sel:DWORD
	s_mov_b64 s[4:5], 0
                                        ; implicit-def: $sgpr10
	s_and_saveexec_b64 s[8:9], s[6:7]
	s_xor_b64 s[6:7], exec, s[8:9]
	s_cbranch_execnz .LBB3_2349
; %bb.301:
	s_or_saveexec_b64 s[6:7], s[6:7]
	v_mov_b32_e32 v12, s10
	s_xor_b64 exec, exec, s[6:7]
	s_cbranch_execnz .LBB3_2352
.LBB3_302:
	s_or_b64 exec, exec, s[6:7]
	s_and_saveexec_b64 s[6:7], s[4:5]
	s_cbranch_execz .LBB3_304
.LBB3_303:
	v_bfe_u32 v12, v3, 8, 3
	v_ffbh_u32_e32 v14, v12
	v_min_u32_e32 v14, 32, v14
	v_lshrrev_b16_e32 v13, 3, v6
	v_subrev_u32_e32 v15, 28, v14
	v_and_b32_e32 v13, 15, v13
	v_lshlrev_b32_e32 v6, v15, v6
	v_sub_u32_e32 v14, 29, v14
	v_and_b32_e32 v6, 7, v6
	v_cmp_eq_u16_e32 vcc, 0, v13
	v_cndmask_b32_e32 v6, v12, v6, vcc
	v_cndmask_b32_e32 v12, v13, v14, vcc
	v_lshlrev_b32_e32 v13, 16, v3
	v_mov_b32_e32 v14, 0x3b800000
	v_lshlrev_b32_e32 v6, 20, v6
	v_and_b32_e32 v13, 0x80000000, v13
	v_lshl_add_u32 v12, v12, 23, v14
	v_or3_b32 v12, v13, v12, v6
.LBB3_304:
	s_or_b64 exec, exec, s[6:7]
	s_nop 0
	v_mfma_f32_16x16x4f32 a[0:3], v2, v12, a[0:3]
	s_movk_i32 s4, 0xff
	v_and_b32_sdwa v6, v7, s4 dst_sel:DWORD dst_unused:UNUSED_PAD src0_sel:WORD_1 src1_sel:DWORD
	s_movk_i32 s4, 0x7f
	v_cmp_lt_i16_e32 vcc, s4, v6
	s_mov_b64 s[4:5], 0
                                        ; implicit-def: $sgpr10
	s_and_saveexec_b64 s[6:7], vcc
	s_xor_b64 s[6:7], exec, s[6:7]
	s_cbranch_execnz .LBB3_2353
; %bb.305:
	s_or_saveexec_b64 s[6:7], s[6:7]
	v_mov_b32_e32 v2, s10
	s_xor_b64 exec, exec, s[6:7]
	s_cbranch_execnz .LBB3_2356
.LBB3_306:
	s_or_b64 exec, exec, s[6:7]
	s_and_saveexec_b64 s[6:7], s[4:5]
	s_cbranch_execz .LBB3_308
.LBB3_307:
	v_bfe_u32 v2, v7, 16, 3
	v_ffbh_u32_e32 v13, v2
	v_min_u32_e32 v13, 32, v13
	v_lshrrev_b32_e32 v6, 19, v7
	v_subrev_u32_e32 v14, 28, v13
	v_and_b32_e32 v6, 15, v6
	v_lshlrev_b32_sdwa v14, v14, v7 dst_sel:DWORD dst_unused:UNUSED_PAD src0_sel:DWORD src1_sel:WORD_1
	v_bfe_u32 v12, v7, 19, 4
	v_sub_u32_e32 v13, 29, v13
	v_and_b32_e32 v14, 7, v14
	v_cmp_eq_u16_e32 vcc, 0, v6
	v_cndmask_b32_e32 v2, v2, v14, vcc
	v_cndmask_b32_e32 v6, v12, v13, vcc
	v_lshlrev_b32_e32 v12, 8, v7
	v_mov_b32_e32 v13, 0x3b800000
	v_lshlrev_b32_e32 v2, 20, v2
	v_and_b32_e32 v12, 0x80000000, v12
	v_lshl_add_u32 v6, v6, 23, v13
	v_or3_b32 v2, v12, v6, v2
.LBB3_308:
	s_or_b64 exec, exec, s[6:7]
	s_movk_i32 s4, 0xff
	v_and_b32_sdwa v6, v3, s4 dst_sel:DWORD dst_unused:UNUSED_PAD src0_sel:WORD_1 src1_sel:DWORD
	s_movk_i32 s4, 0x7f
	v_cmp_lt_i16_e32 vcc, s4, v6
	s_mov_b64 s[4:5], 0
                                        ; implicit-def: $sgpr10
	s_and_saveexec_b64 s[6:7], vcc
	s_xor_b64 s[6:7], exec, s[6:7]
	s_cbranch_execnz .LBB3_2357
; %bb.309:
	s_or_saveexec_b64 s[6:7], s[6:7]
	v_mov_b32_e32 v12, s10
	s_xor_b64 exec, exec, s[6:7]
	s_cbranch_execnz .LBB3_2360
.LBB3_310:
	s_or_b64 exec, exec, s[6:7]
	s_and_saveexec_b64 s[6:7], s[4:5]
	s_cbranch_execz .LBB3_312
.LBB3_311:
	v_bfe_u32 v6, v3, 16, 3
	v_ffbh_u32_e32 v14, v6
	v_min_u32_e32 v14, 32, v14
	v_lshrrev_b32_e32 v12, 19, v3
	v_subrev_u32_e32 v15, 28, v14
	v_and_b32_e32 v12, 15, v12
	v_lshlrev_b32_sdwa v15, v15, v3 dst_sel:DWORD dst_unused:UNUSED_PAD src0_sel:DWORD src1_sel:WORD_1
	v_bfe_u32 v13, v3, 19, 4
	v_sub_u32_e32 v14, 29, v14
	v_and_b32_e32 v15, 7, v15
	v_cmp_eq_u16_e32 vcc, 0, v12
	v_cndmask_b32_e32 v6, v6, v15, vcc
	v_cndmask_b32_e32 v12, v13, v14, vcc
	v_lshlrev_b32_e32 v13, 8, v3
	v_mov_b32_e32 v14, 0x3b800000
	v_lshlrev_b32_e32 v6, 20, v6
	v_and_b32_e32 v13, 0x80000000, v13
	v_lshl_add_u32 v12, v12, 23, v14
	v_or3_b32 v12, v13, v12, v6
.LBB3_312:
	s_or_b64 exec, exec, s[6:7]
	s_nop 0
	v_mfma_f32_16x16x4f32 a[0:3], v2, v12, a[0:3]
	s_movk_i32 s4, 0x7f
	v_cmp_gt_i16_sdwa s[6:7], v7, s4 src0_sel:BYTE_3 src1_sel:DWORD
	s_mov_b64 s[4:5], 0
                                        ; implicit-def: $sgpr10
	s_and_saveexec_b64 s[8:9], s[6:7]
	s_xor_b64 s[6:7], exec, s[8:9]
	s_cbranch_execnz .LBB3_2361
; %bb.313:
	s_or_saveexec_b64 s[6:7], s[6:7]
	v_mov_b32_e32 v2, s10
	s_xor_b64 exec, exec, s[6:7]
	s_cbranch_execnz .LBB3_2364
.LBB3_314:
	s_or_b64 exec, exec, s[6:7]
	s_and_saveexec_b64 s[6:7], s[4:5]
	s_cbranch_execz .LBB3_316
.LBB3_315:
	v_bfe_u32 v2, v7, 24, 3
	v_ffbh_u32_e32 v14, v2
	v_min_u32_e32 v14, 32, v14
	v_lshrrev_b32_e32 v12, 27, v7
	v_subrev_u32_e32 v15, 28, v14
	v_and_b32_e32 v6, 0x80000000, v7
	v_and_b32_e32 v12, 15, v12
	v_bfe_u32 v13, v7, 27, 4
	v_lshlrev_b32_sdwa v7, v15, v7 dst_sel:DWORD dst_unused:UNUSED_PAD src0_sel:DWORD src1_sel:BYTE_3
	v_sub_u32_e32 v14, 29, v14
	v_and_b32_e32 v7, 7, v7
	v_cmp_eq_u16_e32 vcc, 0, v12
	v_cndmask_b32_e32 v2, v2, v7, vcc
	v_cndmask_b32_e32 v7, v13, v14, vcc
	v_mov_b32_e32 v12, 0x3b800000
	v_lshlrev_b32_e32 v2, 20, v2
	v_lshl_add_u32 v7, v7, 23, v12
	v_or3_b32 v2, v6, v7, v2
.LBB3_316:
	s_or_b64 exec, exec, s[6:7]
	s_movk_i32 s4, 0x7f
	v_cmp_gt_i16_sdwa s[6:7], v3, s4 src0_sel:BYTE_3 src1_sel:DWORD
	s_mov_b64 s[4:5], 0
                                        ; implicit-def: $sgpr10
	s_and_saveexec_b64 s[8:9], s[6:7]
	s_xor_b64 s[6:7], exec, s[8:9]
	s_cbranch_execnz .LBB3_2365
; %bb.317:
	s_or_saveexec_b64 s[6:7], s[6:7]
	v_mov_b32_e32 v6, s10
	s_xor_b64 exec, exec, s[6:7]
	s_cbranch_execnz .LBB3_2368
.LBB3_318:
	s_or_b64 exec, exec, s[6:7]
	s_and_saveexec_b64 s[6:7], s[4:5]
	s_cbranch_execz .LBB3_320
.LBB3_319:
	v_bfe_u32 v6, v3, 24, 3
	v_ffbh_u32_e32 v14, v6
	v_min_u32_e32 v14, 32, v14
	v_lshrrev_b32_e32 v12, 27, v3
	v_subrev_u32_e32 v15, 28, v14
	v_and_b32_e32 v7, 0x80000000, v3
	v_and_b32_e32 v12, 15, v12
	v_bfe_u32 v13, v3, 27, 4
	v_lshlrev_b32_sdwa v3, v15, v3 dst_sel:DWORD dst_unused:UNUSED_PAD src0_sel:DWORD src1_sel:BYTE_3
	v_sub_u32_e32 v14, 29, v14
	v_and_b32_e32 v3, 7, v3
	v_cmp_eq_u16_e32 vcc, 0, v12
	v_cndmask_b32_e32 v3, v6, v3, vcc
	v_cndmask_b32_e32 v6, v13, v14, vcc
	v_mov_b32_e32 v12, 0x3b800000
	v_lshlrev_b32_e32 v3, 20, v3
	v_lshl_add_u32 v6, v6, 23, v12
	v_or3_b32 v6, v7, v6, v3
.LBB3_320:
	s_or_b64 exec, exec, s[6:7]
	s_nop 0
	v_mfma_f32_16x16x4f32 a[0:3], v2, v6, a[0:3]
	s_movk_i32 s4, 0x7f
	v_cmp_gt_i16_sdwa s[6:7], v8, s4 src0_sel:BYTE_0 src1_sel:DWORD
	s_mov_b64 s[4:5], 0
                                        ; implicit-def: $sgpr10
	s_and_saveexec_b64 s[8:9], s[6:7]
	s_xor_b64 s[6:7], exec, s[8:9]
	s_cbranch_execnz .LBB3_2369
; %bb.321:
	s_or_saveexec_b64 s[6:7], s[6:7]
	v_mov_b32_e32 v2, s10
	s_xor_b64 exec, exec, s[6:7]
	s_cbranch_execnz .LBB3_2372
.LBB3_322:
	s_or_b64 exec, exec, s[6:7]
	s_and_saveexec_b64 s[6:7], s[4:5]
	s_cbranch_execz .LBB3_324
.LBB3_323:
	v_and_b32_e32 v2, 7, v8
	v_ffbh_u32_e32 v6, v2
	v_min_u32_e32 v6, 32, v6
	v_lshrrev_b16_e32 v3, 3, v8
	v_subrev_u32_e32 v7, 28, v6
	v_and_b32_e32 v3, 15, v3
	v_lshlrev_b32_e32 v7, v7, v8
	v_sub_u32_e32 v6, 29, v6
	v_and_b32_e32 v7, 7, v7
	v_cmp_eq_u16_e32 vcc, 0, v3
	v_cndmask_b32_e32 v2, v2, v7, vcc
	v_cndmask_b32_e32 v3, v3, v6, vcc
	v_lshlrev_b32_e32 v6, 24, v8
	v_mov_b32_e32 v7, 0x3b800000
	v_lshlrev_b32_e32 v2, 20, v2
	v_and_b32_e32 v6, 0x80000000, v6
	v_lshl_add_u32 v3, v3, 23, v7
	v_or3_b32 v2, v6, v3, v2
.LBB3_324:
	s_or_b64 exec, exec, s[6:7]
	s_movk_i32 s4, 0x7f
	v_cmp_gt_i16_sdwa s[6:7], v4, s4 src0_sel:BYTE_0 src1_sel:DWORD
	s_mov_b64 s[4:5], 0
                                        ; implicit-def: $sgpr10
	s_and_saveexec_b64 s[8:9], s[6:7]
	s_xor_b64 s[6:7], exec, s[8:9]
	s_cbranch_execnz .LBB3_2373
; %bb.325:
	s_or_saveexec_b64 s[6:7], s[6:7]
	v_mov_b32_e32 v3, s10
	s_xor_b64 exec, exec, s[6:7]
	s_cbranch_execnz .LBB3_2376
.LBB3_326:
	s_or_b64 exec, exec, s[6:7]
	s_and_saveexec_b64 s[6:7], s[4:5]
	s_cbranch_execz .LBB3_328
.LBB3_327:
	v_and_b32_e32 v3, 7, v4
	v_ffbh_u32_e32 v7, v3
	v_min_u32_e32 v7, 32, v7
	v_lshrrev_b16_e32 v6, 3, v4
	v_subrev_u32_e32 v12, 28, v7
	v_and_b32_e32 v6, 15, v6
	v_lshlrev_b32_e32 v12, v12, v4
	v_sub_u32_e32 v7, 29, v7
	v_and_b32_e32 v12, 7, v12
	v_cmp_eq_u16_e32 vcc, 0, v6
	v_cndmask_b32_e32 v3, v3, v12, vcc
	v_cndmask_b32_e32 v6, v6, v7, vcc
	v_lshlrev_b32_e32 v7, 24, v4
	v_mov_b32_e32 v12, 0x3b800000
	v_lshlrev_b32_e32 v3, 20, v3
	v_and_b32_e32 v7, 0x80000000, v7
	v_lshl_add_u32 v6, v6, 23, v12
	v_or3_b32 v3, v7, v6, v3
.LBB3_328:
	s_or_b64 exec, exec, s[6:7]
	s_nop 0
	v_mfma_f32_16x16x4f32 a[0:3], v2, v3, a[0:3]
	v_lshrrev_b32_e32 v3, 8, v8
	s_movk_i32 s4, 0x7f
	v_cmp_gt_i16_sdwa s[6:7], v3, s4 src0_sel:BYTE_0 src1_sel:DWORD
	s_mov_b64 s[4:5], 0
                                        ; implicit-def: $sgpr10
	s_and_saveexec_b64 s[8:9], s[6:7]
	s_xor_b64 s[6:7], exec, s[8:9]
	s_cbranch_execnz .LBB3_2377
; %bb.329:
	s_or_saveexec_b64 s[6:7], s[6:7]
	v_mov_b32_e32 v2, s10
	s_xor_b64 exec, exec, s[6:7]
	s_cbranch_execnz .LBB3_2380
.LBB3_330:
	s_or_b64 exec, exec, s[6:7]
	s_and_saveexec_b64 s[6:7], s[4:5]
	s_cbranch_execz .LBB3_332
.LBB3_331:
	v_bfe_u32 v2, v8, 8, 3
	v_ffbh_u32_e32 v7, v2
	v_min_u32_e32 v7, 32, v7
	v_lshrrev_b16_e32 v6, 3, v3
	v_subrev_u32_e32 v12, 28, v7
	v_and_b32_e32 v6, 15, v6
	v_lshlrev_b32_e32 v3, v12, v3
	v_sub_u32_e32 v7, 29, v7
	v_and_b32_e32 v3, 7, v3
	v_cmp_eq_u16_e32 vcc, 0, v6
	v_cndmask_b32_e32 v2, v2, v3, vcc
	v_cndmask_b32_e32 v3, v6, v7, vcc
	v_lshlrev_b32_e32 v6, 16, v8
	v_mov_b32_e32 v7, 0x3b800000
	v_lshlrev_b32_e32 v2, 20, v2
	v_and_b32_e32 v6, 0x80000000, v6
	v_lshl_add_u32 v3, v3, 23, v7
	v_or3_b32 v2, v6, v3, v2
.LBB3_332:
	s_or_b64 exec, exec, s[6:7]
	v_lshrrev_b32_e32 v3, 8, v4
	s_movk_i32 s4, 0x7f
	v_cmp_gt_i16_sdwa s[6:7], v3, s4 src0_sel:BYTE_0 src1_sel:DWORD
	s_mov_b64 s[4:5], 0
                                        ; implicit-def: $sgpr10
	s_and_saveexec_b64 s[8:9], s[6:7]
	s_xor_b64 s[6:7], exec, s[8:9]
	s_cbranch_execnz .LBB3_2381
; %bb.333:
	s_or_saveexec_b64 s[6:7], s[6:7]
	v_mov_b32_e32 v6, s10
	s_xor_b64 exec, exec, s[6:7]
	s_cbranch_execnz .LBB3_2384
.LBB3_334:
	s_or_b64 exec, exec, s[6:7]
	s_and_saveexec_b64 s[6:7], s[4:5]
	s_cbranch_execz .LBB3_336
.LBB3_335:
	v_bfe_u32 v6, v4, 8, 3
	v_ffbh_u32_e32 v12, v6
	v_min_u32_e32 v12, 32, v12
	v_lshrrev_b16_e32 v7, 3, v3
	v_subrev_u32_e32 v13, 28, v12
	v_and_b32_e32 v7, 15, v7
	v_lshlrev_b32_e32 v3, v13, v3
	v_sub_u32_e32 v12, 29, v12
	v_and_b32_e32 v3, 7, v3
	v_cmp_eq_u16_e32 vcc, 0, v7
	v_cndmask_b32_e32 v3, v6, v3, vcc
	v_cndmask_b32_e32 v6, v7, v12, vcc
	v_lshlrev_b32_e32 v7, 16, v4
	v_mov_b32_e32 v12, 0x3b800000
	v_lshlrev_b32_e32 v3, 20, v3
	v_and_b32_e32 v7, 0x80000000, v7
	v_lshl_add_u32 v6, v6, 23, v12
	v_or3_b32 v6, v7, v6, v3
.LBB3_336:
	s_or_b64 exec, exec, s[6:7]
	s_nop 0
	v_mfma_f32_16x16x4f32 a[0:3], v2, v6, a[0:3]
	s_movk_i32 s4, 0xff
	v_and_b32_sdwa v3, v8, s4 dst_sel:DWORD dst_unused:UNUSED_PAD src0_sel:WORD_1 src1_sel:DWORD
	s_movk_i32 s4, 0x7f
	v_cmp_lt_i16_e32 vcc, s4, v3
	s_mov_b64 s[4:5], 0
                                        ; implicit-def: $sgpr10
	s_and_saveexec_b64 s[6:7], vcc
	s_xor_b64 s[6:7], exec, s[6:7]
	s_cbranch_execnz .LBB3_2385
; %bb.337:
	s_or_saveexec_b64 s[6:7], s[6:7]
	v_mov_b32_e32 v2, s10
	s_xor_b64 exec, exec, s[6:7]
	s_cbranch_execnz .LBB3_2388
.LBB3_338:
	s_or_b64 exec, exec, s[6:7]
	s_and_saveexec_b64 s[6:7], s[4:5]
	s_cbranch_execz .LBB3_340
.LBB3_339:
	v_bfe_u32 v2, v8, 16, 3
	v_ffbh_u32_e32 v7, v2
	v_min_u32_e32 v7, 32, v7
	v_lshrrev_b32_e32 v3, 19, v8
	v_subrev_u32_e32 v12, 28, v7
	v_and_b32_e32 v3, 15, v3
	v_lshlrev_b32_sdwa v12, v12, v8 dst_sel:DWORD dst_unused:UNUSED_PAD src0_sel:DWORD src1_sel:WORD_1
	v_bfe_u32 v6, v8, 19, 4
	v_sub_u32_e32 v7, 29, v7
	v_and_b32_e32 v12, 7, v12
	v_cmp_eq_u16_e32 vcc, 0, v3
	v_cndmask_b32_e32 v2, v2, v12, vcc
	v_cndmask_b32_e32 v3, v6, v7, vcc
	v_lshlrev_b32_e32 v6, 8, v8
	v_mov_b32_e32 v7, 0x3b800000
	v_lshlrev_b32_e32 v2, 20, v2
	v_and_b32_e32 v6, 0x80000000, v6
	v_lshl_add_u32 v3, v3, 23, v7
	v_or3_b32 v2, v6, v3, v2
.LBB3_340:
	s_or_b64 exec, exec, s[6:7]
	s_movk_i32 s4, 0xff
	v_and_b32_sdwa v3, v4, s4 dst_sel:DWORD dst_unused:UNUSED_PAD src0_sel:WORD_1 src1_sel:DWORD
	s_movk_i32 s4, 0x7f
	v_cmp_lt_i16_e32 vcc, s4, v3
	s_mov_b64 s[4:5], 0
                                        ; implicit-def: $sgpr10
	s_and_saveexec_b64 s[6:7], vcc
	s_xor_b64 s[6:7], exec, s[6:7]
	s_cbranch_execnz .LBB3_2389
; %bb.341:
	s_or_saveexec_b64 s[6:7], s[6:7]
	v_mov_b32_e32 v6, s10
	s_xor_b64 exec, exec, s[6:7]
	s_cbranch_execnz .LBB3_2392
.LBB3_342:
	s_or_b64 exec, exec, s[6:7]
	s_and_saveexec_b64 s[6:7], s[4:5]
	s_cbranch_execz .LBB3_344
.LBB3_343:
	v_bfe_u32 v3, v4, 16, 3
	v_ffbh_u32_e32 v12, v3
	v_min_u32_e32 v12, 32, v12
	v_lshrrev_b32_e32 v6, 19, v4
	v_subrev_u32_e32 v13, 28, v12
	v_and_b32_e32 v6, 15, v6
	v_lshlrev_b32_sdwa v13, v13, v4 dst_sel:DWORD dst_unused:UNUSED_PAD src0_sel:DWORD src1_sel:WORD_1
	v_bfe_u32 v7, v4, 19, 4
	v_sub_u32_e32 v12, 29, v12
	v_and_b32_e32 v13, 7, v13
	v_cmp_eq_u16_e32 vcc, 0, v6
	v_cndmask_b32_e32 v3, v3, v13, vcc
	v_cndmask_b32_e32 v6, v7, v12, vcc
	v_lshlrev_b32_e32 v7, 8, v4
	v_mov_b32_e32 v12, 0x3b800000
	v_lshlrev_b32_e32 v3, 20, v3
	v_and_b32_e32 v7, 0x80000000, v7
	v_lshl_add_u32 v6, v6, 23, v12
	v_or3_b32 v6, v7, v6, v3
.LBB3_344:
	s_or_b64 exec, exec, s[6:7]
	s_nop 0
	v_mfma_f32_16x16x4f32 a[0:3], v2, v6, a[0:3]
	s_movk_i32 s4, 0x7f
	v_cmp_gt_i16_sdwa s[6:7], v8, s4 src0_sel:BYTE_3 src1_sel:DWORD
	s_mov_b64 s[4:5], 0
                                        ; implicit-def: $sgpr10
	s_and_saveexec_b64 s[8:9], s[6:7]
	s_xor_b64 s[6:7], exec, s[8:9]
	s_cbranch_execnz .LBB3_2393
; %bb.345:
	s_or_saveexec_b64 s[6:7], s[6:7]
	v_mov_b32_e32 v2, s10
	s_xor_b64 exec, exec, s[6:7]
	s_cbranch_execnz .LBB3_2396
.LBB3_346:
	s_or_b64 exec, exec, s[6:7]
	s_and_saveexec_b64 s[6:7], s[4:5]
	s_cbranch_execz .LBB3_348
.LBB3_347:
	v_bfe_u32 v2, v8, 24, 3
	v_ffbh_u32_e32 v12, v2
	v_min_u32_e32 v12, 32, v12
	v_lshrrev_b32_e32 v6, 27, v8
	v_subrev_u32_e32 v13, 28, v12
	v_and_b32_e32 v3, 0x80000000, v8
	v_and_b32_e32 v6, 15, v6
	v_bfe_u32 v7, v8, 27, 4
	v_lshlrev_b32_sdwa v8, v13, v8 dst_sel:DWORD dst_unused:UNUSED_PAD src0_sel:DWORD src1_sel:BYTE_3
	v_sub_u32_e32 v12, 29, v12
	v_and_b32_e32 v8, 7, v8
	v_cmp_eq_u16_e32 vcc, 0, v6
	v_cndmask_b32_e32 v2, v2, v8, vcc
	v_cndmask_b32_e32 v6, v7, v12, vcc
	v_mov_b32_e32 v7, 0x3b800000
	v_lshlrev_b32_e32 v2, 20, v2
	v_lshl_add_u32 v6, v6, 23, v7
	v_or3_b32 v2, v3, v6, v2
.LBB3_348:
	s_or_b64 exec, exec, s[6:7]
	s_movk_i32 s4, 0x7f
	v_cmp_gt_i16_sdwa s[6:7], v4, s4 src0_sel:BYTE_3 src1_sel:DWORD
	s_mov_b64 s[4:5], 0
                                        ; implicit-def: $sgpr10
	s_and_saveexec_b64 s[8:9], s[6:7]
	s_xor_b64 s[6:7], exec, s[8:9]
	s_cbranch_execnz .LBB3_2397
; %bb.349:
	s_or_saveexec_b64 s[6:7], s[6:7]
	v_mov_b32_e32 v3, s10
	s_xor_b64 exec, exec, s[6:7]
	s_cbranch_execnz .LBB3_2400
.LBB3_350:
	s_or_b64 exec, exec, s[6:7]
	s_and_saveexec_b64 s[6:7], s[4:5]
	s_cbranch_execz .LBB3_352
.LBB3_351:
	v_bfe_u32 v3, v4, 24, 3
	v_ffbh_u32_e32 v12, v3
	v_min_u32_e32 v12, 32, v12
	v_lshrrev_b32_e32 v7, 27, v4
	v_subrev_u32_e32 v13, 28, v12
	v_and_b32_e32 v6, 0x80000000, v4
	v_and_b32_e32 v7, 15, v7
	v_bfe_u32 v8, v4, 27, 4
	v_lshlrev_b32_sdwa v4, v13, v4 dst_sel:DWORD dst_unused:UNUSED_PAD src0_sel:DWORD src1_sel:BYTE_3
	v_sub_u32_e32 v12, 29, v12
	v_and_b32_e32 v4, 7, v4
	v_cmp_eq_u16_e32 vcc, 0, v7
	v_cndmask_b32_e32 v3, v3, v4, vcc
	v_cndmask_b32_e32 v4, v8, v12, vcc
	v_mov_b32_e32 v7, 0x3b800000
	v_lshlrev_b32_e32 v3, 20, v3
	v_lshl_add_u32 v4, v4, 23, v7
	v_or3_b32 v3, v6, v4, v3
.LBB3_352:
	s_or_b64 exec, exec, s[6:7]
	s_nop 0
	v_mfma_f32_16x16x4f32 a[0:3], v2, v3, a[0:3]
	s_movk_i32 s4, 0x7f
	v_cmp_gt_i16_sdwa s[6:7], v9, s4 src0_sel:BYTE_0 src1_sel:DWORD
	s_mov_b64 s[4:5], 0
                                        ; implicit-def: $sgpr10
	s_and_saveexec_b64 s[8:9], s[6:7]
	s_xor_b64 s[6:7], exec, s[8:9]
	s_cbranch_execnz .LBB3_2401
; %bb.353:
	s_or_saveexec_b64 s[6:7], s[6:7]
	v_mov_b32_e32 v2, s10
	s_xor_b64 exec, exec, s[6:7]
	s_cbranch_execnz .LBB3_2404
.LBB3_354:
	s_or_b64 exec, exec, s[6:7]
	s_and_saveexec_b64 s[6:7], s[4:5]
	s_cbranch_execz .LBB3_356
.LBB3_355:
	v_mov_b32_e32 v2, 8
	v_and_b32_e32 v3, 7, v9
	v_lshrrev_b32_sdwa v2, v2, v9 dst_sel:BYTE_1 dst_unused:UNUSED_PAD src0_sel:DWORD src1_sel:DWORD
	v_ffbh_u32_e32 v4, v3
	v_or_b32_sdwa v2, v9, v2 dst_sel:DWORD dst_unused:UNUSED_PAD src0_sel:BYTE_0 src1_sel:DWORD
	v_min_u32_e32 v4, 32, v4
	v_lshrrev_b16_e32 v2, 3, v2
	v_subrev_u32_e32 v6, 28, v4
	v_and_b32_e32 v2, 15, v2
	v_lshlrev_b32_e32 v6, v6, v9
	v_sub_u32_e32 v4, 29, v4
	v_and_b32_e32 v6, 7, v6
	v_cmp_eq_u16_e32 vcc, 0, v2
	v_cndmask_b32_e32 v3, v3, v6, vcc
	v_cndmask_b32_e32 v2, v2, v4, vcc
	v_lshlrev_b32_e32 v4, 24, v9
	v_mov_b32_e32 v6, 0x3b800000
	v_lshlrev_b32_e32 v3, 20, v3
	v_and_b32_e32 v4, 0x80000000, v4
	v_lshl_add_u32 v2, v2, 23, v6
	v_or3_b32 v2, v4, v2, v3
.LBB3_356:
	s_or_b64 exec, exec, s[6:7]
	s_movk_i32 s4, 0x7f
	v_cmp_gt_i16_sdwa s[6:7], v5, s4 src0_sel:BYTE_0 src1_sel:DWORD
	s_mov_b64 s[4:5], 0
                                        ; implicit-def: $sgpr10
	s_and_saveexec_b64 s[8:9], s[6:7]
	s_xor_b64 s[6:7], exec, s[8:9]
	s_cbranch_execnz .LBB3_2405
; %bb.357:
	s_or_saveexec_b64 s[6:7], s[6:7]
	v_mov_b32_e32 v3, s10
	s_xor_b64 exec, exec, s[6:7]
	s_cbranch_execnz .LBB3_2408
.LBB3_358:
	s_or_b64 exec, exec, s[6:7]
	s_and_saveexec_b64 s[6:7], s[4:5]
	s_cbranch_execz .LBB3_360
.LBB3_359:
	v_mov_b32_e32 v3, 8
	v_and_b32_e32 v4, 7, v5
	v_lshrrev_b32_sdwa v3, v3, v5 dst_sel:BYTE_1 dst_unused:UNUSED_PAD src0_sel:DWORD src1_sel:DWORD
	v_ffbh_u32_e32 v6, v4
	v_or_b32_sdwa v3, v5, v3 dst_sel:DWORD dst_unused:UNUSED_PAD src0_sel:BYTE_0 src1_sel:DWORD
	v_min_u32_e32 v6, 32, v6
	v_lshrrev_b16_e32 v3, 3, v3
	v_subrev_u32_e32 v7, 28, v6
	v_and_b32_e32 v3, 15, v3
	v_lshlrev_b32_e32 v7, v7, v5
	v_sub_u32_e32 v6, 29, v6
	v_and_b32_e32 v7, 7, v7
	v_cmp_eq_u16_e32 vcc, 0, v3
	v_cndmask_b32_e32 v4, v4, v7, vcc
	v_cndmask_b32_e32 v3, v3, v6, vcc
	v_lshlrev_b32_e32 v6, 24, v5
	v_mov_b32_e32 v7, 0x3b800000
	v_lshlrev_b32_e32 v4, 20, v4
	v_and_b32_e32 v6, 0x80000000, v6
	v_lshl_add_u32 v3, v3, 23, v7
	v_or3_b32 v3, v6, v3, v4
.LBB3_360:
	s_or_b64 exec, exec, s[6:7]
	s_nop 0
	v_mfma_f32_16x16x4f32 a[0:3], v2, v3, a[0:3]
	v_lshrrev_b32_e32 v3, 8, v9
	s_movk_i32 s4, 0x7f
	v_cmp_gt_i16_sdwa s[6:7], v3, s4 src0_sel:BYTE_0 src1_sel:DWORD
	s_mov_b64 s[4:5], 0
                                        ; implicit-def: $sgpr10
	s_and_saveexec_b64 s[8:9], s[6:7]
	s_xor_b64 s[6:7], exec, s[8:9]
	s_cbranch_execnz .LBB3_2409
; %bb.361:
	s_or_saveexec_b64 s[6:7], s[6:7]
	v_mov_b32_e32 v2, s10
	s_xor_b64 exec, exec, s[6:7]
	s_cbranch_execnz .LBB3_2412
.LBB3_362:
	s_or_b64 exec, exec, s[6:7]
	s_and_saveexec_b64 s[6:7], s[4:5]
	s_cbranch_execz .LBB3_364
.LBB3_363:
	v_bfe_u32 v2, v9, 8, 3
	v_ffbh_u32_e32 v6, v2
	v_min_u32_e32 v6, 32, v6
	v_lshrrev_b16_e32 v4, 3, v3
	v_subrev_u32_e32 v7, 28, v6
	v_and_b32_e32 v4, 15, v4
	v_lshlrev_b32_e32 v3, v7, v3
	v_sub_u32_e32 v6, 29, v6
	v_and_b32_e32 v3, 7, v3
	v_cmp_eq_u16_e32 vcc, 0, v4
	v_cndmask_b32_e32 v2, v2, v3, vcc
	v_cndmask_b32_e32 v3, v4, v6, vcc
	v_lshlrev_b32_e32 v4, 16, v9
	v_mov_b32_e32 v6, 0x3b800000
	v_lshlrev_b32_e32 v2, 20, v2
	v_and_b32_e32 v4, 0x80000000, v4
	v_lshl_add_u32 v3, v3, 23, v6
	v_or3_b32 v2, v4, v3, v2
.LBB3_364:
	s_or_b64 exec, exec, s[6:7]
	v_lshrrev_b32_e32 v3, 8, v5
	s_movk_i32 s4, 0x7f
	v_cmp_gt_i16_sdwa s[6:7], v3, s4 src0_sel:BYTE_0 src1_sel:DWORD
	s_mov_b64 s[4:5], 0
                                        ; implicit-def: $sgpr10
	s_and_saveexec_b64 s[8:9], s[6:7]
	s_xor_b64 s[6:7], exec, s[8:9]
	s_cbranch_execnz .LBB3_2413
; %bb.365:
	s_or_saveexec_b64 s[6:7], s[6:7]
	v_mov_b32_e32 v4, s10
	s_xor_b64 exec, exec, s[6:7]
	s_cbranch_execnz .LBB3_2416
.LBB3_366:
	s_or_b64 exec, exec, s[6:7]
	s_and_saveexec_b64 s[6:7], s[4:5]
	s_cbranch_execz .LBB3_368
.LBB3_367:
	v_bfe_u32 v4, v5, 8, 3
	v_ffbh_u32_e32 v7, v4
	v_min_u32_e32 v7, 32, v7
	v_lshrrev_b16_e32 v6, 3, v3
	v_subrev_u32_e32 v8, 28, v7
	v_and_b32_e32 v6, 15, v6
	v_lshlrev_b32_e32 v3, v8, v3
	v_sub_u32_e32 v7, 29, v7
	v_and_b32_e32 v3, 7, v3
	v_cmp_eq_u16_e32 vcc, 0, v6
	v_cndmask_b32_e32 v3, v4, v3, vcc
	v_cndmask_b32_e32 v4, v6, v7, vcc
	v_lshlrev_b32_e32 v6, 16, v5
	v_mov_b32_e32 v7, 0x3b800000
	v_lshlrev_b32_e32 v3, 20, v3
	v_and_b32_e32 v6, 0x80000000, v6
	v_lshl_add_u32 v4, v4, 23, v7
	v_or3_b32 v4, v6, v4, v3
.LBB3_368:
	s_or_b64 exec, exec, s[6:7]
	s_nop 0
	v_mfma_f32_16x16x4f32 a[0:3], v2, v4, a[0:3]
	s_movk_i32 s4, 0xff
	v_and_b32_sdwa v3, v9, s4 dst_sel:DWORD dst_unused:UNUSED_PAD src0_sel:WORD_1 src1_sel:DWORD
	s_movk_i32 s4, 0x7f
	v_cmp_lt_i16_e32 vcc, s4, v3
	s_mov_b64 s[4:5], 0
                                        ; implicit-def: $sgpr10
	s_and_saveexec_b64 s[6:7], vcc
	s_xor_b64 s[6:7], exec, s[6:7]
	s_cbranch_execnz .LBB3_2417
; %bb.369:
	s_or_saveexec_b64 s[6:7], s[6:7]
	v_mov_b32_e32 v2, s10
	s_xor_b64 exec, exec, s[6:7]
	s_cbranch_execnz .LBB3_2420
.LBB3_370:
	s_or_b64 exec, exec, s[6:7]
	s_and_saveexec_b64 s[6:7], s[4:5]
	s_cbranch_execz .LBB3_372
.LBB3_371:
	v_bfe_u32 v2, v9, 16, 3
	v_ffbh_u32_e32 v6, v2
	v_min_u32_e32 v6, 32, v6
	v_lshrrev_b32_e32 v3, 19, v9
	v_subrev_u32_e32 v7, 28, v6
	v_and_b32_e32 v3, 15, v3
	v_lshlrev_b32_sdwa v7, v7, v9 dst_sel:DWORD dst_unused:UNUSED_PAD src0_sel:DWORD src1_sel:WORD_1
	v_bfe_u32 v4, v9, 19, 4
	v_sub_u32_e32 v6, 29, v6
	v_and_b32_e32 v7, 7, v7
	v_cmp_eq_u16_e32 vcc, 0, v3
	v_cndmask_b32_e32 v2, v2, v7, vcc
	v_cndmask_b32_e32 v3, v4, v6, vcc
	v_lshlrev_b32_e32 v4, 8, v9
	v_mov_b32_e32 v6, 0x3b800000
	v_lshlrev_b32_e32 v2, 20, v2
	v_and_b32_e32 v4, 0x80000000, v4
	v_lshl_add_u32 v3, v3, 23, v6
	v_or3_b32 v2, v4, v3, v2
.LBB3_372:
	s_or_b64 exec, exec, s[6:7]
	s_movk_i32 s4, 0xff
	v_and_b32_sdwa v3, v5, s4 dst_sel:DWORD dst_unused:UNUSED_PAD src0_sel:WORD_1 src1_sel:DWORD
	s_movk_i32 s4, 0x7f
	v_cmp_lt_i16_e32 vcc, s4, v3
	s_mov_b64 s[4:5], 0
                                        ; implicit-def: $sgpr10
	s_and_saveexec_b64 s[6:7], vcc
	s_xor_b64 s[6:7], exec, s[6:7]
	s_cbranch_execnz .LBB3_2421
; %bb.373:
	s_or_saveexec_b64 s[6:7], s[6:7]
	v_mov_b32_e32 v4, s10
	s_xor_b64 exec, exec, s[6:7]
	s_cbranch_execnz .LBB3_2424
.LBB3_374:
	s_or_b64 exec, exec, s[6:7]
	s_and_saveexec_b64 s[6:7], s[4:5]
	s_cbranch_execz .LBB3_376
.LBB3_375:
	v_bfe_u32 v3, v5, 16, 3
	v_ffbh_u32_e32 v7, v3
	v_min_u32_e32 v7, 32, v7
	v_lshrrev_b32_e32 v4, 19, v5
	v_subrev_u32_e32 v8, 28, v7
	v_and_b32_e32 v4, 15, v4
	v_lshlrev_b32_sdwa v8, v8, v5 dst_sel:DWORD dst_unused:UNUSED_PAD src0_sel:DWORD src1_sel:WORD_1
	v_bfe_u32 v6, v5, 19, 4
	v_sub_u32_e32 v7, 29, v7
	v_and_b32_e32 v8, 7, v8
	v_cmp_eq_u16_e32 vcc, 0, v4
	v_cndmask_b32_e32 v3, v3, v8, vcc
	v_cndmask_b32_e32 v4, v6, v7, vcc
	v_lshlrev_b32_e32 v6, 8, v5
	v_mov_b32_e32 v7, 0x3b800000
	v_lshlrev_b32_e32 v3, 20, v3
	v_and_b32_e32 v6, 0x80000000, v6
	v_lshl_add_u32 v4, v4, 23, v7
	v_or3_b32 v4, v6, v4, v3
.LBB3_376:
	s_or_b64 exec, exec, s[6:7]
	s_nop 0
	v_mfma_f32_16x16x4f32 a[0:3], v2, v4, a[0:3]
	s_movk_i32 s4, 0x7f
	v_cmp_gt_i16_sdwa s[6:7], v9, s4 src0_sel:BYTE_3 src1_sel:DWORD
	s_mov_b64 s[4:5], 0
                                        ; implicit-def: $sgpr10
	s_and_saveexec_b64 s[8:9], s[6:7]
	s_xor_b64 s[6:7], exec, s[8:9]
	s_cbranch_execnz .LBB3_2425
; %bb.377:
	s_or_saveexec_b64 s[6:7], s[6:7]
	v_mov_b32_e32 v2, s10
	s_xor_b64 exec, exec, s[6:7]
	s_cbranch_execnz .LBB3_2428
.LBB3_378:
	s_or_b64 exec, exec, s[6:7]
	s_and_saveexec_b64 s[6:7], s[4:5]
	s_cbranch_execz .LBB3_380
.LBB3_379:
	v_bfe_u32 v2, v9, 24, 3
	v_ffbh_u32_e32 v7, v2
	v_min_u32_e32 v7, 32, v7
	v_lshrrev_b32_e32 v4, 27, v9
	v_subrev_u32_e32 v8, 28, v7
	v_and_b32_e32 v4, 15, v4
	v_lshlrev_b32_sdwa v8, v8, v9 dst_sel:DWORD dst_unused:UNUSED_PAD src0_sel:DWORD src1_sel:BYTE_3
	v_bfe_u32 v6, v9, 27, 4
	v_sub_u32_e32 v7, 29, v7
	v_and_b32_e32 v8, 7, v8
	v_cmp_eq_u16_e32 vcc, 0, v4
	v_cndmask_b32_e32 v2, v2, v8, vcc
	v_cndmask_b32_e32 v4, v6, v7, vcc
	v_mov_b32_e32 v6, 0x3b800000
	v_and_b32_e32 v3, 0x80000000, v9
	v_lshlrev_b32_e32 v2, 20, v2
	v_lshl_add_u32 v4, v4, 23, v6
	v_or3_b32 v2, v3, v4, v2
.LBB3_380:
	s_or_b64 exec, exec, s[6:7]
	s_movk_i32 s4, 0x7f
	v_cmp_gt_i16_sdwa s[6:7], v5, s4 src0_sel:BYTE_3 src1_sel:DWORD
	s_mov_b64 s[4:5], 0
                                        ; implicit-def: $sgpr10
	s_and_saveexec_b64 s[8:9], s[6:7]
	s_xor_b64 s[6:7], exec, s[8:9]
	s_cbranch_execnz .LBB3_2429
; %bb.381:
	s_or_saveexec_b64 s[6:7], s[6:7]
	v_mov_b32_e32 v3, s10
	s_xor_b64 exec, exec, s[6:7]
	s_cbranch_execnz .LBB3_2432
.LBB3_382:
	s_or_b64 exec, exec, s[6:7]
	s_and_saveexec_b64 s[6:7], s[4:5]
	s_cbranch_execz .LBB3_384
.LBB3_383:
	v_bfe_u32 v3, v5, 24, 3
	v_ffbh_u32_e32 v8, v3
	v_min_u32_e32 v8, 32, v8
	v_lshrrev_b32_e32 v6, 27, v5
	v_subrev_u32_e32 v9, 28, v8
	v_and_b32_e32 v4, 0x80000000, v5
	v_and_b32_e32 v6, 15, v6
	v_bfe_u32 v7, v5, 27, 4
	v_lshlrev_b32_sdwa v5, v9, v5 dst_sel:DWORD dst_unused:UNUSED_PAD src0_sel:DWORD src1_sel:BYTE_3
	v_sub_u32_e32 v8, 29, v8
	v_and_b32_e32 v5, 7, v5
	v_cmp_eq_u16_e32 vcc, 0, v6
	v_cndmask_b32_e32 v3, v3, v5, vcc
	v_cndmask_b32_e32 v5, v7, v8, vcc
	v_mov_b32_e32 v6, 0x3b800000
	v_lshlrev_b32_e32 v3, 20, v3
	v_lshl_add_u32 v5, v5, 23, v6
	v_or3_b32 v3, v4, v5, v3
.LBB3_384:
	s_or_b64 exec, exec, s[6:7]
	s_nop 0
	v_mfma_f32_16x16x4f32 a[0:3], v2, v3, a[0:3]
	s_movk_i32 s4, 0x7f
                                        ; implicit-def: $sgpr10
	s_nop 7
	s_nop 1
	flat_store_dwordx4 v[10:11], a[0:3] offset:32
	flat_load_dwordx4 v[12:15], v[0:1] offset:8
	s_nop 0
	flat_load_dwordx2 v[10:11], v[0:1] offset:32
	s_waitcnt vmcnt(0) lgkmcnt(0)
	flat_load_dwordx4 v[6:9], v[12:13]
	flat_load_dwordx4 v[2:5], v[14:15] offset:96
	s_waitcnt vmcnt(0) lgkmcnt(0)
	v_cmp_gt_i16_sdwa s[6:7], v6, s4 src0_sel:BYTE_0 src1_sel:DWORD
	s_mov_b64 s[4:5], 0
	s_and_saveexec_b64 s[8:9], s[6:7]
	s_xor_b64 s[6:7], exec, s[8:9]
	s_cbranch_execnz .LBB3_2433
; %bb.385:
	s_or_saveexec_b64 s[6:7], s[6:7]
	v_mov_b32_e32 v12, s10
	s_xor_b64 exec, exec, s[6:7]
	s_cbranch_execnz .LBB3_2436
.LBB3_386:
	s_or_b64 exec, exec, s[6:7]
	s_and_saveexec_b64 s[6:7], s[4:5]
	s_cbranch_execz .LBB3_388
.LBB3_387:
	v_and_b32_e32 v12, 7, v6
	v_ffbh_u32_e32 v14, v12
	v_min_u32_e32 v14, 32, v14
	v_lshrrev_b16_e32 v13, 3, v6
	v_subrev_u32_e32 v15, 28, v14
	v_and_b32_e32 v13, 15, v13
	v_lshlrev_b32_e32 v15, v15, v6
	v_sub_u32_e32 v14, 29, v14
	v_and_b32_e32 v15, 7, v15
	v_cmp_eq_u16_e32 vcc, 0, v13
	v_cndmask_b32_e32 v12, v12, v15, vcc
	v_cndmask_b32_e32 v13, v13, v14, vcc
	v_lshlrev_b32_e32 v14, 24, v6
	v_mov_b32_e32 v15, 0x3b800000
	v_lshlrev_b32_e32 v12, 20, v12
	v_and_b32_e32 v14, 0x80000000, v14
	v_lshl_add_u32 v13, v13, 23, v15
	v_or3_b32 v12, v14, v13, v12
.LBB3_388:
	s_or_b64 exec, exec, s[6:7]
	s_movk_i32 s4, 0x7f
	v_cmp_gt_i16_sdwa s[6:7], v2, s4 src0_sel:BYTE_0 src1_sel:DWORD
	s_mov_b64 s[4:5], 0
                                        ; implicit-def: $sgpr10
	s_and_saveexec_b64 s[8:9], s[6:7]
	s_xor_b64 s[6:7], exec, s[8:9]
	s_cbranch_execnz .LBB3_2437
; %bb.389:
	s_or_saveexec_b64 s[6:7], s[6:7]
	v_mov_b32_e32 v13, s10
	s_xor_b64 exec, exec, s[6:7]
	s_cbranch_execnz .LBB3_2440
.LBB3_390:
	s_or_b64 exec, exec, s[6:7]
	s_and_saveexec_b64 s[6:7], s[4:5]
	s_cbranch_execz .LBB3_392
.LBB3_391:
	v_and_b32_e32 v13, 7, v2
	v_ffbh_u32_e32 v15, v13
	v_min_u32_e32 v15, 32, v15
	v_lshrrev_b16_e32 v14, 3, v2
	v_subrev_u32_e32 v16, 28, v15
	v_and_b32_e32 v14, 15, v14
	v_lshlrev_b32_e32 v16, v16, v2
	v_sub_u32_e32 v15, 29, v15
	v_and_b32_e32 v16, 7, v16
	v_cmp_eq_u16_e32 vcc, 0, v14
	v_cndmask_b32_e32 v13, v13, v16, vcc
	v_cndmask_b32_e32 v14, v14, v15, vcc
	v_lshlrev_b32_e32 v15, 24, v2
	v_mov_b32_e32 v16, 0x3b800000
	v_lshlrev_b32_e32 v13, 20, v13
	v_and_b32_e32 v15, 0x80000000, v15
	v_lshl_add_u32 v14, v14, 23, v16
	v_or3_b32 v13, v15, v14, v13
.LBB3_392:
	s_or_b64 exec, exec, s[6:7]
	flat_load_dwordx4 a[0:3], v[10:11] offset:48
	s_movk_i32 s4, 0x7f
                                        ; implicit-def: $sgpr10
	s_waitcnt vmcnt(0) lgkmcnt(0)
	v_mfma_f32_16x16x4f32 a[0:3], v12, v13, a[0:3]
	v_lshrrev_b32_e32 v13, 8, v6
	v_cmp_gt_i16_sdwa s[6:7], v13, s4 src0_sel:BYTE_0 src1_sel:DWORD
	s_mov_b64 s[4:5], 0
	s_and_saveexec_b64 s[8:9], s[6:7]
	s_xor_b64 s[6:7], exec, s[8:9]
	s_cbranch_execnz .LBB3_2441
; %bb.393:
	s_or_saveexec_b64 s[6:7], s[6:7]
	v_mov_b32_e32 v12, s10
	s_xor_b64 exec, exec, s[6:7]
	s_cbranch_execnz .LBB3_2444
.LBB3_394:
	s_or_b64 exec, exec, s[6:7]
	s_and_saveexec_b64 s[6:7], s[4:5]
	s_cbranch_execz .LBB3_396
.LBB3_395:
	v_bfe_u32 v12, v6, 8, 3
	v_ffbh_u32_e32 v15, v12
	v_min_u32_e32 v15, 32, v15
	v_lshrrev_b16_e32 v14, 3, v13
	v_subrev_u32_e32 v16, 28, v15
	v_and_b32_e32 v14, 15, v14
	v_lshlrev_b32_e32 v13, v16, v13
	v_sub_u32_e32 v15, 29, v15
	v_and_b32_e32 v13, 7, v13
	v_cmp_eq_u16_e32 vcc, 0, v14
	v_cndmask_b32_e32 v12, v12, v13, vcc
	v_cndmask_b32_e32 v13, v14, v15, vcc
	v_lshlrev_b32_e32 v14, 16, v6
	v_mov_b32_e32 v15, 0x3b800000
	v_lshlrev_b32_e32 v12, 20, v12
	v_and_b32_e32 v14, 0x80000000, v14
	v_lshl_add_u32 v13, v13, 23, v15
	v_or3_b32 v12, v14, v13, v12
.LBB3_396:
	s_or_b64 exec, exec, s[6:7]
	v_lshrrev_b32_e32 v13, 8, v2
	s_movk_i32 s4, 0x7f
	v_cmp_gt_i16_sdwa s[6:7], v13, s4 src0_sel:BYTE_0 src1_sel:DWORD
	s_mov_b64 s[4:5], 0
                                        ; implicit-def: $sgpr10
	s_and_saveexec_b64 s[8:9], s[6:7]
	s_xor_b64 s[6:7], exec, s[8:9]
	s_cbranch_execnz .LBB3_2445
; %bb.397:
	s_or_saveexec_b64 s[6:7], s[6:7]
	v_mov_b32_e32 v14, s10
	s_xor_b64 exec, exec, s[6:7]
	s_cbranch_execnz .LBB3_2448
.LBB3_398:
	s_or_b64 exec, exec, s[6:7]
	s_and_saveexec_b64 s[6:7], s[4:5]
	s_cbranch_execz .LBB3_400
.LBB3_399:
	v_bfe_u32 v14, v2, 8, 3
	v_ffbh_u32_e32 v16, v14
	v_min_u32_e32 v16, 32, v16
	v_lshrrev_b16_e32 v15, 3, v13
	v_subrev_u32_e32 v17, 28, v16
	v_and_b32_e32 v15, 15, v15
	v_lshlrev_b32_e32 v13, v17, v13
	v_sub_u32_e32 v16, 29, v16
	v_and_b32_e32 v13, 7, v13
	v_cmp_eq_u16_e32 vcc, 0, v15
	v_cndmask_b32_e32 v13, v14, v13, vcc
	v_cndmask_b32_e32 v14, v15, v16, vcc
	v_lshlrev_b32_e32 v15, 16, v2
	v_mov_b32_e32 v16, 0x3b800000
	v_lshlrev_b32_e32 v13, 20, v13
	v_and_b32_e32 v15, 0x80000000, v15
	v_lshl_add_u32 v14, v14, 23, v16
	v_or3_b32 v14, v15, v14, v13
.LBB3_400:
	s_or_b64 exec, exec, s[6:7]
	s_nop 0
	v_mfma_f32_16x16x4f32 a[0:3], v12, v14, a[0:3]
	s_movk_i32 s4, 0xff
	v_and_b32_sdwa v13, v6, s4 dst_sel:DWORD dst_unused:UNUSED_PAD src0_sel:WORD_1 src1_sel:DWORD
	s_movk_i32 s4, 0x7f
	v_cmp_lt_i16_e32 vcc, s4, v13
	s_mov_b64 s[4:5], 0
                                        ; implicit-def: $sgpr10
	s_and_saveexec_b64 s[6:7], vcc
	s_xor_b64 s[6:7], exec, s[6:7]
	s_cbranch_execnz .LBB3_2449
; %bb.401:
	s_or_saveexec_b64 s[6:7], s[6:7]
	v_mov_b32_e32 v12, s10
	s_xor_b64 exec, exec, s[6:7]
	s_cbranch_execnz .LBB3_2452
.LBB3_402:
	s_or_b64 exec, exec, s[6:7]
	s_and_saveexec_b64 s[6:7], s[4:5]
	s_cbranch_execz .LBB3_404
.LBB3_403:
	v_bfe_u32 v12, v6, 16, 3
	v_ffbh_u32_e32 v15, v12
	v_min_u32_e32 v15, 32, v15
	v_lshrrev_b32_e32 v13, 19, v6
	v_subrev_u32_e32 v16, 28, v15
	v_and_b32_e32 v13, 15, v13
	v_lshlrev_b32_sdwa v16, v16, v6 dst_sel:DWORD dst_unused:UNUSED_PAD src0_sel:DWORD src1_sel:WORD_1
	v_bfe_u32 v14, v6, 19, 4
	v_sub_u32_e32 v15, 29, v15
	v_and_b32_e32 v16, 7, v16
	v_cmp_eq_u16_e32 vcc, 0, v13
	v_cndmask_b32_e32 v12, v12, v16, vcc
	v_cndmask_b32_e32 v13, v14, v15, vcc
	v_lshlrev_b32_e32 v14, 8, v6
	v_mov_b32_e32 v15, 0x3b800000
	v_lshlrev_b32_e32 v12, 20, v12
	v_and_b32_e32 v14, 0x80000000, v14
	v_lshl_add_u32 v13, v13, 23, v15
	v_or3_b32 v12, v14, v13, v12
.LBB3_404:
	s_or_b64 exec, exec, s[6:7]
	s_movk_i32 s4, 0xff
	v_and_b32_sdwa v13, v2, s4 dst_sel:DWORD dst_unused:UNUSED_PAD src0_sel:WORD_1 src1_sel:DWORD
	s_movk_i32 s4, 0x7f
	v_cmp_lt_i16_e32 vcc, s4, v13
	s_mov_b64 s[4:5], 0
                                        ; implicit-def: $sgpr10
	s_and_saveexec_b64 s[6:7], vcc
	s_xor_b64 s[6:7], exec, s[6:7]
	s_cbranch_execnz .LBB3_2453
; %bb.405:
	s_or_saveexec_b64 s[6:7], s[6:7]
	v_mov_b32_e32 v14, s10
	s_xor_b64 exec, exec, s[6:7]
	s_cbranch_execnz .LBB3_2456
.LBB3_406:
	s_or_b64 exec, exec, s[6:7]
	s_and_saveexec_b64 s[6:7], s[4:5]
	s_cbranch_execz .LBB3_408
.LBB3_407:
	v_bfe_u32 v13, v2, 16, 3
	v_ffbh_u32_e32 v16, v13
	v_min_u32_e32 v16, 32, v16
	v_lshrrev_b32_e32 v14, 19, v2
	v_subrev_u32_e32 v17, 28, v16
	v_and_b32_e32 v14, 15, v14
	v_lshlrev_b32_sdwa v17, v17, v2 dst_sel:DWORD dst_unused:UNUSED_PAD src0_sel:DWORD src1_sel:WORD_1
	v_bfe_u32 v15, v2, 19, 4
	v_sub_u32_e32 v16, 29, v16
	v_and_b32_e32 v17, 7, v17
	v_cmp_eq_u16_e32 vcc, 0, v14
	v_cndmask_b32_e32 v13, v13, v17, vcc
	v_cndmask_b32_e32 v14, v15, v16, vcc
	v_lshlrev_b32_e32 v15, 8, v2
	v_mov_b32_e32 v16, 0x3b800000
	v_lshlrev_b32_e32 v13, 20, v13
	v_and_b32_e32 v15, 0x80000000, v15
	v_lshl_add_u32 v14, v14, 23, v16
	v_or3_b32 v14, v15, v14, v13
.LBB3_408:
	s_or_b64 exec, exec, s[6:7]
	s_nop 0
	v_mfma_f32_16x16x4f32 a[0:3], v12, v14, a[0:3]
	s_movk_i32 s4, 0x7f
	v_cmp_gt_i16_sdwa s[6:7], v6, s4 src0_sel:BYTE_3 src1_sel:DWORD
	s_mov_b64 s[4:5], 0
                                        ; implicit-def: $sgpr10
	s_and_saveexec_b64 s[8:9], s[6:7]
	s_xor_b64 s[6:7], exec, s[8:9]
	s_cbranch_execnz .LBB3_2457
; %bb.409:
	s_or_saveexec_b64 s[6:7], s[6:7]
	v_mov_b32_e32 v12, s10
	s_xor_b64 exec, exec, s[6:7]
	s_cbranch_execnz .LBB3_2460
.LBB3_410:
	s_or_b64 exec, exec, s[6:7]
	s_and_saveexec_b64 s[6:7], s[4:5]
	s_cbranch_execz .LBB3_412
.LBB3_411:
	v_bfe_u32 v12, v6, 24, 3
	v_ffbh_u32_e32 v16, v12
	v_min_u32_e32 v16, 32, v16
	v_lshrrev_b32_e32 v14, 27, v6
	v_subrev_u32_e32 v17, 28, v16
	v_and_b32_e32 v13, 0x80000000, v6
	v_and_b32_e32 v14, 15, v14
	v_bfe_u32 v15, v6, 27, 4
	v_lshlrev_b32_sdwa v6, v17, v6 dst_sel:DWORD dst_unused:UNUSED_PAD src0_sel:DWORD src1_sel:BYTE_3
	v_sub_u32_e32 v16, 29, v16
	v_and_b32_e32 v6, 7, v6
	v_cmp_eq_u16_e32 vcc, 0, v14
	v_cndmask_b32_e32 v6, v12, v6, vcc
	v_cndmask_b32_e32 v12, v15, v16, vcc
	v_mov_b32_e32 v14, 0x3b800000
	v_lshlrev_b32_e32 v6, 20, v6
	v_lshl_add_u32 v12, v12, 23, v14
	v_or3_b32 v12, v13, v12, v6
.LBB3_412:
	s_or_b64 exec, exec, s[6:7]
	s_movk_i32 s4, 0x7f
	v_cmp_gt_i16_sdwa s[6:7], v2, s4 src0_sel:BYTE_3 src1_sel:DWORD
	s_mov_b64 s[4:5], 0
                                        ; implicit-def: $sgpr10
	s_and_saveexec_b64 s[8:9], s[6:7]
	s_xor_b64 s[6:7], exec, s[8:9]
	s_cbranch_execnz .LBB3_2461
; %bb.413:
	s_or_saveexec_b64 s[6:7], s[6:7]
	v_mov_b32_e32 v6, s10
	s_xor_b64 exec, exec, s[6:7]
	s_cbranch_execnz .LBB3_2464
.LBB3_414:
	s_or_b64 exec, exec, s[6:7]
	s_and_saveexec_b64 s[6:7], s[4:5]
	s_cbranch_execz .LBB3_416
.LBB3_415:
	v_bfe_u32 v6, v2, 24, 3
	v_ffbh_u32_e32 v16, v6
	v_min_u32_e32 v16, 32, v16
	v_lshrrev_b32_e32 v14, 27, v2
	v_subrev_u32_e32 v17, 28, v16
	v_and_b32_e32 v13, 0x80000000, v2
	v_and_b32_e32 v14, 15, v14
	v_bfe_u32 v15, v2, 27, 4
	v_lshlrev_b32_sdwa v2, v17, v2 dst_sel:DWORD dst_unused:UNUSED_PAD src0_sel:DWORD src1_sel:BYTE_3
	v_sub_u32_e32 v16, 29, v16
	v_and_b32_e32 v2, 7, v2
	v_cmp_eq_u16_e32 vcc, 0, v14
	v_cndmask_b32_e32 v2, v6, v2, vcc
	v_cndmask_b32_e32 v6, v15, v16, vcc
	v_mov_b32_e32 v14, 0x3b800000
	v_lshlrev_b32_e32 v2, 20, v2
	v_lshl_add_u32 v6, v6, 23, v14
	v_or3_b32 v6, v13, v6, v2
.LBB3_416:
	s_or_b64 exec, exec, s[6:7]
	s_nop 0
	v_mfma_f32_16x16x4f32 a[0:3], v12, v6, a[0:3]
	s_movk_i32 s4, 0x7f
	v_cmp_gt_i16_sdwa s[6:7], v7, s4 src0_sel:BYTE_0 src1_sel:DWORD
	s_mov_b64 s[4:5], 0
                                        ; implicit-def: $sgpr10
	s_and_saveexec_b64 s[8:9], s[6:7]
	s_xor_b64 s[6:7], exec, s[8:9]
	s_cbranch_execnz .LBB3_2465
; %bb.417:
	s_or_saveexec_b64 s[6:7], s[6:7]
	v_mov_b32_e32 v2, s10
	s_xor_b64 exec, exec, s[6:7]
	s_cbranch_execnz .LBB3_2468
.LBB3_418:
	s_or_b64 exec, exec, s[6:7]
	s_and_saveexec_b64 s[6:7], s[4:5]
	s_cbranch_execz .LBB3_420
.LBB3_419:
	v_and_b32_e32 v2, 7, v7
	v_ffbh_u32_e32 v12, v2
	v_min_u32_e32 v12, 32, v12
	v_lshrrev_b16_e32 v6, 3, v7
	v_subrev_u32_e32 v13, 28, v12
	v_and_b32_e32 v6, 15, v6
	v_lshlrev_b32_e32 v13, v13, v7
	v_sub_u32_e32 v12, 29, v12
	v_and_b32_e32 v13, 7, v13
	v_cmp_eq_u16_e32 vcc, 0, v6
	v_cndmask_b32_e32 v2, v2, v13, vcc
	v_cndmask_b32_e32 v6, v6, v12, vcc
	v_lshlrev_b32_e32 v12, 24, v7
	v_mov_b32_e32 v13, 0x3b800000
	v_lshlrev_b32_e32 v2, 20, v2
	v_and_b32_e32 v12, 0x80000000, v12
	v_lshl_add_u32 v6, v6, 23, v13
	v_or3_b32 v2, v12, v6, v2
.LBB3_420:
	s_or_b64 exec, exec, s[6:7]
	s_movk_i32 s4, 0x7f
	v_cmp_gt_i16_sdwa s[6:7], v3, s4 src0_sel:BYTE_0 src1_sel:DWORD
	s_mov_b64 s[4:5], 0
                                        ; implicit-def: $sgpr10
	s_and_saveexec_b64 s[8:9], s[6:7]
	s_xor_b64 s[6:7], exec, s[8:9]
	s_cbranch_execnz .LBB3_2469
; %bb.421:
	s_or_saveexec_b64 s[6:7], s[6:7]
	v_mov_b32_e32 v6, s10
	s_xor_b64 exec, exec, s[6:7]
	s_cbranch_execnz .LBB3_2472
.LBB3_422:
	s_or_b64 exec, exec, s[6:7]
	s_and_saveexec_b64 s[6:7], s[4:5]
	s_cbranch_execz .LBB3_424
.LBB3_423:
	v_and_b32_e32 v6, 7, v3
	v_ffbh_u32_e32 v13, v6
	v_min_u32_e32 v13, 32, v13
	v_lshrrev_b16_e32 v12, 3, v3
	v_subrev_u32_e32 v14, 28, v13
	v_and_b32_e32 v12, 15, v12
	v_lshlrev_b32_e32 v14, v14, v3
	v_sub_u32_e32 v13, 29, v13
	v_and_b32_e32 v14, 7, v14
	v_cmp_eq_u16_e32 vcc, 0, v12
	v_cndmask_b32_e32 v6, v6, v14, vcc
	v_cndmask_b32_e32 v12, v12, v13, vcc
	v_lshlrev_b32_e32 v13, 24, v3
	v_mov_b32_e32 v14, 0x3b800000
	v_lshlrev_b32_e32 v6, 20, v6
	v_and_b32_e32 v13, 0x80000000, v13
	v_lshl_add_u32 v12, v12, 23, v14
	v_or3_b32 v6, v13, v12, v6
.LBB3_424:
	s_or_b64 exec, exec, s[6:7]
	s_nop 0
	v_mfma_f32_16x16x4f32 a[0:3], v2, v6, a[0:3]
	v_lshrrev_b32_e32 v6, 8, v7
	s_movk_i32 s4, 0x7f
	v_cmp_gt_i16_sdwa s[6:7], v6, s4 src0_sel:BYTE_0 src1_sel:DWORD
	s_mov_b64 s[4:5], 0
                                        ; implicit-def: $sgpr10
	s_and_saveexec_b64 s[8:9], s[6:7]
	s_xor_b64 s[6:7], exec, s[8:9]
	s_cbranch_execnz .LBB3_2473
; %bb.425:
	s_or_saveexec_b64 s[6:7], s[6:7]
	v_mov_b32_e32 v2, s10
	s_xor_b64 exec, exec, s[6:7]
	s_cbranch_execnz .LBB3_2476
.LBB3_426:
	s_or_b64 exec, exec, s[6:7]
	s_and_saveexec_b64 s[6:7], s[4:5]
	s_cbranch_execz .LBB3_428
.LBB3_427:
	v_bfe_u32 v2, v7, 8, 3
	v_ffbh_u32_e32 v13, v2
	v_min_u32_e32 v13, 32, v13
	v_lshrrev_b16_e32 v12, 3, v6
	v_subrev_u32_e32 v14, 28, v13
	v_and_b32_e32 v12, 15, v12
	v_lshlrev_b32_e32 v6, v14, v6
	v_sub_u32_e32 v13, 29, v13
	v_and_b32_e32 v6, 7, v6
	v_cmp_eq_u16_e32 vcc, 0, v12
	v_cndmask_b32_e32 v2, v2, v6, vcc
	v_cndmask_b32_e32 v6, v12, v13, vcc
	v_lshlrev_b32_e32 v12, 16, v7
	v_mov_b32_e32 v13, 0x3b800000
	v_lshlrev_b32_e32 v2, 20, v2
	v_and_b32_e32 v12, 0x80000000, v12
	v_lshl_add_u32 v6, v6, 23, v13
	v_or3_b32 v2, v12, v6, v2
.LBB3_428:
	s_or_b64 exec, exec, s[6:7]
	v_lshrrev_b32_e32 v6, 8, v3
	s_movk_i32 s4, 0x7f
	v_cmp_gt_i16_sdwa s[6:7], v6, s4 src0_sel:BYTE_0 src1_sel:DWORD
	s_mov_b64 s[4:5], 0
                                        ; implicit-def: $sgpr10
	s_and_saveexec_b64 s[8:9], s[6:7]
	s_xor_b64 s[6:7], exec, s[8:9]
	s_cbranch_execnz .LBB3_2477
; %bb.429:
	s_or_saveexec_b64 s[6:7], s[6:7]
	v_mov_b32_e32 v12, s10
	s_xor_b64 exec, exec, s[6:7]
	s_cbranch_execnz .LBB3_2480
.LBB3_430:
	s_or_b64 exec, exec, s[6:7]
	s_and_saveexec_b64 s[6:7], s[4:5]
	s_cbranch_execz .LBB3_432
.LBB3_431:
	v_bfe_u32 v12, v3, 8, 3
	v_ffbh_u32_e32 v14, v12
	v_min_u32_e32 v14, 32, v14
	v_lshrrev_b16_e32 v13, 3, v6
	v_subrev_u32_e32 v15, 28, v14
	v_and_b32_e32 v13, 15, v13
	v_lshlrev_b32_e32 v6, v15, v6
	v_sub_u32_e32 v14, 29, v14
	v_and_b32_e32 v6, 7, v6
	v_cmp_eq_u16_e32 vcc, 0, v13
	v_cndmask_b32_e32 v6, v12, v6, vcc
	v_cndmask_b32_e32 v12, v13, v14, vcc
	v_lshlrev_b32_e32 v13, 16, v3
	v_mov_b32_e32 v14, 0x3b800000
	v_lshlrev_b32_e32 v6, 20, v6
	v_and_b32_e32 v13, 0x80000000, v13
	v_lshl_add_u32 v12, v12, 23, v14
	v_or3_b32 v12, v13, v12, v6
.LBB3_432:
	s_or_b64 exec, exec, s[6:7]
	s_nop 0
	v_mfma_f32_16x16x4f32 a[0:3], v2, v12, a[0:3]
	s_movk_i32 s4, 0xff
	v_and_b32_sdwa v6, v7, s4 dst_sel:DWORD dst_unused:UNUSED_PAD src0_sel:WORD_1 src1_sel:DWORD
	s_movk_i32 s4, 0x7f
	v_cmp_lt_i16_e32 vcc, s4, v6
	s_mov_b64 s[4:5], 0
                                        ; implicit-def: $sgpr10
	s_and_saveexec_b64 s[6:7], vcc
	s_xor_b64 s[6:7], exec, s[6:7]
	s_cbranch_execnz .LBB3_2481
; %bb.433:
	s_or_saveexec_b64 s[6:7], s[6:7]
	v_mov_b32_e32 v2, s10
	s_xor_b64 exec, exec, s[6:7]
	s_cbranch_execnz .LBB3_2484
.LBB3_434:
	s_or_b64 exec, exec, s[6:7]
	s_and_saveexec_b64 s[6:7], s[4:5]
	s_cbranch_execz .LBB3_436
.LBB3_435:
	v_bfe_u32 v2, v7, 16, 3
	v_ffbh_u32_e32 v13, v2
	v_min_u32_e32 v13, 32, v13
	v_lshrrev_b32_e32 v6, 19, v7
	v_subrev_u32_e32 v14, 28, v13
	v_and_b32_e32 v6, 15, v6
	v_lshlrev_b32_sdwa v14, v14, v7 dst_sel:DWORD dst_unused:UNUSED_PAD src0_sel:DWORD src1_sel:WORD_1
	v_bfe_u32 v12, v7, 19, 4
	v_sub_u32_e32 v13, 29, v13
	v_and_b32_e32 v14, 7, v14
	v_cmp_eq_u16_e32 vcc, 0, v6
	v_cndmask_b32_e32 v2, v2, v14, vcc
	v_cndmask_b32_e32 v6, v12, v13, vcc
	v_lshlrev_b32_e32 v12, 8, v7
	v_mov_b32_e32 v13, 0x3b800000
	v_lshlrev_b32_e32 v2, 20, v2
	v_and_b32_e32 v12, 0x80000000, v12
	v_lshl_add_u32 v6, v6, 23, v13
	v_or3_b32 v2, v12, v6, v2
.LBB3_436:
	s_or_b64 exec, exec, s[6:7]
	s_movk_i32 s4, 0xff
	v_and_b32_sdwa v6, v3, s4 dst_sel:DWORD dst_unused:UNUSED_PAD src0_sel:WORD_1 src1_sel:DWORD
	s_movk_i32 s4, 0x7f
	v_cmp_lt_i16_e32 vcc, s4, v6
	s_mov_b64 s[4:5], 0
                                        ; implicit-def: $sgpr10
	s_and_saveexec_b64 s[6:7], vcc
	s_xor_b64 s[6:7], exec, s[6:7]
	s_cbranch_execnz .LBB3_2485
; %bb.437:
	s_or_saveexec_b64 s[6:7], s[6:7]
	v_mov_b32_e32 v12, s10
	s_xor_b64 exec, exec, s[6:7]
	s_cbranch_execnz .LBB3_2488
.LBB3_438:
	s_or_b64 exec, exec, s[6:7]
	s_and_saveexec_b64 s[6:7], s[4:5]
	s_cbranch_execz .LBB3_440
.LBB3_439:
	v_bfe_u32 v6, v3, 16, 3
	v_ffbh_u32_e32 v14, v6
	v_min_u32_e32 v14, 32, v14
	v_lshrrev_b32_e32 v12, 19, v3
	v_subrev_u32_e32 v15, 28, v14
	v_and_b32_e32 v12, 15, v12
	v_lshlrev_b32_sdwa v15, v15, v3 dst_sel:DWORD dst_unused:UNUSED_PAD src0_sel:DWORD src1_sel:WORD_1
	v_bfe_u32 v13, v3, 19, 4
	v_sub_u32_e32 v14, 29, v14
	v_and_b32_e32 v15, 7, v15
	v_cmp_eq_u16_e32 vcc, 0, v12
	v_cndmask_b32_e32 v6, v6, v15, vcc
	v_cndmask_b32_e32 v12, v13, v14, vcc
	v_lshlrev_b32_e32 v13, 8, v3
	v_mov_b32_e32 v14, 0x3b800000
	v_lshlrev_b32_e32 v6, 20, v6
	v_and_b32_e32 v13, 0x80000000, v13
	v_lshl_add_u32 v12, v12, 23, v14
	v_or3_b32 v12, v13, v12, v6
.LBB3_440:
	s_or_b64 exec, exec, s[6:7]
	s_nop 0
	v_mfma_f32_16x16x4f32 a[0:3], v2, v12, a[0:3]
	s_movk_i32 s4, 0x7f
	v_cmp_gt_i16_sdwa s[6:7], v7, s4 src0_sel:BYTE_3 src1_sel:DWORD
	s_mov_b64 s[4:5], 0
                                        ; implicit-def: $sgpr10
	s_and_saveexec_b64 s[8:9], s[6:7]
	s_xor_b64 s[6:7], exec, s[8:9]
	s_cbranch_execnz .LBB3_2489
; %bb.441:
	s_or_saveexec_b64 s[6:7], s[6:7]
	v_mov_b32_e32 v2, s10
	s_xor_b64 exec, exec, s[6:7]
	s_cbranch_execnz .LBB3_2492
.LBB3_442:
	s_or_b64 exec, exec, s[6:7]
	s_and_saveexec_b64 s[6:7], s[4:5]
	s_cbranch_execz .LBB3_444
.LBB3_443:
	v_bfe_u32 v2, v7, 24, 3
	v_ffbh_u32_e32 v14, v2
	v_min_u32_e32 v14, 32, v14
	v_lshrrev_b32_e32 v12, 27, v7
	v_subrev_u32_e32 v15, 28, v14
	v_and_b32_e32 v6, 0x80000000, v7
	v_and_b32_e32 v12, 15, v12
	v_bfe_u32 v13, v7, 27, 4
	v_lshlrev_b32_sdwa v7, v15, v7 dst_sel:DWORD dst_unused:UNUSED_PAD src0_sel:DWORD src1_sel:BYTE_3
	v_sub_u32_e32 v14, 29, v14
	v_and_b32_e32 v7, 7, v7
	v_cmp_eq_u16_e32 vcc, 0, v12
	v_cndmask_b32_e32 v2, v2, v7, vcc
	v_cndmask_b32_e32 v7, v13, v14, vcc
	v_mov_b32_e32 v12, 0x3b800000
	v_lshlrev_b32_e32 v2, 20, v2
	v_lshl_add_u32 v7, v7, 23, v12
	v_or3_b32 v2, v6, v7, v2
.LBB3_444:
	s_or_b64 exec, exec, s[6:7]
	s_movk_i32 s4, 0x7f
	v_cmp_gt_i16_sdwa s[6:7], v3, s4 src0_sel:BYTE_3 src1_sel:DWORD
	s_mov_b64 s[4:5], 0
                                        ; implicit-def: $sgpr10
	s_and_saveexec_b64 s[8:9], s[6:7]
	s_xor_b64 s[6:7], exec, s[8:9]
	s_cbranch_execnz .LBB3_2493
; %bb.445:
	s_or_saveexec_b64 s[6:7], s[6:7]
	v_mov_b32_e32 v6, s10
	s_xor_b64 exec, exec, s[6:7]
	s_cbranch_execnz .LBB3_2496
.LBB3_446:
	s_or_b64 exec, exec, s[6:7]
	s_and_saveexec_b64 s[6:7], s[4:5]
	s_cbranch_execz .LBB3_448
.LBB3_447:
	v_bfe_u32 v6, v3, 24, 3
	v_ffbh_u32_e32 v14, v6
	v_min_u32_e32 v14, 32, v14
	v_lshrrev_b32_e32 v12, 27, v3
	v_subrev_u32_e32 v15, 28, v14
	v_and_b32_e32 v7, 0x80000000, v3
	v_and_b32_e32 v12, 15, v12
	v_bfe_u32 v13, v3, 27, 4
	v_lshlrev_b32_sdwa v3, v15, v3 dst_sel:DWORD dst_unused:UNUSED_PAD src0_sel:DWORD src1_sel:BYTE_3
	v_sub_u32_e32 v14, 29, v14
	v_and_b32_e32 v3, 7, v3
	v_cmp_eq_u16_e32 vcc, 0, v12
	v_cndmask_b32_e32 v3, v6, v3, vcc
	v_cndmask_b32_e32 v6, v13, v14, vcc
	v_mov_b32_e32 v12, 0x3b800000
	v_lshlrev_b32_e32 v3, 20, v3
	v_lshl_add_u32 v6, v6, 23, v12
	v_or3_b32 v6, v7, v6, v3
.LBB3_448:
	s_or_b64 exec, exec, s[6:7]
	s_nop 0
	v_mfma_f32_16x16x4f32 a[0:3], v2, v6, a[0:3]
	s_movk_i32 s4, 0x7f
	v_cmp_gt_i16_sdwa s[6:7], v8, s4 src0_sel:BYTE_0 src1_sel:DWORD
	s_mov_b64 s[4:5], 0
                                        ; implicit-def: $sgpr10
	s_and_saveexec_b64 s[8:9], s[6:7]
	s_xor_b64 s[6:7], exec, s[8:9]
	s_cbranch_execnz .LBB3_2497
; %bb.449:
	s_or_saveexec_b64 s[6:7], s[6:7]
	v_mov_b32_e32 v2, s10
	s_xor_b64 exec, exec, s[6:7]
	s_cbranch_execnz .LBB3_2500
.LBB3_450:
	s_or_b64 exec, exec, s[6:7]
	s_and_saveexec_b64 s[6:7], s[4:5]
	s_cbranch_execz .LBB3_452
.LBB3_451:
	v_and_b32_e32 v2, 7, v8
	v_ffbh_u32_e32 v6, v2
	v_min_u32_e32 v6, 32, v6
	v_lshrrev_b16_e32 v3, 3, v8
	v_subrev_u32_e32 v7, 28, v6
	v_and_b32_e32 v3, 15, v3
	v_lshlrev_b32_e32 v7, v7, v8
	v_sub_u32_e32 v6, 29, v6
	v_and_b32_e32 v7, 7, v7
	v_cmp_eq_u16_e32 vcc, 0, v3
	v_cndmask_b32_e32 v2, v2, v7, vcc
	v_cndmask_b32_e32 v3, v3, v6, vcc
	v_lshlrev_b32_e32 v6, 24, v8
	v_mov_b32_e32 v7, 0x3b800000
	v_lshlrev_b32_e32 v2, 20, v2
	v_and_b32_e32 v6, 0x80000000, v6
	v_lshl_add_u32 v3, v3, 23, v7
	v_or3_b32 v2, v6, v3, v2
.LBB3_452:
	s_or_b64 exec, exec, s[6:7]
	s_movk_i32 s4, 0x7f
	v_cmp_gt_i16_sdwa s[6:7], v4, s4 src0_sel:BYTE_0 src1_sel:DWORD
	s_mov_b64 s[4:5], 0
                                        ; implicit-def: $sgpr10
	s_and_saveexec_b64 s[8:9], s[6:7]
	s_xor_b64 s[6:7], exec, s[8:9]
	s_cbranch_execnz .LBB3_2501
; %bb.453:
	s_or_saveexec_b64 s[6:7], s[6:7]
	v_mov_b32_e32 v3, s10
	s_xor_b64 exec, exec, s[6:7]
	s_cbranch_execnz .LBB3_2504
.LBB3_454:
	s_or_b64 exec, exec, s[6:7]
	s_and_saveexec_b64 s[6:7], s[4:5]
	s_cbranch_execz .LBB3_456
.LBB3_455:
	v_and_b32_e32 v3, 7, v4
	v_ffbh_u32_e32 v7, v3
	v_min_u32_e32 v7, 32, v7
	v_lshrrev_b16_e32 v6, 3, v4
	v_subrev_u32_e32 v12, 28, v7
	v_and_b32_e32 v6, 15, v6
	v_lshlrev_b32_e32 v12, v12, v4
	v_sub_u32_e32 v7, 29, v7
	v_and_b32_e32 v12, 7, v12
	v_cmp_eq_u16_e32 vcc, 0, v6
	v_cndmask_b32_e32 v3, v3, v12, vcc
	v_cndmask_b32_e32 v6, v6, v7, vcc
	v_lshlrev_b32_e32 v7, 24, v4
	v_mov_b32_e32 v12, 0x3b800000
	v_lshlrev_b32_e32 v3, 20, v3
	v_and_b32_e32 v7, 0x80000000, v7
	v_lshl_add_u32 v6, v6, 23, v12
	v_or3_b32 v3, v7, v6, v3
.LBB3_456:
	s_or_b64 exec, exec, s[6:7]
	s_nop 0
	v_mfma_f32_16x16x4f32 a[0:3], v2, v3, a[0:3]
	v_lshrrev_b32_e32 v3, 8, v8
	s_movk_i32 s4, 0x7f
	v_cmp_gt_i16_sdwa s[6:7], v3, s4 src0_sel:BYTE_0 src1_sel:DWORD
	s_mov_b64 s[4:5], 0
                                        ; implicit-def: $sgpr10
	s_and_saveexec_b64 s[8:9], s[6:7]
	s_xor_b64 s[6:7], exec, s[8:9]
	s_cbranch_execnz .LBB3_2505
; %bb.457:
	s_or_saveexec_b64 s[6:7], s[6:7]
	v_mov_b32_e32 v2, s10
	s_xor_b64 exec, exec, s[6:7]
	s_cbranch_execnz .LBB3_2508
.LBB3_458:
	s_or_b64 exec, exec, s[6:7]
	s_and_saveexec_b64 s[6:7], s[4:5]
	s_cbranch_execz .LBB3_460
.LBB3_459:
	v_bfe_u32 v2, v8, 8, 3
	v_ffbh_u32_e32 v7, v2
	v_min_u32_e32 v7, 32, v7
	v_lshrrev_b16_e32 v6, 3, v3
	v_subrev_u32_e32 v12, 28, v7
	v_and_b32_e32 v6, 15, v6
	v_lshlrev_b32_e32 v3, v12, v3
	v_sub_u32_e32 v7, 29, v7
	v_and_b32_e32 v3, 7, v3
	v_cmp_eq_u16_e32 vcc, 0, v6
	v_cndmask_b32_e32 v2, v2, v3, vcc
	v_cndmask_b32_e32 v3, v6, v7, vcc
	v_lshlrev_b32_e32 v6, 16, v8
	v_mov_b32_e32 v7, 0x3b800000
	v_lshlrev_b32_e32 v2, 20, v2
	v_and_b32_e32 v6, 0x80000000, v6
	v_lshl_add_u32 v3, v3, 23, v7
	v_or3_b32 v2, v6, v3, v2
.LBB3_460:
	s_or_b64 exec, exec, s[6:7]
	v_lshrrev_b32_e32 v3, 8, v4
	s_movk_i32 s4, 0x7f
	v_cmp_gt_i16_sdwa s[6:7], v3, s4 src0_sel:BYTE_0 src1_sel:DWORD
	s_mov_b64 s[4:5], 0
                                        ; implicit-def: $sgpr10
	s_and_saveexec_b64 s[8:9], s[6:7]
	s_xor_b64 s[6:7], exec, s[8:9]
	s_cbranch_execnz .LBB3_2509
; %bb.461:
	s_or_saveexec_b64 s[6:7], s[6:7]
	v_mov_b32_e32 v6, s10
	s_xor_b64 exec, exec, s[6:7]
	s_cbranch_execnz .LBB3_2512
.LBB3_462:
	s_or_b64 exec, exec, s[6:7]
	s_and_saveexec_b64 s[6:7], s[4:5]
	s_cbranch_execz .LBB3_464
.LBB3_463:
	v_bfe_u32 v6, v4, 8, 3
	v_ffbh_u32_e32 v12, v6
	v_min_u32_e32 v12, 32, v12
	v_lshrrev_b16_e32 v7, 3, v3
	v_subrev_u32_e32 v13, 28, v12
	v_and_b32_e32 v7, 15, v7
	v_lshlrev_b32_e32 v3, v13, v3
	v_sub_u32_e32 v12, 29, v12
	v_and_b32_e32 v3, 7, v3
	v_cmp_eq_u16_e32 vcc, 0, v7
	v_cndmask_b32_e32 v3, v6, v3, vcc
	v_cndmask_b32_e32 v6, v7, v12, vcc
	v_lshlrev_b32_e32 v7, 16, v4
	v_mov_b32_e32 v12, 0x3b800000
	v_lshlrev_b32_e32 v3, 20, v3
	v_and_b32_e32 v7, 0x80000000, v7
	v_lshl_add_u32 v6, v6, 23, v12
	v_or3_b32 v6, v7, v6, v3
.LBB3_464:
	s_or_b64 exec, exec, s[6:7]
	s_nop 0
	v_mfma_f32_16x16x4f32 a[0:3], v2, v6, a[0:3]
	s_movk_i32 s4, 0xff
	v_and_b32_sdwa v3, v8, s4 dst_sel:DWORD dst_unused:UNUSED_PAD src0_sel:WORD_1 src1_sel:DWORD
	s_movk_i32 s4, 0x7f
	v_cmp_lt_i16_e32 vcc, s4, v3
	s_mov_b64 s[4:5], 0
                                        ; implicit-def: $sgpr10
	s_and_saveexec_b64 s[6:7], vcc
	s_xor_b64 s[6:7], exec, s[6:7]
	s_cbranch_execnz .LBB3_2513
; %bb.465:
	s_or_saveexec_b64 s[6:7], s[6:7]
	v_mov_b32_e32 v2, s10
	s_xor_b64 exec, exec, s[6:7]
	s_cbranch_execnz .LBB3_2516
.LBB3_466:
	s_or_b64 exec, exec, s[6:7]
	s_and_saveexec_b64 s[6:7], s[4:5]
	s_cbranch_execz .LBB3_468
.LBB3_467:
	v_bfe_u32 v2, v8, 16, 3
	v_ffbh_u32_e32 v7, v2
	v_min_u32_e32 v7, 32, v7
	v_lshrrev_b32_e32 v3, 19, v8
	v_subrev_u32_e32 v12, 28, v7
	v_and_b32_e32 v3, 15, v3
	v_lshlrev_b32_sdwa v12, v12, v8 dst_sel:DWORD dst_unused:UNUSED_PAD src0_sel:DWORD src1_sel:WORD_1
	v_bfe_u32 v6, v8, 19, 4
	v_sub_u32_e32 v7, 29, v7
	v_and_b32_e32 v12, 7, v12
	v_cmp_eq_u16_e32 vcc, 0, v3
	v_cndmask_b32_e32 v2, v2, v12, vcc
	v_cndmask_b32_e32 v3, v6, v7, vcc
	v_lshlrev_b32_e32 v6, 8, v8
	v_mov_b32_e32 v7, 0x3b800000
	v_lshlrev_b32_e32 v2, 20, v2
	v_and_b32_e32 v6, 0x80000000, v6
	v_lshl_add_u32 v3, v3, 23, v7
	v_or3_b32 v2, v6, v3, v2
.LBB3_468:
	s_or_b64 exec, exec, s[6:7]
	s_movk_i32 s4, 0xff
	v_and_b32_sdwa v3, v4, s4 dst_sel:DWORD dst_unused:UNUSED_PAD src0_sel:WORD_1 src1_sel:DWORD
	s_movk_i32 s4, 0x7f
	v_cmp_lt_i16_e32 vcc, s4, v3
	s_mov_b64 s[4:5], 0
                                        ; implicit-def: $sgpr10
	s_and_saveexec_b64 s[6:7], vcc
	s_xor_b64 s[6:7], exec, s[6:7]
	s_cbranch_execnz .LBB3_2517
; %bb.469:
	s_or_saveexec_b64 s[6:7], s[6:7]
	v_mov_b32_e32 v6, s10
	s_xor_b64 exec, exec, s[6:7]
	s_cbranch_execnz .LBB3_2520
.LBB3_470:
	s_or_b64 exec, exec, s[6:7]
	s_and_saveexec_b64 s[6:7], s[4:5]
	s_cbranch_execz .LBB3_472
.LBB3_471:
	v_bfe_u32 v3, v4, 16, 3
	v_ffbh_u32_e32 v12, v3
	v_min_u32_e32 v12, 32, v12
	v_lshrrev_b32_e32 v6, 19, v4
	v_subrev_u32_e32 v13, 28, v12
	v_and_b32_e32 v6, 15, v6
	v_lshlrev_b32_sdwa v13, v13, v4 dst_sel:DWORD dst_unused:UNUSED_PAD src0_sel:DWORD src1_sel:WORD_1
	v_bfe_u32 v7, v4, 19, 4
	v_sub_u32_e32 v12, 29, v12
	v_and_b32_e32 v13, 7, v13
	v_cmp_eq_u16_e32 vcc, 0, v6
	v_cndmask_b32_e32 v3, v3, v13, vcc
	v_cndmask_b32_e32 v6, v7, v12, vcc
	v_lshlrev_b32_e32 v7, 8, v4
	v_mov_b32_e32 v12, 0x3b800000
	v_lshlrev_b32_e32 v3, 20, v3
	v_and_b32_e32 v7, 0x80000000, v7
	v_lshl_add_u32 v6, v6, 23, v12
	v_or3_b32 v6, v7, v6, v3
.LBB3_472:
	s_or_b64 exec, exec, s[6:7]
	s_nop 0
	v_mfma_f32_16x16x4f32 a[0:3], v2, v6, a[0:3]
	s_movk_i32 s4, 0x7f
	v_cmp_gt_i16_sdwa s[6:7], v8, s4 src0_sel:BYTE_3 src1_sel:DWORD
	s_mov_b64 s[4:5], 0
                                        ; implicit-def: $sgpr10
	s_and_saveexec_b64 s[8:9], s[6:7]
	s_xor_b64 s[6:7], exec, s[8:9]
	s_cbranch_execnz .LBB3_2521
; %bb.473:
	s_or_saveexec_b64 s[6:7], s[6:7]
	v_mov_b32_e32 v2, s10
	s_xor_b64 exec, exec, s[6:7]
	s_cbranch_execnz .LBB3_2524
.LBB3_474:
	s_or_b64 exec, exec, s[6:7]
	s_and_saveexec_b64 s[6:7], s[4:5]
	s_cbranch_execz .LBB3_476
.LBB3_475:
	v_bfe_u32 v2, v8, 24, 3
	v_ffbh_u32_e32 v12, v2
	v_min_u32_e32 v12, 32, v12
	v_lshrrev_b32_e32 v6, 27, v8
	v_subrev_u32_e32 v13, 28, v12
	v_and_b32_e32 v3, 0x80000000, v8
	v_and_b32_e32 v6, 15, v6
	v_bfe_u32 v7, v8, 27, 4
	v_lshlrev_b32_sdwa v8, v13, v8 dst_sel:DWORD dst_unused:UNUSED_PAD src0_sel:DWORD src1_sel:BYTE_3
	v_sub_u32_e32 v12, 29, v12
	v_and_b32_e32 v8, 7, v8
	v_cmp_eq_u16_e32 vcc, 0, v6
	v_cndmask_b32_e32 v2, v2, v8, vcc
	v_cndmask_b32_e32 v6, v7, v12, vcc
	v_mov_b32_e32 v7, 0x3b800000
	v_lshlrev_b32_e32 v2, 20, v2
	v_lshl_add_u32 v6, v6, 23, v7
	v_or3_b32 v2, v3, v6, v2
.LBB3_476:
	s_or_b64 exec, exec, s[6:7]
	s_movk_i32 s4, 0x7f
	v_cmp_gt_i16_sdwa s[6:7], v4, s4 src0_sel:BYTE_3 src1_sel:DWORD
	s_mov_b64 s[4:5], 0
                                        ; implicit-def: $sgpr10
	s_and_saveexec_b64 s[8:9], s[6:7]
	s_xor_b64 s[6:7], exec, s[8:9]
	s_cbranch_execnz .LBB3_2525
; %bb.477:
	s_or_saveexec_b64 s[6:7], s[6:7]
	v_mov_b32_e32 v3, s10
	s_xor_b64 exec, exec, s[6:7]
	s_cbranch_execnz .LBB3_2528
.LBB3_478:
	s_or_b64 exec, exec, s[6:7]
	s_and_saveexec_b64 s[6:7], s[4:5]
	s_cbranch_execz .LBB3_480
.LBB3_479:
	v_bfe_u32 v3, v4, 24, 3
	v_ffbh_u32_e32 v12, v3
	v_min_u32_e32 v12, 32, v12
	v_lshrrev_b32_e32 v7, 27, v4
	v_subrev_u32_e32 v13, 28, v12
	v_and_b32_e32 v6, 0x80000000, v4
	v_and_b32_e32 v7, 15, v7
	v_bfe_u32 v8, v4, 27, 4
	v_lshlrev_b32_sdwa v4, v13, v4 dst_sel:DWORD dst_unused:UNUSED_PAD src0_sel:DWORD src1_sel:BYTE_3
	v_sub_u32_e32 v12, 29, v12
	v_and_b32_e32 v4, 7, v4
	v_cmp_eq_u16_e32 vcc, 0, v7
	v_cndmask_b32_e32 v3, v3, v4, vcc
	v_cndmask_b32_e32 v4, v8, v12, vcc
	v_mov_b32_e32 v7, 0x3b800000
	v_lshlrev_b32_e32 v3, 20, v3
	v_lshl_add_u32 v4, v4, 23, v7
	v_or3_b32 v3, v6, v4, v3
.LBB3_480:
	s_or_b64 exec, exec, s[6:7]
	s_nop 0
	v_mfma_f32_16x16x4f32 a[0:3], v2, v3, a[0:3]
	s_movk_i32 s4, 0x7f
	v_cmp_gt_i16_sdwa s[6:7], v9, s4 src0_sel:BYTE_0 src1_sel:DWORD
	s_mov_b64 s[4:5], 0
                                        ; implicit-def: $sgpr10
	s_and_saveexec_b64 s[8:9], s[6:7]
	s_xor_b64 s[6:7], exec, s[8:9]
	s_cbranch_execnz .LBB3_2529
; %bb.481:
	s_or_saveexec_b64 s[6:7], s[6:7]
	v_mov_b32_e32 v2, s10
	s_xor_b64 exec, exec, s[6:7]
	s_cbranch_execnz .LBB3_2532
.LBB3_482:
	s_or_b64 exec, exec, s[6:7]
	s_and_saveexec_b64 s[6:7], s[4:5]
	s_cbranch_execz .LBB3_484
.LBB3_483:
	v_mov_b32_e32 v2, 8
	v_and_b32_e32 v3, 7, v9
	v_lshrrev_b32_sdwa v2, v2, v9 dst_sel:BYTE_1 dst_unused:UNUSED_PAD src0_sel:DWORD src1_sel:DWORD
	v_ffbh_u32_e32 v4, v3
	v_or_b32_sdwa v2, v9, v2 dst_sel:DWORD dst_unused:UNUSED_PAD src0_sel:BYTE_0 src1_sel:DWORD
	v_min_u32_e32 v4, 32, v4
	v_lshrrev_b16_e32 v2, 3, v2
	v_subrev_u32_e32 v6, 28, v4
	v_and_b32_e32 v2, 15, v2
	v_lshlrev_b32_e32 v6, v6, v9
	v_sub_u32_e32 v4, 29, v4
	v_and_b32_e32 v6, 7, v6
	v_cmp_eq_u16_e32 vcc, 0, v2
	v_cndmask_b32_e32 v3, v3, v6, vcc
	v_cndmask_b32_e32 v2, v2, v4, vcc
	v_lshlrev_b32_e32 v4, 24, v9
	v_mov_b32_e32 v6, 0x3b800000
	v_lshlrev_b32_e32 v3, 20, v3
	v_and_b32_e32 v4, 0x80000000, v4
	v_lshl_add_u32 v2, v2, 23, v6
	v_or3_b32 v2, v4, v2, v3
.LBB3_484:
	s_or_b64 exec, exec, s[6:7]
	s_movk_i32 s4, 0x7f
	v_cmp_gt_i16_sdwa s[6:7], v5, s4 src0_sel:BYTE_0 src1_sel:DWORD
	s_mov_b64 s[4:5], 0
                                        ; implicit-def: $sgpr10
	s_and_saveexec_b64 s[8:9], s[6:7]
	s_xor_b64 s[6:7], exec, s[8:9]
	s_cbranch_execnz .LBB3_2533
; %bb.485:
	s_or_saveexec_b64 s[6:7], s[6:7]
	v_mov_b32_e32 v3, s10
	s_xor_b64 exec, exec, s[6:7]
	s_cbranch_execnz .LBB3_2536
.LBB3_486:
	s_or_b64 exec, exec, s[6:7]
	s_and_saveexec_b64 s[6:7], s[4:5]
	s_cbranch_execz .LBB3_488
.LBB3_487:
	v_mov_b32_e32 v3, 8
	v_and_b32_e32 v4, 7, v5
	v_lshrrev_b32_sdwa v3, v3, v5 dst_sel:BYTE_1 dst_unused:UNUSED_PAD src0_sel:DWORD src1_sel:DWORD
	v_ffbh_u32_e32 v6, v4
	v_or_b32_sdwa v3, v5, v3 dst_sel:DWORD dst_unused:UNUSED_PAD src0_sel:BYTE_0 src1_sel:DWORD
	v_min_u32_e32 v6, 32, v6
	v_lshrrev_b16_e32 v3, 3, v3
	v_subrev_u32_e32 v7, 28, v6
	v_and_b32_e32 v3, 15, v3
	v_lshlrev_b32_e32 v7, v7, v5
	v_sub_u32_e32 v6, 29, v6
	v_and_b32_e32 v7, 7, v7
	v_cmp_eq_u16_e32 vcc, 0, v3
	v_cndmask_b32_e32 v4, v4, v7, vcc
	v_cndmask_b32_e32 v3, v3, v6, vcc
	v_lshlrev_b32_e32 v6, 24, v5
	v_mov_b32_e32 v7, 0x3b800000
	v_lshlrev_b32_e32 v4, 20, v4
	v_and_b32_e32 v6, 0x80000000, v6
	v_lshl_add_u32 v3, v3, 23, v7
	v_or3_b32 v3, v6, v3, v4
.LBB3_488:
	s_or_b64 exec, exec, s[6:7]
	s_nop 0
	v_mfma_f32_16x16x4f32 a[0:3], v2, v3, a[0:3]
	v_lshrrev_b32_e32 v3, 8, v9
	s_movk_i32 s4, 0x7f
	v_cmp_gt_i16_sdwa s[6:7], v3, s4 src0_sel:BYTE_0 src1_sel:DWORD
	s_mov_b64 s[4:5], 0
                                        ; implicit-def: $sgpr10
	s_and_saveexec_b64 s[8:9], s[6:7]
	s_xor_b64 s[6:7], exec, s[8:9]
	s_cbranch_execnz .LBB3_2537
; %bb.489:
	s_or_saveexec_b64 s[6:7], s[6:7]
	v_mov_b32_e32 v2, s10
	s_xor_b64 exec, exec, s[6:7]
	s_cbranch_execnz .LBB3_2540
.LBB3_490:
	s_or_b64 exec, exec, s[6:7]
	s_and_saveexec_b64 s[6:7], s[4:5]
	s_cbranch_execz .LBB3_492
.LBB3_491:
	v_bfe_u32 v2, v9, 8, 3
	v_ffbh_u32_e32 v6, v2
	v_min_u32_e32 v6, 32, v6
	v_lshrrev_b16_e32 v4, 3, v3
	v_subrev_u32_e32 v7, 28, v6
	v_and_b32_e32 v4, 15, v4
	v_lshlrev_b32_e32 v3, v7, v3
	v_sub_u32_e32 v6, 29, v6
	v_and_b32_e32 v3, 7, v3
	v_cmp_eq_u16_e32 vcc, 0, v4
	v_cndmask_b32_e32 v2, v2, v3, vcc
	v_cndmask_b32_e32 v3, v4, v6, vcc
	v_lshlrev_b32_e32 v4, 16, v9
	v_mov_b32_e32 v6, 0x3b800000
	v_lshlrev_b32_e32 v2, 20, v2
	v_and_b32_e32 v4, 0x80000000, v4
	v_lshl_add_u32 v3, v3, 23, v6
	v_or3_b32 v2, v4, v3, v2
.LBB3_492:
	s_or_b64 exec, exec, s[6:7]
	v_lshrrev_b32_e32 v3, 8, v5
	s_movk_i32 s4, 0x7f
	v_cmp_gt_i16_sdwa s[6:7], v3, s4 src0_sel:BYTE_0 src1_sel:DWORD
	s_mov_b64 s[4:5], 0
                                        ; implicit-def: $sgpr10
	s_and_saveexec_b64 s[8:9], s[6:7]
	s_xor_b64 s[6:7], exec, s[8:9]
	s_cbranch_execnz .LBB3_2541
; %bb.493:
	s_or_saveexec_b64 s[6:7], s[6:7]
	v_mov_b32_e32 v4, s10
	s_xor_b64 exec, exec, s[6:7]
	s_cbranch_execnz .LBB3_2544
.LBB3_494:
	s_or_b64 exec, exec, s[6:7]
	s_and_saveexec_b64 s[6:7], s[4:5]
	s_cbranch_execz .LBB3_496
.LBB3_495:
	v_bfe_u32 v4, v5, 8, 3
	v_ffbh_u32_e32 v7, v4
	v_min_u32_e32 v7, 32, v7
	v_lshrrev_b16_e32 v6, 3, v3
	v_subrev_u32_e32 v8, 28, v7
	v_and_b32_e32 v6, 15, v6
	v_lshlrev_b32_e32 v3, v8, v3
	v_sub_u32_e32 v7, 29, v7
	v_and_b32_e32 v3, 7, v3
	v_cmp_eq_u16_e32 vcc, 0, v6
	v_cndmask_b32_e32 v3, v4, v3, vcc
	v_cndmask_b32_e32 v4, v6, v7, vcc
	v_lshlrev_b32_e32 v6, 16, v5
	v_mov_b32_e32 v7, 0x3b800000
	v_lshlrev_b32_e32 v3, 20, v3
	v_and_b32_e32 v6, 0x80000000, v6
	v_lshl_add_u32 v4, v4, 23, v7
	v_or3_b32 v4, v6, v4, v3
.LBB3_496:
	s_or_b64 exec, exec, s[6:7]
	s_nop 0
	v_mfma_f32_16x16x4f32 a[0:3], v2, v4, a[0:3]
	s_movk_i32 s4, 0xff
	v_and_b32_sdwa v3, v9, s4 dst_sel:DWORD dst_unused:UNUSED_PAD src0_sel:WORD_1 src1_sel:DWORD
	s_movk_i32 s4, 0x7f
	v_cmp_lt_i16_e32 vcc, s4, v3
	s_mov_b64 s[4:5], 0
                                        ; implicit-def: $sgpr10
	s_and_saveexec_b64 s[6:7], vcc
	s_xor_b64 s[6:7], exec, s[6:7]
	s_cbranch_execnz .LBB3_2545
; %bb.497:
	s_or_saveexec_b64 s[6:7], s[6:7]
	v_mov_b32_e32 v2, s10
	s_xor_b64 exec, exec, s[6:7]
	s_cbranch_execnz .LBB3_2548
.LBB3_498:
	s_or_b64 exec, exec, s[6:7]
	s_and_saveexec_b64 s[6:7], s[4:5]
	s_cbranch_execz .LBB3_500
.LBB3_499:
	v_bfe_u32 v2, v9, 16, 3
	v_ffbh_u32_e32 v6, v2
	v_min_u32_e32 v6, 32, v6
	v_lshrrev_b32_e32 v3, 19, v9
	v_subrev_u32_e32 v7, 28, v6
	v_and_b32_e32 v3, 15, v3
	v_lshlrev_b32_sdwa v7, v7, v9 dst_sel:DWORD dst_unused:UNUSED_PAD src0_sel:DWORD src1_sel:WORD_1
	v_bfe_u32 v4, v9, 19, 4
	v_sub_u32_e32 v6, 29, v6
	v_and_b32_e32 v7, 7, v7
	v_cmp_eq_u16_e32 vcc, 0, v3
	v_cndmask_b32_e32 v2, v2, v7, vcc
	v_cndmask_b32_e32 v3, v4, v6, vcc
	v_lshlrev_b32_e32 v4, 8, v9
	v_mov_b32_e32 v6, 0x3b800000
	v_lshlrev_b32_e32 v2, 20, v2
	v_and_b32_e32 v4, 0x80000000, v4
	v_lshl_add_u32 v3, v3, 23, v6
	v_or3_b32 v2, v4, v3, v2
.LBB3_500:
	s_or_b64 exec, exec, s[6:7]
	s_movk_i32 s4, 0xff
	v_and_b32_sdwa v3, v5, s4 dst_sel:DWORD dst_unused:UNUSED_PAD src0_sel:WORD_1 src1_sel:DWORD
	s_movk_i32 s4, 0x7f
	v_cmp_lt_i16_e32 vcc, s4, v3
	s_mov_b64 s[4:5], 0
                                        ; implicit-def: $sgpr10
	s_and_saveexec_b64 s[6:7], vcc
	s_xor_b64 s[6:7], exec, s[6:7]
	s_cbranch_execnz .LBB3_2549
; %bb.501:
	s_or_saveexec_b64 s[6:7], s[6:7]
	v_mov_b32_e32 v4, s10
	s_xor_b64 exec, exec, s[6:7]
	s_cbranch_execnz .LBB3_2552
.LBB3_502:
	s_or_b64 exec, exec, s[6:7]
	s_and_saveexec_b64 s[6:7], s[4:5]
	s_cbranch_execz .LBB3_504
.LBB3_503:
	v_bfe_u32 v3, v5, 16, 3
	v_ffbh_u32_e32 v7, v3
	v_min_u32_e32 v7, 32, v7
	v_lshrrev_b32_e32 v4, 19, v5
	v_subrev_u32_e32 v8, 28, v7
	v_and_b32_e32 v4, 15, v4
	v_lshlrev_b32_sdwa v8, v8, v5 dst_sel:DWORD dst_unused:UNUSED_PAD src0_sel:DWORD src1_sel:WORD_1
	v_bfe_u32 v6, v5, 19, 4
	v_sub_u32_e32 v7, 29, v7
	v_and_b32_e32 v8, 7, v8
	v_cmp_eq_u16_e32 vcc, 0, v4
	v_cndmask_b32_e32 v3, v3, v8, vcc
	v_cndmask_b32_e32 v4, v6, v7, vcc
	v_lshlrev_b32_e32 v6, 8, v5
	v_mov_b32_e32 v7, 0x3b800000
	v_lshlrev_b32_e32 v3, 20, v3
	v_and_b32_e32 v6, 0x80000000, v6
	v_lshl_add_u32 v4, v4, 23, v7
	v_or3_b32 v4, v6, v4, v3
.LBB3_504:
	s_or_b64 exec, exec, s[6:7]
	s_nop 0
	v_mfma_f32_16x16x4f32 a[0:3], v2, v4, a[0:3]
	s_movk_i32 s4, 0x7f
	v_cmp_gt_i16_sdwa s[6:7], v9, s4 src0_sel:BYTE_3 src1_sel:DWORD
	s_mov_b64 s[4:5], 0
                                        ; implicit-def: $sgpr10
	s_and_saveexec_b64 s[8:9], s[6:7]
	s_xor_b64 s[6:7], exec, s[8:9]
	s_cbranch_execnz .LBB3_2553
; %bb.505:
	s_or_saveexec_b64 s[6:7], s[6:7]
	v_mov_b32_e32 v2, s10
	s_xor_b64 exec, exec, s[6:7]
	s_cbranch_execnz .LBB3_2556
.LBB3_506:
	s_or_b64 exec, exec, s[6:7]
	s_and_saveexec_b64 s[6:7], s[4:5]
	s_cbranch_execz .LBB3_508
.LBB3_507:
	v_bfe_u32 v2, v9, 24, 3
	v_ffbh_u32_e32 v7, v2
	v_min_u32_e32 v7, 32, v7
	v_lshrrev_b32_e32 v4, 27, v9
	v_subrev_u32_e32 v8, 28, v7
	v_and_b32_e32 v4, 15, v4
	v_lshlrev_b32_sdwa v8, v8, v9 dst_sel:DWORD dst_unused:UNUSED_PAD src0_sel:DWORD src1_sel:BYTE_3
	v_bfe_u32 v6, v9, 27, 4
	v_sub_u32_e32 v7, 29, v7
	v_and_b32_e32 v8, 7, v8
	v_cmp_eq_u16_e32 vcc, 0, v4
	v_cndmask_b32_e32 v2, v2, v8, vcc
	v_cndmask_b32_e32 v4, v6, v7, vcc
	v_mov_b32_e32 v6, 0x3b800000
	v_and_b32_e32 v3, 0x80000000, v9
	v_lshlrev_b32_e32 v2, 20, v2
	v_lshl_add_u32 v4, v4, 23, v6
	v_or3_b32 v2, v3, v4, v2
.LBB3_508:
	s_or_b64 exec, exec, s[6:7]
	s_movk_i32 s4, 0x7f
	v_cmp_gt_i16_sdwa s[6:7], v5, s4 src0_sel:BYTE_3 src1_sel:DWORD
	s_mov_b64 s[4:5], 0
                                        ; implicit-def: $sgpr10
	s_and_saveexec_b64 s[8:9], s[6:7]
	s_xor_b64 s[6:7], exec, s[8:9]
	s_cbranch_execnz .LBB3_2557
; %bb.509:
	s_or_saveexec_b64 s[6:7], s[6:7]
	v_mov_b32_e32 v3, s10
	s_xor_b64 exec, exec, s[6:7]
	s_cbranch_execnz .LBB3_2560
.LBB3_510:
	s_or_b64 exec, exec, s[6:7]
	s_and_saveexec_b64 s[6:7], s[4:5]
	s_cbranch_execz .LBB3_512
.LBB3_511:
	v_bfe_u32 v3, v5, 24, 3
	v_ffbh_u32_e32 v8, v3
	v_min_u32_e32 v8, 32, v8
	v_lshrrev_b32_e32 v6, 27, v5
	v_subrev_u32_e32 v9, 28, v8
	v_and_b32_e32 v4, 0x80000000, v5
	v_and_b32_e32 v6, 15, v6
	v_bfe_u32 v7, v5, 27, 4
	v_lshlrev_b32_sdwa v5, v9, v5 dst_sel:DWORD dst_unused:UNUSED_PAD src0_sel:DWORD src1_sel:BYTE_3
	v_sub_u32_e32 v8, 29, v8
	v_and_b32_e32 v5, 7, v5
	v_cmp_eq_u16_e32 vcc, 0, v6
	v_cndmask_b32_e32 v3, v3, v5, vcc
	v_cndmask_b32_e32 v5, v7, v8, vcc
	v_mov_b32_e32 v6, 0x3b800000
	v_lshlrev_b32_e32 v3, 20, v3
	v_lshl_add_u32 v5, v5, 23, v6
	v_or3_b32 v3, v4, v5, v3
.LBB3_512:
	s_or_b64 exec, exec, s[6:7]
	s_nop 0
	v_mfma_f32_16x16x4f32 a[0:3], v2, v3, a[0:3]
	s_movk_i32 s4, 0x7f
                                        ; implicit-def: $sgpr10
	s_nop 7
	s_nop 1
	flat_store_dwordx4 v[10:11], a[0:3] offset:48
	flat_load_dwordx4 v[12:15], v[0:1] offset:8
	s_nop 0
	flat_load_dwordx2 v[10:11], v[0:1] offset:32
	s_waitcnt vmcnt(0) lgkmcnt(0)
	flat_load_dwordx4 v[6:9], v[12:13] offset:32
	flat_load_dwordx4 v[2:5], v[14:15]
	s_waitcnt vmcnt(0) lgkmcnt(0)
	v_cmp_gt_i16_sdwa s[6:7], v6, s4 src0_sel:BYTE_0 src1_sel:DWORD
	s_mov_b64 s[4:5], 0
	s_and_saveexec_b64 s[8:9], s[6:7]
	s_xor_b64 s[6:7], exec, s[8:9]
	s_cbranch_execnz .LBB3_2561
; %bb.513:
	s_or_saveexec_b64 s[6:7], s[6:7]
	v_mov_b32_e32 v12, s10
	s_xor_b64 exec, exec, s[6:7]
	s_cbranch_execnz .LBB3_2564
.LBB3_514:
	s_or_b64 exec, exec, s[6:7]
	s_and_saveexec_b64 s[6:7], s[4:5]
	s_cbranch_execz .LBB3_516
.LBB3_515:
	v_and_b32_e32 v12, 7, v6
	v_ffbh_u32_e32 v14, v12
	v_min_u32_e32 v14, 32, v14
	v_lshrrev_b16_e32 v13, 3, v6
	v_subrev_u32_e32 v15, 28, v14
	v_and_b32_e32 v13, 15, v13
	v_lshlrev_b32_e32 v15, v15, v6
	v_sub_u32_e32 v14, 29, v14
	v_and_b32_e32 v15, 7, v15
	v_cmp_eq_u16_e32 vcc, 0, v13
	v_cndmask_b32_e32 v12, v12, v15, vcc
	v_cndmask_b32_e32 v13, v13, v14, vcc
	v_lshlrev_b32_e32 v14, 24, v6
	v_mov_b32_e32 v15, 0x3b800000
	v_lshlrev_b32_e32 v12, 20, v12
	v_and_b32_e32 v14, 0x80000000, v14
	v_lshl_add_u32 v13, v13, 23, v15
	v_or3_b32 v12, v14, v13, v12
.LBB3_516:
	s_or_b64 exec, exec, s[6:7]
	s_movk_i32 s4, 0x7f
	v_cmp_gt_i16_sdwa s[6:7], v2, s4 src0_sel:BYTE_0 src1_sel:DWORD
	s_mov_b64 s[4:5], 0
                                        ; implicit-def: $sgpr10
	s_and_saveexec_b64 s[8:9], s[6:7]
	s_xor_b64 s[6:7], exec, s[8:9]
	s_cbranch_execnz .LBB3_2565
; %bb.517:
	s_or_saveexec_b64 s[6:7], s[6:7]
	v_mov_b32_e32 v13, s10
	s_xor_b64 exec, exec, s[6:7]
	s_cbranch_execnz .LBB3_2568
.LBB3_518:
	s_or_b64 exec, exec, s[6:7]
	s_and_saveexec_b64 s[6:7], s[4:5]
	s_cbranch_execz .LBB3_520
.LBB3_519:
	v_and_b32_e32 v13, 7, v2
	v_ffbh_u32_e32 v15, v13
	v_min_u32_e32 v15, 32, v15
	v_lshrrev_b16_e32 v14, 3, v2
	v_subrev_u32_e32 v16, 28, v15
	v_and_b32_e32 v14, 15, v14
	v_lshlrev_b32_e32 v16, v16, v2
	v_sub_u32_e32 v15, 29, v15
	v_and_b32_e32 v16, 7, v16
	v_cmp_eq_u16_e32 vcc, 0, v14
	v_cndmask_b32_e32 v13, v13, v16, vcc
	v_cndmask_b32_e32 v14, v14, v15, vcc
	v_lshlrev_b32_e32 v15, 24, v2
	v_mov_b32_e32 v16, 0x3b800000
	v_lshlrev_b32_e32 v13, 20, v13
	v_and_b32_e32 v15, 0x80000000, v15
	v_lshl_add_u32 v14, v14, 23, v16
	v_or3_b32 v13, v15, v14, v13
.LBB3_520:
	s_or_b64 exec, exec, s[6:7]
	flat_load_dwordx4 a[0:3], v[10:11] offset:64
	s_movk_i32 s4, 0x7f
                                        ; implicit-def: $sgpr10
	s_waitcnt vmcnt(0) lgkmcnt(0)
	v_mfma_f32_16x16x4f32 a[0:3], v12, v13, a[0:3]
	v_lshrrev_b32_e32 v13, 8, v6
	v_cmp_gt_i16_sdwa s[6:7], v13, s4 src0_sel:BYTE_0 src1_sel:DWORD
	s_mov_b64 s[4:5], 0
	s_and_saveexec_b64 s[8:9], s[6:7]
	s_xor_b64 s[6:7], exec, s[8:9]
	s_cbranch_execnz .LBB3_2569
; %bb.521:
	s_or_saveexec_b64 s[6:7], s[6:7]
	v_mov_b32_e32 v12, s10
	s_xor_b64 exec, exec, s[6:7]
	s_cbranch_execnz .LBB3_2572
.LBB3_522:
	s_or_b64 exec, exec, s[6:7]
	s_and_saveexec_b64 s[6:7], s[4:5]
	s_cbranch_execz .LBB3_524
.LBB3_523:
	v_bfe_u32 v12, v6, 8, 3
	v_ffbh_u32_e32 v15, v12
	v_min_u32_e32 v15, 32, v15
	v_lshrrev_b16_e32 v14, 3, v13
	v_subrev_u32_e32 v16, 28, v15
	v_and_b32_e32 v14, 15, v14
	v_lshlrev_b32_e32 v13, v16, v13
	v_sub_u32_e32 v15, 29, v15
	v_and_b32_e32 v13, 7, v13
	v_cmp_eq_u16_e32 vcc, 0, v14
	v_cndmask_b32_e32 v12, v12, v13, vcc
	v_cndmask_b32_e32 v13, v14, v15, vcc
	v_lshlrev_b32_e32 v14, 16, v6
	v_mov_b32_e32 v15, 0x3b800000
	v_lshlrev_b32_e32 v12, 20, v12
	v_and_b32_e32 v14, 0x80000000, v14
	v_lshl_add_u32 v13, v13, 23, v15
	v_or3_b32 v12, v14, v13, v12
.LBB3_524:
	s_or_b64 exec, exec, s[6:7]
	v_lshrrev_b32_e32 v13, 8, v2
	s_movk_i32 s4, 0x7f
	v_cmp_gt_i16_sdwa s[6:7], v13, s4 src0_sel:BYTE_0 src1_sel:DWORD
	s_mov_b64 s[4:5], 0
                                        ; implicit-def: $sgpr10
	s_and_saveexec_b64 s[8:9], s[6:7]
	s_xor_b64 s[6:7], exec, s[8:9]
	s_cbranch_execnz .LBB3_2573
; %bb.525:
	s_or_saveexec_b64 s[6:7], s[6:7]
	v_mov_b32_e32 v14, s10
	s_xor_b64 exec, exec, s[6:7]
	s_cbranch_execnz .LBB3_2576
.LBB3_526:
	s_or_b64 exec, exec, s[6:7]
	s_and_saveexec_b64 s[6:7], s[4:5]
	s_cbranch_execz .LBB3_528
.LBB3_527:
	v_bfe_u32 v14, v2, 8, 3
	v_ffbh_u32_e32 v16, v14
	v_min_u32_e32 v16, 32, v16
	v_lshrrev_b16_e32 v15, 3, v13
	v_subrev_u32_e32 v17, 28, v16
	v_and_b32_e32 v15, 15, v15
	v_lshlrev_b32_e32 v13, v17, v13
	v_sub_u32_e32 v16, 29, v16
	v_and_b32_e32 v13, 7, v13
	v_cmp_eq_u16_e32 vcc, 0, v15
	v_cndmask_b32_e32 v13, v14, v13, vcc
	v_cndmask_b32_e32 v14, v15, v16, vcc
	v_lshlrev_b32_e32 v15, 16, v2
	v_mov_b32_e32 v16, 0x3b800000
	v_lshlrev_b32_e32 v13, 20, v13
	v_and_b32_e32 v15, 0x80000000, v15
	v_lshl_add_u32 v14, v14, 23, v16
	v_or3_b32 v14, v15, v14, v13
.LBB3_528:
	s_or_b64 exec, exec, s[6:7]
	s_nop 0
	v_mfma_f32_16x16x4f32 a[0:3], v12, v14, a[0:3]
	s_movk_i32 s4, 0xff
	v_and_b32_sdwa v13, v6, s4 dst_sel:DWORD dst_unused:UNUSED_PAD src0_sel:WORD_1 src1_sel:DWORD
	s_movk_i32 s4, 0x7f
	v_cmp_lt_i16_e32 vcc, s4, v13
	s_mov_b64 s[4:5], 0
                                        ; implicit-def: $sgpr10
	s_and_saveexec_b64 s[6:7], vcc
	s_xor_b64 s[6:7], exec, s[6:7]
	s_cbranch_execnz .LBB3_2577
; %bb.529:
	s_or_saveexec_b64 s[6:7], s[6:7]
	v_mov_b32_e32 v12, s10
	s_xor_b64 exec, exec, s[6:7]
	s_cbranch_execnz .LBB3_2580
.LBB3_530:
	s_or_b64 exec, exec, s[6:7]
	s_and_saveexec_b64 s[6:7], s[4:5]
	s_cbranch_execz .LBB3_532
.LBB3_531:
	v_bfe_u32 v12, v6, 16, 3
	v_ffbh_u32_e32 v15, v12
	v_min_u32_e32 v15, 32, v15
	v_lshrrev_b32_e32 v13, 19, v6
	v_subrev_u32_e32 v16, 28, v15
	v_and_b32_e32 v13, 15, v13
	v_lshlrev_b32_sdwa v16, v16, v6 dst_sel:DWORD dst_unused:UNUSED_PAD src0_sel:DWORD src1_sel:WORD_1
	v_bfe_u32 v14, v6, 19, 4
	v_sub_u32_e32 v15, 29, v15
	v_and_b32_e32 v16, 7, v16
	v_cmp_eq_u16_e32 vcc, 0, v13
	v_cndmask_b32_e32 v12, v12, v16, vcc
	v_cndmask_b32_e32 v13, v14, v15, vcc
	v_lshlrev_b32_e32 v14, 8, v6
	v_mov_b32_e32 v15, 0x3b800000
	v_lshlrev_b32_e32 v12, 20, v12
	v_and_b32_e32 v14, 0x80000000, v14
	v_lshl_add_u32 v13, v13, 23, v15
	v_or3_b32 v12, v14, v13, v12
.LBB3_532:
	s_or_b64 exec, exec, s[6:7]
	s_movk_i32 s4, 0xff
	v_and_b32_sdwa v13, v2, s4 dst_sel:DWORD dst_unused:UNUSED_PAD src0_sel:WORD_1 src1_sel:DWORD
	s_movk_i32 s4, 0x7f
	v_cmp_lt_i16_e32 vcc, s4, v13
	s_mov_b64 s[4:5], 0
                                        ; implicit-def: $sgpr10
	s_and_saveexec_b64 s[6:7], vcc
	s_xor_b64 s[6:7], exec, s[6:7]
	s_cbranch_execnz .LBB3_2581
; %bb.533:
	s_or_saveexec_b64 s[6:7], s[6:7]
	v_mov_b32_e32 v14, s10
	s_xor_b64 exec, exec, s[6:7]
	s_cbranch_execnz .LBB3_2584
.LBB3_534:
	s_or_b64 exec, exec, s[6:7]
	s_and_saveexec_b64 s[6:7], s[4:5]
	s_cbranch_execz .LBB3_536
.LBB3_535:
	v_bfe_u32 v13, v2, 16, 3
	v_ffbh_u32_e32 v16, v13
	v_min_u32_e32 v16, 32, v16
	v_lshrrev_b32_e32 v14, 19, v2
	v_subrev_u32_e32 v17, 28, v16
	v_and_b32_e32 v14, 15, v14
	v_lshlrev_b32_sdwa v17, v17, v2 dst_sel:DWORD dst_unused:UNUSED_PAD src0_sel:DWORD src1_sel:WORD_1
	v_bfe_u32 v15, v2, 19, 4
	v_sub_u32_e32 v16, 29, v16
	v_and_b32_e32 v17, 7, v17
	v_cmp_eq_u16_e32 vcc, 0, v14
	v_cndmask_b32_e32 v13, v13, v17, vcc
	v_cndmask_b32_e32 v14, v15, v16, vcc
	v_lshlrev_b32_e32 v15, 8, v2
	v_mov_b32_e32 v16, 0x3b800000
	v_lshlrev_b32_e32 v13, 20, v13
	v_and_b32_e32 v15, 0x80000000, v15
	v_lshl_add_u32 v14, v14, 23, v16
	v_or3_b32 v14, v15, v14, v13
.LBB3_536:
	s_or_b64 exec, exec, s[6:7]
	s_nop 0
	v_mfma_f32_16x16x4f32 a[0:3], v12, v14, a[0:3]
	s_movk_i32 s4, 0x7f
	v_cmp_gt_i16_sdwa s[6:7], v6, s4 src0_sel:BYTE_3 src1_sel:DWORD
	s_mov_b64 s[4:5], 0
                                        ; implicit-def: $sgpr10
	s_and_saveexec_b64 s[8:9], s[6:7]
	s_xor_b64 s[6:7], exec, s[8:9]
	s_cbranch_execnz .LBB3_2585
; %bb.537:
	s_or_saveexec_b64 s[6:7], s[6:7]
	v_mov_b32_e32 v12, s10
	s_xor_b64 exec, exec, s[6:7]
	s_cbranch_execnz .LBB3_2588
.LBB3_538:
	s_or_b64 exec, exec, s[6:7]
	s_and_saveexec_b64 s[6:7], s[4:5]
	s_cbranch_execz .LBB3_540
.LBB3_539:
	v_bfe_u32 v12, v6, 24, 3
	v_ffbh_u32_e32 v16, v12
	v_min_u32_e32 v16, 32, v16
	v_lshrrev_b32_e32 v14, 27, v6
	v_subrev_u32_e32 v17, 28, v16
	v_and_b32_e32 v13, 0x80000000, v6
	v_and_b32_e32 v14, 15, v14
	v_bfe_u32 v15, v6, 27, 4
	v_lshlrev_b32_sdwa v6, v17, v6 dst_sel:DWORD dst_unused:UNUSED_PAD src0_sel:DWORD src1_sel:BYTE_3
	v_sub_u32_e32 v16, 29, v16
	v_and_b32_e32 v6, 7, v6
	v_cmp_eq_u16_e32 vcc, 0, v14
	v_cndmask_b32_e32 v6, v12, v6, vcc
	v_cndmask_b32_e32 v12, v15, v16, vcc
	v_mov_b32_e32 v14, 0x3b800000
	v_lshlrev_b32_e32 v6, 20, v6
	v_lshl_add_u32 v12, v12, 23, v14
	v_or3_b32 v12, v13, v12, v6
.LBB3_540:
	s_or_b64 exec, exec, s[6:7]
	s_movk_i32 s4, 0x7f
	v_cmp_gt_i16_sdwa s[6:7], v2, s4 src0_sel:BYTE_3 src1_sel:DWORD
	s_mov_b64 s[4:5], 0
                                        ; implicit-def: $sgpr10
	s_and_saveexec_b64 s[8:9], s[6:7]
	s_xor_b64 s[6:7], exec, s[8:9]
	s_cbranch_execnz .LBB3_2589
; %bb.541:
	s_or_saveexec_b64 s[6:7], s[6:7]
	v_mov_b32_e32 v6, s10
	s_xor_b64 exec, exec, s[6:7]
	s_cbranch_execnz .LBB3_2592
.LBB3_542:
	s_or_b64 exec, exec, s[6:7]
	s_and_saveexec_b64 s[6:7], s[4:5]
	s_cbranch_execz .LBB3_544
.LBB3_543:
	v_bfe_u32 v6, v2, 24, 3
	v_ffbh_u32_e32 v16, v6
	v_min_u32_e32 v16, 32, v16
	v_lshrrev_b32_e32 v14, 27, v2
	v_subrev_u32_e32 v17, 28, v16
	v_and_b32_e32 v13, 0x80000000, v2
	v_and_b32_e32 v14, 15, v14
	v_bfe_u32 v15, v2, 27, 4
	v_lshlrev_b32_sdwa v2, v17, v2 dst_sel:DWORD dst_unused:UNUSED_PAD src0_sel:DWORD src1_sel:BYTE_3
	v_sub_u32_e32 v16, 29, v16
	v_and_b32_e32 v2, 7, v2
	v_cmp_eq_u16_e32 vcc, 0, v14
	v_cndmask_b32_e32 v2, v6, v2, vcc
	v_cndmask_b32_e32 v6, v15, v16, vcc
	v_mov_b32_e32 v14, 0x3b800000
	v_lshlrev_b32_e32 v2, 20, v2
	v_lshl_add_u32 v6, v6, 23, v14
	v_or3_b32 v6, v13, v6, v2
.LBB3_544:
	s_or_b64 exec, exec, s[6:7]
	s_nop 0
	v_mfma_f32_16x16x4f32 a[0:3], v12, v6, a[0:3]
	s_movk_i32 s4, 0x7f
	v_cmp_gt_i16_sdwa s[6:7], v7, s4 src0_sel:BYTE_0 src1_sel:DWORD
	s_mov_b64 s[4:5], 0
                                        ; implicit-def: $sgpr10
	s_and_saveexec_b64 s[8:9], s[6:7]
	s_xor_b64 s[6:7], exec, s[8:9]
	s_cbranch_execnz .LBB3_2593
; %bb.545:
	s_or_saveexec_b64 s[6:7], s[6:7]
	v_mov_b32_e32 v2, s10
	s_xor_b64 exec, exec, s[6:7]
	s_cbranch_execnz .LBB3_2596
.LBB3_546:
	s_or_b64 exec, exec, s[6:7]
	s_and_saveexec_b64 s[6:7], s[4:5]
	s_cbranch_execz .LBB3_548
.LBB3_547:
	v_and_b32_e32 v2, 7, v7
	v_ffbh_u32_e32 v12, v2
	v_min_u32_e32 v12, 32, v12
	v_lshrrev_b16_e32 v6, 3, v7
	v_subrev_u32_e32 v13, 28, v12
	v_and_b32_e32 v6, 15, v6
	v_lshlrev_b32_e32 v13, v13, v7
	v_sub_u32_e32 v12, 29, v12
	v_and_b32_e32 v13, 7, v13
	v_cmp_eq_u16_e32 vcc, 0, v6
	v_cndmask_b32_e32 v2, v2, v13, vcc
	v_cndmask_b32_e32 v6, v6, v12, vcc
	v_lshlrev_b32_e32 v12, 24, v7
	v_mov_b32_e32 v13, 0x3b800000
	v_lshlrev_b32_e32 v2, 20, v2
	v_and_b32_e32 v12, 0x80000000, v12
	v_lshl_add_u32 v6, v6, 23, v13
	v_or3_b32 v2, v12, v6, v2
.LBB3_548:
	s_or_b64 exec, exec, s[6:7]
	s_movk_i32 s4, 0x7f
	v_cmp_gt_i16_sdwa s[6:7], v3, s4 src0_sel:BYTE_0 src1_sel:DWORD
	s_mov_b64 s[4:5], 0
                                        ; implicit-def: $sgpr10
	s_and_saveexec_b64 s[8:9], s[6:7]
	s_xor_b64 s[6:7], exec, s[8:9]
	s_cbranch_execnz .LBB3_2597
; %bb.549:
	s_or_saveexec_b64 s[6:7], s[6:7]
	v_mov_b32_e32 v6, s10
	s_xor_b64 exec, exec, s[6:7]
	s_cbranch_execnz .LBB3_2600
.LBB3_550:
	s_or_b64 exec, exec, s[6:7]
	s_and_saveexec_b64 s[6:7], s[4:5]
	s_cbranch_execz .LBB3_552
.LBB3_551:
	v_and_b32_e32 v6, 7, v3
	v_ffbh_u32_e32 v13, v6
	v_min_u32_e32 v13, 32, v13
	v_lshrrev_b16_e32 v12, 3, v3
	v_subrev_u32_e32 v14, 28, v13
	v_and_b32_e32 v12, 15, v12
	v_lshlrev_b32_e32 v14, v14, v3
	v_sub_u32_e32 v13, 29, v13
	v_and_b32_e32 v14, 7, v14
	v_cmp_eq_u16_e32 vcc, 0, v12
	v_cndmask_b32_e32 v6, v6, v14, vcc
	v_cndmask_b32_e32 v12, v12, v13, vcc
	v_lshlrev_b32_e32 v13, 24, v3
	v_mov_b32_e32 v14, 0x3b800000
	v_lshlrev_b32_e32 v6, 20, v6
	v_and_b32_e32 v13, 0x80000000, v13
	v_lshl_add_u32 v12, v12, 23, v14
	v_or3_b32 v6, v13, v12, v6
.LBB3_552:
	s_or_b64 exec, exec, s[6:7]
	s_nop 0
	v_mfma_f32_16x16x4f32 a[0:3], v2, v6, a[0:3]
	v_lshrrev_b32_e32 v6, 8, v7
	s_movk_i32 s4, 0x7f
	v_cmp_gt_i16_sdwa s[6:7], v6, s4 src0_sel:BYTE_0 src1_sel:DWORD
	s_mov_b64 s[4:5], 0
                                        ; implicit-def: $sgpr10
	s_and_saveexec_b64 s[8:9], s[6:7]
	s_xor_b64 s[6:7], exec, s[8:9]
	s_cbranch_execnz .LBB3_2601
; %bb.553:
	s_or_saveexec_b64 s[6:7], s[6:7]
	v_mov_b32_e32 v2, s10
	s_xor_b64 exec, exec, s[6:7]
	s_cbranch_execnz .LBB3_2604
.LBB3_554:
	s_or_b64 exec, exec, s[6:7]
	s_and_saveexec_b64 s[6:7], s[4:5]
	s_cbranch_execz .LBB3_556
.LBB3_555:
	v_bfe_u32 v2, v7, 8, 3
	v_ffbh_u32_e32 v13, v2
	v_min_u32_e32 v13, 32, v13
	v_lshrrev_b16_e32 v12, 3, v6
	v_subrev_u32_e32 v14, 28, v13
	v_and_b32_e32 v12, 15, v12
	v_lshlrev_b32_e32 v6, v14, v6
	v_sub_u32_e32 v13, 29, v13
	v_and_b32_e32 v6, 7, v6
	v_cmp_eq_u16_e32 vcc, 0, v12
	v_cndmask_b32_e32 v2, v2, v6, vcc
	v_cndmask_b32_e32 v6, v12, v13, vcc
	v_lshlrev_b32_e32 v12, 16, v7
	v_mov_b32_e32 v13, 0x3b800000
	v_lshlrev_b32_e32 v2, 20, v2
	v_and_b32_e32 v12, 0x80000000, v12
	v_lshl_add_u32 v6, v6, 23, v13
	v_or3_b32 v2, v12, v6, v2
.LBB3_556:
	s_or_b64 exec, exec, s[6:7]
	v_lshrrev_b32_e32 v6, 8, v3
	s_movk_i32 s4, 0x7f
	v_cmp_gt_i16_sdwa s[6:7], v6, s4 src0_sel:BYTE_0 src1_sel:DWORD
	s_mov_b64 s[4:5], 0
                                        ; implicit-def: $sgpr10
	s_and_saveexec_b64 s[8:9], s[6:7]
	s_xor_b64 s[6:7], exec, s[8:9]
	s_cbranch_execnz .LBB3_2605
; %bb.557:
	s_or_saveexec_b64 s[6:7], s[6:7]
	v_mov_b32_e32 v12, s10
	s_xor_b64 exec, exec, s[6:7]
	s_cbranch_execnz .LBB3_2608
.LBB3_558:
	s_or_b64 exec, exec, s[6:7]
	s_and_saveexec_b64 s[6:7], s[4:5]
	s_cbranch_execz .LBB3_560
.LBB3_559:
	v_bfe_u32 v12, v3, 8, 3
	v_ffbh_u32_e32 v14, v12
	v_min_u32_e32 v14, 32, v14
	v_lshrrev_b16_e32 v13, 3, v6
	v_subrev_u32_e32 v15, 28, v14
	v_and_b32_e32 v13, 15, v13
	v_lshlrev_b32_e32 v6, v15, v6
	v_sub_u32_e32 v14, 29, v14
	v_and_b32_e32 v6, 7, v6
	v_cmp_eq_u16_e32 vcc, 0, v13
	v_cndmask_b32_e32 v6, v12, v6, vcc
	v_cndmask_b32_e32 v12, v13, v14, vcc
	v_lshlrev_b32_e32 v13, 16, v3
	v_mov_b32_e32 v14, 0x3b800000
	v_lshlrev_b32_e32 v6, 20, v6
	v_and_b32_e32 v13, 0x80000000, v13
	v_lshl_add_u32 v12, v12, 23, v14
	v_or3_b32 v12, v13, v12, v6
.LBB3_560:
	s_or_b64 exec, exec, s[6:7]
	s_nop 0
	v_mfma_f32_16x16x4f32 a[0:3], v2, v12, a[0:3]
	s_movk_i32 s4, 0xff
	v_and_b32_sdwa v6, v7, s4 dst_sel:DWORD dst_unused:UNUSED_PAD src0_sel:WORD_1 src1_sel:DWORD
	s_movk_i32 s4, 0x7f
	v_cmp_lt_i16_e32 vcc, s4, v6
	s_mov_b64 s[4:5], 0
                                        ; implicit-def: $sgpr10
	s_and_saveexec_b64 s[6:7], vcc
	s_xor_b64 s[6:7], exec, s[6:7]
	s_cbranch_execnz .LBB3_2609
; %bb.561:
	s_or_saveexec_b64 s[6:7], s[6:7]
	v_mov_b32_e32 v2, s10
	s_xor_b64 exec, exec, s[6:7]
	s_cbranch_execnz .LBB3_2612
.LBB3_562:
	s_or_b64 exec, exec, s[6:7]
	s_and_saveexec_b64 s[6:7], s[4:5]
	s_cbranch_execz .LBB3_564
.LBB3_563:
	v_bfe_u32 v2, v7, 16, 3
	v_ffbh_u32_e32 v13, v2
	v_min_u32_e32 v13, 32, v13
	v_lshrrev_b32_e32 v6, 19, v7
	v_subrev_u32_e32 v14, 28, v13
	v_and_b32_e32 v6, 15, v6
	v_lshlrev_b32_sdwa v14, v14, v7 dst_sel:DWORD dst_unused:UNUSED_PAD src0_sel:DWORD src1_sel:WORD_1
	v_bfe_u32 v12, v7, 19, 4
	v_sub_u32_e32 v13, 29, v13
	v_and_b32_e32 v14, 7, v14
	v_cmp_eq_u16_e32 vcc, 0, v6
	v_cndmask_b32_e32 v2, v2, v14, vcc
	v_cndmask_b32_e32 v6, v12, v13, vcc
	v_lshlrev_b32_e32 v12, 8, v7
	v_mov_b32_e32 v13, 0x3b800000
	v_lshlrev_b32_e32 v2, 20, v2
	v_and_b32_e32 v12, 0x80000000, v12
	v_lshl_add_u32 v6, v6, 23, v13
	v_or3_b32 v2, v12, v6, v2
.LBB3_564:
	s_or_b64 exec, exec, s[6:7]
	s_movk_i32 s4, 0xff
	v_and_b32_sdwa v6, v3, s4 dst_sel:DWORD dst_unused:UNUSED_PAD src0_sel:WORD_1 src1_sel:DWORD
	s_movk_i32 s4, 0x7f
	v_cmp_lt_i16_e32 vcc, s4, v6
	s_mov_b64 s[4:5], 0
                                        ; implicit-def: $sgpr10
	s_and_saveexec_b64 s[6:7], vcc
	s_xor_b64 s[6:7], exec, s[6:7]
	s_cbranch_execnz .LBB3_2613
; %bb.565:
	s_or_saveexec_b64 s[6:7], s[6:7]
	v_mov_b32_e32 v12, s10
	s_xor_b64 exec, exec, s[6:7]
	s_cbranch_execnz .LBB3_2616
.LBB3_566:
	s_or_b64 exec, exec, s[6:7]
	s_and_saveexec_b64 s[6:7], s[4:5]
	s_cbranch_execz .LBB3_568
.LBB3_567:
	v_bfe_u32 v6, v3, 16, 3
	v_ffbh_u32_e32 v14, v6
	v_min_u32_e32 v14, 32, v14
	v_lshrrev_b32_e32 v12, 19, v3
	v_subrev_u32_e32 v15, 28, v14
	v_and_b32_e32 v12, 15, v12
	v_lshlrev_b32_sdwa v15, v15, v3 dst_sel:DWORD dst_unused:UNUSED_PAD src0_sel:DWORD src1_sel:WORD_1
	v_bfe_u32 v13, v3, 19, 4
	v_sub_u32_e32 v14, 29, v14
	v_and_b32_e32 v15, 7, v15
	v_cmp_eq_u16_e32 vcc, 0, v12
	v_cndmask_b32_e32 v6, v6, v15, vcc
	v_cndmask_b32_e32 v12, v13, v14, vcc
	v_lshlrev_b32_e32 v13, 8, v3
	v_mov_b32_e32 v14, 0x3b800000
	v_lshlrev_b32_e32 v6, 20, v6
	v_and_b32_e32 v13, 0x80000000, v13
	v_lshl_add_u32 v12, v12, 23, v14
	v_or3_b32 v12, v13, v12, v6
.LBB3_568:
	s_or_b64 exec, exec, s[6:7]
	s_nop 0
	v_mfma_f32_16x16x4f32 a[0:3], v2, v12, a[0:3]
	s_movk_i32 s4, 0x7f
	v_cmp_gt_i16_sdwa s[6:7], v7, s4 src0_sel:BYTE_3 src1_sel:DWORD
	s_mov_b64 s[4:5], 0
                                        ; implicit-def: $sgpr10
	s_and_saveexec_b64 s[8:9], s[6:7]
	s_xor_b64 s[6:7], exec, s[8:9]
	s_cbranch_execnz .LBB3_2617
; %bb.569:
	s_or_saveexec_b64 s[6:7], s[6:7]
	v_mov_b32_e32 v2, s10
	s_xor_b64 exec, exec, s[6:7]
	s_cbranch_execnz .LBB3_2620
.LBB3_570:
	s_or_b64 exec, exec, s[6:7]
	s_and_saveexec_b64 s[6:7], s[4:5]
	s_cbranch_execz .LBB3_572
.LBB3_571:
	v_bfe_u32 v2, v7, 24, 3
	v_ffbh_u32_e32 v14, v2
	v_min_u32_e32 v14, 32, v14
	v_lshrrev_b32_e32 v12, 27, v7
	v_subrev_u32_e32 v15, 28, v14
	v_and_b32_e32 v6, 0x80000000, v7
	v_and_b32_e32 v12, 15, v12
	v_bfe_u32 v13, v7, 27, 4
	v_lshlrev_b32_sdwa v7, v15, v7 dst_sel:DWORD dst_unused:UNUSED_PAD src0_sel:DWORD src1_sel:BYTE_3
	v_sub_u32_e32 v14, 29, v14
	v_and_b32_e32 v7, 7, v7
	v_cmp_eq_u16_e32 vcc, 0, v12
	v_cndmask_b32_e32 v2, v2, v7, vcc
	v_cndmask_b32_e32 v7, v13, v14, vcc
	v_mov_b32_e32 v12, 0x3b800000
	v_lshlrev_b32_e32 v2, 20, v2
	v_lshl_add_u32 v7, v7, 23, v12
	v_or3_b32 v2, v6, v7, v2
.LBB3_572:
	s_or_b64 exec, exec, s[6:7]
	s_movk_i32 s4, 0x7f
	v_cmp_gt_i16_sdwa s[6:7], v3, s4 src0_sel:BYTE_3 src1_sel:DWORD
	s_mov_b64 s[4:5], 0
                                        ; implicit-def: $sgpr10
	s_and_saveexec_b64 s[8:9], s[6:7]
	s_xor_b64 s[6:7], exec, s[8:9]
	s_cbranch_execnz .LBB3_2621
; %bb.573:
	s_or_saveexec_b64 s[6:7], s[6:7]
	v_mov_b32_e32 v6, s10
	s_xor_b64 exec, exec, s[6:7]
	s_cbranch_execnz .LBB3_2624
.LBB3_574:
	s_or_b64 exec, exec, s[6:7]
	s_and_saveexec_b64 s[6:7], s[4:5]
	s_cbranch_execz .LBB3_576
.LBB3_575:
	v_bfe_u32 v6, v3, 24, 3
	v_ffbh_u32_e32 v14, v6
	v_min_u32_e32 v14, 32, v14
	v_lshrrev_b32_e32 v12, 27, v3
	v_subrev_u32_e32 v15, 28, v14
	v_and_b32_e32 v7, 0x80000000, v3
	v_and_b32_e32 v12, 15, v12
	v_bfe_u32 v13, v3, 27, 4
	v_lshlrev_b32_sdwa v3, v15, v3 dst_sel:DWORD dst_unused:UNUSED_PAD src0_sel:DWORD src1_sel:BYTE_3
	v_sub_u32_e32 v14, 29, v14
	v_and_b32_e32 v3, 7, v3
	v_cmp_eq_u16_e32 vcc, 0, v12
	v_cndmask_b32_e32 v3, v6, v3, vcc
	v_cndmask_b32_e32 v6, v13, v14, vcc
	v_mov_b32_e32 v12, 0x3b800000
	v_lshlrev_b32_e32 v3, 20, v3
	v_lshl_add_u32 v6, v6, 23, v12
	v_or3_b32 v6, v7, v6, v3
.LBB3_576:
	s_or_b64 exec, exec, s[6:7]
	s_nop 0
	v_mfma_f32_16x16x4f32 a[0:3], v2, v6, a[0:3]
	s_movk_i32 s4, 0x7f
	v_cmp_gt_i16_sdwa s[6:7], v8, s4 src0_sel:BYTE_0 src1_sel:DWORD
	s_mov_b64 s[4:5], 0
                                        ; implicit-def: $sgpr10
	s_and_saveexec_b64 s[8:9], s[6:7]
	s_xor_b64 s[6:7], exec, s[8:9]
	s_cbranch_execnz .LBB3_2625
; %bb.577:
	s_or_saveexec_b64 s[6:7], s[6:7]
	v_mov_b32_e32 v2, s10
	s_xor_b64 exec, exec, s[6:7]
	s_cbranch_execnz .LBB3_2628
.LBB3_578:
	s_or_b64 exec, exec, s[6:7]
	s_and_saveexec_b64 s[6:7], s[4:5]
	s_cbranch_execz .LBB3_580
.LBB3_579:
	v_and_b32_e32 v2, 7, v8
	v_ffbh_u32_e32 v6, v2
	v_min_u32_e32 v6, 32, v6
	v_lshrrev_b16_e32 v3, 3, v8
	v_subrev_u32_e32 v7, 28, v6
	v_and_b32_e32 v3, 15, v3
	v_lshlrev_b32_e32 v7, v7, v8
	v_sub_u32_e32 v6, 29, v6
	v_and_b32_e32 v7, 7, v7
	v_cmp_eq_u16_e32 vcc, 0, v3
	v_cndmask_b32_e32 v2, v2, v7, vcc
	v_cndmask_b32_e32 v3, v3, v6, vcc
	v_lshlrev_b32_e32 v6, 24, v8
	v_mov_b32_e32 v7, 0x3b800000
	v_lshlrev_b32_e32 v2, 20, v2
	v_and_b32_e32 v6, 0x80000000, v6
	v_lshl_add_u32 v3, v3, 23, v7
	v_or3_b32 v2, v6, v3, v2
.LBB3_580:
	s_or_b64 exec, exec, s[6:7]
	s_movk_i32 s4, 0x7f
	v_cmp_gt_i16_sdwa s[6:7], v4, s4 src0_sel:BYTE_0 src1_sel:DWORD
	s_mov_b64 s[4:5], 0
                                        ; implicit-def: $sgpr10
	s_and_saveexec_b64 s[8:9], s[6:7]
	s_xor_b64 s[6:7], exec, s[8:9]
	s_cbranch_execnz .LBB3_2629
; %bb.581:
	s_or_saveexec_b64 s[6:7], s[6:7]
	v_mov_b32_e32 v3, s10
	s_xor_b64 exec, exec, s[6:7]
	s_cbranch_execnz .LBB3_2632
.LBB3_582:
	s_or_b64 exec, exec, s[6:7]
	s_and_saveexec_b64 s[6:7], s[4:5]
	s_cbranch_execz .LBB3_584
.LBB3_583:
	v_and_b32_e32 v3, 7, v4
	v_ffbh_u32_e32 v7, v3
	v_min_u32_e32 v7, 32, v7
	v_lshrrev_b16_e32 v6, 3, v4
	v_subrev_u32_e32 v12, 28, v7
	v_and_b32_e32 v6, 15, v6
	v_lshlrev_b32_e32 v12, v12, v4
	v_sub_u32_e32 v7, 29, v7
	v_and_b32_e32 v12, 7, v12
	v_cmp_eq_u16_e32 vcc, 0, v6
	v_cndmask_b32_e32 v3, v3, v12, vcc
	v_cndmask_b32_e32 v6, v6, v7, vcc
	v_lshlrev_b32_e32 v7, 24, v4
	v_mov_b32_e32 v12, 0x3b800000
	v_lshlrev_b32_e32 v3, 20, v3
	v_and_b32_e32 v7, 0x80000000, v7
	v_lshl_add_u32 v6, v6, 23, v12
	v_or3_b32 v3, v7, v6, v3
.LBB3_584:
	s_or_b64 exec, exec, s[6:7]
	s_nop 0
	v_mfma_f32_16x16x4f32 a[0:3], v2, v3, a[0:3]
	v_lshrrev_b32_e32 v3, 8, v8
	s_movk_i32 s4, 0x7f
	v_cmp_gt_i16_sdwa s[6:7], v3, s4 src0_sel:BYTE_0 src1_sel:DWORD
	s_mov_b64 s[4:5], 0
                                        ; implicit-def: $sgpr10
	s_and_saveexec_b64 s[8:9], s[6:7]
	s_xor_b64 s[6:7], exec, s[8:9]
	s_cbranch_execnz .LBB3_2633
; %bb.585:
	s_or_saveexec_b64 s[6:7], s[6:7]
	v_mov_b32_e32 v2, s10
	s_xor_b64 exec, exec, s[6:7]
	s_cbranch_execnz .LBB3_2636
.LBB3_586:
	s_or_b64 exec, exec, s[6:7]
	s_and_saveexec_b64 s[6:7], s[4:5]
	s_cbranch_execz .LBB3_588
.LBB3_587:
	v_bfe_u32 v2, v8, 8, 3
	v_ffbh_u32_e32 v7, v2
	v_min_u32_e32 v7, 32, v7
	v_lshrrev_b16_e32 v6, 3, v3
	v_subrev_u32_e32 v12, 28, v7
	v_and_b32_e32 v6, 15, v6
	v_lshlrev_b32_e32 v3, v12, v3
	v_sub_u32_e32 v7, 29, v7
	v_and_b32_e32 v3, 7, v3
	v_cmp_eq_u16_e32 vcc, 0, v6
	v_cndmask_b32_e32 v2, v2, v3, vcc
	v_cndmask_b32_e32 v3, v6, v7, vcc
	v_lshlrev_b32_e32 v6, 16, v8
	v_mov_b32_e32 v7, 0x3b800000
	v_lshlrev_b32_e32 v2, 20, v2
	v_and_b32_e32 v6, 0x80000000, v6
	v_lshl_add_u32 v3, v3, 23, v7
	v_or3_b32 v2, v6, v3, v2
.LBB3_588:
	s_or_b64 exec, exec, s[6:7]
	v_lshrrev_b32_e32 v3, 8, v4
	s_movk_i32 s4, 0x7f
	v_cmp_gt_i16_sdwa s[6:7], v3, s4 src0_sel:BYTE_0 src1_sel:DWORD
	s_mov_b64 s[4:5], 0
                                        ; implicit-def: $sgpr10
	s_and_saveexec_b64 s[8:9], s[6:7]
	s_xor_b64 s[6:7], exec, s[8:9]
	s_cbranch_execnz .LBB3_2637
; %bb.589:
	s_or_saveexec_b64 s[6:7], s[6:7]
	v_mov_b32_e32 v6, s10
	s_xor_b64 exec, exec, s[6:7]
	s_cbranch_execnz .LBB3_2640
.LBB3_590:
	s_or_b64 exec, exec, s[6:7]
	s_and_saveexec_b64 s[6:7], s[4:5]
	s_cbranch_execz .LBB3_592
.LBB3_591:
	v_bfe_u32 v6, v4, 8, 3
	v_ffbh_u32_e32 v12, v6
	v_min_u32_e32 v12, 32, v12
	v_lshrrev_b16_e32 v7, 3, v3
	v_subrev_u32_e32 v13, 28, v12
	v_and_b32_e32 v7, 15, v7
	v_lshlrev_b32_e32 v3, v13, v3
	v_sub_u32_e32 v12, 29, v12
	v_and_b32_e32 v3, 7, v3
	v_cmp_eq_u16_e32 vcc, 0, v7
	v_cndmask_b32_e32 v3, v6, v3, vcc
	v_cndmask_b32_e32 v6, v7, v12, vcc
	v_lshlrev_b32_e32 v7, 16, v4
	v_mov_b32_e32 v12, 0x3b800000
	v_lshlrev_b32_e32 v3, 20, v3
	v_and_b32_e32 v7, 0x80000000, v7
	v_lshl_add_u32 v6, v6, 23, v12
	v_or3_b32 v6, v7, v6, v3
.LBB3_592:
	s_or_b64 exec, exec, s[6:7]
	s_nop 0
	v_mfma_f32_16x16x4f32 a[0:3], v2, v6, a[0:3]
	s_movk_i32 s4, 0xff
	v_and_b32_sdwa v3, v8, s4 dst_sel:DWORD dst_unused:UNUSED_PAD src0_sel:WORD_1 src1_sel:DWORD
	s_movk_i32 s4, 0x7f
	v_cmp_lt_i16_e32 vcc, s4, v3
	s_mov_b64 s[4:5], 0
                                        ; implicit-def: $sgpr10
	s_and_saveexec_b64 s[6:7], vcc
	s_xor_b64 s[6:7], exec, s[6:7]
	s_cbranch_execnz .LBB3_2641
; %bb.593:
	s_or_saveexec_b64 s[6:7], s[6:7]
	v_mov_b32_e32 v2, s10
	s_xor_b64 exec, exec, s[6:7]
	s_cbranch_execnz .LBB3_2644
.LBB3_594:
	s_or_b64 exec, exec, s[6:7]
	s_and_saveexec_b64 s[6:7], s[4:5]
	s_cbranch_execz .LBB3_596
.LBB3_595:
	v_bfe_u32 v2, v8, 16, 3
	v_ffbh_u32_e32 v7, v2
	v_min_u32_e32 v7, 32, v7
	v_lshrrev_b32_e32 v3, 19, v8
	v_subrev_u32_e32 v12, 28, v7
	v_and_b32_e32 v3, 15, v3
	v_lshlrev_b32_sdwa v12, v12, v8 dst_sel:DWORD dst_unused:UNUSED_PAD src0_sel:DWORD src1_sel:WORD_1
	v_bfe_u32 v6, v8, 19, 4
	v_sub_u32_e32 v7, 29, v7
	v_and_b32_e32 v12, 7, v12
	v_cmp_eq_u16_e32 vcc, 0, v3
	v_cndmask_b32_e32 v2, v2, v12, vcc
	v_cndmask_b32_e32 v3, v6, v7, vcc
	v_lshlrev_b32_e32 v6, 8, v8
	v_mov_b32_e32 v7, 0x3b800000
	v_lshlrev_b32_e32 v2, 20, v2
	v_and_b32_e32 v6, 0x80000000, v6
	v_lshl_add_u32 v3, v3, 23, v7
	v_or3_b32 v2, v6, v3, v2
.LBB3_596:
	s_or_b64 exec, exec, s[6:7]
	s_movk_i32 s4, 0xff
	v_and_b32_sdwa v3, v4, s4 dst_sel:DWORD dst_unused:UNUSED_PAD src0_sel:WORD_1 src1_sel:DWORD
	s_movk_i32 s4, 0x7f
	v_cmp_lt_i16_e32 vcc, s4, v3
	s_mov_b64 s[4:5], 0
                                        ; implicit-def: $sgpr10
	s_and_saveexec_b64 s[6:7], vcc
	s_xor_b64 s[6:7], exec, s[6:7]
	s_cbranch_execnz .LBB3_2645
; %bb.597:
	s_or_saveexec_b64 s[6:7], s[6:7]
	v_mov_b32_e32 v6, s10
	s_xor_b64 exec, exec, s[6:7]
	s_cbranch_execnz .LBB3_2648
.LBB3_598:
	s_or_b64 exec, exec, s[6:7]
	s_and_saveexec_b64 s[6:7], s[4:5]
	s_cbranch_execz .LBB3_600
.LBB3_599:
	v_bfe_u32 v3, v4, 16, 3
	v_ffbh_u32_e32 v12, v3
	v_min_u32_e32 v12, 32, v12
	v_lshrrev_b32_e32 v6, 19, v4
	v_subrev_u32_e32 v13, 28, v12
	v_and_b32_e32 v6, 15, v6
	v_lshlrev_b32_sdwa v13, v13, v4 dst_sel:DWORD dst_unused:UNUSED_PAD src0_sel:DWORD src1_sel:WORD_1
	v_bfe_u32 v7, v4, 19, 4
	v_sub_u32_e32 v12, 29, v12
	v_and_b32_e32 v13, 7, v13
	v_cmp_eq_u16_e32 vcc, 0, v6
	v_cndmask_b32_e32 v3, v3, v13, vcc
	v_cndmask_b32_e32 v6, v7, v12, vcc
	v_lshlrev_b32_e32 v7, 8, v4
	v_mov_b32_e32 v12, 0x3b800000
	v_lshlrev_b32_e32 v3, 20, v3
	v_and_b32_e32 v7, 0x80000000, v7
	v_lshl_add_u32 v6, v6, 23, v12
	v_or3_b32 v6, v7, v6, v3
.LBB3_600:
	s_or_b64 exec, exec, s[6:7]
	s_nop 0
	v_mfma_f32_16x16x4f32 a[0:3], v2, v6, a[0:3]
	s_movk_i32 s4, 0x7f
	v_cmp_gt_i16_sdwa s[6:7], v8, s4 src0_sel:BYTE_3 src1_sel:DWORD
	s_mov_b64 s[4:5], 0
                                        ; implicit-def: $sgpr10
	s_and_saveexec_b64 s[8:9], s[6:7]
	s_xor_b64 s[6:7], exec, s[8:9]
	s_cbranch_execnz .LBB3_2649
; %bb.601:
	s_or_saveexec_b64 s[6:7], s[6:7]
	v_mov_b32_e32 v2, s10
	s_xor_b64 exec, exec, s[6:7]
	s_cbranch_execnz .LBB3_2652
.LBB3_602:
	s_or_b64 exec, exec, s[6:7]
	s_and_saveexec_b64 s[6:7], s[4:5]
	s_cbranch_execz .LBB3_604
.LBB3_603:
	v_bfe_u32 v2, v8, 24, 3
	v_ffbh_u32_e32 v12, v2
	v_min_u32_e32 v12, 32, v12
	v_lshrrev_b32_e32 v6, 27, v8
	v_subrev_u32_e32 v13, 28, v12
	v_and_b32_e32 v3, 0x80000000, v8
	v_and_b32_e32 v6, 15, v6
	v_bfe_u32 v7, v8, 27, 4
	v_lshlrev_b32_sdwa v8, v13, v8 dst_sel:DWORD dst_unused:UNUSED_PAD src0_sel:DWORD src1_sel:BYTE_3
	v_sub_u32_e32 v12, 29, v12
	v_and_b32_e32 v8, 7, v8
	v_cmp_eq_u16_e32 vcc, 0, v6
	v_cndmask_b32_e32 v2, v2, v8, vcc
	v_cndmask_b32_e32 v6, v7, v12, vcc
	v_mov_b32_e32 v7, 0x3b800000
	v_lshlrev_b32_e32 v2, 20, v2
	v_lshl_add_u32 v6, v6, 23, v7
	v_or3_b32 v2, v3, v6, v2
.LBB3_604:
	s_or_b64 exec, exec, s[6:7]
	s_movk_i32 s4, 0x7f
	v_cmp_gt_i16_sdwa s[6:7], v4, s4 src0_sel:BYTE_3 src1_sel:DWORD
	s_mov_b64 s[4:5], 0
                                        ; implicit-def: $sgpr10
	s_and_saveexec_b64 s[8:9], s[6:7]
	s_xor_b64 s[6:7], exec, s[8:9]
	s_cbranch_execnz .LBB3_2653
; %bb.605:
	s_or_saveexec_b64 s[6:7], s[6:7]
	v_mov_b32_e32 v3, s10
	s_xor_b64 exec, exec, s[6:7]
	s_cbranch_execnz .LBB3_2656
.LBB3_606:
	s_or_b64 exec, exec, s[6:7]
	s_and_saveexec_b64 s[6:7], s[4:5]
	s_cbranch_execz .LBB3_608
.LBB3_607:
	v_bfe_u32 v3, v4, 24, 3
	v_ffbh_u32_e32 v12, v3
	v_min_u32_e32 v12, 32, v12
	v_lshrrev_b32_e32 v7, 27, v4
	v_subrev_u32_e32 v13, 28, v12
	v_and_b32_e32 v6, 0x80000000, v4
	v_and_b32_e32 v7, 15, v7
	v_bfe_u32 v8, v4, 27, 4
	v_lshlrev_b32_sdwa v4, v13, v4 dst_sel:DWORD dst_unused:UNUSED_PAD src0_sel:DWORD src1_sel:BYTE_3
	v_sub_u32_e32 v12, 29, v12
	v_and_b32_e32 v4, 7, v4
	v_cmp_eq_u16_e32 vcc, 0, v7
	v_cndmask_b32_e32 v3, v3, v4, vcc
	v_cndmask_b32_e32 v4, v8, v12, vcc
	v_mov_b32_e32 v7, 0x3b800000
	v_lshlrev_b32_e32 v3, 20, v3
	v_lshl_add_u32 v4, v4, 23, v7
	v_or3_b32 v3, v6, v4, v3
.LBB3_608:
	s_or_b64 exec, exec, s[6:7]
	s_nop 0
	v_mfma_f32_16x16x4f32 a[0:3], v2, v3, a[0:3]
	s_movk_i32 s4, 0x7f
	v_cmp_gt_i16_sdwa s[6:7], v9, s4 src0_sel:BYTE_0 src1_sel:DWORD
	s_mov_b64 s[4:5], 0
                                        ; implicit-def: $sgpr10
	s_and_saveexec_b64 s[8:9], s[6:7]
	s_xor_b64 s[6:7], exec, s[8:9]
	s_cbranch_execnz .LBB3_2657
; %bb.609:
	s_or_saveexec_b64 s[6:7], s[6:7]
	v_mov_b32_e32 v2, s10
	s_xor_b64 exec, exec, s[6:7]
	s_cbranch_execnz .LBB3_2660
.LBB3_610:
	s_or_b64 exec, exec, s[6:7]
	s_and_saveexec_b64 s[6:7], s[4:5]
	s_cbranch_execz .LBB3_612
.LBB3_611:
	v_mov_b32_e32 v2, 8
	v_and_b32_e32 v3, 7, v9
	v_lshrrev_b32_sdwa v2, v2, v9 dst_sel:BYTE_1 dst_unused:UNUSED_PAD src0_sel:DWORD src1_sel:DWORD
	v_ffbh_u32_e32 v4, v3
	v_or_b32_sdwa v2, v9, v2 dst_sel:DWORD dst_unused:UNUSED_PAD src0_sel:BYTE_0 src1_sel:DWORD
	v_min_u32_e32 v4, 32, v4
	v_lshrrev_b16_e32 v2, 3, v2
	v_subrev_u32_e32 v6, 28, v4
	v_and_b32_e32 v2, 15, v2
	v_lshlrev_b32_e32 v6, v6, v9
	v_sub_u32_e32 v4, 29, v4
	v_and_b32_e32 v6, 7, v6
	v_cmp_eq_u16_e32 vcc, 0, v2
	v_cndmask_b32_e32 v3, v3, v6, vcc
	v_cndmask_b32_e32 v2, v2, v4, vcc
	v_lshlrev_b32_e32 v4, 24, v9
	v_mov_b32_e32 v6, 0x3b800000
	v_lshlrev_b32_e32 v3, 20, v3
	v_and_b32_e32 v4, 0x80000000, v4
	v_lshl_add_u32 v2, v2, 23, v6
	v_or3_b32 v2, v4, v2, v3
.LBB3_612:
	s_or_b64 exec, exec, s[6:7]
	s_movk_i32 s4, 0x7f
	v_cmp_gt_i16_sdwa s[6:7], v5, s4 src0_sel:BYTE_0 src1_sel:DWORD
	s_mov_b64 s[4:5], 0
                                        ; implicit-def: $sgpr10
	s_and_saveexec_b64 s[8:9], s[6:7]
	s_xor_b64 s[6:7], exec, s[8:9]
	s_cbranch_execnz .LBB3_2661
; %bb.613:
	s_or_saveexec_b64 s[6:7], s[6:7]
	v_mov_b32_e32 v3, s10
	s_xor_b64 exec, exec, s[6:7]
	s_cbranch_execnz .LBB3_2664
.LBB3_614:
	s_or_b64 exec, exec, s[6:7]
	s_and_saveexec_b64 s[6:7], s[4:5]
	s_cbranch_execz .LBB3_616
.LBB3_615:
	v_mov_b32_e32 v3, 8
	v_and_b32_e32 v4, 7, v5
	v_lshrrev_b32_sdwa v3, v3, v5 dst_sel:BYTE_1 dst_unused:UNUSED_PAD src0_sel:DWORD src1_sel:DWORD
	v_ffbh_u32_e32 v6, v4
	v_or_b32_sdwa v3, v5, v3 dst_sel:DWORD dst_unused:UNUSED_PAD src0_sel:BYTE_0 src1_sel:DWORD
	v_min_u32_e32 v6, 32, v6
	v_lshrrev_b16_e32 v3, 3, v3
	v_subrev_u32_e32 v7, 28, v6
	v_and_b32_e32 v3, 15, v3
	v_lshlrev_b32_e32 v7, v7, v5
	v_sub_u32_e32 v6, 29, v6
	v_and_b32_e32 v7, 7, v7
	v_cmp_eq_u16_e32 vcc, 0, v3
	v_cndmask_b32_e32 v4, v4, v7, vcc
	v_cndmask_b32_e32 v3, v3, v6, vcc
	v_lshlrev_b32_e32 v6, 24, v5
	v_mov_b32_e32 v7, 0x3b800000
	v_lshlrev_b32_e32 v4, 20, v4
	v_and_b32_e32 v6, 0x80000000, v6
	v_lshl_add_u32 v3, v3, 23, v7
	v_or3_b32 v3, v6, v3, v4
.LBB3_616:
	s_or_b64 exec, exec, s[6:7]
	s_nop 0
	v_mfma_f32_16x16x4f32 a[0:3], v2, v3, a[0:3]
	v_lshrrev_b32_e32 v3, 8, v9
	s_movk_i32 s4, 0x7f
	v_cmp_gt_i16_sdwa s[6:7], v3, s4 src0_sel:BYTE_0 src1_sel:DWORD
	s_mov_b64 s[4:5], 0
                                        ; implicit-def: $sgpr10
	s_and_saveexec_b64 s[8:9], s[6:7]
	s_xor_b64 s[6:7], exec, s[8:9]
	s_cbranch_execnz .LBB3_2665
; %bb.617:
	s_or_saveexec_b64 s[6:7], s[6:7]
	v_mov_b32_e32 v2, s10
	s_xor_b64 exec, exec, s[6:7]
	s_cbranch_execnz .LBB3_2668
.LBB3_618:
	s_or_b64 exec, exec, s[6:7]
	s_and_saveexec_b64 s[6:7], s[4:5]
	s_cbranch_execz .LBB3_620
.LBB3_619:
	v_bfe_u32 v2, v9, 8, 3
	v_ffbh_u32_e32 v6, v2
	v_min_u32_e32 v6, 32, v6
	v_lshrrev_b16_e32 v4, 3, v3
	v_subrev_u32_e32 v7, 28, v6
	v_and_b32_e32 v4, 15, v4
	v_lshlrev_b32_e32 v3, v7, v3
	v_sub_u32_e32 v6, 29, v6
	v_and_b32_e32 v3, 7, v3
	v_cmp_eq_u16_e32 vcc, 0, v4
	v_cndmask_b32_e32 v2, v2, v3, vcc
	v_cndmask_b32_e32 v3, v4, v6, vcc
	v_lshlrev_b32_e32 v4, 16, v9
	v_mov_b32_e32 v6, 0x3b800000
	v_lshlrev_b32_e32 v2, 20, v2
	v_and_b32_e32 v4, 0x80000000, v4
	v_lshl_add_u32 v3, v3, 23, v6
	v_or3_b32 v2, v4, v3, v2
.LBB3_620:
	s_or_b64 exec, exec, s[6:7]
	v_lshrrev_b32_e32 v3, 8, v5
	s_movk_i32 s4, 0x7f
	v_cmp_gt_i16_sdwa s[6:7], v3, s4 src0_sel:BYTE_0 src1_sel:DWORD
	s_mov_b64 s[4:5], 0
                                        ; implicit-def: $sgpr10
	s_and_saveexec_b64 s[8:9], s[6:7]
	s_xor_b64 s[6:7], exec, s[8:9]
	s_cbranch_execnz .LBB3_2669
; %bb.621:
	s_or_saveexec_b64 s[6:7], s[6:7]
	v_mov_b32_e32 v4, s10
	s_xor_b64 exec, exec, s[6:7]
	s_cbranch_execnz .LBB3_2672
.LBB3_622:
	s_or_b64 exec, exec, s[6:7]
	s_and_saveexec_b64 s[6:7], s[4:5]
	s_cbranch_execz .LBB3_624
.LBB3_623:
	v_bfe_u32 v4, v5, 8, 3
	v_ffbh_u32_e32 v7, v4
	v_min_u32_e32 v7, 32, v7
	v_lshrrev_b16_e32 v6, 3, v3
	v_subrev_u32_e32 v8, 28, v7
	v_and_b32_e32 v6, 15, v6
	v_lshlrev_b32_e32 v3, v8, v3
	v_sub_u32_e32 v7, 29, v7
	v_and_b32_e32 v3, 7, v3
	v_cmp_eq_u16_e32 vcc, 0, v6
	v_cndmask_b32_e32 v3, v4, v3, vcc
	v_cndmask_b32_e32 v4, v6, v7, vcc
	v_lshlrev_b32_e32 v6, 16, v5
	v_mov_b32_e32 v7, 0x3b800000
	v_lshlrev_b32_e32 v3, 20, v3
	v_and_b32_e32 v6, 0x80000000, v6
	v_lshl_add_u32 v4, v4, 23, v7
	v_or3_b32 v4, v6, v4, v3
.LBB3_624:
	s_or_b64 exec, exec, s[6:7]
	s_nop 0
	v_mfma_f32_16x16x4f32 a[0:3], v2, v4, a[0:3]
	s_movk_i32 s4, 0xff
	v_and_b32_sdwa v3, v9, s4 dst_sel:DWORD dst_unused:UNUSED_PAD src0_sel:WORD_1 src1_sel:DWORD
	s_movk_i32 s4, 0x7f
	v_cmp_lt_i16_e32 vcc, s4, v3
	s_mov_b64 s[4:5], 0
                                        ; implicit-def: $sgpr10
	s_and_saveexec_b64 s[6:7], vcc
	s_xor_b64 s[6:7], exec, s[6:7]
	s_cbranch_execnz .LBB3_2673
; %bb.625:
	s_or_saveexec_b64 s[6:7], s[6:7]
	v_mov_b32_e32 v2, s10
	s_xor_b64 exec, exec, s[6:7]
	s_cbranch_execnz .LBB3_2676
.LBB3_626:
	s_or_b64 exec, exec, s[6:7]
	s_and_saveexec_b64 s[6:7], s[4:5]
	s_cbranch_execz .LBB3_628
.LBB3_627:
	v_bfe_u32 v2, v9, 16, 3
	v_ffbh_u32_e32 v6, v2
	v_min_u32_e32 v6, 32, v6
	v_lshrrev_b32_e32 v3, 19, v9
	v_subrev_u32_e32 v7, 28, v6
	v_and_b32_e32 v3, 15, v3
	v_lshlrev_b32_sdwa v7, v7, v9 dst_sel:DWORD dst_unused:UNUSED_PAD src0_sel:DWORD src1_sel:WORD_1
	v_bfe_u32 v4, v9, 19, 4
	v_sub_u32_e32 v6, 29, v6
	v_and_b32_e32 v7, 7, v7
	v_cmp_eq_u16_e32 vcc, 0, v3
	v_cndmask_b32_e32 v2, v2, v7, vcc
	v_cndmask_b32_e32 v3, v4, v6, vcc
	v_lshlrev_b32_e32 v4, 8, v9
	v_mov_b32_e32 v6, 0x3b800000
	v_lshlrev_b32_e32 v2, 20, v2
	v_and_b32_e32 v4, 0x80000000, v4
	v_lshl_add_u32 v3, v3, 23, v6
	v_or3_b32 v2, v4, v3, v2
.LBB3_628:
	s_or_b64 exec, exec, s[6:7]
	s_movk_i32 s4, 0xff
	v_and_b32_sdwa v3, v5, s4 dst_sel:DWORD dst_unused:UNUSED_PAD src0_sel:WORD_1 src1_sel:DWORD
	s_movk_i32 s4, 0x7f
	v_cmp_lt_i16_e32 vcc, s4, v3
	s_mov_b64 s[4:5], 0
                                        ; implicit-def: $sgpr10
	s_and_saveexec_b64 s[6:7], vcc
	s_xor_b64 s[6:7], exec, s[6:7]
	s_cbranch_execnz .LBB3_2677
; %bb.629:
	s_or_saveexec_b64 s[6:7], s[6:7]
	v_mov_b32_e32 v4, s10
	s_xor_b64 exec, exec, s[6:7]
	s_cbranch_execnz .LBB3_2680
.LBB3_630:
	s_or_b64 exec, exec, s[6:7]
	s_and_saveexec_b64 s[6:7], s[4:5]
	s_cbranch_execz .LBB3_632
.LBB3_631:
	v_bfe_u32 v3, v5, 16, 3
	v_ffbh_u32_e32 v7, v3
	v_min_u32_e32 v7, 32, v7
	v_lshrrev_b32_e32 v4, 19, v5
	v_subrev_u32_e32 v8, 28, v7
	v_and_b32_e32 v4, 15, v4
	v_lshlrev_b32_sdwa v8, v8, v5 dst_sel:DWORD dst_unused:UNUSED_PAD src0_sel:DWORD src1_sel:WORD_1
	v_bfe_u32 v6, v5, 19, 4
	v_sub_u32_e32 v7, 29, v7
	v_and_b32_e32 v8, 7, v8
	v_cmp_eq_u16_e32 vcc, 0, v4
	v_cndmask_b32_e32 v3, v3, v8, vcc
	v_cndmask_b32_e32 v4, v6, v7, vcc
	v_lshlrev_b32_e32 v6, 8, v5
	v_mov_b32_e32 v7, 0x3b800000
	v_lshlrev_b32_e32 v3, 20, v3
	v_and_b32_e32 v6, 0x80000000, v6
	v_lshl_add_u32 v4, v4, 23, v7
	v_or3_b32 v4, v6, v4, v3
.LBB3_632:
	s_or_b64 exec, exec, s[6:7]
	s_nop 0
	v_mfma_f32_16x16x4f32 a[0:3], v2, v4, a[0:3]
	s_movk_i32 s4, 0x7f
	v_cmp_gt_i16_sdwa s[6:7], v9, s4 src0_sel:BYTE_3 src1_sel:DWORD
	s_mov_b64 s[4:5], 0
                                        ; implicit-def: $sgpr10
	s_and_saveexec_b64 s[8:9], s[6:7]
	s_xor_b64 s[6:7], exec, s[8:9]
	s_cbranch_execnz .LBB3_2681
; %bb.633:
	s_or_saveexec_b64 s[6:7], s[6:7]
	v_mov_b32_e32 v2, s10
	s_xor_b64 exec, exec, s[6:7]
	s_cbranch_execnz .LBB3_2684
.LBB3_634:
	s_or_b64 exec, exec, s[6:7]
	s_and_saveexec_b64 s[6:7], s[4:5]
	s_cbranch_execz .LBB3_636
.LBB3_635:
	v_bfe_u32 v2, v9, 24, 3
	v_ffbh_u32_e32 v7, v2
	v_min_u32_e32 v7, 32, v7
	v_lshrrev_b32_e32 v4, 27, v9
	v_subrev_u32_e32 v8, 28, v7
	v_and_b32_e32 v4, 15, v4
	v_lshlrev_b32_sdwa v8, v8, v9 dst_sel:DWORD dst_unused:UNUSED_PAD src0_sel:DWORD src1_sel:BYTE_3
	v_bfe_u32 v6, v9, 27, 4
	v_sub_u32_e32 v7, 29, v7
	v_and_b32_e32 v8, 7, v8
	v_cmp_eq_u16_e32 vcc, 0, v4
	v_cndmask_b32_e32 v2, v2, v8, vcc
	v_cndmask_b32_e32 v4, v6, v7, vcc
	v_mov_b32_e32 v6, 0x3b800000
	v_and_b32_e32 v3, 0x80000000, v9
	v_lshlrev_b32_e32 v2, 20, v2
	v_lshl_add_u32 v4, v4, 23, v6
	v_or3_b32 v2, v3, v4, v2
.LBB3_636:
	s_or_b64 exec, exec, s[6:7]
	s_movk_i32 s4, 0x7f
	v_cmp_gt_i16_sdwa s[6:7], v5, s4 src0_sel:BYTE_3 src1_sel:DWORD
	s_mov_b64 s[4:5], 0
                                        ; implicit-def: $sgpr10
	s_and_saveexec_b64 s[8:9], s[6:7]
	s_xor_b64 s[6:7], exec, s[8:9]
	s_cbranch_execnz .LBB3_2685
; %bb.637:
	s_or_saveexec_b64 s[6:7], s[6:7]
	v_mov_b32_e32 v3, s10
	s_xor_b64 exec, exec, s[6:7]
	s_cbranch_execnz .LBB3_2688
.LBB3_638:
	s_or_b64 exec, exec, s[6:7]
	s_and_saveexec_b64 s[6:7], s[4:5]
	s_cbranch_execz .LBB3_640
.LBB3_639:
	v_bfe_u32 v3, v5, 24, 3
	v_ffbh_u32_e32 v8, v3
	v_min_u32_e32 v8, 32, v8
	v_lshrrev_b32_e32 v6, 27, v5
	v_subrev_u32_e32 v9, 28, v8
	v_and_b32_e32 v4, 0x80000000, v5
	v_and_b32_e32 v6, 15, v6
	v_bfe_u32 v7, v5, 27, 4
	v_lshlrev_b32_sdwa v5, v9, v5 dst_sel:DWORD dst_unused:UNUSED_PAD src0_sel:DWORD src1_sel:BYTE_3
	v_sub_u32_e32 v8, 29, v8
	v_and_b32_e32 v5, 7, v5
	v_cmp_eq_u16_e32 vcc, 0, v6
	v_cndmask_b32_e32 v3, v3, v5, vcc
	v_cndmask_b32_e32 v5, v7, v8, vcc
	v_mov_b32_e32 v6, 0x3b800000
	v_lshlrev_b32_e32 v3, 20, v3
	v_lshl_add_u32 v5, v5, 23, v6
	v_or3_b32 v3, v4, v5, v3
.LBB3_640:
	s_or_b64 exec, exec, s[6:7]
	s_nop 0
	v_mfma_f32_16x16x4f32 a[0:3], v2, v3, a[0:3]
	s_movk_i32 s4, 0x7f
                                        ; implicit-def: $sgpr10
	s_nop 7
	s_nop 1
	flat_store_dwordx4 v[10:11], a[0:3] offset:64
	flat_load_dwordx4 v[12:15], v[0:1] offset:8
	s_nop 0
	flat_load_dwordx2 v[10:11], v[0:1] offset:32
	s_waitcnt vmcnt(0) lgkmcnt(0)
	flat_load_dwordx4 v[6:9], v[12:13] offset:32
	flat_load_dwordx4 v[2:5], v[14:15] offset:32
	s_waitcnt vmcnt(0) lgkmcnt(0)
	v_cmp_gt_i16_sdwa s[6:7], v6, s4 src0_sel:BYTE_0 src1_sel:DWORD
	s_mov_b64 s[4:5], 0
	s_and_saveexec_b64 s[8:9], s[6:7]
	s_xor_b64 s[6:7], exec, s[8:9]
	s_cbranch_execnz .LBB3_2689
; %bb.641:
	s_or_saveexec_b64 s[6:7], s[6:7]
	v_mov_b32_e32 v12, s10
	s_xor_b64 exec, exec, s[6:7]
	s_cbranch_execnz .LBB3_2692
.LBB3_642:
	s_or_b64 exec, exec, s[6:7]
	s_and_saveexec_b64 s[6:7], s[4:5]
	s_cbranch_execz .LBB3_644
.LBB3_643:
	v_and_b32_e32 v12, 7, v6
	v_ffbh_u32_e32 v14, v12
	v_min_u32_e32 v14, 32, v14
	v_lshrrev_b16_e32 v13, 3, v6
	v_subrev_u32_e32 v15, 28, v14
	v_and_b32_e32 v13, 15, v13
	v_lshlrev_b32_e32 v15, v15, v6
	v_sub_u32_e32 v14, 29, v14
	v_and_b32_e32 v15, 7, v15
	v_cmp_eq_u16_e32 vcc, 0, v13
	v_cndmask_b32_e32 v12, v12, v15, vcc
	v_cndmask_b32_e32 v13, v13, v14, vcc
	v_lshlrev_b32_e32 v14, 24, v6
	v_mov_b32_e32 v15, 0x3b800000
	v_lshlrev_b32_e32 v12, 20, v12
	v_and_b32_e32 v14, 0x80000000, v14
	v_lshl_add_u32 v13, v13, 23, v15
	v_or3_b32 v12, v14, v13, v12
.LBB3_644:
	s_or_b64 exec, exec, s[6:7]
	s_movk_i32 s4, 0x7f
	v_cmp_gt_i16_sdwa s[6:7], v2, s4 src0_sel:BYTE_0 src1_sel:DWORD
	s_mov_b64 s[4:5], 0
                                        ; implicit-def: $sgpr10
	s_and_saveexec_b64 s[8:9], s[6:7]
	s_xor_b64 s[6:7], exec, s[8:9]
	s_cbranch_execnz .LBB3_2693
; %bb.645:
	s_or_saveexec_b64 s[6:7], s[6:7]
	v_mov_b32_e32 v13, s10
	s_xor_b64 exec, exec, s[6:7]
	s_cbranch_execnz .LBB3_2696
.LBB3_646:
	s_or_b64 exec, exec, s[6:7]
	s_and_saveexec_b64 s[6:7], s[4:5]
	s_cbranch_execz .LBB3_648
.LBB3_647:
	v_and_b32_e32 v13, 7, v2
	v_ffbh_u32_e32 v15, v13
	v_min_u32_e32 v15, 32, v15
	v_lshrrev_b16_e32 v14, 3, v2
	v_subrev_u32_e32 v16, 28, v15
	v_and_b32_e32 v14, 15, v14
	v_lshlrev_b32_e32 v16, v16, v2
	v_sub_u32_e32 v15, 29, v15
	v_and_b32_e32 v16, 7, v16
	v_cmp_eq_u16_e32 vcc, 0, v14
	v_cndmask_b32_e32 v13, v13, v16, vcc
	v_cndmask_b32_e32 v14, v14, v15, vcc
	v_lshlrev_b32_e32 v15, 24, v2
	v_mov_b32_e32 v16, 0x3b800000
	v_lshlrev_b32_e32 v13, 20, v13
	v_and_b32_e32 v15, 0x80000000, v15
	v_lshl_add_u32 v14, v14, 23, v16
	v_or3_b32 v13, v15, v14, v13
.LBB3_648:
	s_or_b64 exec, exec, s[6:7]
	flat_load_dwordx4 a[0:3], v[10:11] offset:80
	s_movk_i32 s4, 0x7f
                                        ; implicit-def: $sgpr10
	s_waitcnt vmcnt(0) lgkmcnt(0)
	v_mfma_f32_16x16x4f32 a[0:3], v12, v13, a[0:3]
	v_lshrrev_b32_e32 v13, 8, v6
	v_cmp_gt_i16_sdwa s[6:7], v13, s4 src0_sel:BYTE_0 src1_sel:DWORD
	s_mov_b64 s[4:5], 0
	s_and_saveexec_b64 s[8:9], s[6:7]
	s_xor_b64 s[6:7], exec, s[8:9]
	s_cbranch_execnz .LBB3_2697
; %bb.649:
	s_or_saveexec_b64 s[6:7], s[6:7]
	v_mov_b32_e32 v12, s10
	s_xor_b64 exec, exec, s[6:7]
	s_cbranch_execnz .LBB3_2700
.LBB3_650:
	s_or_b64 exec, exec, s[6:7]
	s_and_saveexec_b64 s[6:7], s[4:5]
	s_cbranch_execz .LBB3_652
.LBB3_651:
	v_bfe_u32 v12, v6, 8, 3
	v_ffbh_u32_e32 v15, v12
	v_min_u32_e32 v15, 32, v15
	v_lshrrev_b16_e32 v14, 3, v13
	v_subrev_u32_e32 v16, 28, v15
	v_and_b32_e32 v14, 15, v14
	v_lshlrev_b32_e32 v13, v16, v13
	v_sub_u32_e32 v15, 29, v15
	v_and_b32_e32 v13, 7, v13
	v_cmp_eq_u16_e32 vcc, 0, v14
	v_cndmask_b32_e32 v12, v12, v13, vcc
	v_cndmask_b32_e32 v13, v14, v15, vcc
	v_lshlrev_b32_e32 v14, 16, v6
	v_mov_b32_e32 v15, 0x3b800000
	v_lshlrev_b32_e32 v12, 20, v12
	v_and_b32_e32 v14, 0x80000000, v14
	v_lshl_add_u32 v13, v13, 23, v15
	v_or3_b32 v12, v14, v13, v12
.LBB3_652:
	s_or_b64 exec, exec, s[6:7]
	v_lshrrev_b32_e32 v13, 8, v2
	s_movk_i32 s4, 0x7f
	v_cmp_gt_i16_sdwa s[6:7], v13, s4 src0_sel:BYTE_0 src1_sel:DWORD
	s_mov_b64 s[4:5], 0
                                        ; implicit-def: $sgpr10
	s_and_saveexec_b64 s[8:9], s[6:7]
	s_xor_b64 s[6:7], exec, s[8:9]
	s_cbranch_execnz .LBB3_2701
; %bb.653:
	s_or_saveexec_b64 s[6:7], s[6:7]
	v_mov_b32_e32 v14, s10
	s_xor_b64 exec, exec, s[6:7]
	s_cbranch_execnz .LBB3_2704
.LBB3_654:
	s_or_b64 exec, exec, s[6:7]
	s_and_saveexec_b64 s[6:7], s[4:5]
	s_cbranch_execz .LBB3_656
.LBB3_655:
	v_bfe_u32 v14, v2, 8, 3
	v_ffbh_u32_e32 v16, v14
	v_min_u32_e32 v16, 32, v16
	v_lshrrev_b16_e32 v15, 3, v13
	v_subrev_u32_e32 v17, 28, v16
	v_and_b32_e32 v15, 15, v15
	v_lshlrev_b32_e32 v13, v17, v13
	v_sub_u32_e32 v16, 29, v16
	v_and_b32_e32 v13, 7, v13
	v_cmp_eq_u16_e32 vcc, 0, v15
	v_cndmask_b32_e32 v13, v14, v13, vcc
	v_cndmask_b32_e32 v14, v15, v16, vcc
	v_lshlrev_b32_e32 v15, 16, v2
	v_mov_b32_e32 v16, 0x3b800000
	v_lshlrev_b32_e32 v13, 20, v13
	v_and_b32_e32 v15, 0x80000000, v15
	v_lshl_add_u32 v14, v14, 23, v16
	v_or3_b32 v14, v15, v14, v13
.LBB3_656:
	s_or_b64 exec, exec, s[6:7]
	s_nop 0
	v_mfma_f32_16x16x4f32 a[0:3], v12, v14, a[0:3]
	s_movk_i32 s4, 0xff
	v_and_b32_sdwa v13, v6, s4 dst_sel:DWORD dst_unused:UNUSED_PAD src0_sel:WORD_1 src1_sel:DWORD
	s_movk_i32 s4, 0x7f
	v_cmp_lt_i16_e32 vcc, s4, v13
	s_mov_b64 s[4:5], 0
                                        ; implicit-def: $sgpr10
	s_and_saveexec_b64 s[6:7], vcc
	s_xor_b64 s[6:7], exec, s[6:7]
	s_cbranch_execnz .LBB3_2705
; %bb.657:
	s_or_saveexec_b64 s[6:7], s[6:7]
	v_mov_b32_e32 v12, s10
	s_xor_b64 exec, exec, s[6:7]
	s_cbranch_execnz .LBB3_2708
.LBB3_658:
	s_or_b64 exec, exec, s[6:7]
	s_and_saveexec_b64 s[6:7], s[4:5]
	s_cbranch_execz .LBB3_660
.LBB3_659:
	v_bfe_u32 v12, v6, 16, 3
	v_ffbh_u32_e32 v15, v12
	v_min_u32_e32 v15, 32, v15
	v_lshrrev_b32_e32 v13, 19, v6
	v_subrev_u32_e32 v16, 28, v15
	v_and_b32_e32 v13, 15, v13
	v_lshlrev_b32_sdwa v16, v16, v6 dst_sel:DWORD dst_unused:UNUSED_PAD src0_sel:DWORD src1_sel:WORD_1
	v_bfe_u32 v14, v6, 19, 4
	v_sub_u32_e32 v15, 29, v15
	v_and_b32_e32 v16, 7, v16
	v_cmp_eq_u16_e32 vcc, 0, v13
	v_cndmask_b32_e32 v12, v12, v16, vcc
	v_cndmask_b32_e32 v13, v14, v15, vcc
	v_lshlrev_b32_e32 v14, 8, v6
	v_mov_b32_e32 v15, 0x3b800000
	v_lshlrev_b32_e32 v12, 20, v12
	v_and_b32_e32 v14, 0x80000000, v14
	v_lshl_add_u32 v13, v13, 23, v15
	v_or3_b32 v12, v14, v13, v12
.LBB3_660:
	s_or_b64 exec, exec, s[6:7]
	s_movk_i32 s4, 0xff
	v_and_b32_sdwa v13, v2, s4 dst_sel:DWORD dst_unused:UNUSED_PAD src0_sel:WORD_1 src1_sel:DWORD
	s_movk_i32 s4, 0x7f
	v_cmp_lt_i16_e32 vcc, s4, v13
	s_mov_b64 s[4:5], 0
                                        ; implicit-def: $sgpr10
	s_and_saveexec_b64 s[6:7], vcc
	s_xor_b64 s[6:7], exec, s[6:7]
	s_cbranch_execnz .LBB3_2709
; %bb.661:
	s_or_saveexec_b64 s[6:7], s[6:7]
	v_mov_b32_e32 v14, s10
	s_xor_b64 exec, exec, s[6:7]
	s_cbranch_execnz .LBB3_2712
.LBB3_662:
	s_or_b64 exec, exec, s[6:7]
	s_and_saveexec_b64 s[6:7], s[4:5]
	s_cbranch_execz .LBB3_664
.LBB3_663:
	v_bfe_u32 v13, v2, 16, 3
	v_ffbh_u32_e32 v16, v13
	v_min_u32_e32 v16, 32, v16
	v_lshrrev_b32_e32 v14, 19, v2
	v_subrev_u32_e32 v17, 28, v16
	v_and_b32_e32 v14, 15, v14
	v_lshlrev_b32_sdwa v17, v17, v2 dst_sel:DWORD dst_unused:UNUSED_PAD src0_sel:DWORD src1_sel:WORD_1
	v_bfe_u32 v15, v2, 19, 4
	v_sub_u32_e32 v16, 29, v16
	v_and_b32_e32 v17, 7, v17
	v_cmp_eq_u16_e32 vcc, 0, v14
	v_cndmask_b32_e32 v13, v13, v17, vcc
	v_cndmask_b32_e32 v14, v15, v16, vcc
	v_lshlrev_b32_e32 v15, 8, v2
	v_mov_b32_e32 v16, 0x3b800000
	v_lshlrev_b32_e32 v13, 20, v13
	v_and_b32_e32 v15, 0x80000000, v15
	v_lshl_add_u32 v14, v14, 23, v16
	v_or3_b32 v14, v15, v14, v13
.LBB3_664:
	s_or_b64 exec, exec, s[6:7]
	s_nop 0
	v_mfma_f32_16x16x4f32 a[0:3], v12, v14, a[0:3]
	s_movk_i32 s4, 0x7f
	v_cmp_gt_i16_sdwa s[6:7], v6, s4 src0_sel:BYTE_3 src1_sel:DWORD
	s_mov_b64 s[4:5], 0
                                        ; implicit-def: $sgpr10
	s_and_saveexec_b64 s[8:9], s[6:7]
	s_xor_b64 s[6:7], exec, s[8:9]
	s_cbranch_execnz .LBB3_2713
; %bb.665:
	s_or_saveexec_b64 s[6:7], s[6:7]
	v_mov_b32_e32 v12, s10
	s_xor_b64 exec, exec, s[6:7]
	s_cbranch_execnz .LBB3_2716
.LBB3_666:
	s_or_b64 exec, exec, s[6:7]
	s_and_saveexec_b64 s[6:7], s[4:5]
	s_cbranch_execz .LBB3_668
.LBB3_667:
	v_bfe_u32 v12, v6, 24, 3
	v_ffbh_u32_e32 v16, v12
	v_min_u32_e32 v16, 32, v16
	v_lshrrev_b32_e32 v14, 27, v6
	v_subrev_u32_e32 v17, 28, v16
	v_and_b32_e32 v13, 0x80000000, v6
	v_and_b32_e32 v14, 15, v14
	v_bfe_u32 v15, v6, 27, 4
	v_lshlrev_b32_sdwa v6, v17, v6 dst_sel:DWORD dst_unused:UNUSED_PAD src0_sel:DWORD src1_sel:BYTE_3
	v_sub_u32_e32 v16, 29, v16
	v_and_b32_e32 v6, 7, v6
	v_cmp_eq_u16_e32 vcc, 0, v14
	v_cndmask_b32_e32 v6, v12, v6, vcc
	v_cndmask_b32_e32 v12, v15, v16, vcc
	v_mov_b32_e32 v14, 0x3b800000
	v_lshlrev_b32_e32 v6, 20, v6
	v_lshl_add_u32 v12, v12, 23, v14
	v_or3_b32 v12, v13, v12, v6
.LBB3_668:
	s_or_b64 exec, exec, s[6:7]
	s_movk_i32 s4, 0x7f
	v_cmp_gt_i16_sdwa s[6:7], v2, s4 src0_sel:BYTE_3 src1_sel:DWORD
	s_mov_b64 s[4:5], 0
                                        ; implicit-def: $sgpr10
	s_and_saveexec_b64 s[8:9], s[6:7]
	s_xor_b64 s[6:7], exec, s[8:9]
	s_cbranch_execnz .LBB3_2717
; %bb.669:
	s_or_saveexec_b64 s[6:7], s[6:7]
	v_mov_b32_e32 v6, s10
	s_xor_b64 exec, exec, s[6:7]
	s_cbranch_execnz .LBB3_2720
.LBB3_670:
	s_or_b64 exec, exec, s[6:7]
	s_and_saveexec_b64 s[6:7], s[4:5]
	s_cbranch_execz .LBB3_672
.LBB3_671:
	v_bfe_u32 v6, v2, 24, 3
	v_ffbh_u32_e32 v16, v6
	v_min_u32_e32 v16, 32, v16
	v_lshrrev_b32_e32 v14, 27, v2
	v_subrev_u32_e32 v17, 28, v16
	v_and_b32_e32 v13, 0x80000000, v2
	v_and_b32_e32 v14, 15, v14
	v_bfe_u32 v15, v2, 27, 4
	v_lshlrev_b32_sdwa v2, v17, v2 dst_sel:DWORD dst_unused:UNUSED_PAD src0_sel:DWORD src1_sel:BYTE_3
	v_sub_u32_e32 v16, 29, v16
	v_and_b32_e32 v2, 7, v2
	v_cmp_eq_u16_e32 vcc, 0, v14
	v_cndmask_b32_e32 v2, v6, v2, vcc
	v_cndmask_b32_e32 v6, v15, v16, vcc
	v_mov_b32_e32 v14, 0x3b800000
	v_lshlrev_b32_e32 v2, 20, v2
	v_lshl_add_u32 v6, v6, 23, v14
	v_or3_b32 v6, v13, v6, v2
.LBB3_672:
	s_or_b64 exec, exec, s[6:7]
	s_nop 0
	v_mfma_f32_16x16x4f32 a[0:3], v12, v6, a[0:3]
	s_movk_i32 s4, 0x7f
	v_cmp_gt_i16_sdwa s[6:7], v7, s4 src0_sel:BYTE_0 src1_sel:DWORD
	s_mov_b64 s[4:5], 0
                                        ; implicit-def: $sgpr10
	s_and_saveexec_b64 s[8:9], s[6:7]
	s_xor_b64 s[6:7], exec, s[8:9]
	s_cbranch_execnz .LBB3_2721
; %bb.673:
	s_or_saveexec_b64 s[6:7], s[6:7]
	v_mov_b32_e32 v2, s10
	s_xor_b64 exec, exec, s[6:7]
	s_cbranch_execnz .LBB3_2724
.LBB3_674:
	s_or_b64 exec, exec, s[6:7]
	s_and_saveexec_b64 s[6:7], s[4:5]
	s_cbranch_execz .LBB3_676
.LBB3_675:
	v_and_b32_e32 v2, 7, v7
	v_ffbh_u32_e32 v12, v2
	v_min_u32_e32 v12, 32, v12
	v_lshrrev_b16_e32 v6, 3, v7
	v_subrev_u32_e32 v13, 28, v12
	v_and_b32_e32 v6, 15, v6
	v_lshlrev_b32_e32 v13, v13, v7
	v_sub_u32_e32 v12, 29, v12
	v_and_b32_e32 v13, 7, v13
	v_cmp_eq_u16_e32 vcc, 0, v6
	v_cndmask_b32_e32 v2, v2, v13, vcc
	v_cndmask_b32_e32 v6, v6, v12, vcc
	v_lshlrev_b32_e32 v12, 24, v7
	v_mov_b32_e32 v13, 0x3b800000
	v_lshlrev_b32_e32 v2, 20, v2
	v_and_b32_e32 v12, 0x80000000, v12
	v_lshl_add_u32 v6, v6, 23, v13
	v_or3_b32 v2, v12, v6, v2
.LBB3_676:
	s_or_b64 exec, exec, s[6:7]
	s_movk_i32 s4, 0x7f
	v_cmp_gt_i16_sdwa s[6:7], v3, s4 src0_sel:BYTE_0 src1_sel:DWORD
	s_mov_b64 s[4:5], 0
                                        ; implicit-def: $sgpr10
	s_and_saveexec_b64 s[8:9], s[6:7]
	s_xor_b64 s[6:7], exec, s[8:9]
	s_cbranch_execnz .LBB3_2725
; %bb.677:
	s_or_saveexec_b64 s[6:7], s[6:7]
	v_mov_b32_e32 v6, s10
	s_xor_b64 exec, exec, s[6:7]
	s_cbranch_execnz .LBB3_2728
.LBB3_678:
	s_or_b64 exec, exec, s[6:7]
	s_and_saveexec_b64 s[6:7], s[4:5]
	s_cbranch_execz .LBB3_680
.LBB3_679:
	v_and_b32_e32 v6, 7, v3
	v_ffbh_u32_e32 v13, v6
	v_min_u32_e32 v13, 32, v13
	v_lshrrev_b16_e32 v12, 3, v3
	v_subrev_u32_e32 v14, 28, v13
	v_and_b32_e32 v12, 15, v12
	v_lshlrev_b32_e32 v14, v14, v3
	v_sub_u32_e32 v13, 29, v13
	v_and_b32_e32 v14, 7, v14
	v_cmp_eq_u16_e32 vcc, 0, v12
	v_cndmask_b32_e32 v6, v6, v14, vcc
	v_cndmask_b32_e32 v12, v12, v13, vcc
	v_lshlrev_b32_e32 v13, 24, v3
	v_mov_b32_e32 v14, 0x3b800000
	v_lshlrev_b32_e32 v6, 20, v6
	v_and_b32_e32 v13, 0x80000000, v13
	v_lshl_add_u32 v12, v12, 23, v14
	v_or3_b32 v6, v13, v12, v6
.LBB3_680:
	s_or_b64 exec, exec, s[6:7]
	s_nop 0
	v_mfma_f32_16x16x4f32 a[0:3], v2, v6, a[0:3]
	v_lshrrev_b32_e32 v6, 8, v7
	s_movk_i32 s4, 0x7f
	v_cmp_gt_i16_sdwa s[6:7], v6, s4 src0_sel:BYTE_0 src1_sel:DWORD
	s_mov_b64 s[4:5], 0
                                        ; implicit-def: $sgpr10
	s_and_saveexec_b64 s[8:9], s[6:7]
	s_xor_b64 s[6:7], exec, s[8:9]
	s_cbranch_execnz .LBB3_2729
; %bb.681:
	s_or_saveexec_b64 s[6:7], s[6:7]
	v_mov_b32_e32 v2, s10
	s_xor_b64 exec, exec, s[6:7]
	s_cbranch_execnz .LBB3_2732
.LBB3_682:
	s_or_b64 exec, exec, s[6:7]
	s_and_saveexec_b64 s[6:7], s[4:5]
	s_cbranch_execz .LBB3_684
.LBB3_683:
	v_bfe_u32 v2, v7, 8, 3
	v_ffbh_u32_e32 v13, v2
	v_min_u32_e32 v13, 32, v13
	v_lshrrev_b16_e32 v12, 3, v6
	v_subrev_u32_e32 v14, 28, v13
	v_and_b32_e32 v12, 15, v12
	v_lshlrev_b32_e32 v6, v14, v6
	v_sub_u32_e32 v13, 29, v13
	v_and_b32_e32 v6, 7, v6
	v_cmp_eq_u16_e32 vcc, 0, v12
	v_cndmask_b32_e32 v2, v2, v6, vcc
	v_cndmask_b32_e32 v6, v12, v13, vcc
	v_lshlrev_b32_e32 v12, 16, v7
	v_mov_b32_e32 v13, 0x3b800000
	v_lshlrev_b32_e32 v2, 20, v2
	v_and_b32_e32 v12, 0x80000000, v12
	v_lshl_add_u32 v6, v6, 23, v13
	v_or3_b32 v2, v12, v6, v2
.LBB3_684:
	s_or_b64 exec, exec, s[6:7]
	v_lshrrev_b32_e32 v6, 8, v3
	s_movk_i32 s4, 0x7f
	v_cmp_gt_i16_sdwa s[6:7], v6, s4 src0_sel:BYTE_0 src1_sel:DWORD
	s_mov_b64 s[4:5], 0
                                        ; implicit-def: $sgpr10
	s_and_saveexec_b64 s[8:9], s[6:7]
	s_xor_b64 s[6:7], exec, s[8:9]
	s_cbranch_execnz .LBB3_2733
; %bb.685:
	s_or_saveexec_b64 s[6:7], s[6:7]
	v_mov_b32_e32 v12, s10
	s_xor_b64 exec, exec, s[6:7]
	s_cbranch_execnz .LBB3_2736
.LBB3_686:
	s_or_b64 exec, exec, s[6:7]
	s_and_saveexec_b64 s[6:7], s[4:5]
	s_cbranch_execz .LBB3_688
.LBB3_687:
	v_bfe_u32 v12, v3, 8, 3
	v_ffbh_u32_e32 v14, v12
	v_min_u32_e32 v14, 32, v14
	v_lshrrev_b16_e32 v13, 3, v6
	v_subrev_u32_e32 v15, 28, v14
	v_and_b32_e32 v13, 15, v13
	v_lshlrev_b32_e32 v6, v15, v6
	v_sub_u32_e32 v14, 29, v14
	v_and_b32_e32 v6, 7, v6
	v_cmp_eq_u16_e32 vcc, 0, v13
	v_cndmask_b32_e32 v6, v12, v6, vcc
	v_cndmask_b32_e32 v12, v13, v14, vcc
	v_lshlrev_b32_e32 v13, 16, v3
	v_mov_b32_e32 v14, 0x3b800000
	v_lshlrev_b32_e32 v6, 20, v6
	v_and_b32_e32 v13, 0x80000000, v13
	v_lshl_add_u32 v12, v12, 23, v14
	v_or3_b32 v12, v13, v12, v6
.LBB3_688:
	s_or_b64 exec, exec, s[6:7]
	s_nop 0
	v_mfma_f32_16x16x4f32 a[0:3], v2, v12, a[0:3]
	s_movk_i32 s4, 0xff
	v_and_b32_sdwa v6, v7, s4 dst_sel:DWORD dst_unused:UNUSED_PAD src0_sel:WORD_1 src1_sel:DWORD
	s_movk_i32 s4, 0x7f
	v_cmp_lt_i16_e32 vcc, s4, v6
	s_mov_b64 s[4:5], 0
                                        ; implicit-def: $sgpr10
	s_and_saveexec_b64 s[6:7], vcc
	s_xor_b64 s[6:7], exec, s[6:7]
	s_cbranch_execnz .LBB3_2737
; %bb.689:
	s_or_saveexec_b64 s[6:7], s[6:7]
	v_mov_b32_e32 v2, s10
	s_xor_b64 exec, exec, s[6:7]
	s_cbranch_execnz .LBB3_2740
.LBB3_690:
	s_or_b64 exec, exec, s[6:7]
	s_and_saveexec_b64 s[6:7], s[4:5]
	s_cbranch_execz .LBB3_692
.LBB3_691:
	v_bfe_u32 v2, v7, 16, 3
	v_ffbh_u32_e32 v13, v2
	v_min_u32_e32 v13, 32, v13
	v_lshrrev_b32_e32 v6, 19, v7
	v_subrev_u32_e32 v14, 28, v13
	v_and_b32_e32 v6, 15, v6
	v_lshlrev_b32_sdwa v14, v14, v7 dst_sel:DWORD dst_unused:UNUSED_PAD src0_sel:DWORD src1_sel:WORD_1
	v_bfe_u32 v12, v7, 19, 4
	v_sub_u32_e32 v13, 29, v13
	v_and_b32_e32 v14, 7, v14
	v_cmp_eq_u16_e32 vcc, 0, v6
	v_cndmask_b32_e32 v2, v2, v14, vcc
	v_cndmask_b32_e32 v6, v12, v13, vcc
	v_lshlrev_b32_e32 v12, 8, v7
	v_mov_b32_e32 v13, 0x3b800000
	v_lshlrev_b32_e32 v2, 20, v2
	v_and_b32_e32 v12, 0x80000000, v12
	v_lshl_add_u32 v6, v6, 23, v13
	v_or3_b32 v2, v12, v6, v2
.LBB3_692:
	s_or_b64 exec, exec, s[6:7]
	s_movk_i32 s4, 0xff
	v_and_b32_sdwa v6, v3, s4 dst_sel:DWORD dst_unused:UNUSED_PAD src0_sel:WORD_1 src1_sel:DWORD
	s_movk_i32 s4, 0x7f
	v_cmp_lt_i16_e32 vcc, s4, v6
	s_mov_b64 s[4:5], 0
                                        ; implicit-def: $sgpr10
	s_and_saveexec_b64 s[6:7], vcc
	s_xor_b64 s[6:7], exec, s[6:7]
	s_cbranch_execnz .LBB3_2741
; %bb.693:
	s_or_saveexec_b64 s[6:7], s[6:7]
	v_mov_b32_e32 v12, s10
	s_xor_b64 exec, exec, s[6:7]
	s_cbranch_execnz .LBB3_2744
.LBB3_694:
	s_or_b64 exec, exec, s[6:7]
	s_and_saveexec_b64 s[6:7], s[4:5]
	s_cbranch_execz .LBB3_696
.LBB3_695:
	v_bfe_u32 v6, v3, 16, 3
	v_ffbh_u32_e32 v14, v6
	v_min_u32_e32 v14, 32, v14
	v_lshrrev_b32_e32 v12, 19, v3
	v_subrev_u32_e32 v15, 28, v14
	v_and_b32_e32 v12, 15, v12
	v_lshlrev_b32_sdwa v15, v15, v3 dst_sel:DWORD dst_unused:UNUSED_PAD src0_sel:DWORD src1_sel:WORD_1
	v_bfe_u32 v13, v3, 19, 4
	v_sub_u32_e32 v14, 29, v14
	v_and_b32_e32 v15, 7, v15
	v_cmp_eq_u16_e32 vcc, 0, v12
	v_cndmask_b32_e32 v6, v6, v15, vcc
	v_cndmask_b32_e32 v12, v13, v14, vcc
	v_lshlrev_b32_e32 v13, 8, v3
	v_mov_b32_e32 v14, 0x3b800000
	v_lshlrev_b32_e32 v6, 20, v6
	v_and_b32_e32 v13, 0x80000000, v13
	v_lshl_add_u32 v12, v12, 23, v14
	v_or3_b32 v12, v13, v12, v6
.LBB3_696:
	s_or_b64 exec, exec, s[6:7]
	s_nop 0
	v_mfma_f32_16x16x4f32 a[0:3], v2, v12, a[0:3]
	s_movk_i32 s4, 0x7f
	v_cmp_gt_i16_sdwa s[6:7], v7, s4 src0_sel:BYTE_3 src1_sel:DWORD
	s_mov_b64 s[4:5], 0
                                        ; implicit-def: $sgpr10
	s_and_saveexec_b64 s[8:9], s[6:7]
	s_xor_b64 s[6:7], exec, s[8:9]
	s_cbranch_execnz .LBB3_2745
; %bb.697:
	s_or_saveexec_b64 s[6:7], s[6:7]
	v_mov_b32_e32 v2, s10
	s_xor_b64 exec, exec, s[6:7]
	s_cbranch_execnz .LBB3_2748
.LBB3_698:
	s_or_b64 exec, exec, s[6:7]
	s_and_saveexec_b64 s[6:7], s[4:5]
	s_cbranch_execz .LBB3_700
.LBB3_699:
	v_bfe_u32 v2, v7, 24, 3
	v_ffbh_u32_e32 v14, v2
	v_min_u32_e32 v14, 32, v14
	v_lshrrev_b32_e32 v12, 27, v7
	v_subrev_u32_e32 v15, 28, v14
	v_and_b32_e32 v6, 0x80000000, v7
	v_and_b32_e32 v12, 15, v12
	v_bfe_u32 v13, v7, 27, 4
	v_lshlrev_b32_sdwa v7, v15, v7 dst_sel:DWORD dst_unused:UNUSED_PAD src0_sel:DWORD src1_sel:BYTE_3
	v_sub_u32_e32 v14, 29, v14
	v_and_b32_e32 v7, 7, v7
	v_cmp_eq_u16_e32 vcc, 0, v12
	v_cndmask_b32_e32 v2, v2, v7, vcc
	v_cndmask_b32_e32 v7, v13, v14, vcc
	v_mov_b32_e32 v12, 0x3b800000
	v_lshlrev_b32_e32 v2, 20, v2
	v_lshl_add_u32 v7, v7, 23, v12
	v_or3_b32 v2, v6, v7, v2
.LBB3_700:
	s_or_b64 exec, exec, s[6:7]
	s_movk_i32 s4, 0x7f
	v_cmp_gt_i16_sdwa s[6:7], v3, s4 src0_sel:BYTE_3 src1_sel:DWORD
	s_mov_b64 s[4:5], 0
                                        ; implicit-def: $sgpr10
	s_and_saveexec_b64 s[8:9], s[6:7]
	s_xor_b64 s[6:7], exec, s[8:9]
	s_cbranch_execnz .LBB3_2749
; %bb.701:
	s_or_saveexec_b64 s[6:7], s[6:7]
	v_mov_b32_e32 v6, s10
	s_xor_b64 exec, exec, s[6:7]
	s_cbranch_execnz .LBB3_2752
.LBB3_702:
	s_or_b64 exec, exec, s[6:7]
	s_and_saveexec_b64 s[6:7], s[4:5]
	s_cbranch_execz .LBB3_704
.LBB3_703:
	v_bfe_u32 v6, v3, 24, 3
	v_ffbh_u32_e32 v14, v6
	v_min_u32_e32 v14, 32, v14
	v_lshrrev_b32_e32 v12, 27, v3
	v_subrev_u32_e32 v15, 28, v14
	v_and_b32_e32 v7, 0x80000000, v3
	v_and_b32_e32 v12, 15, v12
	v_bfe_u32 v13, v3, 27, 4
	v_lshlrev_b32_sdwa v3, v15, v3 dst_sel:DWORD dst_unused:UNUSED_PAD src0_sel:DWORD src1_sel:BYTE_3
	v_sub_u32_e32 v14, 29, v14
	v_and_b32_e32 v3, 7, v3
	v_cmp_eq_u16_e32 vcc, 0, v12
	v_cndmask_b32_e32 v3, v6, v3, vcc
	v_cndmask_b32_e32 v6, v13, v14, vcc
	v_mov_b32_e32 v12, 0x3b800000
	v_lshlrev_b32_e32 v3, 20, v3
	v_lshl_add_u32 v6, v6, 23, v12
	v_or3_b32 v6, v7, v6, v3
.LBB3_704:
	s_or_b64 exec, exec, s[6:7]
	s_nop 0
	v_mfma_f32_16x16x4f32 a[0:3], v2, v6, a[0:3]
	s_movk_i32 s4, 0x7f
	v_cmp_gt_i16_sdwa s[6:7], v8, s4 src0_sel:BYTE_0 src1_sel:DWORD
	s_mov_b64 s[4:5], 0
                                        ; implicit-def: $sgpr10
	s_and_saveexec_b64 s[8:9], s[6:7]
	s_xor_b64 s[6:7], exec, s[8:9]
	s_cbranch_execnz .LBB3_2753
; %bb.705:
	s_or_saveexec_b64 s[6:7], s[6:7]
	v_mov_b32_e32 v2, s10
	s_xor_b64 exec, exec, s[6:7]
	s_cbranch_execnz .LBB3_2756
.LBB3_706:
	s_or_b64 exec, exec, s[6:7]
	s_and_saveexec_b64 s[6:7], s[4:5]
	s_cbranch_execz .LBB3_708
.LBB3_707:
	v_and_b32_e32 v2, 7, v8
	v_ffbh_u32_e32 v6, v2
	v_min_u32_e32 v6, 32, v6
	v_lshrrev_b16_e32 v3, 3, v8
	v_subrev_u32_e32 v7, 28, v6
	v_and_b32_e32 v3, 15, v3
	v_lshlrev_b32_e32 v7, v7, v8
	v_sub_u32_e32 v6, 29, v6
	v_and_b32_e32 v7, 7, v7
	v_cmp_eq_u16_e32 vcc, 0, v3
	v_cndmask_b32_e32 v2, v2, v7, vcc
	v_cndmask_b32_e32 v3, v3, v6, vcc
	v_lshlrev_b32_e32 v6, 24, v8
	v_mov_b32_e32 v7, 0x3b800000
	v_lshlrev_b32_e32 v2, 20, v2
	v_and_b32_e32 v6, 0x80000000, v6
	v_lshl_add_u32 v3, v3, 23, v7
	v_or3_b32 v2, v6, v3, v2
.LBB3_708:
	s_or_b64 exec, exec, s[6:7]
	s_movk_i32 s4, 0x7f
	v_cmp_gt_i16_sdwa s[6:7], v4, s4 src0_sel:BYTE_0 src1_sel:DWORD
	s_mov_b64 s[4:5], 0
                                        ; implicit-def: $sgpr10
	s_and_saveexec_b64 s[8:9], s[6:7]
	s_xor_b64 s[6:7], exec, s[8:9]
	s_cbranch_execnz .LBB3_2757
; %bb.709:
	s_or_saveexec_b64 s[6:7], s[6:7]
	v_mov_b32_e32 v3, s10
	s_xor_b64 exec, exec, s[6:7]
	s_cbranch_execnz .LBB3_2760
.LBB3_710:
	s_or_b64 exec, exec, s[6:7]
	s_and_saveexec_b64 s[6:7], s[4:5]
	s_cbranch_execz .LBB3_712
.LBB3_711:
	v_and_b32_e32 v3, 7, v4
	v_ffbh_u32_e32 v7, v3
	v_min_u32_e32 v7, 32, v7
	v_lshrrev_b16_e32 v6, 3, v4
	v_subrev_u32_e32 v12, 28, v7
	v_and_b32_e32 v6, 15, v6
	v_lshlrev_b32_e32 v12, v12, v4
	v_sub_u32_e32 v7, 29, v7
	v_and_b32_e32 v12, 7, v12
	v_cmp_eq_u16_e32 vcc, 0, v6
	v_cndmask_b32_e32 v3, v3, v12, vcc
	v_cndmask_b32_e32 v6, v6, v7, vcc
	v_lshlrev_b32_e32 v7, 24, v4
	v_mov_b32_e32 v12, 0x3b800000
	v_lshlrev_b32_e32 v3, 20, v3
	v_and_b32_e32 v7, 0x80000000, v7
	v_lshl_add_u32 v6, v6, 23, v12
	v_or3_b32 v3, v7, v6, v3
.LBB3_712:
	s_or_b64 exec, exec, s[6:7]
	s_nop 0
	v_mfma_f32_16x16x4f32 a[0:3], v2, v3, a[0:3]
	v_lshrrev_b32_e32 v3, 8, v8
	s_movk_i32 s4, 0x7f
	v_cmp_gt_i16_sdwa s[6:7], v3, s4 src0_sel:BYTE_0 src1_sel:DWORD
	s_mov_b64 s[4:5], 0
                                        ; implicit-def: $sgpr10
	s_and_saveexec_b64 s[8:9], s[6:7]
	s_xor_b64 s[6:7], exec, s[8:9]
	s_cbranch_execnz .LBB3_2761
; %bb.713:
	s_or_saveexec_b64 s[6:7], s[6:7]
	v_mov_b32_e32 v2, s10
	s_xor_b64 exec, exec, s[6:7]
	s_cbranch_execnz .LBB3_2764
.LBB3_714:
	s_or_b64 exec, exec, s[6:7]
	s_and_saveexec_b64 s[6:7], s[4:5]
	s_cbranch_execz .LBB3_716
.LBB3_715:
	v_bfe_u32 v2, v8, 8, 3
	v_ffbh_u32_e32 v7, v2
	v_min_u32_e32 v7, 32, v7
	v_lshrrev_b16_e32 v6, 3, v3
	v_subrev_u32_e32 v12, 28, v7
	v_and_b32_e32 v6, 15, v6
	v_lshlrev_b32_e32 v3, v12, v3
	v_sub_u32_e32 v7, 29, v7
	v_and_b32_e32 v3, 7, v3
	v_cmp_eq_u16_e32 vcc, 0, v6
	v_cndmask_b32_e32 v2, v2, v3, vcc
	v_cndmask_b32_e32 v3, v6, v7, vcc
	v_lshlrev_b32_e32 v6, 16, v8
	v_mov_b32_e32 v7, 0x3b800000
	v_lshlrev_b32_e32 v2, 20, v2
	v_and_b32_e32 v6, 0x80000000, v6
	v_lshl_add_u32 v3, v3, 23, v7
	v_or3_b32 v2, v6, v3, v2
.LBB3_716:
	s_or_b64 exec, exec, s[6:7]
	v_lshrrev_b32_e32 v3, 8, v4
	s_movk_i32 s4, 0x7f
	v_cmp_gt_i16_sdwa s[6:7], v3, s4 src0_sel:BYTE_0 src1_sel:DWORD
	s_mov_b64 s[4:5], 0
                                        ; implicit-def: $sgpr10
	s_and_saveexec_b64 s[8:9], s[6:7]
	s_xor_b64 s[6:7], exec, s[8:9]
	s_cbranch_execnz .LBB3_2765
; %bb.717:
	s_or_saveexec_b64 s[6:7], s[6:7]
	v_mov_b32_e32 v6, s10
	s_xor_b64 exec, exec, s[6:7]
	s_cbranch_execnz .LBB3_2768
.LBB3_718:
	s_or_b64 exec, exec, s[6:7]
	s_and_saveexec_b64 s[6:7], s[4:5]
	s_cbranch_execz .LBB3_720
.LBB3_719:
	v_bfe_u32 v6, v4, 8, 3
	v_ffbh_u32_e32 v12, v6
	v_min_u32_e32 v12, 32, v12
	v_lshrrev_b16_e32 v7, 3, v3
	v_subrev_u32_e32 v13, 28, v12
	v_and_b32_e32 v7, 15, v7
	v_lshlrev_b32_e32 v3, v13, v3
	v_sub_u32_e32 v12, 29, v12
	v_and_b32_e32 v3, 7, v3
	v_cmp_eq_u16_e32 vcc, 0, v7
	v_cndmask_b32_e32 v3, v6, v3, vcc
	v_cndmask_b32_e32 v6, v7, v12, vcc
	v_lshlrev_b32_e32 v7, 16, v4
	v_mov_b32_e32 v12, 0x3b800000
	v_lshlrev_b32_e32 v3, 20, v3
	v_and_b32_e32 v7, 0x80000000, v7
	v_lshl_add_u32 v6, v6, 23, v12
	v_or3_b32 v6, v7, v6, v3
.LBB3_720:
	s_or_b64 exec, exec, s[6:7]
	s_nop 0
	v_mfma_f32_16x16x4f32 a[0:3], v2, v6, a[0:3]
	s_movk_i32 s4, 0xff
	v_and_b32_sdwa v3, v8, s4 dst_sel:DWORD dst_unused:UNUSED_PAD src0_sel:WORD_1 src1_sel:DWORD
	s_movk_i32 s4, 0x7f
	v_cmp_lt_i16_e32 vcc, s4, v3
	s_mov_b64 s[4:5], 0
                                        ; implicit-def: $sgpr10
	s_and_saveexec_b64 s[6:7], vcc
	s_xor_b64 s[6:7], exec, s[6:7]
	s_cbranch_execnz .LBB3_2769
; %bb.721:
	s_or_saveexec_b64 s[6:7], s[6:7]
	v_mov_b32_e32 v2, s10
	s_xor_b64 exec, exec, s[6:7]
	s_cbranch_execnz .LBB3_2772
.LBB3_722:
	s_or_b64 exec, exec, s[6:7]
	s_and_saveexec_b64 s[6:7], s[4:5]
	s_cbranch_execz .LBB3_724
.LBB3_723:
	v_bfe_u32 v2, v8, 16, 3
	v_ffbh_u32_e32 v7, v2
	v_min_u32_e32 v7, 32, v7
	v_lshrrev_b32_e32 v3, 19, v8
	v_subrev_u32_e32 v12, 28, v7
	v_and_b32_e32 v3, 15, v3
	v_lshlrev_b32_sdwa v12, v12, v8 dst_sel:DWORD dst_unused:UNUSED_PAD src0_sel:DWORD src1_sel:WORD_1
	v_bfe_u32 v6, v8, 19, 4
	v_sub_u32_e32 v7, 29, v7
	v_and_b32_e32 v12, 7, v12
	v_cmp_eq_u16_e32 vcc, 0, v3
	v_cndmask_b32_e32 v2, v2, v12, vcc
	v_cndmask_b32_e32 v3, v6, v7, vcc
	v_lshlrev_b32_e32 v6, 8, v8
	v_mov_b32_e32 v7, 0x3b800000
	v_lshlrev_b32_e32 v2, 20, v2
	v_and_b32_e32 v6, 0x80000000, v6
	v_lshl_add_u32 v3, v3, 23, v7
	v_or3_b32 v2, v6, v3, v2
.LBB3_724:
	s_or_b64 exec, exec, s[6:7]
	s_movk_i32 s4, 0xff
	v_and_b32_sdwa v3, v4, s4 dst_sel:DWORD dst_unused:UNUSED_PAD src0_sel:WORD_1 src1_sel:DWORD
	s_movk_i32 s4, 0x7f
	v_cmp_lt_i16_e32 vcc, s4, v3
	s_mov_b64 s[4:5], 0
                                        ; implicit-def: $sgpr10
	s_and_saveexec_b64 s[6:7], vcc
	s_xor_b64 s[6:7], exec, s[6:7]
	s_cbranch_execnz .LBB3_2773
; %bb.725:
	s_or_saveexec_b64 s[6:7], s[6:7]
	v_mov_b32_e32 v6, s10
	s_xor_b64 exec, exec, s[6:7]
	s_cbranch_execnz .LBB3_2776
.LBB3_726:
	s_or_b64 exec, exec, s[6:7]
	s_and_saveexec_b64 s[6:7], s[4:5]
	s_cbranch_execz .LBB3_728
.LBB3_727:
	v_bfe_u32 v3, v4, 16, 3
	v_ffbh_u32_e32 v12, v3
	v_min_u32_e32 v12, 32, v12
	v_lshrrev_b32_e32 v6, 19, v4
	v_subrev_u32_e32 v13, 28, v12
	v_and_b32_e32 v6, 15, v6
	v_lshlrev_b32_sdwa v13, v13, v4 dst_sel:DWORD dst_unused:UNUSED_PAD src0_sel:DWORD src1_sel:WORD_1
	v_bfe_u32 v7, v4, 19, 4
	v_sub_u32_e32 v12, 29, v12
	v_and_b32_e32 v13, 7, v13
	v_cmp_eq_u16_e32 vcc, 0, v6
	v_cndmask_b32_e32 v3, v3, v13, vcc
	v_cndmask_b32_e32 v6, v7, v12, vcc
	v_lshlrev_b32_e32 v7, 8, v4
	v_mov_b32_e32 v12, 0x3b800000
	v_lshlrev_b32_e32 v3, 20, v3
	v_and_b32_e32 v7, 0x80000000, v7
	v_lshl_add_u32 v6, v6, 23, v12
	v_or3_b32 v6, v7, v6, v3
.LBB3_728:
	s_or_b64 exec, exec, s[6:7]
	s_nop 0
	v_mfma_f32_16x16x4f32 a[0:3], v2, v6, a[0:3]
	s_movk_i32 s4, 0x7f
	v_cmp_gt_i16_sdwa s[6:7], v8, s4 src0_sel:BYTE_3 src1_sel:DWORD
	s_mov_b64 s[4:5], 0
                                        ; implicit-def: $sgpr10
	s_and_saveexec_b64 s[8:9], s[6:7]
	s_xor_b64 s[6:7], exec, s[8:9]
	s_cbranch_execnz .LBB3_2777
; %bb.729:
	s_or_saveexec_b64 s[6:7], s[6:7]
	v_mov_b32_e32 v2, s10
	s_xor_b64 exec, exec, s[6:7]
	s_cbranch_execnz .LBB3_2780
.LBB3_730:
	s_or_b64 exec, exec, s[6:7]
	s_and_saveexec_b64 s[6:7], s[4:5]
	s_cbranch_execz .LBB3_732
.LBB3_731:
	v_bfe_u32 v2, v8, 24, 3
	v_ffbh_u32_e32 v12, v2
	v_min_u32_e32 v12, 32, v12
	v_lshrrev_b32_e32 v6, 27, v8
	v_subrev_u32_e32 v13, 28, v12
	v_and_b32_e32 v3, 0x80000000, v8
	v_and_b32_e32 v6, 15, v6
	v_bfe_u32 v7, v8, 27, 4
	v_lshlrev_b32_sdwa v8, v13, v8 dst_sel:DWORD dst_unused:UNUSED_PAD src0_sel:DWORD src1_sel:BYTE_3
	v_sub_u32_e32 v12, 29, v12
	v_and_b32_e32 v8, 7, v8
	v_cmp_eq_u16_e32 vcc, 0, v6
	v_cndmask_b32_e32 v2, v2, v8, vcc
	v_cndmask_b32_e32 v6, v7, v12, vcc
	v_mov_b32_e32 v7, 0x3b800000
	v_lshlrev_b32_e32 v2, 20, v2
	v_lshl_add_u32 v6, v6, 23, v7
	v_or3_b32 v2, v3, v6, v2
.LBB3_732:
	s_or_b64 exec, exec, s[6:7]
	s_movk_i32 s4, 0x7f
	v_cmp_gt_i16_sdwa s[6:7], v4, s4 src0_sel:BYTE_3 src1_sel:DWORD
	s_mov_b64 s[4:5], 0
                                        ; implicit-def: $sgpr10
	s_and_saveexec_b64 s[8:9], s[6:7]
	s_xor_b64 s[6:7], exec, s[8:9]
	s_cbranch_execnz .LBB3_2781
; %bb.733:
	s_or_saveexec_b64 s[6:7], s[6:7]
	v_mov_b32_e32 v3, s10
	s_xor_b64 exec, exec, s[6:7]
	s_cbranch_execnz .LBB3_2784
.LBB3_734:
	s_or_b64 exec, exec, s[6:7]
	s_and_saveexec_b64 s[6:7], s[4:5]
	s_cbranch_execz .LBB3_736
.LBB3_735:
	v_bfe_u32 v3, v4, 24, 3
	v_ffbh_u32_e32 v12, v3
	v_min_u32_e32 v12, 32, v12
	v_lshrrev_b32_e32 v7, 27, v4
	v_subrev_u32_e32 v13, 28, v12
	v_and_b32_e32 v6, 0x80000000, v4
	v_and_b32_e32 v7, 15, v7
	v_bfe_u32 v8, v4, 27, 4
	v_lshlrev_b32_sdwa v4, v13, v4 dst_sel:DWORD dst_unused:UNUSED_PAD src0_sel:DWORD src1_sel:BYTE_3
	v_sub_u32_e32 v12, 29, v12
	v_and_b32_e32 v4, 7, v4
	v_cmp_eq_u16_e32 vcc, 0, v7
	v_cndmask_b32_e32 v3, v3, v4, vcc
	v_cndmask_b32_e32 v4, v8, v12, vcc
	v_mov_b32_e32 v7, 0x3b800000
	v_lshlrev_b32_e32 v3, 20, v3
	v_lshl_add_u32 v4, v4, 23, v7
	v_or3_b32 v3, v6, v4, v3
.LBB3_736:
	s_or_b64 exec, exec, s[6:7]
	s_nop 0
	v_mfma_f32_16x16x4f32 a[0:3], v2, v3, a[0:3]
	s_movk_i32 s4, 0x7f
	v_cmp_gt_i16_sdwa s[6:7], v9, s4 src0_sel:BYTE_0 src1_sel:DWORD
	s_mov_b64 s[4:5], 0
                                        ; implicit-def: $sgpr10
	s_and_saveexec_b64 s[8:9], s[6:7]
	s_xor_b64 s[6:7], exec, s[8:9]
	s_cbranch_execnz .LBB3_2785
; %bb.737:
	s_or_saveexec_b64 s[6:7], s[6:7]
	v_mov_b32_e32 v2, s10
	s_xor_b64 exec, exec, s[6:7]
	s_cbranch_execnz .LBB3_2788
.LBB3_738:
	s_or_b64 exec, exec, s[6:7]
	s_and_saveexec_b64 s[6:7], s[4:5]
	s_cbranch_execz .LBB3_740
.LBB3_739:
	v_mov_b32_e32 v2, 8
	v_and_b32_e32 v3, 7, v9
	v_lshrrev_b32_sdwa v2, v2, v9 dst_sel:BYTE_1 dst_unused:UNUSED_PAD src0_sel:DWORD src1_sel:DWORD
	v_ffbh_u32_e32 v4, v3
	v_or_b32_sdwa v2, v9, v2 dst_sel:DWORD dst_unused:UNUSED_PAD src0_sel:BYTE_0 src1_sel:DWORD
	v_min_u32_e32 v4, 32, v4
	v_lshrrev_b16_e32 v2, 3, v2
	v_subrev_u32_e32 v6, 28, v4
	v_and_b32_e32 v2, 15, v2
	v_lshlrev_b32_e32 v6, v6, v9
	v_sub_u32_e32 v4, 29, v4
	v_and_b32_e32 v6, 7, v6
	v_cmp_eq_u16_e32 vcc, 0, v2
	v_cndmask_b32_e32 v3, v3, v6, vcc
	v_cndmask_b32_e32 v2, v2, v4, vcc
	v_lshlrev_b32_e32 v4, 24, v9
	v_mov_b32_e32 v6, 0x3b800000
	v_lshlrev_b32_e32 v3, 20, v3
	v_and_b32_e32 v4, 0x80000000, v4
	v_lshl_add_u32 v2, v2, 23, v6
	v_or3_b32 v2, v4, v2, v3
.LBB3_740:
	s_or_b64 exec, exec, s[6:7]
	s_movk_i32 s4, 0x7f
	v_cmp_gt_i16_sdwa s[6:7], v5, s4 src0_sel:BYTE_0 src1_sel:DWORD
	s_mov_b64 s[4:5], 0
                                        ; implicit-def: $sgpr10
	s_and_saveexec_b64 s[8:9], s[6:7]
	s_xor_b64 s[6:7], exec, s[8:9]
	s_cbranch_execnz .LBB3_2789
; %bb.741:
	s_or_saveexec_b64 s[6:7], s[6:7]
	v_mov_b32_e32 v3, s10
	s_xor_b64 exec, exec, s[6:7]
	s_cbranch_execnz .LBB3_2792
.LBB3_742:
	s_or_b64 exec, exec, s[6:7]
	s_and_saveexec_b64 s[6:7], s[4:5]
	s_cbranch_execz .LBB3_744
.LBB3_743:
	v_mov_b32_e32 v3, 8
	v_and_b32_e32 v4, 7, v5
	v_lshrrev_b32_sdwa v3, v3, v5 dst_sel:BYTE_1 dst_unused:UNUSED_PAD src0_sel:DWORD src1_sel:DWORD
	v_ffbh_u32_e32 v6, v4
	v_or_b32_sdwa v3, v5, v3 dst_sel:DWORD dst_unused:UNUSED_PAD src0_sel:BYTE_0 src1_sel:DWORD
	v_min_u32_e32 v6, 32, v6
	v_lshrrev_b16_e32 v3, 3, v3
	v_subrev_u32_e32 v7, 28, v6
	v_and_b32_e32 v3, 15, v3
	v_lshlrev_b32_e32 v7, v7, v5
	v_sub_u32_e32 v6, 29, v6
	v_and_b32_e32 v7, 7, v7
	v_cmp_eq_u16_e32 vcc, 0, v3
	v_cndmask_b32_e32 v4, v4, v7, vcc
	v_cndmask_b32_e32 v3, v3, v6, vcc
	v_lshlrev_b32_e32 v6, 24, v5
	v_mov_b32_e32 v7, 0x3b800000
	v_lshlrev_b32_e32 v4, 20, v4
	v_and_b32_e32 v6, 0x80000000, v6
	v_lshl_add_u32 v3, v3, 23, v7
	v_or3_b32 v3, v6, v3, v4
.LBB3_744:
	s_or_b64 exec, exec, s[6:7]
	s_nop 0
	v_mfma_f32_16x16x4f32 a[0:3], v2, v3, a[0:3]
	v_lshrrev_b32_e32 v3, 8, v9
	s_movk_i32 s4, 0x7f
	v_cmp_gt_i16_sdwa s[6:7], v3, s4 src0_sel:BYTE_0 src1_sel:DWORD
	s_mov_b64 s[4:5], 0
                                        ; implicit-def: $sgpr10
	s_and_saveexec_b64 s[8:9], s[6:7]
	s_xor_b64 s[6:7], exec, s[8:9]
	s_cbranch_execnz .LBB3_2793
; %bb.745:
	s_or_saveexec_b64 s[6:7], s[6:7]
	v_mov_b32_e32 v2, s10
	s_xor_b64 exec, exec, s[6:7]
	s_cbranch_execnz .LBB3_2796
.LBB3_746:
	s_or_b64 exec, exec, s[6:7]
	s_and_saveexec_b64 s[6:7], s[4:5]
	s_cbranch_execz .LBB3_748
.LBB3_747:
	v_bfe_u32 v2, v9, 8, 3
	v_ffbh_u32_e32 v6, v2
	v_min_u32_e32 v6, 32, v6
	v_lshrrev_b16_e32 v4, 3, v3
	v_subrev_u32_e32 v7, 28, v6
	v_and_b32_e32 v4, 15, v4
	v_lshlrev_b32_e32 v3, v7, v3
	v_sub_u32_e32 v6, 29, v6
	v_and_b32_e32 v3, 7, v3
	v_cmp_eq_u16_e32 vcc, 0, v4
	v_cndmask_b32_e32 v2, v2, v3, vcc
	v_cndmask_b32_e32 v3, v4, v6, vcc
	v_lshlrev_b32_e32 v4, 16, v9
	v_mov_b32_e32 v6, 0x3b800000
	v_lshlrev_b32_e32 v2, 20, v2
	v_and_b32_e32 v4, 0x80000000, v4
	v_lshl_add_u32 v3, v3, 23, v6
	v_or3_b32 v2, v4, v3, v2
.LBB3_748:
	s_or_b64 exec, exec, s[6:7]
	v_lshrrev_b32_e32 v3, 8, v5
	s_movk_i32 s4, 0x7f
	v_cmp_gt_i16_sdwa s[6:7], v3, s4 src0_sel:BYTE_0 src1_sel:DWORD
	s_mov_b64 s[4:5], 0
                                        ; implicit-def: $sgpr10
	s_and_saveexec_b64 s[8:9], s[6:7]
	s_xor_b64 s[6:7], exec, s[8:9]
	s_cbranch_execnz .LBB3_2797
; %bb.749:
	s_or_saveexec_b64 s[6:7], s[6:7]
	v_mov_b32_e32 v4, s10
	s_xor_b64 exec, exec, s[6:7]
	s_cbranch_execnz .LBB3_2800
.LBB3_750:
	s_or_b64 exec, exec, s[6:7]
	s_and_saveexec_b64 s[6:7], s[4:5]
	s_cbranch_execz .LBB3_752
.LBB3_751:
	v_bfe_u32 v4, v5, 8, 3
	v_ffbh_u32_e32 v7, v4
	v_min_u32_e32 v7, 32, v7
	v_lshrrev_b16_e32 v6, 3, v3
	v_subrev_u32_e32 v8, 28, v7
	v_and_b32_e32 v6, 15, v6
	v_lshlrev_b32_e32 v3, v8, v3
	v_sub_u32_e32 v7, 29, v7
	v_and_b32_e32 v3, 7, v3
	v_cmp_eq_u16_e32 vcc, 0, v6
	v_cndmask_b32_e32 v3, v4, v3, vcc
	v_cndmask_b32_e32 v4, v6, v7, vcc
	v_lshlrev_b32_e32 v6, 16, v5
	v_mov_b32_e32 v7, 0x3b800000
	v_lshlrev_b32_e32 v3, 20, v3
	v_and_b32_e32 v6, 0x80000000, v6
	v_lshl_add_u32 v4, v4, 23, v7
	v_or3_b32 v4, v6, v4, v3
.LBB3_752:
	s_or_b64 exec, exec, s[6:7]
	s_nop 0
	v_mfma_f32_16x16x4f32 a[0:3], v2, v4, a[0:3]
	s_movk_i32 s4, 0xff
	v_and_b32_sdwa v3, v9, s4 dst_sel:DWORD dst_unused:UNUSED_PAD src0_sel:WORD_1 src1_sel:DWORD
	s_movk_i32 s4, 0x7f
	v_cmp_lt_i16_e32 vcc, s4, v3
	s_mov_b64 s[4:5], 0
                                        ; implicit-def: $sgpr10
	s_and_saveexec_b64 s[6:7], vcc
	s_xor_b64 s[6:7], exec, s[6:7]
	s_cbranch_execnz .LBB3_2801
; %bb.753:
	s_or_saveexec_b64 s[6:7], s[6:7]
	v_mov_b32_e32 v2, s10
	s_xor_b64 exec, exec, s[6:7]
	s_cbranch_execnz .LBB3_2804
.LBB3_754:
	s_or_b64 exec, exec, s[6:7]
	s_and_saveexec_b64 s[6:7], s[4:5]
	s_cbranch_execz .LBB3_756
.LBB3_755:
	v_bfe_u32 v2, v9, 16, 3
	v_ffbh_u32_e32 v6, v2
	v_min_u32_e32 v6, 32, v6
	v_lshrrev_b32_e32 v3, 19, v9
	v_subrev_u32_e32 v7, 28, v6
	v_and_b32_e32 v3, 15, v3
	v_lshlrev_b32_sdwa v7, v7, v9 dst_sel:DWORD dst_unused:UNUSED_PAD src0_sel:DWORD src1_sel:WORD_1
	v_bfe_u32 v4, v9, 19, 4
	v_sub_u32_e32 v6, 29, v6
	v_and_b32_e32 v7, 7, v7
	v_cmp_eq_u16_e32 vcc, 0, v3
	v_cndmask_b32_e32 v2, v2, v7, vcc
	v_cndmask_b32_e32 v3, v4, v6, vcc
	v_lshlrev_b32_e32 v4, 8, v9
	v_mov_b32_e32 v6, 0x3b800000
	v_lshlrev_b32_e32 v2, 20, v2
	v_and_b32_e32 v4, 0x80000000, v4
	v_lshl_add_u32 v3, v3, 23, v6
	v_or3_b32 v2, v4, v3, v2
.LBB3_756:
	s_or_b64 exec, exec, s[6:7]
	s_movk_i32 s4, 0xff
	v_and_b32_sdwa v3, v5, s4 dst_sel:DWORD dst_unused:UNUSED_PAD src0_sel:WORD_1 src1_sel:DWORD
	s_movk_i32 s4, 0x7f
	v_cmp_lt_i16_e32 vcc, s4, v3
	s_mov_b64 s[4:5], 0
                                        ; implicit-def: $sgpr10
	s_and_saveexec_b64 s[6:7], vcc
	s_xor_b64 s[6:7], exec, s[6:7]
	s_cbranch_execnz .LBB3_2805
; %bb.757:
	s_or_saveexec_b64 s[6:7], s[6:7]
	v_mov_b32_e32 v4, s10
	s_xor_b64 exec, exec, s[6:7]
	s_cbranch_execnz .LBB3_2808
.LBB3_758:
	s_or_b64 exec, exec, s[6:7]
	s_and_saveexec_b64 s[6:7], s[4:5]
	s_cbranch_execz .LBB3_760
.LBB3_759:
	v_bfe_u32 v3, v5, 16, 3
	v_ffbh_u32_e32 v7, v3
	v_min_u32_e32 v7, 32, v7
	v_lshrrev_b32_e32 v4, 19, v5
	v_subrev_u32_e32 v8, 28, v7
	v_and_b32_e32 v4, 15, v4
	v_lshlrev_b32_sdwa v8, v8, v5 dst_sel:DWORD dst_unused:UNUSED_PAD src0_sel:DWORD src1_sel:WORD_1
	v_bfe_u32 v6, v5, 19, 4
	v_sub_u32_e32 v7, 29, v7
	v_and_b32_e32 v8, 7, v8
	v_cmp_eq_u16_e32 vcc, 0, v4
	v_cndmask_b32_e32 v3, v3, v8, vcc
	v_cndmask_b32_e32 v4, v6, v7, vcc
	v_lshlrev_b32_e32 v6, 8, v5
	v_mov_b32_e32 v7, 0x3b800000
	v_lshlrev_b32_e32 v3, 20, v3
	v_and_b32_e32 v6, 0x80000000, v6
	v_lshl_add_u32 v4, v4, 23, v7
	v_or3_b32 v4, v6, v4, v3
.LBB3_760:
	s_or_b64 exec, exec, s[6:7]
	s_nop 0
	v_mfma_f32_16x16x4f32 a[0:3], v2, v4, a[0:3]
	s_movk_i32 s4, 0x7f
	v_cmp_gt_i16_sdwa s[6:7], v9, s4 src0_sel:BYTE_3 src1_sel:DWORD
	s_mov_b64 s[4:5], 0
                                        ; implicit-def: $sgpr10
	s_and_saveexec_b64 s[8:9], s[6:7]
	s_xor_b64 s[6:7], exec, s[8:9]
	s_cbranch_execnz .LBB3_2809
; %bb.761:
	s_or_saveexec_b64 s[6:7], s[6:7]
	v_mov_b32_e32 v2, s10
	s_xor_b64 exec, exec, s[6:7]
	s_cbranch_execnz .LBB3_2812
.LBB3_762:
	s_or_b64 exec, exec, s[6:7]
	s_and_saveexec_b64 s[6:7], s[4:5]
	s_cbranch_execz .LBB3_764
.LBB3_763:
	v_bfe_u32 v2, v9, 24, 3
	v_ffbh_u32_e32 v7, v2
	v_min_u32_e32 v7, 32, v7
	v_lshrrev_b32_e32 v4, 27, v9
	v_subrev_u32_e32 v8, 28, v7
	v_and_b32_e32 v4, 15, v4
	v_lshlrev_b32_sdwa v8, v8, v9 dst_sel:DWORD dst_unused:UNUSED_PAD src0_sel:DWORD src1_sel:BYTE_3
	v_bfe_u32 v6, v9, 27, 4
	v_sub_u32_e32 v7, 29, v7
	v_and_b32_e32 v8, 7, v8
	v_cmp_eq_u16_e32 vcc, 0, v4
	v_cndmask_b32_e32 v2, v2, v8, vcc
	v_cndmask_b32_e32 v4, v6, v7, vcc
	v_mov_b32_e32 v6, 0x3b800000
	v_and_b32_e32 v3, 0x80000000, v9
	v_lshlrev_b32_e32 v2, 20, v2
	v_lshl_add_u32 v4, v4, 23, v6
	v_or3_b32 v2, v3, v4, v2
.LBB3_764:
	s_or_b64 exec, exec, s[6:7]
	s_movk_i32 s4, 0x7f
	v_cmp_gt_i16_sdwa s[6:7], v5, s4 src0_sel:BYTE_3 src1_sel:DWORD
	s_mov_b64 s[4:5], 0
                                        ; implicit-def: $sgpr10
	s_and_saveexec_b64 s[8:9], s[6:7]
	s_xor_b64 s[6:7], exec, s[8:9]
	s_cbranch_execnz .LBB3_2813
; %bb.765:
	s_or_saveexec_b64 s[6:7], s[6:7]
	v_mov_b32_e32 v3, s10
	s_xor_b64 exec, exec, s[6:7]
	s_cbranch_execnz .LBB3_2816
.LBB3_766:
	s_or_b64 exec, exec, s[6:7]
	s_and_saveexec_b64 s[6:7], s[4:5]
	s_cbranch_execz .LBB3_768
.LBB3_767:
	v_bfe_u32 v3, v5, 24, 3
	v_ffbh_u32_e32 v8, v3
	v_min_u32_e32 v8, 32, v8
	v_lshrrev_b32_e32 v6, 27, v5
	v_subrev_u32_e32 v9, 28, v8
	v_and_b32_e32 v4, 0x80000000, v5
	v_and_b32_e32 v6, 15, v6
	v_bfe_u32 v7, v5, 27, 4
	v_lshlrev_b32_sdwa v5, v9, v5 dst_sel:DWORD dst_unused:UNUSED_PAD src0_sel:DWORD src1_sel:BYTE_3
	v_sub_u32_e32 v8, 29, v8
	v_and_b32_e32 v5, 7, v5
	v_cmp_eq_u16_e32 vcc, 0, v6
	v_cndmask_b32_e32 v3, v3, v5, vcc
	v_cndmask_b32_e32 v5, v7, v8, vcc
	v_mov_b32_e32 v6, 0x3b800000
	v_lshlrev_b32_e32 v3, 20, v3
	v_lshl_add_u32 v5, v5, 23, v6
	v_or3_b32 v3, v4, v5, v3
.LBB3_768:
	s_or_b64 exec, exec, s[6:7]
	s_nop 0
	v_mfma_f32_16x16x4f32 a[0:3], v2, v3, a[0:3]
	s_movk_i32 s4, 0x7f
                                        ; implicit-def: $sgpr10
	s_nop 7
	s_nop 1
	flat_store_dwordx4 v[10:11], a[0:3] offset:80
	flat_load_dwordx4 v[12:15], v[0:1] offset:8
	s_nop 0
	flat_load_dwordx2 v[10:11], v[0:1] offset:32
	s_waitcnt vmcnt(0) lgkmcnt(0)
	flat_load_dwordx4 v[6:9], v[12:13] offset:32
	flat_load_dwordx4 v[2:5], v[14:15] offset:64
	s_waitcnt vmcnt(0) lgkmcnt(0)
	v_cmp_gt_i16_sdwa s[6:7], v6, s4 src0_sel:BYTE_0 src1_sel:DWORD
	s_mov_b64 s[4:5], 0
	s_and_saveexec_b64 s[8:9], s[6:7]
	s_xor_b64 s[6:7], exec, s[8:9]
	s_cbranch_execnz .LBB3_2817
; %bb.769:
	s_or_saveexec_b64 s[6:7], s[6:7]
	v_mov_b32_e32 v12, s10
	s_xor_b64 exec, exec, s[6:7]
	s_cbranch_execnz .LBB3_2820
.LBB3_770:
	s_or_b64 exec, exec, s[6:7]
	s_and_saveexec_b64 s[6:7], s[4:5]
	s_cbranch_execz .LBB3_772
.LBB3_771:
	v_and_b32_e32 v12, 7, v6
	v_ffbh_u32_e32 v14, v12
	v_min_u32_e32 v14, 32, v14
	v_lshrrev_b16_e32 v13, 3, v6
	v_subrev_u32_e32 v15, 28, v14
	v_and_b32_e32 v13, 15, v13
	v_lshlrev_b32_e32 v15, v15, v6
	v_sub_u32_e32 v14, 29, v14
	v_and_b32_e32 v15, 7, v15
	v_cmp_eq_u16_e32 vcc, 0, v13
	v_cndmask_b32_e32 v12, v12, v15, vcc
	v_cndmask_b32_e32 v13, v13, v14, vcc
	v_lshlrev_b32_e32 v14, 24, v6
	v_mov_b32_e32 v15, 0x3b800000
	v_lshlrev_b32_e32 v12, 20, v12
	v_and_b32_e32 v14, 0x80000000, v14
	v_lshl_add_u32 v13, v13, 23, v15
	v_or3_b32 v12, v14, v13, v12
.LBB3_772:
	s_or_b64 exec, exec, s[6:7]
	s_movk_i32 s4, 0x7f
	v_cmp_gt_i16_sdwa s[6:7], v2, s4 src0_sel:BYTE_0 src1_sel:DWORD
	s_mov_b64 s[4:5], 0
                                        ; implicit-def: $sgpr10
	s_and_saveexec_b64 s[8:9], s[6:7]
	s_xor_b64 s[6:7], exec, s[8:9]
	s_cbranch_execnz .LBB3_2821
; %bb.773:
	s_or_saveexec_b64 s[6:7], s[6:7]
	v_mov_b32_e32 v13, s10
	s_xor_b64 exec, exec, s[6:7]
	s_cbranch_execnz .LBB3_2824
.LBB3_774:
	s_or_b64 exec, exec, s[6:7]
	s_and_saveexec_b64 s[6:7], s[4:5]
	s_cbranch_execz .LBB3_776
.LBB3_775:
	v_and_b32_e32 v13, 7, v2
	v_ffbh_u32_e32 v15, v13
	v_min_u32_e32 v15, 32, v15
	v_lshrrev_b16_e32 v14, 3, v2
	v_subrev_u32_e32 v16, 28, v15
	v_and_b32_e32 v14, 15, v14
	v_lshlrev_b32_e32 v16, v16, v2
	v_sub_u32_e32 v15, 29, v15
	v_and_b32_e32 v16, 7, v16
	v_cmp_eq_u16_e32 vcc, 0, v14
	v_cndmask_b32_e32 v13, v13, v16, vcc
	v_cndmask_b32_e32 v14, v14, v15, vcc
	v_lshlrev_b32_e32 v15, 24, v2
	v_mov_b32_e32 v16, 0x3b800000
	v_lshlrev_b32_e32 v13, 20, v13
	v_and_b32_e32 v15, 0x80000000, v15
	v_lshl_add_u32 v14, v14, 23, v16
	v_or3_b32 v13, v15, v14, v13
.LBB3_776:
	s_or_b64 exec, exec, s[6:7]
	flat_load_dwordx4 a[0:3], v[10:11] offset:96
	s_movk_i32 s4, 0x7f
                                        ; implicit-def: $sgpr10
	s_waitcnt vmcnt(0) lgkmcnt(0)
	v_mfma_f32_16x16x4f32 a[0:3], v12, v13, a[0:3]
	v_lshrrev_b32_e32 v13, 8, v6
	v_cmp_gt_i16_sdwa s[6:7], v13, s4 src0_sel:BYTE_0 src1_sel:DWORD
	s_mov_b64 s[4:5], 0
	s_and_saveexec_b64 s[8:9], s[6:7]
	s_xor_b64 s[6:7], exec, s[8:9]
	s_cbranch_execnz .LBB3_2825
; %bb.777:
	s_or_saveexec_b64 s[6:7], s[6:7]
	v_mov_b32_e32 v12, s10
	s_xor_b64 exec, exec, s[6:7]
	s_cbranch_execnz .LBB3_2828
.LBB3_778:
	s_or_b64 exec, exec, s[6:7]
	s_and_saveexec_b64 s[6:7], s[4:5]
	s_cbranch_execz .LBB3_780
.LBB3_779:
	v_bfe_u32 v12, v6, 8, 3
	v_ffbh_u32_e32 v15, v12
	v_min_u32_e32 v15, 32, v15
	v_lshrrev_b16_e32 v14, 3, v13
	v_subrev_u32_e32 v16, 28, v15
	v_and_b32_e32 v14, 15, v14
	v_lshlrev_b32_e32 v13, v16, v13
	v_sub_u32_e32 v15, 29, v15
	v_and_b32_e32 v13, 7, v13
	v_cmp_eq_u16_e32 vcc, 0, v14
	v_cndmask_b32_e32 v12, v12, v13, vcc
	v_cndmask_b32_e32 v13, v14, v15, vcc
	v_lshlrev_b32_e32 v14, 16, v6
	v_mov_b32_e32 v15, 0x3b800000
	v_lshlrev_b32_e32 v12, 20, v12
	v_and_b32_e32 v14, 0x80000000, v14
	v_lshl_add_u32 v13, v13, 23, v15
	v_or3_b32 v12, v14, v13, v12
.LBB3_780:
	s_or_b64 exec, exec, s[6:7]
	v_lshrrev_b32_e32 v13, 8, v2
	s_movk_i32 s4, 0x7f
	v_cmp_gt_i16_sdwa s[6:7], v13, s4 src0_sel:BYTE_0 src1_sel:DWORD
	s_mov_b64 s[4:5], 0
                                        ; implicit-def: $sgpr10
	s_and_saveexec_b64 s[8:9], s[6:7]
	s_xor_b64 s[6:7], exec, s[8:9]
	s_cbranch_execnz .LBB3_2829
; %bb.781:
	s_or_saveexec_b64 s[6:7], s[6:7]
	v_mov_b32_e32 v14, s10
	s_xor_b64 exec, exec, s[6:7]
	s_cbranch_execnz .LBB3_2832
.LBB3_782:
	s_or_b64 exec, exec, s[6:7]
	s_and_saveexec_b64 s[6:7], s[4:5]
	s_cbranch_execz .LBB3_784
.LBB3_783:
	v_bfe_u32 v14, v2, 8, 3
	v_ffbh_u32_e32 v16, v14
	v_min_u32_e32 v16, 32, v16
	v_lshrrev_b16_e32 v15, 3, v13
	v_subrev_u32_e32 v17, 28, v16
	v_and_b32_e32 v15, 15, v15
	v_lshlrev_b32_e32 v13, v17, v13
	v_sub_u32_e32 v16, 29, v16
	v_and_b32_e32 v13, 7, v13
	v_cmp_eq_u16_e32 vcc, 0, v15
	v_cndmask_b32_e32 v13, v14, v13, vcc
	v_cndmask_b32_e32 v14, v15, v16, vcc
	v_lshlrev_b32_e32 v15, 16, v2
	v_mov_b32_e32 v16, 0x3b800000
	v_lshlrev_b32_e32 v13, 20, v13
	v_and_b32_e32 v15, 0x80000000, v15
	v_lshl_add_u32 v14, v14, 23, v16
	v_or3_b32 v14, v15, v14, v13
.LBB3_784:
	s_or_b64 exec, exec, s[6:7]
	s_nop 0
	v_mfma_f32_16x16x4f32 a[0:3], v12, v14, a[0:3]
	s_movk_i32 s4, 0xff
	v_and_b32_sdwa v13, v6, s4 dst_sel:DWORD dst_unused:UNUSED_PAD src0_sel:WORD_1 src1_sel:DWORD
	s_movk_i32 s4, 0x7f
	v_cmp_lt_i16_e32 vcc, s4, v13
	s_mov_b64 s[4:5], 0
                                        ; implicit-def: $sgpr10
	s_and_saveexec_b64 s[6:7], vcc
	s_xor_b64 s[6:7], exec, s[6:7]
	s_cbranch_execnz .LBB3_2833
; %bb.785:
	s_or_saveexec_b64 s[6:7], s[6:7]
	v_mov_b32_e32 v12, s10
	s_xor_b64 exec, exec, s[6:7]
	s_cbranch_execnz .LBB3_2836
.LBB3_786:
	s_or_b64 exec, exec, s[6:7]
	s_and_saveexec_b64 s[6:7], s[4:5]
	s_cbranch_execz .LBB3_788
.LBB3_787:
	v_bfe_u32 v12, v6, 16, 3
	v_ffbh_u32_e32 v15, v12
	v_min_u32_e32 v15, 32, v15
	v_lshrrev_b32_e32 v13, 19, v6
	v_subrev_u32_e32 v16, 28, v15
	v_and_b32_e32 v13, 15, v13
	v_lshlrev_b32_sdwa v16, v16, v6 dst_sel:DWORD dst_unused:UNUSED_PAD src0_sel:DWORD src1_sel:WORD_1
	v_bfe_u32 v14, v6, 19, 4
	v_sub_u32_e32 v15, 29, v15
	v_and_b32_e32 v16, 7, v16
	v_cmp_eq_u16_e32 vcc, 0, v13
	v_cndmask_b32_e32 v12, v12, v16, vcc
	v_cndmask_b32_e32 v13, v14, v15, vcc
	v_lshlrev_b32_e32 v14, 8, v6
	v_mov_b32_e32 v15, 0x3b800000
	v_lshlrev_b32_e32 v12, 20, v12
	v_and_b32_e32 v14, 0x80000000, v14
	v_lshl_add_u32 v13, v13, 23, v15
	v_or3_b32 v12, v14, v13, v12
.LBB3_788:
	s_or_b64 exec, exec, s[6:7]
	s_movk_i32 s4, 0xff
	v_and_b32_sdwa v13, v2, s4 dst_sel:DWORD dst_unused:UNUSED_PAD src0_sel:WORD_1 src1_sel:DWORD
	s_movk_i32 s4, 0x7f
	v_cmp_lt_i16_e32 vcc, s4, v13
	s_mov_b64 s[4:5], 0
                                        ; implicit-def: $sgpr10
	s_and_saveexec_b64 s[6:7], vcc
	s_xor_b64 s[6:7], exec, s[6:7]
	s_cbranch_execnz .LBB3_2837
; %bb.789:
	s_or_saveexec_b64 s[6:7], s[6:7]
	v_mov_b32_e32 v14, s10
	s_xor_b64 exec, exec, s[6:7]
	s_cbranch_execnz .LBB3_2840
.LBB3_790:
	s_or_b64 exec, exec, s[6:7]
	s_and_saveexec_b64 s[6:7], s[4:5]
	s_cbranch_execz .LBB3_792
.LBB3_791:
	v_bfe_u32 v13, v2, 16, 3
	v_ffbh_u32_e32 v16, v13
	v_min_u32_e32 v16, 32, v16
	v_lshrrev_b32_e32 v14, 19, v2
	v_subrev_u32_e32 v17, 28, v16
	v_and_b32_e32 v14, 15, v14
	v_lshlrev_b32_sdwa v17, v17, v2 dst_sel:DWORD dst_unused:UNUSED_PAD src0_sel:DWORD src1_sel:WORD_1
	v_bfe_u32 v15, v2, 19, 4
	v_sub_u32_e32 v16, 29, v16
	v_and_b32_e32 v17, 7, v17
	v_cmp_eq_u16_e32 vcc, 0, v14
	v_cndmask_b32_e32 v13, v13, v17, vcc
	v_cndmask_b32_e32 v14, v15, v16, vcc
	v_lshlrev_b32_e32 v15, 8, v2
	v_mov_b32_e32 v16, 0x3b800000
	v_lshlrev_b32_e32 v13, 20, v13
	v_and_b32_e32 v15, 0x80000000, v15
	v_lshl_add_u32 v14, v14, 23, v16
	v_or3_b32 v14, v15, v14, v13
.LBB3_792:
	s_or_b64 exec, exec, s[6:7]
	s_nop 0
	v_mfma_f32_16x16x4f32 a[0:3], v12, v14, a[0:3]
	s_movk_i32 s4, 0x7f
	v_cmp_gt_i16_sdwa s[6:7], v6, s4 src0_sel:BYTE_3 src1_sel:DWORD
	s_mov_b64 s[4:5], 0
                                        ; implicit-def: $sgpr10
	s_and_saveexec_b64 s[8:9], s[6:7]
	s_xor_b64 s[6:7], exec, s[8:9]
	s_cbranch_execnz .LBB3_2841
; %bb.793:
	s_or_saveexec_b64 s[6:7], s[6:7]
	v_mov_b32_e32 v12, s10
	s_xor_b64 exec, exec, s[6:7]
	s_cbranch_execnz .LBB3_2844
.LBB3_794:
	s_or_b64 exec, exec, s[6:7]
	s_and_saveexec_b64 s[6:7], s[4:5]
	s_cbranch_execz .LBB3_796
.LBB3_795:
	v_bfe_u32 v12, v6, 24, 3
	v_ffbh_u32_e32 v16, v12
	v_min_u32_e32 v16, 32, v16
	v_lshrrev_b32_e32 v14, 27, v6
	v_subrev_u32_e32 v17, 28, v16
	v_and_b32_e32 v13, 0x80000000, v6
	v_and_b32_e32 v14, 15, v14
	v_bfe_u32 v15, v6, 27, 4
	v_lshlrev_b32_sdwa v6, v17, v6 dst_sel:DWORD dst_unused:UNUSED_PAD src0_sel:DWORD src1_sel:BYTE_3
	v_sub_u32_e32 v16, 29, v16
	v_and_b32_e32 v6, 7, v6
	v_cmp_eq_u16_e32 vcc, 0, v14
	v_cndmask_b32_e32 v6, v12, v6, vcc
	v_cndmask_b32_e32 v12, v15, v16, vcc
	v_mov_b32_e32 v14, 0x3b800000
	v_lshlrev_b32_e32 v6, 20, v6
	v_lshl_add_u32 v12, v12, 23, v14
	v_or3_b32 v12, v13, v12, v6
.LBB3_796:
	s_or_b64 exec, exec, s[6:7]
	s_movk_i32 s4, 0x7f
	v_cmp_gt_i16_sdwa s[6:7], v2, s4 src0_sel:BYTE_3 src1_sel:DWORD
	s_mov_b64 s[4:5], 0
                                        ; implicit-def: $sgpr10
	s_and_saveexec_b64 s[8:9], s[6:7]
	s_xor_b64 s[6:7], exec, s[8:9]
	s_cbranch_execnz .LBB3_2845
; %bb.797:
	s_or_saveexec_b64 s[6:7], s[6:7]
	v_mov_b32_e32 v6, s10
	s_xor_b64 exec, exec, s[6:7]
	s_cbranch_execnz .LBB3_2848
.LBB3_798:
	s_or_b64 exec, exec, s[6:7]
	s_and_saveexec_b64 s[6:7], s[4:5]
	s_cbranch_execz .LBB3_800
.LBB3_799:
	v_bfe_u32 v6, v2, 24, 3
	v_ffbh_u32_e32 v16, v6
	v_min_u32_e32 v16, 32, v16
	v_lshrrev_b32_e32 v14, 27, v2
	v_subrev_u32_e32 v17, 28, v16
	v_and_b32_e32 v13, 0x80000000, v2
	v_and_b32_e32 v14, 15, v14
	v_bfe_u32 v15, v2, 27, 4
	v_lshlrev_b32_sdwa v2, v17, v2 dst_sel:DWORD dst_unused:UNUSED_PAD src0_sel:DWORD src1_sel:BYTE_3
	v_sub_u32_e32 v16, 29, v16
	v_and_b32_e32 v2, 7, v2
	v_cmp_eq_u16_e32 vcc, 0, v14
	v_cndmask_b32_e32 v2, v6, v2, vcc
	v_cndmask_b32_e32 v6, v15, v16, vcc
	v_mov_b32_e32 v14, 0x3b800000
	v_lshlrev_b32_e32 v2, 20, v2
	v_lshl_add_u32 v6, v6, 23, v14
	v_or3_b32 v6, v13, v6, v2
.LBB3_800:
	s_or_b64 exec, exec, s[6:7]
	s_nop 0
	v_mfma_f32_16x16x4f32 a[0:3], v12, v6, a[0:3]
	s_movk_i32 s4, 0x7f
	v_cmp_gt_i16_sdwa s[6:7], v7, s4 src0_sel:BYTE_0 src1_sel:DWORD
	s_mov_b64 s[4:5], 0
                                        ; implicit-def: $sgpr10
	s_and_saveexec_b64 s[8:9], s[6:7]
	s_xor_b64 s[6:7], exec, s[8:9]
	s_cbranch_execnz .LBB3_2849
; %bb.801:
	s_or_saveexec_b64 s[6:7], s[6:7]
	v_mov_b32_e32 v2, s10
	s_xor_b64 exec, exec, s[6:7]
	s_cbranch_execnz .LBB3_2852
.LBB3_802:
	s_or_b64 exec, exec, s[6:7]
	s_and_saveexec_b64 s[6:7], s[4:5]
	s_cbranch_execz .LBB3_804
.LBB3_803:
	v_and_b32_e32 v2, 7, v7
	v_ffbh_u32_e32 v12, v2
	v_min_u32_e32 v12, 32, v12
	v_lshrrev_b16_e32 v6, 3, v7
	v_subrev_u32_e32 v13, 28, v12
	v_and_b32_e32 v6, 15, v6
	v_lshlrev_b32_e32 v13, v13, v7
	v_sub_u32_e32 v12, 29, v12
	v_and_b32_e32 v13, 7, v13
	v_cmp_eq_u16_e32 vcc, 0, v6
	v_cndmask_b32_e32 v2, v2, v13, vcc
	v_cndmask_b32_e32 v6, v6, v12, vcc
	v_lshlrev_b32_e32 v12, 24, v7
	v_mov_b32_e32 v13, 0x3b800000
	v_lshlrev_b32_e32 v2, 20, v2
	v_and_b32_e32 v12, 0x80000000, v12
	v_lshl_add_u32 v6, v6, 23, v13
	v_or3_b32 v2, v12, v6, v2
.LBB3_804:
	s_or_b64 exec, exec, s[6:7]
	s_movk_i32 s4, 0x7f
	v_cmp_gt_i16_sdwa s[6:7], v3, s4 src0_sel:BYTE_0 src1_sel:DWORD
	s_mov_b64 s[4:5], 0
                                        ; implicit-def: $sgpr10
	s_and_saveexec_b64 s[8:9], s[6:7]
	s_xor_b64 s[6:7], exec, s[8:9]
	s_cbranch_execnz .LBB3_2853
; %bb.805:
	s_or_saveexec_b64 s[6:7], s[6:7]
	v_mov_b32_e32 v6, s10
	s_xor_b64 exec, exec, s[6:7]
	s_cbranch_execnz .LBB3_2856
.LBB3_806:
	s_or_b64 exec, exec, s[6:7]
	s_and_saveexec_b64 s[6:7], s[4:5]
	s_cbranch_execz .LBB3_808
.LBB3_807:
	v_and_b32_e32 v6, 7, v3
	v_ffbh_u32_e32 v13, v6
	v_min_u32_e32 v13, 32, v13
	v_lshrrev_b16_e32 v12, 3, v3
	v_subrev_u32_e32 v14, 28, v13
	v_and_b32_e32 v12, 15, v12
	v_lshlrev_b32_e32 v14, v14, v3
	v_sub_u32_e32 v13, 29, v13
	v_and_b32_e32 v14, 7, v14
	v_cmp_eq_u16_e32 vcc, 0, v12
	v_cndmask_b32_e32 v6, v6, v14, vcc
	v_cndmask_b32_e32 v12, v12, v13, vcc
	v_lshlrev_b32_e32 v13, 24, v3
	v_mov_b32_e32 v14, 0x3b800000
	v_lshlrev_b32_e32 v6, 20, v6
	v_and_b32_e32 v13, 0x80000000, v13
	v_lshl_add_u32 v12, v12, 23, v14
	v_or3_b32 v6, v13, v12, v6
.LBB3_808:
	s_or_b64 exec, exec, s[6:7]
	s_nop 0
	v_mfma_f32_16x16x4f32 a[0:3], v2, v6, a[0:3]
	v_lshrrev_b32_e32 v6, 8, v7
	s_movk_i32 s4, 0x7f
	v_cmp_gt_i16_sdwa s[6:7], v6, s4 src0_sel:BYTE_0 src1_sel:DWORD
	s_mov_b64 s[4:5], 0
                                        ; implicit-def: $sgpr10
	s_and_saveexec_b64 s[8:9], s[6:7]
	s_xor_b64 s[6:7], exec, s[8:9]
	s_cbranch_execnz .LBB3_2857
; %bb.809:
	s_or_saveexec_b64 s[6:7], s[6:7]
	v_mov_b32_e32 v2, s10
	s_xor_b64 exec, exec, s[6:7]
	s_cbranch_execnz .LBB3_2860
.LBB3_810:
	s_or_b64 exec, exec, s[6:7]
	s_and_saveexec_b64 s[6:7], s[4:5]
	s_cbranch_execz .LBB3_812
.LBB3_811:
	v_bfe_u32 v2, v7, 8, 3
	v_ffbh_u32_e32 v13, v2
	v_min_u32_e32 v13, 32, v13
	v_lshrrev_b16_e32 v12, 3, v6
	v_subrev_u32_e32 v14, 28, v13
	v_and_b32_e32 v12, 15, v12
	v_lshlrev_b32_e32 v6, v14, v6
	v_sub_u32_e32 v13, 29, v13
	v_and_b32_e32 v6, 7, v6
	v_cmp_eq_u16_e32 vcc, 0, v12
	v_cndmask_b32_e32 v2, v2, v6, vcc
	v_cndmask_b32_e32 v6, v12, v13, vcc
	v_lshlrev_b32_e32 v12, 16, v7
	v_mov_b32_e32 v13, 0x3b800000
	v_lshlrev_b32_e32 v2, 20, v2
	v_and_b32_e32 v12, 0x80000000, v12
	v_lshl_add_u32 v6, v6, 23, v13
	v_or3_b32 v2, v12, v6, v2
.LBB3_812:
	s_or_b64 exec, exec, s[6:7]
	v_lshrrev_b32_e32 v6, 8, v3
	s_movk_i32 s4, 0x7f
	v_cmp_gt_i16_sdwa s[6:7], v6, s4 src0_sel:BYTE_0 src1_sel:DWORD
	s_mov_b64 s[4:5], 0
                                        ; implicit-def: $sgpr10
	s_and_saveexec_b64 s[8:9], s[6:7]
	s_xor_b64 s[6:7], exec, s[8:9]
	s_cbranch_execnz .LBB3_2861
; %bb.813:
	s_or_saveexec_b64 s[6:7], s[6:7]
	v_mov_b32_e32 v12, s10
	s_xor_b64 exec, exec, s[6:7]
	s_cbranch_execnz .LBB3_2864
.LBB3_814:
	s_or_b64 exec, exec, s[6:7]
	s_and_saveexec_b64 s[6:7], s[4:5]
	s_cbranch_execz .LBB3_816
.LBB3_815:
	v_bfe_u32 v12, v3, 8, 3
	v_ffbh_u32_e32 v14, v12
	v_min_u32_e32 v14, 32, v14
	v_lshrrev_b16_e32 v13, 3, v6
	v_subrev_u32_e32 v15, 28, v14
	v_and_b32_e32 v13, 15, v13
	v_lshlrev_b32_e32 v6, v15, v6
	v_sub_u32_e32 v14, 29, v14
	v_and_b32_e32 v6, 7, v6
	v_cmp_eq_u16_e32 vcc, 0, v13
	v_cndmask_b32_e32 v6, v12, v6, vcc
	v_cndmask_b32_e32 v12, v13, v14, vcc
	v_lshlrev_b32_e32 v13, 16, v3
	v_mov_b32_e32 v14, 0x3b800000
	v_lshlrev_b32_e32 v6, 20, v6
	v_and_b32_e32 v13, 0x80000000, v13
	v_lshl_add_u32 v12, v12, 23, v14
	v_or3_b32 v12, v13, v12, v6
.LBB3_816:
	s_or_b64 exec, exec, s[6:7]
	s_nop 0
	v_mfma_f32_16x16x4f32 a[0:3], v2, v12, a[0:3]
	s_movk_i32 s4, 0xff
	v_and_b32_sdwa v6, v7, s4 dst_sel:DWORD dst_unused:UNUSED_PAD src0_sel:WORD_1 src1_sel:DWORD
	s_movk_i32 s4, 0x7f
	v_cmp_lt_i16_e32 vcc, s4, v6
	s_mov_b64 s[4:5], 0
                                        ; implicit-def: $sgpr10
	s_and_saveexec_b64 s[6:7], vcc
	s_xor_b64 s[6:7], exec, s[6:7]
	s_cbranch_execnz .LBB3_2865
; %bb.817:
	s_or_saveexec_b64 s[6:7], s[6:7]
	v_mov_b32_e32 v2, s10
	s_xor_b64 exec, exec, s[6:7]
	s_cbranch_execnz .LBB3_2868
.LBB3_818:
	s_or_b64 exec, exec, s[6:7]
	s_and_saveexec_b64 s[6:7], s[4:5]
	s_cbranch_execz .LBB3_820
.LBB3_819:
	v_bfe_u32 v2, v7, 16, 3
	v_ffbh_u32_e32 v13, v2
	v_min_u32_e32 v13, 32, v13
	v_lshrrev_b32_e32 v6, 19, v7
	v_subrev_u32_e32 v14, 28, v13
	v_and_b32_e32 v6, 15, v6
	v_lshlrev_b32_sdwa v14, v14, v7 dst_sel:DWORD dst_unused:UNUSED_PAD src0_sel:DWORD src1_sel:WORD_1
	v_bfe_u32 v12, v7, 19, 4
	v_sub_u32_e32 v13, 29, v13
	v_and_b32_e32 v14, 7, v14
	v_cmp_eq_u16_e32 vcc, 0, v6
	v_cndmask_b32_e32 v2, v2, v14, vcc
	v_cndmask_b32_e32 v6, v12, v13, vcc
	v_lshlrev_b32_e32 v12, 8, v7
	v_mov_b32_e32 v13, 0x3b800000
	v_lshlrev_b32_e32 v2, 20, v2
	v_and_b32_e32 v12, 0x80000000, v12
	v_lshl_add_u32 v6, v6, 23, v13
	v_or3_b32 v2, v12, v6, v2
.LBB3_820:
	s_or_b64 exec, exec, s[6:7]
	s_movk_i32 s4, 0xff
	v_and_b32_sdwa v6, v3, s4 dst_sel:DWORD dst_unused:UNUSED_PAD src0_sel:WORD_1 src1_sel:DWORD
	s_movk_i32 s4, 0x7f
	v_cmp_lt_i16_e32 vcc, s4, v6
	s_mov_b64 s[4:5], 0
                                        ; implicit-def: $sgpr10
	s_and_saveexec_b64 s[6:7], vcc
	s_xor_b64 s[6:7], exec, s[6:7]
	s_cbranch_execnz .LBB3_2869
; %bb.821:
	s_or_saveexec_b64 s[6:7], s[6:7]
	v_mov_b32_e32 v12, s10
	s_xor_b64 exec, exec, s[6:7]
	s_cbranch_execnz .LBB3_2872
.LBB3_822:
	s_or_b64 exec, exec, s[6:7]
	s_and_saveexec_b64 s[6:7], s[4:5]
	s_cbranch_execz .LBB3_824
.LBB3_823:
	v_bfe_u32 v6, v3, 16, 3
	v_ffbh_u32_e32 v14, v6
	v_min_u32_e32 v14, 32, v14
	v_lshrrev_b32_e32 v12, 19, v3
	v_subrev_u32_e32 v15, 28, v14
	v_and_b32_e32 v12, 15, v12
	v_lshlrev_b32_sdwa v15, v15, v3 dst_sel:DWORD dst_unused:UNUSED_PAD src0_sel:DWORD src1_sel:WORD_1
	v_bfe_u32 v13, v3, 19, 4
	v_sub_u32_e32 v14, 29, v14
	v_and_b32_e32 v15, 7, v15
	v_cmp_eq_u16_e32 vcc, 0, v12
	v_cndmask_b32_e32 v6, v6, v15, vcc
	v_cndmask_b32_e32 v12, v13, v14, vcc
	v_lshlrev_b32_e32 v13, 8, v3
	v_mov_b32_e32 v14, 0x3b800000
	v_lshlrev_b32_e32 v6, 20, v6
	v_and_b32_e32 v13, 0x80000000, v13
	v_lshl_add_u32 v12, v12, 23, v14
	v_or3_b32 v12, v13, v12, v6
.LBB3_824:
	s_or_b64 exec, exec, s[6:7]
	s_nop 0
	v_mfma_f32_16x16x4f32 a[0:3], v2, v12, a[0:3]
	s_movk_i32 s4, 0x7f
	v_cmp_gt_i16_sdwa s[6:7], v7, s4 src0_sel:BYTE_3 src1_sel:DWORD
	s_mov_b64 s[4:5], 0
                                        ; implicit-def: $sgpr10
	s_and_saveexec_b64 s[8:9], s[6:7]
	s_xor_b64 s[6:7], exec, s[8:9]
	s_cbranch_execnz .LBB3_2873
; %bb.825:
	s_or_saveexec_b64 s[6:7], s[6:7]
	v_mov_b32_e32 v2, s10
	s_xor_b64 exec, exec, s[6:7]
	s_cbranch_execnz .LBB3_2876
.LBB3_826:
	s_or_b64 exec, exec, s[6:7]
	s_and_saveexec_b64 s[6:7], s[4:5]
	s_cbranch_execz .LBB3_828
.LBB3_827:
	v_bfe_u32 v2, v7, 24, 3
	v_ffbh_u32_e32 v14, v2
	v_min_u32_e32 v14, 32, v14
	v_lshrrev_b32_e32 v12, 27, v7
	v_subrev_u32_e32 v15, 28, v14
	v_and_b32_e32 v6, 0x80000000, v7
	v_and_b32_e32 v12, 15, v12
	v_bfe_u32 v13, v7, 27, 4
	v_lshlrev_b32_sdwa v7, v15, v7 dst_sel:DWORD dst_unused:UNUSED_PAD src0_sel:DWORD src1_sel:BYTE_3
	v_sub_u32_e32 v14, 29, v14
	v_and_b32_e32 v7, 7, v7
	v_cmp_eq_u16_e32 vcc, 0, v12
	v_cndmask_b32_e32 v2, v2, v7, vcc
	v_cndmask_b32_e32 v7, v13, v14, vcc
	v_mov_b32_e32 v12, 0x3b800000
	v_lshlrev_b32_e32 v2, 20, v2
	v_lshl_add_u32 v7, v7, 23, v12
	v_or3_b32 v2, v6, v7, v2
.LBB3_828:
	s_or_b64 exec, exec, s[6:7]
	s_movk_i32 s4, 0x7f
	v_cmp_gt_i16_sdwa s[6:7], v3, s4 src0_sel:BYTE_3 src1_sel:DWORD
	s_mov_b64 s[4:5], 0
                                        ; implicit-def: $sgpr10
	s_and_saveexec_b64 s[8:9], s[6:7]
	s_xor_b64 s[6:7], exec, s[8:9]
	s_cbranch_execnz .LBB3_2877
; %bb.829:
	s_or_saveexec_b64 s[6:7], s[6:7]
	v_mov_b32_e32 v6, s10
	s_xor_b64 exec, exec, s[6:7]
	s_cbranch_execnz .LBB3_2880
.LBB3_830:
	s_or_b64 exec, exec, s[6:7]
	s_and_saveexec_b64 s[6:7], s[4:5]
	s_cbranch_execz .LBB3_832
.LBB3_831:
	v_bfe_u32 v6, v3, 24, 3
	v_ffbh_u32_e32 v14, v6
	v_min_u32_e32 v14, 32, v14
	v_lshrrev_b32_e32 v12, 27, v3
	v_subrev_u32_e32 v15, 28, v14
	v_and_b32_e32 v7, 0x80000000, v3
	v_and_b32_e32 v12, 15, v12
	v_bfe_u32 v13, v3, 27, 4
	v_lshlrev_b32_sdwa v3, v15, v3 dst_sel:DWORD dst_unused:UNUSED_PAD src0_sel:DWORD src1_sel:BYTE_3
	v_sub_u32_e32 v14, 29, v14
	v_and_b32_e32 v3, 7, v3
	v_cmp_eq_u16_e32 vcc, 0, v12
	v_cndmask_b32_e32 v3, v6, v3, vcc
	v_cndmask_b32_e32 v6, v13, v14, vcc
	v_mov_b32_e32 v12, 0x3b800000
	v_lshlrev_b32_e32 v3, 20, v3
	v_lshl_add_u32 v6, v6, 23, v12
	v_or3_b32 v6, v7, v6, v3
.LBB3_832:
	s_or_b64 exec, exec, s[6:7]
	s_nop 0
	v_mfma_f32_16x16x4f32 a[0:3], v2, v6, a[0:3]
	s_movk_i32 s4, 0x7f
	v_cmp_gt_i16_sdwa s[6:7], v8, s4 src0_sel:BYTE_0 src1_sel:DWORD
	s_mov_b64 s[4:5], 0
                                        ; implicit-def: $sgpr10
	s_and_saveexec_b64 s[8:9], s[6:7]
	s_xor_b64 s[6:7], exec, s[8:9]
	s_cbranch_execnz .LBB3_2881
; %bb.833:
	s_or_saveexec_b64 s[6:7], s[6:7]
	v_mov_b32_e32 v2, s10
	s_xor_b64 exec, exec, s[6:7]
	s_cbranch_execnz .LBB3_2884
.LBB3_834:
	s_or_b64 exec, exec, s[6:7]
	s_and_saveexec_b64 s[6:7], s[4:5]
	s_cbranch_execz .LBB3_836
.LBB3_835:
	v_and_b32_e32 v2, 7, v8
	v_ffbh_u32_e32 v6, v2
	v_min_u32_e32 v6, 32, v6
	v_lshrrev_b16_e32 v3, 3, v8
	v_subrev_u32_e32 v7, 28, v6
	v_and_b32_e32 v3, 15, v3
	v_lshlrev_b32_e32 v7, v7, v8
	v_sub_u32_e32 v6, 29, v6
	v_and_b32_e32 v7, 7, v7
	v_cmp_eq_u16_e32 vcc, 0, v3
	v_cndmask_b32_e32 v2, v2, v7, vcc
	v_cndmask_b32_e32 v3, v3, v6, vcc
	v_lshlrev_b32_e32 v6, 24, v8
	v_mov_b32_e32 v7, 0x3b800000
	v_lshlrev_b32_e32 v2, 20, v2
	v_and_b32_e32 v6, 0x80000000, v6
	v_lshl_add_u32 v3, v3, 23, v7
	v_or3_b32 v2, v6, v3, v2
.LBB3_836:
	s_or_b64 exec, exec, s[6:7]
	s_movk_i32 s4, 0x7f
	v_cmp_gt_i16_sdwa s[6:7], v4, s4 src0_sel:BYTE_0 src1_sel:DWORD
	s_mov_b64 s[4:5], 0
                                        ; implicit-def: $sgpr10
	s_and_saveexec_b64 s[8:9], s[6:7]
	s_xor_b64 s[6:7], exec, s[8:9]
	s_cbranch_execnz .LBB3_2885
; %bb.837:
	s_or_saveexec_b64 s[6:7], s[6:7]
	v_mov_b32_e32 v3, s10
	s_xor_b64 exec, exec, s[6:7]
	s_cbranch_execnz .LBB3_2888
.LBB3_838:
	s_or_b64 exec, exec, s[6:7]
	s_and_saveexec_b64 s[6:7], s[4:5]
	s_cbranch_execz .LBB3_840
.LBB3_839:
	v_and_b32_e32 v3, 7, v4
	v_ffbh_u32_e32 v7, v3
	v_min_u32_e32 v7, 32, v7
	v_lshrrev_b16_e32 v6, 3, v4
	v_subrev_u32_e32 v12, 28, v7
	v_and_b32_e32 v6, 15, v6
	v_lshlrev_b32_e32 v12, v12, v4
	v_sub_u32_e32 v7, 29, v7
	v_and_b32_e32 v12, 7, v12
	v_cmp_eq_u16_e32 vcc, 0, v6
	v_cndmask_b32_e32 v3, v3, v12, vcc
	v_cndmask_b32_e32 v6, v6, v7, vcc
	v_lshlrev_b32_e32 v7, 24, v4
	v_mov_b32_e32 v12, 0x3b800000
	v_lshlrev_b32_e32 v3, 20, v3
	v_and_b32_e32 v7, 0x80000000, v7
	v_lshl_add_u32 v6, v6, 23, v12
	v_or3_b32 v3, v7, v6, v3
.LBB3_840:
	s_or_b64 exec, exec, s[6:7]
	s_nop 0
	v_mfma_f32_16x16x4f32 a[0:3], v2, v3, a[0:3]
	v_lshrrev_b32_e32 v3, 8, v8
	s_movk_i32 s4, 0x7f
	v_cmp_gt_i16_sdwa s[6:7], v3, s4 src0_sel:BYTE_0 src1_sel:DWORD
	s_mov_b64 s[4:5], 0
                                        ; implicit-def: $sgpr10
	s_and_saveexec_b64 s[8:9], s[6:7]
	s_xor_b64 s[6:7], exec, s[8:9]
	s_cbranch_execnz .LBB3_2889
; %bb.841:
	s_or_saveexec_b64 s[6:7], s[6:7]
	v_mov_b32_e32 v2, s10
	s_xor_b64 exec, exec, s[6:7]
	s_cbranch_execnz .LBB3_2892
.LBB3_842:
	s_or_b64 exec, exec, s[6:7]
	s_and_saveexec_b64 s[6:7], s[4:5]
	s_cbranch_execz .LBB3_844
.LBB3_843:
	v_bfe_u32 v2, v8, 8, 3
	v_ffbh_u32_e32 v7, v2
	v_min_u32_e32 v7, 32, v7
	v_lshrrev_b16_e32 v6, 3, v3
	v_subrev_u32_e32 v12, 28, v7
	v_and_b32_e32 v6, 15, v6
	v_lshlrev_b32_e32 v3, v12, v3
	v_sub_u32_e32 v7, 29, v7
	v_and_b32_e32 v3, 7, v3
	v_cmp_eq_u16_e32 vcc, 0, v6
	v_cndmask_b32_e32 v2, v2, v3, vcc
	v_cndmask_b32_e32 v3, v6, v7, vcc
	v_lshlrev_b32_e32 v6, 16, v8
	v_mov_b32_e32 v7, 0x3b800000
	v_lshlrev_b32_e32 v2, 20, v2
	v_and_b32_e32 v6, 0x80000000, v6
	v_lshl_add_u32 v3, v3, 23, v7
	v_or3_b32 v2, v6, v3, v2
.LBB3_844:
	s_or_b64 exec, exec, s[6:7]
	v_lshrrev_b32_e32 v3, 8, v4
	s_movk_i32 s4, 0x7f
	v_cmp_gt_i16_sdwa s[6:7], v3, s4 src0_sel:BYTE_0 src1_sel:DWORD
	s_mov_b64 s[4:5], 0
                                        ; implicit-def: $sgpr10
	s_and_saveexec_b64 s[8:9], s[6:7]
	s_xor_b64 s[6:7], exec, s[8:9]
	s_cbranch_execnz .LBB3_2893
; %bb.845:
	s_or_saveexec_b64 s[6:7], s[6:7]
	v_mov_b32_e32 v6, s10
	s_xor_b64 exec, exec, s[6:7]
	s_cbranch_execnz .LBB3_2896
.LBB3_846:
	s_or_b64 exec, exec, s[6:7]
	s_and_saveexec_b64 s[6:7], s[4:5]
	s_cbranch_execz .LBB3_848
.LBB3_847:
	v_bfe_u32 v6, v4, 8, 3
	v_ffbh_u32_e32 v12, v6
	v_min_u32_e32 v12, 32, v12
	v_lshrrev_b16_e32 v7, 3, v3
	v_subrev_u32_e32 v13, 28, v12
	v_and_b32_e32 v7, 15, v7
	v_lshlrev_b32_e32 v3, v13, v3
	v_sub_u32_e32 v12, 29, v12
	v_and_b32_e32 v3, 7, v3
	v_cmp_eq_u16_e32 vcc, 0, v7
	v_cndmask_b32_e32 v3, v6, v3, vcc
	v_cndmask_b32_e32 v6, v7, v12, vcc
	v_lshlrev_b32_e32 v7, 16, v4
	v_mov_b32_e32 v12, 0x3b800000
	v_lshlrev_b32_e32 v3, 20, v3
	v_and_b32_e32 v7, 0x80000000, v7
	v_lshl_add_u32 v6, v6, 23, v12
	v_or3_b32 v6, v7, v6, v3
.LBB3_848:
	s_or_b64 exec, exec, s[6:7]
	s_nop 0
	v_mfma_f32_16x16x4f32 a[0:3], v2, v6, a[0:3]
	s_movk_i32 s4, 0xff
	v_and_b32_sdwa v3, v8, s4 dst_sel:DWORD dst_unused:UNUSED_PAD src0_sel:WORD_1 src1_sel:DWORD
	s_movk_i32 s4, 0x7f
	v_cmp_lt_i16_e32 vcc, s4, v3
	s_mov_b64 s[4:5], 0
                                        ; implicit-def: $sgpr10
	s_and_saveexec_b64 s[6:7], vcc
	s_xor_b64 s[6:7], exec, s[6:7]
	s_cbranch_execnz .LBB3_2897
; %bb.849:
	s_or_saveexec_b64 s[6:7], s[6:7]
	v_mov_b32_e32 v2, s10
	s_xor_b64 exec, exec, s[6:7]
	s_cbranch_execnz .LBB3_2900
.LBB3_850:
	s_or_b64 exec, exec, s[6:7]
	s_and_saveexec_b64 s[6:7], s[4:5]
	s_cbranch_execz .LBB3_852
.LBB3_851:
	v_bfe_u32 v2, v8, 16, 3
	v_ffbh_u32_e32 v7, v2
	v_min_u32_e32 v7, 32, v7
	v_lshrrev_b32_e32 v3, 19, v8
	v_subrev_u32_e32 v12, 28, v7
	v_and_b32_e32 v3, 15, v3
	v_lshlrev_b32_sdwa v12, v12, v8 dst_sel:DWORD dst_unused:UNUSED_PAD src0_sel:DWORD src1_sel:WORD_1
	v_bfe_u32 v6, v8, 19, 4
	v_sub_u32_e32 v7, 29, v7
	v_and_b32_e32 v12, 7, v12
	v_cmp_eq_u16_e32 vcc, 0, v3
	v_cndmask_b32_e32 v2, v2, v12, vcc
	v_cndmask_b32_e32 v3, v6, v7, vcc
	v_lshlrev_b32_e32 v6, 8, v8
	v_mov_b32_e32 v7, 0x3b800000
	v_lshlrev_b32_e32 v2, 20, v2
	v_and_b32_e32 v6, 0x80000000, v6
	v_lshl_add_u32 v3, v3, 23, v7
	v_or3_b32 v2, v6, v3, v2
.LBB3_852:
	s_or_b64 exec, exec, s[6:7]
	s_movk_i32 s4, 0xff
	v_and_b32_sdwa v3, v4, s4 dst_sel:DWORD dst_unused:UNUSED_PAD src0_sel:WORD_1 src1_sel:DWORD
	s_movk_i32 s4, 0x7f
	v_cmp_lt_i16_e32 vcc, s4, v3
	s_mov_b64 s[4:5], 0
                                        ; implicit-def: $sgpr10
	s_and_saveexec_b64 s[6:7], vcc
	s_xor_b64 s[6:7], exec, s[6:7]
	s_cbranch_execnz .LBB3_2901
; %bb.853:
	s_or_saveexec_b64 s[6:7], s[6:7]
	v_mov_b32_e32 v6, s10
	s_xor_b64 exec, exec, s[6:7]
	s_cbranch_execnz .LBB3_2904
.LBB3_854:
	s_or_b64 exec, exec, s[6:7]
	s_and_saveexec_b64 s[6:7], s[4:5]
	s_cbranch_execz .LBB3_856
.LBB3_855:
	v_bfe_u32 v3, v4, 16, 3
	v_ffbh_u32_e32 v12, v3
	v_min_u32_e32 v12, 32, v12
	v_lshrrev_b32_e32 v6, 19, v4
	v_subrev_u32_e32 v13, 28, v12
	v_and_b32_e32 v6, 15, v6
	v_lshlrev_b32_sdwa v13, v13, v4 dst_sel:DWORD dst_unused:UNUSED_PAD src0_sel:DWORD src1_sel:WORD_1
	v_bfe_u32 v7, v4, 19, 4
	v_sub_u32_e32 v12, 29, v12
	v_and_b32_e32 v13, 7, v13
	v_cmp_eq_u16_e32 vcc, 0, v6
	v_cndmask_b32_e32 v3, v3, v13, vcc
	v_cndmask_b32_e32 v6, v7, v12, vcc
	v_lshlrev_b32_e32 v7, 8, v4
	v_mov_b32_e32 v12, 0x3b800000
	v_lshlrev_b32_e32 v3, 20, v3
	v_and_b32_e32 v7, 0x80000000, v7
	v_lshl_add_u32 v6, v6, 23, v12
	v_or3_b32 v6, v7, v6, v3
.LBB3_856:
	s_or_b64 exec, exec, s[6:7]
	s_nop 0
	v_mfma_f32_16x16x4f32 a[0:3], v2, v6, a[0:3]
	s_movk_i32 s4, 0x7f
	v_cmp_gt_i16_sdwa s[6:7], v8, s4 src0_sel:BYTE_3 src1_sel:DWORD
	s_mov_b64 s[4:5], 0
                                        ; implicit-def: $sgpr10
	s_and_saveexec_b64 s[8:9], s[6:7]
	s_xor_b64 s[6:7], exec, s[8:9]
	s_cbranch_execnz .LBB3_2905
; %bb.857:
	s_or_saveexec_b64 s[6:7], s[6:7]
	v_mov_b32_e32 v2, s10
	s_xor_b64 exec, exec, s[6:7]
	s_cbranch_execnz .LBB3_2908
.LBB3_858:
	s_or_b64 exec, exec, s[6:7]
	s_and_saveexec_b64 s[6:7], s[4:5]
	s_cbranch_execz .LBB3_860
.LBB3_859:
	v_bfe_u32 v2, v8, 24, 3
	v_ffbh_u32_e32 v12, v2
	v_min_u32_e32 v12, 32, v12
	v_lshrrev_b32_e32 v6, 27, v8
	v_subrev_u32_e32 v13, 28, v12
	v_and_b32_e32 v3, 0x80000000, v8
	v_and_b32_e32 v6, 15, v6
	v_bfe_u32 v7, v8, 27, 4
	v_lshlrev_b32_sdwa v8, v13, v8 dst_sel:DWORD dst_unused:UNUSED_PAD src0_sel:DWORD src1_sel:BYTE_3
	v_sub_u32_e32 v12, 29, v12
	v_and_b32_e32 v8, 7, v8
	v_cmp_eq_u16_e32 vcc, 0, v6
	v_cndmask_b32_e32 v2, v2, v8, vcc
	v_cndmask_b32_e32 v6, v7, v12, vcc
	v_mov_b32_e32 v7, 0x3b800000
	v_lshlrev_b32_e32 v2, 20, v2
	v_lshl_add_u32 v6, v6, 23, v7
	v_or3_b32 v2, v3, v6, v2
.LBB3_860:
	s_or_b64 exec, exec, s[6:7]
	s_movk_i32 s4, 0x7f
	v_cmp_gt_i16_sdwa s[6:7], v4, s4 src0_sel:BYTE_3 src1_sel:DWORD
	s_mov_b64 s[4:5], 0
                                        ; implicit-def: $sgpr10
	s_and_saveexec_b64 s[8:9], s[6:7]
	s_xor_b64 s[6:7], exec, s[8:9]
	s_cbranch_execnz .LBB3_2909
; %bb.861:
	s_or_saveexec_b64 s[6:7], s[6:7]
	v_mov_b32_e32 v3, s10
	s_xor_b64 exec, exec, s[6:7]
	s_cbranch_execnz .LBB3_2912
.LBB3_862:
	s_or_b64 exec, exec, s[6:7]
	s_and_saveexec_b64 s[6:7], s[4:5]
	s_cbranch_execz .LBB3_864
.LBB3_863:
	v_bfe_u32 v3, v4, 24, 3
	v_ffbh_u32_e32 v12, v3
	v_min_u32_e32 v12, 32, v12
	v_lshrrev_b32_e32 v7, 27, v4
	v_subrev_u32_e32 v13, 28, v12
	v_and_b32_e32 v6, 0x80000000, v4
	v_and_b32_e32 v7, 15, v7
	v_bfe_u32 v8, v4, 27, 4
	v_lshlrev_b32_sdwa v4, v13, v4 dst_sel:DWORD dst_unused:UNUSED_PAD src0_sel:DWORD src1_sel:BYTE_3
	v_sub_u32_e32 v12, 29, v12
	v_and_b32_e32 v4, 7, v4
	v_cmp_eq_u16_e32 vcc, 0, v7
	v_cndmask_b32_e32 v3, v3, v4, vcc
	v_cndmask_b32_e32 v4, v8, v12, vcc
	v_mov_b32_e32 v7, 0x3b800000
	v_lshlrev_b32_e32 v3, 20, v3
	v_lshl_add_u32 v4, v4, 23, v7
	v_or3_b32 v3, v6, v4, v3
.LBB3_864:
	s_or_b64 exec, exec, s[6:7]
	s_nop 0
	v_mfma_f32_16x16x4f32 a[0:3], v2, v3, a[0:3]
	s_movk_i32 s4, 0x7f
	v_cmp_gt_i16_sdwa s[6:7], v9, s4 src0_sel:BYTE_0 src1_sel:DWORD
	s_mov_b64 s[4:5], 0
                                        ; implicit-def: $sgpr10
	s_and_saveexec_b64 s[8:9], s[6:7]
	s_xor_b64 s[6:7], exec, s[8:9]
	s_cbranch_execnz .LBB3_2913
; %bb.865:
	s_or_saveexec_b64 s[6:7], s[6:7]
	v_mov_b32_e32 v2, s10
	s_xor_b64 exec, exec, s[6:7]
	s_cbranch_execnz .LBB3_2916
.LBB3_866:
	s_or_b64 exec, exec, s[6:7]
	s_and_saveexec_b64 s[6:7], s[4:5]
	s_cbranch_execz .LBB3_868
.LBB3_867:
	v_mov_b32_e32 v2, 8
	v_and_b32_e32 v3, 7, v9
	v_lshrrev_b32_sdwa v2, v2, v9 dst_sel:BYTE_1 dst_unused:UNUSED_PAD src0_sel:DWORD src1_sel:DWORD
	v_ffbh_u32_e32 v4, v3
	v_or_b32_sdwa v2, v9, v2 dst_sel:DWORD dst_unused:UNUSED_PAD src0_sel:BYTE_0 src1_sel:DWORD
	v_min_u32_e32 v4, 32, v4
	v_lshrrev_b16_e32 v2, 3, v2
	v_subrev_u32_e32 v6, 28, v4
	v_and_b32_e32 v2, 15, v2
	v_lshlrev_b32_e32 v6, v6, v9
	v_sub_u32_e32 v4, 29, v4
	v_and_b32_e32 v6, 7, v6
	v_cmp_eq_u16_e32 vcc, 0, v2
	v_cndmask_b32_e32 v3, v3, v6, vcc
	v_cndmask_b32_e32 v2, v2, v4, vcc
	v_lshlrev_b32_e32 v4, 24, v9
	v_mov_b32_e32 v6, 0x3b800000
	v_lshlrev_b32_e32 v3, 20, v3
	v_and_b32_e32 v4, 0x80000000, v4
	v_lshl_add_u32 v2, v2, 23, v6
	v_or3_b32 v2, v4, v2, v3
.LBB3_868:
	s_or_b64 exec, exec, s[6:7]
	s_movk_i32 s4, 0x7f
	v_cmp_gt_i16_sdwa s[6:7], v5, s4 src0_sel:BYTE_0 src1_sel:DWORD
	s_mov_b64 s[4:5], 0
                                        ; implicit-def: $sgpr10
	s_and_saveexec_b64 s[8:9], s[6:7]
	s_xor_b64 s[6:7], exec, s[8:9]
	s_cbranch_execnz .LBB3_2917
; %bb.869:
	s_or_saveexec_b64 s[6:7], s[6:7]
	v_mov_b32_e32 v3, s10
	s_xor_b64 exec, exec, s[6:7]
	s_cbranch_execnz .LBB3_2920
.LBB3_870:
	s_or_b64 exec, exec, s[6:7]
	s_and_saveexec_b64 s[6:7], s[4:5]
	s_cbranch_execz .LBB3_872
.LBB3_871:
	v_mov_b32_e32 v3, 8
	v_and_b32_e32 v4, 7, v5
	v_lshrrev_b32_sdwa v3, v3, v5 dst_sel:BYTE_1 dst_unused:UNUSED_PAD src0_sel:DWORD src1_sel:DWORD
	v_ffbh_u32_e32 v6, v4
	v_or_b32_sdwa v3, v5, v3 dst_sel:DWORD dst_unused:UNUSED_PAD src0_sel:BYTE_0 src1_sel:DWORD
	v_min_u32_e32 v6, 32, v6
	v_lshrrev_b16_e32 v3, 3, v3
	v_subrev_u32_e32 v7, 28, v6
	v_and_b32_e32 v3, 15, v3
	v_lshlrev_b32_e32 v7, v7, v5
	v_sub_u32_e32 v6, 29, v6
	v_and_b32_e32 v7, 7, v7
	v_cmp_eq_u16_e32 vcc, 0, v3
	v_cndmask_b32_e32 v4, v4, v7, vcc
	v_cndmask_b32_e32 v3, v3, v6, vcc
	v_lshlrev_b32_e32 v6, 24, v5
	v_mov_b32_e32 v7, 0x3b800000
	v_lshlrev_b32_e32 v4, 20, v4
	v_and_b32_e32 v6, 0x80000000, v6
	v_lshl_add_u32 v3, v3, 23, v7
	v_or3_b32 v3, v6, v3, v4
.LBB3_872:
	s_or_b64 exec, exec, s[6:7]
	s_nop 0
	v_mfma_f32_16x16x4f32 a[0:3], v2, v3, a[0:3]
	v_lshrrev_b32_e32 v3, 8, v9
	s_movk_i32 s4, 0x7f
	v_cmp_gt_i16_sdwa s[6:7], v3, s4 src0_sel:BYTE_0 src1_sel:DWORD
	s_mov_b64 s[4:5], 0
                                        ; implicit-def: $sgpr10
	s_and_saveexec_b64 s[8:9], s[6:7]
	s_xor_b64 s[6:7], exec, s[8:9]
	s_cbranch_execnz .LBB3_2921
; %bb.873:
	s_or_saveexec_b64 s[6:7], s[6:7]
	v_mov_b32_e32 v2, s10
	s_xor_b64 exec, exec, s[6:7]
	s_cbranch_execnz .LBB3_2924
.LBB3_874:
	s_or_b64 exec, exec, s[6:7]
	s_and_saveexec_b64 s[6:7], s[4:5]
	s_cbranch_execz .LBB3_876
.LBB3_875:
	v_bfe_u32 v2, v9, 8, 3
	v_ffbh_u32_e32 v6, v2
	v_min_u32_e32 v6, 32, v6
	v_lshrrev_b16_e32 v4, 3, v3
	v_subrev_u32_e32 v7, 28, v6
	v_and_b32_e32 v4, 15, v4
	v_lshlrev_b32_e32 v3, v7, v3
	v_sub_u32_e32 v6, 29, v6
	v_and_b32_e32 v3, 7, v3
	v_cmp_eq_u16_e32 vcc, 0, v4
	v_cndmask_b32_e32 v2, v2, v3, vcc
	v_cndmask_b32_e32 v3, v4, v6, vcc
	v_lshlrev_b32_e32 v4, 16, v9
	v_mov_b32_e32 v6, 0x3b800000
	v_lshlrev_b32_e32 v2, 20, v2
	v_and_b32_e32 v4, 0x80000000, v4
	v_lshl_add_u32 v3, v3, 23, v6
	v_or3_b32 v2, v4, v3, v2
.LBB3_876:
	s_or_b64 exec, exec, s[6:7]
	v_lshrrev_b32_e32 v3, 8, v5
	s_movk_i32 s4, 0x7f
	v_cmp_gt_i16_sdwa s[6:7], v3, s4 src0_sel:BYTE_0 src1_sel:DWORD
	s_mov_b64 s[4:5], 0
                                        ; implicit-def: $sgpr10
	s_and_saveexec_b64 s[8:9], s[6:7]
	s_xor_b64 s[6:7], exec, s[8:9]
	s_cbranch_execnz .LBB3_2925
; %bb.877:
	s_or_saveexec_b64 s[6:7], s[6:7]
	v_mov_b32_e32 v4, s10
	s_xor_b64 exec, exec, s[6:7]
	s_cbranch_execnz .LBB3_2928
.LBB3_878:
	s_or_b64 exec, exec, s[6:7]
	s_and_saveexec_b64 s[6:7], s[4:5]
	s_cbranch_execz .LBB3_880
.LBB3_879:
	v_bfe_u32 v4, v5, 8, 3
	v_ffbh_u32_e32 v7, v4
	v_min_u32_e32 v7, 32, v7
	v_lshrrev_b16_e32 v6, 3, v3
	v_subrev_u32_e32 v8, 28, v7
	v_and_b32_e32 v6, 15, v6
	v_lshlrev_b32_e32 v3, v8, v3
	v_sub_u32_e32 v7, 29, v7
	v_and_b32_e32 v3, 7, v3
	v_cmp_eq_u16_e32 vcc, 0, v6
	v_cndmask_b32_e32 v3, v4, v3, vcc
	v_cndmask_b32_e32 v4, v6, v7, vcc
	v_lshlrev_b32_e32 v6, 16, v5
	v_mov_b32_e32 v7, 0x3b800000
	v_lshlrev_b32_e32 v3, 20, v3
	v_and_b32_e32 v6, 0x80000000, v6
	v_lshl_add_u32 v4, v4, 23, v7
	v_or3_b32 v4, v6, v4, v3
.LBB3_880:
	s_or_b64 exec, exec, s[6:7]
	s_nop 0
	v_mfma_f32_16x16x4f32 a[0:3], v2, v4, a[0:3]
	s_movk_i32 s4, 0xff
	v_and_b32_sdwa v3, v9, s4 dst_sel:DWORD dst_unused:UNUSED_PAD src0_sel:WORD_1 src1_sel:DWORD
	s_movk_i32 s4, 0x7f
	v_cmp_lt_i16_e32 vcc, s4, v3
	s_mov_b64 s[4:5], 0
                                        ; implicit-def: $sgpr10
	s_and_saveexec_b64 s[6:7], vcc
	s_xor_b64 s[6:7], exec, s[6:7]
	s_cbranch_execnz .LBB3_2929
; %bb.881:
	s_or_saveexec_b64 s[6:7], s[6:7]
	v_mov_b32_e32 v2, s10
	s_xor_b64 exec, exec, s[6:7]
	s_cbranch_execnz .LBB3_2932
.LBB3_882:
	s_or_b64 exec, exec, s[6:7]
	s_and_saveexec_b64 s[6:7], s[4:5]
	s_cbranch_execz .LBB3_884
.LBB3_883:
	v_bfe_u32 v2, v9, 16, 3
	v_ffbh_u32_e32 v6, v2
	v_min_u32_e32 v6, 32, v6
	v_lshrrev_b32_e32 v3, 19, v9
	v_subrev_u32_e32 v7, 28, v6
	v_and_b32_e32 v3, 15, v3
	v_lshlrev_b32_sdwa v7, v7, v9 dst_sel:DWORD dst_unused:UNUSED_PAD src0_sel:DWORD src1_sel:WORD_1
	v_bfe_u32 v4, v9, 19, 4
	v_sub_u32_e32 v6, 29, v6
	v_and_b32_e32 v7, 7, v7
	v_cmp_eq_u16_e32 vcc, 0, v3
	v_cndmask_b32_e32 v2, v2, v7, vcc
	v_cndmask_b32_e32 v3, v4, v6, vcc
	v_lshlrev_b32_e32 v4, 8, v9
	v_mov_b32_e32 v6, 0x3b800000
	v_lshlrev_b32_e32 v2, 20, v2
	v_and_b32_e32 v4, 0x80000000, v4
	v_lshl_add_u32 v3, v3, 23, v6
	v_or3_b32 v2, v4, v3, v2
.LBB3_884:
	s_or_b64 exec, exec, s[6:7]
	s_movk_i32 s4, 0xff
	v_and_b32_sdwa v3, v5, s4 dst_sel:DWORD dst_unused:UNUSED_PAD src0_sel:WORD_1 src1_sel:DWORD
	s_movk_i32 s4, 0x7f
	v_cmp_lt_i16_e32 vcc, s4, v3
	s_mov_b64 s[4:5], 0
                                        ; implicit-def: $sgpr10
	s_and_saveexec_b64 s[6:7], vcc
	s_xor_b64 s[6:7], exec, s[6:7]
	s_cbranch_execnz .LBB3_2933
; %bb.885:
	s_or_saveexec_b64 s[6:7], s[6:7]
	v_mov_b32_e32 v4, s10
	s_xor_b64 exec, exec, s[6:7]
	s_cbranch_execnz .LBB3_2936
.LBB3_886:
	s_or_b64 exec, exec, s[6:7]
	s_and_saveexec_b64 s[6:7], s[4:5]
	s_cbranch_execz .LBB3_888
.LBB3_887:
	v_bfe_u32 v3, v5, 16, 3
	v_ffbh_u32_e32 v7, v3
	v_min_u32_e32 v7, 32, v7
	v_lshrrev_b32_e32 v4, 19, v5
	v_subrev_u32_e32 v8, 28, v7
	v_and_b32_e32 v4, 15, v4
	v_lshlrev_b32_sdwa v8, v8, v5 dst_sel:DWORD dst_unused:UNUSED_PAD src0_sel:DWORD src1_sel:WORD_1
	v_bfe_u32 v6, v5, 19, 4
	v_sub_u32_e32 v7, 29, v7
	v_and_b32_e32 v8, 7, v8
	v_cmp_eq_u16_e32 vcc, 0, v4
	v_cndmask_b32_e32 v3, v3, v8, vcc
	v_cndmask_b32_e32 v4, v6, v7, vcc
	v_lshlrev_b32_e32 v6, 8, v5
	v_mov_b32_e32 v7, 0x3b800000
	v_lshlrev_b32_e32 v3, 20, v3
	v_and_b32_e32 v6, 0x80000000, v6
	v_lshl_add_u32 v4, v4, 23, v7
	v_or3_b32 v4, v6, v4, v3
.LBB3_888:
	s_or_b64 exec, exec, s[6:7]
	s_nop 0
	v_mfma_f32_16x16x4f32 a[0:3], v2, v4, a[0:3]
	s_movk_i32 s4, 0x7f
	v_cmp_gt_i16_sdwa s[6:7], v9, s4 src0_sel:BYTE_3 src1_sel:DWORD
	s_mov_b64 s[4:5], 0
                                        ; implicit-def: $sgpr10
	s_and_saveexec_b64 s[8:9], s[6:7]
	s_xor_b64 s[6:7], exec, s[8:9]
	s_cbranch_execnz .LBB3_2937
; %bb.889:
	s_or_saveexec_b64 s[6:7], s[6:7]
	v_mov_b32_e32 v2, s10
	s_xor_b64 exec, exec, s[6:7]
	s_cbranch_execnz .LBB3_2940
.LBB3_890:
	s_or_b64 exec, exec, s[6:7]
	s_and_saveexec_b64 s[6:7], s[4:5]
	s_cbranch_execz .LBB3_892
.LBB3_891:
	v_bfe_u32 v2, v9, 24, 3
	v_ffbh_u32_e32 v7, v2
	v_min_u32_e32 v7, 32, v7
	v_lshrrev_b32_e32 v4, 27, v9
	v_subrev_u32_e32 v8, 28, v7
	v_and_b32_e32 v4, 15, v4
	v_lshlrev_b32_sdwa v8, v8, v9 dst_sel:DWORD dst_unused:UNUSED_PAD src0_sel:DWORD src1_sel:BYTE_3
	v_bfe_u32 v6, v9, 27, 4
	v_sub_u32_e32 v7, 29, v7
	v_and_b32_e32 v8, 7, v8
	v_cmp_eq_u16_e32 vcc, 0, v4
	v_cndmask_b32_e32 v2, v2, v8, vcc
	v_cndmask_b32_e32 v4, v6, v7, vcc
	v_mov_b32_e32 v6, 0x3b800000
	v_and_b32_e32 v3, 0x80000000, v9
	v_lshlrev_b32_e32 v2, 20, v2
	v_lshl_add_u32 v4, v4, 23, v6
	v_or3_b32 v2, v3, v4, v2
.LBB3_892:
	s_or_b64 exec, exec, s[6:7]
	s_movk_i32 s4, 0x7f
	v_cmp_gt_i16_sdwa s[6:7], v5, s4 src0_sel:BYTE_3 src1_sel:DWORD
	s_mov_b64 s[4:5], 0
                                        ; implicit-def: $sgpr10
	s_and_saveexec_b64 s[8:9], s[6:7]
	s_xor_b64 s[6:7], exec, s[8:9]
	s_cbranch_execnz .LBB3_2941
; %bb.893:
	s_or_saveexec_b64 s[6:7], s[6:7]
	v_mov_b32_e32 v3, s10
	s_xor_b64 exec, exec, s[6:7]
	s_cbranch_execnz .LBB3_2944
.LBB3_894:
	s_or_b64 exec, exec, s[6:7]
	s_and_saveexec_b64 s[6:7], s[4:5]
	s_cbranch_execz .LBB3_896
.LBB3_895:
	v_bfe_u32 v3, v5, 24, 3
	v_ffbh_u32_e32 v8, v3
	v_min_u32_e32 v8, 32, v8
	v_lshrrev_b32_e32 v6, 27, v5
	v_subrev_u32_e32 v9, 28, v8
	v_and_b32_e32 v4, 0x80000000, v5
	v_and_b32_e32 v6, 15, v6
	v_bfe_u32 v7, v5, 27, 4
	v_lshlrev_b32_sdwa v5, v9, v5 dst_sel:DWORD dst_unused:UNUSED_PAD src0_sel:DWORD src1_sel:BYTE_3
	v_sub_u32_e32 v8, 29, v8
	v_and_b32_e32 v5, 7, v5
	v_cmp_eq_u16_e32 vcc, 0, v6
	v_cndmask_b32_e32 v3, v3, v5, vcc
	v_cndmask_b32_e32 v5, v7, v8, vcc
	v_mov_b32_e32 v6, 0x3b800000
	v_lshlrev_b32_e32 v3, 20, v3
	v_lshl_add_u32 v5, v5, 23, v6
	v_or3_b32 v3, v4, v5, v3
.LBB3_896:
	s_or_b64 exec, exec, s[6:7]
	s_nop 0
	v_mfma_f32_16x16x4f32 a[0:3], v2, v3, a[0:3]
	s_movk_i32 s4, 0x7f
                                        ; implicit-def: $sgpr10
	s_nop 7
	s_nop 1
	flat_store_dwordx4 v[10:11], a[0:3] offset:96
	flat_load_dwordx4 v[12:15], v[0:1] offset:8
	s_nop 0
	flat_load_dwordx2 v[10:11], v[0:1] offset:32
	s_waitcnt vmcnt(0) lgkmcnt(0)
	flat_load_dwordx4 v[6:9], v[12:13] offset:32
	flat_load_dwordx4 v[2:5], v[14:15] offset:96
	s_waitcnt vmcnt(0) lgkmcnt(0)
	v_cmp_gt_i16_sdwa s[6:7], v6, s4 src0_sel:BYTE_0 src1_sel:DWORD
	s_mov_b64 s[4:5], 0
	s_and_saveexec_b64 s[8:9], s[6:7]
	s_xor_b64 s[6:7], exec, s[8:9]
	s_cbranch_execnz .LBB3_2945
; %bb.897:
	s_or_saveexec_b64 s[6:7], s[6:7]
	v_mov_b32_e32 v12, s10
	s_xor_b64 exec, exec, s[6:7]
	s_cbranch_execnz .LBB3_2948
.LBB3_898:
	s_or_b64 exec, exec, s[6:7]
	s_and_saveexec_b64 s[6:7], s[4:5]
	s_cbranch_execz .LBB3_900
.LBB3_899:
	v_and_b32_e32 v12, 7, v6
	v_ffbh_u32_e32 v14, v12
	v_min_u32_e32 v14, 32, v14
	v_lshrrev_b16_e32 v13, 3, v6
	v_subrev_u32_e32 v15, 28, v14
	v_and_b32_e32 v13, 15, v13
	v_lshlrev_b32_e32 v15, v15, v6
	v_sub_u32_e32 v14, 29, v14
	v_and_b32_e32 v15, 7, v15
	v_cmp_eq_u16_e32 vcc, 0, v13
	v_cndmask_b32_e32 v12, v12, v15, vcc
	v_cndmask_b32_e32 v13, v13, v14, vcc
	v_lshlrev_b32_e32 v14, 24, v6
	v_mov_b32_e32 v15, 0x3b800000
	v_lshlrev_b32_e32 v12, 20, v12
	v_and_b32_e32 v14, 0x80000000, v14
	v_lshl_add_u32 v13, v13, 23, v15
	v_or3_b32 v12, v14, v13, v12
.LBB3_900:
	s_or_b64 exec, exec, s[6:7]
	s_movk_i32 s4, 0x7f
	v_cmp_gt_i16_sdwa s[6:7], v2, s4 src0_sel:BYTE_0 src1_sel:DWORD
	s_mov_b64 s[4:5], 0
                                        ; implicit-def: $sgpr10
	s_and_saveexec_b64 s[8:9], s[6:7]
	s_xor_b64 s[6:7], exec, s[8:9]
	s_cbranch_execnz .LBB3_2949
; %bb.901:
	s_or_saveexec_b64 s[6:7], s[6:7]
	v_mov_b32_e32 v13, s10
	s_xor_b64 exec, exec, s[6:7]
	s_cbranch_execnz .LBB3_2952
.LBB3_902:
	s_or_b64 exec, exec, s[6:7]
	s_and_saveexec_b64 s[6:7], s[4:5]
	s_cbranch_execz .LBB3_904
.LBB3_903:
	v_and_b32_e32 v13, 7, v2
	v_ffbh_u32_e32 v15, v13
	v_min_u32_e32 v15, 32, v15
	v_lshrrev_b16_e32 v14, 3, v2
	v_subrev_u32_e32 v16, 28, v15
	v_and_b32_e32 v14, 15, v14
	v_lshlrev_b32_e32 v16, v16, v2
	v_sub_u32_e32 v15, 29, v15
	v_and_b32_e32 v16, 7, v16
	v_cmp_eq_u16_e32 vcc, 0, v14
	v_cndmask_b32_e32 v13, v13, v16, vcc
	v_cndmask_b32_e32 v14, v14, v15, vcc
	v_lshlrev_b32_e32 v15, 24, v2
	v_mov_b32_e32 v16, 0x3b800000
	v_lshlrev_b32_e32 v13, 20, v13
	v_and_b32_e32 v15, 0x80000000, v15
	v_lshl_add_u32 v14, v14, 23, v16
	v_or3_b32 v13, v15, v14, v13
.LBB3_904:
	s_or_b64 exec, exec, s[6:7]
	flat_load_dwordx4 a[0:3], v[10:11] offset:112
	s_movk_i32 s4, 0x7f
                                        ; implicit-def: $sgpr10
	s_waitcnt vmcnt(0) lgkmcnt(0)
	v_mfma_f32_16x16x4f32 a[0:3], v12, v13, a[0:3]
	v_lshrrev_b32_e32 v13, 8, v6
	v_cmp_gt_i16_sdwa s[6:7], v13, s4 src0_sel:BYTE_0 src1_sel:DWORD
	s_mov_b64 s[4:5], 0
	s_and_saveexec_b64 s[8:9], s[6:7]
	s_xor_b64 s[6:7], exec, s[8:9]
	s_cbranch_execnz .LBB3_2953
; %bb.905:
	s_or_saveexec_b64 s[6:7], s[6:7]
	v_mov_b32_e32 v12, s10
	s_xor_b64 exec, exec, s[6:7]
	s_cbranch_execnz .LBB3_2956
.LBB3_906:
	s_or_b64 exec, exec, s[6:7]
	s_and_saveexec_b64 s[6:7], s[4:5]
	s_cbranch_execz .LBB3_908
.LBB3_907:
	v_bfe_u32 v12, v6, 8, 3
	v_ffbh_u32_e32 v15, v12
	v_min_u32_e32 v15, 32, v15
	v_lshrrev_b16_e32 v14, 3, v13
	v_subrev_u32_e32 v16, 28, v15
	v_and_b32_e32 v14, 15, v14
	v_lshlrev_b32_e32 v13, v16, v13
	v_sub_u32_e32 v15, 29, v15
	v_and_b32_e32 v13, 7, v13
	v_cmp_eq_u16_e32 vcc, 0, v14
	v_cndmask_b32_e32 v12, v12, v13, vcc
	v_cndmask_b32_e32 v13, v14, v15, vcc
	v_lshlrev_b32_e32 v14, 16, v6
	v_mov_b32_e32 v15, 0x3b800000
	v_lshlrev_b32_e32 v12, 20, v12
	v_and_b32_e32 v14, 0x80000000, v14
	v_lshl_add_u32 v13, v13, 23, v15
	v_or3_b32 v12, v14, v13, v12
.LBB3_908:
	s_or_b64 exec, exec, s[6:7]
	v_lshrrev_b32_e32 v13, 8, v2
	s_movk_i32 s4, 0x7f
	v_cmp_gt_i16_sdwa s[6:7], v13, s4 src0_sel:BYTE_0 src1_sel:DWORD
	s_mov_b64 s[4:5], 0
                                        ; implicit-def: $sgpr10
	s_and_saveexec_b64 s[8:9], s[6:7]
	s_xor_b64 s[6:7], exec, s[8:9]
	s_cbranch_execnz .LBB3_2957
; %bb.909:
	s_or_saveexec_b64 s[6:7], s[6:7]
	v_mov_b32_e32 v14, s10
	s_xor_b64 exec, exec, s[6:7]
	s_cbranch_execnz .LBB3_2960
.LBB3_910:
	s_or_b64 exec, exec, s[6:7]
	s_and_saveexec_b64 s[6:7], s[4:5]
	s_cbranch_execz .LBB3_912
.LBB3_911:
	v_bfe_u32 v14, v2, 8, 3
	v_ffbh_u32_e32 v16, v14
	v_min_u32_e32 v16, 32, v16
	v_lshrrev_b16_e32 v15, 3, v13
	v_subrev_u32_e32 v17, 28, v16
	v_and_b32_e32 v15, 15, v15
	v_lshlrev_b32_e32 v13, v17, v13
	v_sub_u32_e32 v16, 29, v16
	v_and_b32_e32 v13, 7, v13
	v_cmp_eq_u16_e32 vcc, 0, v15
	v_cndmask_b32_e32 v13, v14, v13, vcc
	v_cndmask_b32_e32 v14, v15, v16, vcc
	v_lshlrev_b32_e32 v15, 16, v2
	v_mov_b32_e32 v16, 0x3b800000
	v_lshlrev_b32_e32 v13, 20, v13
	v_and_b32_e32 v15, 0x80000000, v15
	v_lshl_add_u32 v14, v14, 23, v16
	v_or3_b32 v14, v15, v14, v13
.LBB3_912:
	s_or_b64 exec, exec, s[6:7]
	s_nop 0
	v_mfma_f32_16x16x4f32 a[0:3], v12, v14, a[0:3]
	s_movk_i32 s4, 0xff
	v_and_b32_sdwa v13, v6, s4 dst_sel:DWORD dst_unused:UNUSED_PAD src0_sel:WORD_1 src1_sel:DWORD
	s_movk_i32 s4, 0x7f
	v_cmp_lt_i16_e32 vcc, s4, v13
	s_mov_b64 s[4:5], 0
                                        ; implicit-def: $sgpr10
	s_and_saveexec_b64 s[6:7], vcc
	s_xor_b64 s[6:7], exec, s[6:7]
	s_cbranch_execnz .LBB3_2961
; %bb.913:
	s_or_saveexec_b64 s[6:7], s[6:7]
	v_mov_b32_e32 v12, s10
	s_xor_b64 exec, exec, s[6:7]
	s_cbranch_execnz .LBB3_2964
.LBB3_914:
	s_or_b64 exec, exec, s[6:7]
	s_and_saveexec_b64 s[6:7], s[4:5]
	s_cbranch_execz .LBB3_916
.LBB3_915:
	v_bfe_u32 v12, v6, 16, 3
	v_ffbh_u32_e32 v15, v12
	v_min_u32_e32 v15, 32, v15
	v_lshrrev_b32_e32 v13, 19, v6
	v_subrev_u32_e32 v16, 28, v15
	v_and_b32_e32 v13, 15, v13
	v_lshlrev_b32_sdwa v16, v16, v6 dst_sel:DWORD dst_unused:UNUSED_PAD src0_sel:DWORD src1_sel:WORD_1
	v_bfe_u32 v14, v6, 19, 4
	v_sub_u32_e32 v15, 29, v15
	v_and_b32_e32 v16, 7, v16
	v_cmp_eq_u16_e32 vcc, 0, v13
	v_cndmask_b32_e32 v12, v12, v16, vcc
	v_cndmask_b32_e32 v13, v14, v15, vcc
	v_lshlrev_b32_e32 v14, 8, v6
	v_mov_b32_e32 v15, 0x3b800000
	v_lshlrev_b32_e32 v12, 20, v12
	v_and_b32_e32 v14, 0x80000000, v14
	v_lshl_add_u32 v13, v13, 23, v15
	v_or3_b32 v12, v14, v13, v12
.LBB3_916:
	s_or_b64 exec, exec, s[6:7]
	s_movk_i32 s4, 0xff
	v_and_b32_sdwa v13, v2, s4 dst_sel:DWORD dst_unused:UNUSED_PAD src0_sel:WORD_1 src1_sel:DWORD
	s_movk_i32 s4, 0x7f
	v_cmp_lt_i16_e32 vcc, s4, v13
	s_mov_b64 s[4:5], 0
                                        ; implicit-def: $sgpr10
	s_and_saveexec_b64 s[6:7], vcc
	s_xor_b64 s[6:7], exec, s[6:7]
	s_cbranch_execnz .LBB3_2965
; %bb.917:
	s_or_saveexec_b64 s[6:7], s[6:7]
	v_mov_b32_e32 v14, s10
	s_xor_b64 exec, exec, s[6:7]
	s_cbranch_execnz .LBB3_2968
.LBB3_918:
	s_or_b64 exec, exec, s[6:7]
	s_and_saveexec_b64 s[6:7], s[4:5]
	s_cbranch_execz .LBB3_920
.LBB3_919:
	v_bfe_u32 v13, v2, 16, 3
	v_ffbh_u32_e32 v16, v13
	v_min_u32_e32 v16, 32, v16
	v_lshrrev_b32_e32 v14, 19, v2
	v_subrev_u32_e32 v17, 28, v16
	v_and_b32_e32 v14, 15, v14
	v_lshlrev_b32_sdwa v17, v17, v2 dst_sel:DWORD dst_unused:UNUSED_PAD src0_sel:DWORD src1_sel:WORD_1
	v_bfe_u32 v15, v2, 19, 4
	v_sub_u32_e32 v16, 29, v16
	v_and_b32_e32 v17, 7, v17
	v_cmp_eq_u16_e32 vcc, 0, v14
	v_cndmask_b32_e32 v13, v13, v17, vcc
	v_cndmask_b32_e32 v14, v15, v16, vcc
	v_lshlrev_b32_e32 v15, 8, v2
	v_mov_b32_e32 v16, 0x3b800000
	v_lshlrev_b32_e32 v13, 20, v13
	v_and_b32_e32 v15, 0x80000000, v15
	v_lshl_add_u32 v14, v14, 23, v16
	v_or3_b32 v14, v15, v14, v13
.LBB3_920:
	s_or_b64 exec, exec, s[6:7]
	s_nop 0
	v_mfma_f32_16x16x4f32 a[0:3], v12, v14, a[0:3]
	s_movk_i32 s4, 0x7f
	v_cmp_gt_i16_sdwa s[6:7], v6, s4 src0_sel:BYTE_3 src1_sel:DWORD
	s_mov_b64 s[4:5], 0
                                        ; implicit-def: $sgpr10
	s_and_saveexec_b64 s[8:9], s[6:7]
	s_xor_b64 s[6:7], exec, s[8:9]
	s_cbranch_execnz .LBB3_2969
; %bb.921:
	s_or_saveexec_b64 s[6:7], s[6:7]
	v_mov_b32_e32 v12, s10
	s_xor_b64 exec, exec, s[6:7]
	s_cbranch_execnz .LBB3_2972
.LBB3_922:
	s_or_b64 exec, exec, s[6:7]
	s_and_saveexec_b64 s[6:7], s[4:5]
	s_cbranch_execz .LBB3_924
.LBB3_923:
	v_bfe_u32 v12, v6, 24, 3
	v_ffbh_u32_e32 v16, v12
	v_min_u32_e32 v16, 32, v16
	v_lshrrev_b32_e32 v14, 27, v6
	v_subrev_u32_e32 v17, 28, v16
	v_and_b32_e32 v13, 0x80000000, v6
	v_and_b32_e32 v14, 15, v14
	v_bfe_u32 v15, v6, 27, 4
	v_lshlrev_b32_sdwa v6, v17, v6 dst_sel:DWORD dst_unused:UNUSED_PAD src0_sel:DWORD src1_sel:BYTE_3
	v_sub_u32_e32 v16, 29, v16
	v_and_b32_e32 v6, 7, v6
	v_cmp_eq_u16_e32 vcc, 0, v14
	v_cndmask_b32_e32 v6, v12, v6, vcc
	v_cndmask_b32_e32 v12, v15, v16, vcc
	v_mov_b32_e32 v14, 0x3b800000
	v_lshlrev_b32_e32 v6, 20, v6
	v_lshl_add_u32 v12, v12, 23, v14
	v_or3_b32 v12, v13, v12, v6
.LBB3_924:
	s_or_b64 exec, exec, s[6:7]
	s_movk_i32 s4, 0x7f
	v_cmp_gt_i16_sdwa s[6:7], v2, s4 src0_sel:BYTE_3 src1_sel:DWORD
	s_mov_b64 s[4:5], 0
                                        ; implicit-def: $sgpr10
	s_and_saveexec_b64 s[8:9], s[6:7]
	s_xor_b64 s[6:7], exec, s[8:9]
	s_cbranch_execnz .LBB3_2973
; %bb.925:
	s_or_saveexec_b64 s[6:7], s[6:7]
	v_mov_b32_e32 v6, s10
	s_xor_b64 exec, exec, s[6:7]
	s_cbranch_execnz .LBB3_2976
.LBB3_926:
	s_or_b64 exec, exec, s[6:7]
	s_and_saveexec_b64 s[6:7], s[4:5]
	s_cbranch_execz .LBB3_928
.LBB3_927:
	v_bfe_u32 v6, v2, 24, 3
	v_ffbh_u32_e32 v16, v6
	v_min_u32_e32 v16, 32, v16
	v_lshrrev_b32_e32 v14, 27, v2
	v_subrev_u32_e32 v17, 28, v16
	v_and_b32_e32 v13, 0x80000000, v2
	v_and_b32_e32 v14, 15, v14
	v_bfe_u32 v15, v2, 27, 4
	v_lshlrev_b32_sdwa v2, v17, v2 dst_sel:DWORD dst_unused:UNUSED_PAD src0_sel:DWORD src1_sel:BYTE_3
	v_sub_u32_e32 v16, 29, v16
	v_and_b32_e32 v2, 7, v2
	v_cmp_eq_u16_e32 vcc, 0, v14
	v_cndmask_b32_e32 v2, v6, v2, vcc
	v_cndmask_b32_e32 v6, v15, v16, vcc
	v_mov_b32_e32 v14, 0x3b800000
	v_lshlrev_b32_e32 v2, 20, v2
	v_lshl_add_u32 v6, v6, 23, v14
	v_or3_b32 v6, v13, v6, v2
.LBB3_928:
	s_or_b64 exec, exec, s[6:7]
	s_nop 0
	v_mfma_f32_16x16x4f32 a[0:3], v12, v6, a[0:3]
	s_movk_i32 s4, 0x7f
	v_cmp_gt_i16_sdwa s[6:7], v7, s4 src0_sel:BYTE_0 src1_sel:DWORD
	s_mov_b64 s[4:5], 0
                                        ; implicit-def: $sgpr10
	s_and_saveexec_b64 s[8:9], s[6:7]
	s_xor_b64 s[6:7], exec, s[8:9]
	s_cbranch_execnz .LBB3_2977
; %bb.929:
	s_or_saveexec_b64 s[6:7], s[6:7]
	v_mov_b32_e32 v2, s10
	s_xor_b64 exec, exec, s[6:7]
	s_cbranch_execnz .LBB3_2980
.LBB3_930:
	s_or_b64 exec, exec, s[6:7]
	s_and_saveexec_b64 s[6:7], s[4:5]
	s_cbranch_execz .LBB3_932
.LBB3_931:
	v_and_b32_e32 v2, 7, v7
	v_ffbh_u32_e32 v12, v2
	v_min_u32_e32 v12, 32, v12
	v_lshrrev_b16_e32 v6, 3, v7
	v_subrev_u32_e32 v13, 28, v12
	v_and_b32_e32 v6, 15, v6
	v_lshlrev_b32_e32 v13, v13, v7
	v_sub_u32_e32 v12, 29, v12
	v_and_b32_e32 v13, 7, v13
	v_cmp_eq_u16_e32 vcc, 0, v6
	v_cndmask_b32_e32 v2, v2, v13, vcc
	v_cndmask_b32_e32 v6, v6, v12, vcc
	v_lshlrev_b32_e32 v12, 24, v7
	v_mov_b32_e32 v13, 0x3b800000
	v_lshlrev_b32_e32 v2, 20, v2
	v_and_b32_e32 v12, 0x80000000, v12
	v_lshl_add_u32 v6, v6, 23, v13
	v_or3_b32 v2, v12, v6, v2
.LBB3_932:
	s_or_b64 exec, exec, s[6:7]
	s_movk_i32 s4, 0x7f
	v_cmp_gt_i16_sdwa s[6:7], v3, s4 src0_sel:BYTE_0 src1_sel:DWORD
	s_mov_b64 s[4:5], 0
                                        ; implicit-def: $sgpr10
	s_and_saveexec_b64 s[8:9], s[6:7]
	s_xor_b64 s[6:7], exec, s[8:9]
	s_cbranch_execnz .LBB3_2981
; %bb.933:
	s_or_saveexec_b64 s[6:7], s[6:7]
	v_mov_b32_e32 v6, s10
	s_xor_b64 exec, exec, s[6:7]
	s_cbranch_execnz .LBB3_2984
.LBB3_934:
	s_or_b64 exec, exec, s[6:7]
	s_and_saveexec_b64 s[6:7], s[4:5]
	s_cbranch_execz .LBB3_936
.LBB3_935:
	v_and_b32_e32 v6, 7, v3
	v_ffbh_u32_e32 v13, v6
	v_min_u32_e32 v13, 32, v13
	v_lshrrev_b16_e32 v12, 3, v3
	v_subrev_u32_e32 v14, 28, v13
	v_and_b32_e32 v12, 15, v12
	v_lshlrev_b32_e32 v14, v14, v3
	v_sub_u32_e32 v13, 29, v13
	v_and_b32_e32 v14, 7, v14
	v_cmp_eq_u16_e32 vcc, 0, v12
	v_cndmask_b32_e32 v6, v6, v14, vcc
	v_cndmask_b32_e32 v12, v12, v13, vcc
	v_lshlrev_b32_e32 v13, 24, v3
	v_mov_b32_e32 v14, 0x3b800000
	v_lshlrev_b32_e32 v6, 20, v6
	v_and_b32_e32 v13, 0x80000000, v13
	v_lshl_add_u32 v12, v12, 23, v14
	v_or3_b32 v6, v13, v12, v6
.LBB3_936:
	s_or_b64 exec, exec, s[6:7]
	s_nop 0
	v_mfma_f32_16x16x4f32 a[0:3], v2, v6, a[0:3]
	v_lshrrev_b32_e32 v6, 8, v7
	s_movk_i32 s4, 0x7f
	v_cmp_gt_i16_sdwa s[6:7], v6, s4 src0_sel:BYTE_0 src1_sel:DWORD
	s_mov_b64 s[4:5], 0
                                        ; implicit-def: $sgpr10
	s_and_saveexec_b64 s[8:9], s[6:7]
	s_xor_b64 s[6:7], exec, s[8:9]
	s_cbranch_execnz .LBB3_2985
; %bb.937:
	s_or_saveexec_b64 s[6:7], s[6:7]
	v_mov_b32_e32 v2, s10
	s_xor_b64 exec, exec, s[6:7]
	s_cbranch_execnz .LBB3_2988
.LBB3_938:
	s_or_b64 exec, exec, s[6:7]
	s_and_saveexec_b64 s[6:7], s[4:5]
	s_cbranch_execz .LBB3_940
.LBB3_939:
	v_bfe_u32 v2, v7, 8, 3
	v_ffbh_u32_e32 v13, v2
	v_min_u32_e32 v13, 32, v13
	v_lshrrev_b16_e32 v12, 3, v6
	v_subrev_u32_e32 v14, 28, v13
	v_and_b32_e32 v12, 15, v12
	v_lshlrev_b32_e32 v6, v14, v6
	v_sub_u32_e32 v13, 29, v13
	v_and_b32_e32 v6, 7, v6
	v_cmp_eq_u16_e32 vcc, 0, v12
	v_cndmask_b32_e32 v2, v2, v6, vcc
	v_cndmask_b32_e32 v6, v12, v13, vcc
	v_lshlrev_b32_e32 v12, 16, v7
	v_mov_b32_e32 v13, 0x3b800000
	v_lshlrev_b32_e32 v2, 20, v2
	v_and_b32_e32 v12, 0x80000000, v12
	v_lshl_add_u32 v6, v6, 23, v13
	v_or3_b32 v2, v12, v6, v2
.LBB3_940:
	s_or_b64 exec, exec, s[6:7]
	v_lshrrev_b32_e32 v6, 8, v3
	s_movk_i32 s4, 0x7f
	v_cmp_gt_i16_sdwa s[6:7], v6, s4 src0_sel:BYTE_0 src1_sel:DWORD
	s_mov_b64 s[4:5], 0
                                        ; implicit-def: $sgpr10
	s_and_saveexec_b64 s[8:9], s[6:7]
	s_xor_b64 s[6:7], exec, s[8:9]
	s_cbranch_execnz .LBB3_2989
; %bb.941:
	s_or_saveexec_b64 s[6:7], s[6:7]
	v_mov_b32_e32 v12, s10
	s_xor_b64 exec, exec, s[6:7]
	s_cbranch_execnz .LBB3_2992
.LBB3_942:
	s_or_b64 exec, exec, s[6:7]
	s_and_saveexec_b64 s[6:7], s[4:5]
	s_cbranch_execz .LBB3_944
.LBB3_943:
	v_bfe_u32 v12, v3, 8, 3
	v_ffbh_u32_e32 v14, v12
	v_min_u32_e32 v14, 32, v14
	v_lshrrev_b16_e32 v13, 3, v6
	v_subrev_u32_e32 v15, 28, v14
	v_and_b32_e32 v13, 15, v13
	v_lshlrev_b32_e32 v6, v15, v6
	v_sub_u32_e32 v14, 29, v14
	v_and_b32_e32 v6, 7, v6
	v_cmp_eq_u16_e32 vcc, 0, v13
	v_cndmask_b32_e32 v6, v12, v6, vcc
	v_cndmask_b32_e32 v12, v13, v14, vcc
	v_lshlrev_b32_e32 v13, 16, v3
	v_mov_b32_e32 v14, 0x3b800000
	v_lshlrev_b32_e32 v6, 20, v6
	v_and_b32_e32 v13, 0x80000000, v13
	v_lshl_add_u32 v12, v12, 23, v14
	v_or3_b32 v12, v13, v12, v6
.LBB3_944:
	s_or_b64 exec, exec, s[6:7]
	s_nop 0
	v_mfma_f32_16x16x4f32 a[0:3], v2, v12, a[0:3]
	s_movk_i32 s4, 0xff
	v_and_b32_sdwa v6, v7, s4 dst_sel:DWORD dst_unused:UNUSED_PAD src0_sel:WORD_1 src1_sel:DWORD
	s_movk_i32 s4, 0x7f
	v_cmp_lt_i16_e32 vcc, s4, v6
	s_mov_b64 s[4:5], 0
                                        ; implicit-def: $sgpr10
	s_and_saveexec_b64 s[6:7], vcc
	s_xor_b64 s[6:7], exec, s[6:7]
	s_cbranch_execnz .LBB3_2993
; %bb.945:
	s_or_saveexec_b64 s[6:7], s[6:7]
	v_mov_b32_e32 v2, s10
	s_xor_b64 exec, exec, s[6:7]
	s_cbranch_execnz .LBB3_2996
.LBB3_946:
	s_or_b64 exec, exec, s[6:7]
	s_and_saveexec_b64 s[6:7], s[4:5]
	s_cbranch_execz .LBB3_948
.LBB3_947:
	v_bfe_u32 v2, v7, 16, 3
	v_ffbh_u32_e32 v13, v2
	v_min_u32_e32 v13, 32, v13
	v_lshrrev_b32_e32 v6, 19, v7
	v_subrev_u32_e32 v14, 28, v13
	v_and_b32_e32 v6, 15, v6
	v_lshlrev_b32_sdwa v14, v14, v7 dst_sel:DWORD dst_unused:UNUSED_PAD src0_sel:DWORD src1_sel:WORD_1
	v_bfe_u32 v12, v7, 19, 4
	v_sub_u32_e32 v13, 29, v13
	v_and_b32_e32 v14, 7, v14
	v_cmp_eq_u16_e32 vcc, 0, v6
	v_cndmask_b32_e32 v2, v2, v14, vcc
	v_cndmask_b32_e32 v6, v12, v13, vcc
	v_lshlrev_b32_e32 v12, 8, v7
	v_mov_b32_e32 v13, 0x3b800000
	v_lshlrev_b32_e32 v2, 20, v2
	v_and_b32_e32 v12, 0x80000000, v12
	v_lshl_add_u32 v6, v6, 23, v13
	v_or3_b32 v2, v12, v6, v2
.LBB3_948:
	s_or_b64 exec, exec, s[6:7]
	s_movk_i32 s4, 0xff
	v_and_b32_sdwa v6, v3, s4 dst_sel:DWORD dst_unused:UNUSED_PAD src0_sel:WORD_1 src1_sel:DWORD
	s_movk_i32 s4, 0x7f
	v_cmp_lt_i16_e32 vcc, s4, v6
	s_mov_b64 s[4:5], 0
                                        ; implicit-def: $sgpr10
	s_and_saveexec_b64 s[6:7], vcc
	s_xor_b64 s[6:7], exec, s[6:7]
	s_cbranch_execnz .LBB3_2997
; %bb.949:
	s_or_saveexec_b64 s[6:7], s[6:7]
	v_mov_b32_e32 v12, s10
	s_xor_b64 exec, exec, s[6:7]
	s_cbranch_execnz .LBB3_3000
.LBB3_950:
	s_or_b64 exec, exec, s[6:7]
	s_and_saveexec_b64 s[6:7], s[4:5]
	s_cbranch_execz .LBB3_952
.LBB3_951:
	v_bfe_u32 v6, v3, 16, 3
	v_ffbh_u32_e32 v14, v6
	v_min_u32_e32 v14, 32, v14
	v_lshrrev_b32_e32 v12, 19, v3
	v_subrev_u32_e32 v15, 28, v14
	v_and_b32_e32 v12, 15, v12
	v_lshlrev_b32_sdwa v15, v15, v3 dst_sel:DWORD dst_unused:UNUSED_PAD src0_sel:DWORD src1_sel:WORD_1
	v_bfe_u32 v13, v3, 19, 4
	v_sub_u32_e32 v14, 29, v14
	v_and_b32_e32 v15, 7, v15
	v_cmp_eq_u16_e32 vcc, 0, v12
	v_cndmask_b32_e32 v6, v6, v15, vcc
	v_cndmask_b32_e32 v12, v13, v14, vcc
	v_lshlrev_b32_e32 v13, 8, v3
	v_mov_b32_e32 v14, 0x3b800000
	v_lshlrev_b32_e32 v6, 20, v6
	v_and_b32_e32 v13, 0x80000000, v13
	v_lshl_add_u32 v12, v12, 23, v14
	v_or3_b32 v12, v13, v12, v6
.LBB3_952:
	s_or_b64 exec, exec, s[6:7]
	s_nop 0
	v_mfma_f32_16x16x4f32 a[0:3], v2, v12, a[0:3]
	s_movk_i32 s4, 0x7f
	v_cmp_gt_i16_sdwa s[6:7], v7, s4 src0_sel:BYTE_3 src1_sel:DWORD
	s_mov_b64 s[4:5], 0
                                        ; implicit-def: $sgpr10
	s_and_saveexec_b64 s[8:9], s[6:7]
	s_xor_b64 s[6:7], exec, s[8:9]
	s_cbranch_execnz .LBB3_3001
; %bb.953:
	s_or_saveexec_b64 s[6:7], s[6:7]
	v_mov_b32_e32 v2, s10
	s_xor_b64 exec, exec, s[6:7]
	s_cbranch_execnz .LBB3_3004
.LBB3_954:
	s_or_b64 exec, exec, s[6:7]
	s_and_saveexec_b64 s[6:7], s[4:5]
	s_cbranch_execz .LBB3_956
.LBB3_955:
	v_bfe_u32 v2, v7, 24, 3
	v_ffbh_u32_e32 v14, v2
	v_min_u32_e32 v14, 32, v14
	v_lshrrev_b32_e32 v12, 27, v7
	v_subrev_u32_e32 v15, 28, v14
	v_and_b32_e32 v6, 0x80000000, v7
	v_and_b32_e32 v12, 15, v12
	v_bfe_u32 v13, v7, 27, 4
	v_lshlrev_b32_sdwa v7, v15, v7 dst_sel:DWORD dst_unused:UNUSED_PAD src0_sel:DWORD src1_sel:BYTE_3
	v_sub_u32_e32 v14, 29, v14
	v_and_b32_e32 v7, 7, v7
	v_cmp_eq_u16_e32 vcc, 0, v12
	v_cndmask_b32_e32 v2, v2, v7, vcc
	v_cndmask_b32_e32 v7, v13, v14, vcc
	v_mov_b32_e32 v12, 0x3b800000
	v_lshlrev_b32_e32 v2, 20, v2
	v_lshl_add_u32 v7, v7, 23, v12
	v_or3_b32 v2, v6, v7, v2
.LBB3_956:
	s_or_b64 exec, exec, s[6:7]
	s_movk_i32 s4, 0x7f
	v_cmp_gt_i16_sdwa s[6:7], v3, s4 src0_sel:BYTE_3 src1_sel:DWORD
	s_mov_b64 s[4:5], 0
                                        ; implicit-def: $sgpr10
	s_and_saveexec_b64 s[8:9], s[6:7]
	s_xor_b64 s[6:7], exec, s[8:9]
	s_cbranch_execnz .LBB3_3005
; %bb.957:
	s_or_saveexec_b64 s[6:7], s[6:7]
	v_mov_b32_e32 v6, s10
	s_xor_b64 exec, exec, s[6:7]
	s_cbranch_execnz .LBB3_3008
.LBB3_958:
	s_or_b64 exec, exec, s[6:7]
	s_and_saveexec_b64 s[6:7], s[4:5]
	s_cbranch_execz .LBB3_960
.LBB3_959:
	v_bfe_u32 v6, v3, 24, 3
	v_ffbh_u32_e32 v14, v6
	v_min_u32_e32 v14, 32, v14
	v_lshrrev_b32_e32 v12, 27, v3
	v_subrev_u32_e32 v15, 28, v14
	v_and_b32_e32 v7, 0x80000000, v3
	v_and_b32_e32 v12, 15, v12
	v_bfe_u32 v13, v3, 27, 4
	v_lshlrev_b32_sdwa v3, v15, v3 dst_sel:DWORD dst_unused:UNUSED_PAD src0_sel:DWORD src1_sel:BYTE_3
	v_sub_u32_e32 v14, 29, v14
	v_and_b32_e32 v3, 7, v3
	v_cmp_eq_u16_e32 vcc, 0, v12
	v_cndmask_b32_e32 v3, v6, v3, vcc
	v_cndmask_b32_e32 v6, v13, v14, vcc
	v_mov_b32_e32 v12, 0x3b800000
	v_lshlrev_b32_e32 v3, 20, v3
	v_lshl_add_u32 v6, v6, 23, v12
	v_or3_b32 v6, v7, v6, v3
.LBB3_960:
	s_or_b64 exec, exec, s[6:7]
	s_nop 0
	v_mfma_f32_16x16x4f32 a[0:3], v2, v6, a[0:3]
	s_movk_i32 s4, 0x7f
	v_cmp_gt_i16_sdwa s[6:7], v8, s4 src0_sel:BYTE_0 src1_sel:DWORD
	s_mov_b64 s[4:5], 0
                                        ; implicit-def: $sgpr10
	s_and_saveexec_b64 s[8:9], s[6:7]
	s_xor_b64 s[6:7], exec, s[8:9]
	s_cbranch_execnz .LBB3_3009
; %bb.961:
	s_or_saveexec_b64 s[6:7], s[6:7]
	v_mov_b32_e32 v2, s10
	s_xor_b64 exec, exec, s[6:7]
	s_cbranch_execnz .LBB3_3012
.LBB3_962:
	s_or_b64 exec, exec, s[6:7]
	s_and_saveexec_b64 s[6:7], s[4:5]
	s_cbranch_execz .LBB3_964
.LBB3_963:
	v_and_b32_e32 v2, 7, v8
	v_ffbh_u32_e32 v6, v2
	v_min_u32_e32 v6, 32, v6
	v_lshrrev_b16_e32 v3, 3, v8
	v_subrev_u32_e32 v7, 28, v6
	v_and_b32_e32 v3, 15, v3
	v_lshlrev_b32_e32 v7, v7, v8
	v_sub_u32_e32 v6, 29, v6
	v_and_b32_e32 v7, 7, v7
	v_cmp_eq_u16_e32 vcc, 0, v3
	v_cndmask_b32_e32 v2, v2, v7, vcc
	v_cndmask_b32_e32 v3, v3, v6, vcc
	v_lshlrev_b32_e32 v6, 24, v8
	v_mov_b32_e32 v7, 0x3b800000
	v_lshlrev_b32_e32 v2, 20, v2
	v_and_b32_e32 v6, 0x80000000, v6
	v_lshl_add_u32 v3, v3, 23, v7
	v_or3_b32 v2, v6, v3, v2
.LBB3_964:
	s_or_b64 exec, exec, s[6:7]
	s_movk_i32 s4, 0x7f
	v_cmp_gt_i16_sdwa s[6:7], v4, s4 src0_sel:BYTE_0 src1_sel:DWORD
	s_mov_b64 s[4:5], 0
                                        ; implicit-def: $sgpr10
	s_and_saveexec_b64 s[8:9], s[6:7]
	s_xor_b64 s[6:7], exec, s[8:9]
	s_cbranch_execnz .LBB3_3013
; %bb.965:
	s_or_saveexec_b64 s[6:7], s[6:7]
	v_mov_b32_e32 v3, s10
	s_xor_b64 exec, exec, s[6:7]
	s_cbranch_execnz .LBB3_3016
.LBB3_966:
	s_or_b64 exec, exec, s[6:7]
	s_and_saveexec_b64 s[6:7], s[4:5]
	s_cbranch_execz .LBB3_968
.LBB3_967:
	v_and_b32_e32 v3, 7, v4
	v_ffbh_u32_e32 v7, v3
	v_min_u32_e32 v7, 32, v7
	v_lshrrev_b16_e32 v6, 3, v4
	v_subrev_u32_e32 v12, 28, v7
	v_and_b32_e32 v6, 15, v6
	v_lshlrev_b32_e32 v12, v12, v4
	v_sub_u32_e32 v7, 29, v7
	v_and_b32_e32 v12, 7, v12
	v_cmp_eq_u16_e32 vcc, 0, v6
	v_cndmask_b32_e32 v3, v3, v12, vcc
	v_cndmask_b32_e32 v6, v6, v7, vcc
	v_lshlrev_b32_e32 v7, 24, v4
	v_mov_b32_e32 v12, 0x3b800000
	v_lshlrev_b32_e32 v3, 20, v3
	v_and_b32_e32 v7, 0x80000000, v7
	v_lshl_add_u32 v6, v6, 23, v12
	v_or3_b32 v3, v7, v6, v3
.LBB3_968:
	s_or_b64 exec, exec, s[6:7]
	s_nop 0
	v_mfma_f32_16x16x4f32 a[0:3], v2, v3, a[0:3]
	v_lshrrev_b32_e32 v3, 8, v8
	s_movk_i32 s4, 0x7f
	v_cmp_gt_i16_sdwa s[6:7], v3, s4 src0_sel:BYTE_0 src1_sel:DWORD
	s_mov_b64 s[4:5], 0
                                        ; implicit-def: $sgpr10
	s_and_saveexec_b64 s[8:9], s[6:7]
	s_xor_b64 s[6:7], exec, s[8:9]
	s_cbranch_execnz .LBB3_3017
; %bb.969:
	s_or_saveexec_b64 s[6:7], s[6:7]
	v_mov_b32_e32 v2, s10
	s_xor_b64 exec, exec, s[6:7]
	s_cbranch_execnz .LBB3_3020
.LBB3_970:
	s_or_b64 exec, exec, s[6:7]
	s_and_saveexec_b64 s[6:7], s[4:5]
	s_cbranch_execz .LBB3_972
.LBB3_971:
	v_bfe_u32 v2, v8, 8, 3
	v_ffbh_u32_e32 v7, v2
	v_min_u32_e32 v7, 32, v7
	v_lshrrev_b16_e32 v6, 3, v3
	v_subrev_u32_e32 v12, 28, v7
	v_and_b32_e32 v6, 15, v6
	v_lshlrev_b32_e32 v3, v12, v3
	v_sub_u32_e32 v7, 29, v7
	v_and_b32_e32 v3, 7, v3
	v_cmp_eq_u16_e32 vcc, 0, v6
	v_cndmask_b32_e32 v2, v2, v3, vcc
	v_cndmask_b32_e32 v3, v6, v7, vcc
	v_lshlrev_b32_e32 v6, 16, v8
	v_mov_b32_e32 v7, 0x3b800000
	v_lshlrev_b32_e32 v2, 20, v2
	v_and_b32_e32 v6, 0x80000000, v6
	v_lshl_add_u32 v3, v3, 23, v7
	v_or3_b32 v2, v6, v3, v2
.LBB3_972:
	s_or_b64 exec, exec, s[6:7]
	v_lshrrev_b32_e32 v3, 8, v4
	s_movk_i32 s4, 0x7f
	v_cmp_gt_i16_sdwa s[6:7], v3, s4 src0_sel:BYTE_0 src1_sel:DWORD
	s_mov_b64 s[4:5], 0
                                        ; implicit-def: $sgpr10
	s_and_saveexec_b64 s[8:9], s[6:7]
	s_xor_b64 s[6:7], exec, s[8:9]
	s_cbranch_execnz .LBB3_3021
; %bb.973:
	s_or_saveexec_b64 s[6:7], s[6:7]
	v_mov_b32_e32 v6, s10
	s_xor_b64 exec, exec, s[6:7]
	s_cbranch_execnz .LBB3_3024
.LBB3_974:
	s_or_b64 exec, exec, s[6:7]
	s_and_saveexec_b64 s[6:7], s[4:5]
	s_cbranch_execz .LBB3_976
.LBB3_975:
	v_bfe_u32 v6, v4, 8, 3
	v_ffbh_u32_e32 v12, v6
	v_min_u32_e32 v12, 32, v12
	v_lshrrev_b16_e32 v7, 3, v3
	v_subrev_u32_e32 v13, 28, v12
	v_and_b32_e32 v7, 15, v7
	v_lshlrev_b32_e32 v3, v13, v3
	v_sub_u32_e32 v12, 29, v12
	v_and_b32_e32 v3, 7, v3
	v_cmp_eq_u16_e32 vcc, 0, v7
	v_cndmask_b32_e32 v3, v6, v3, vcc
	v_cndmask_b32_e32 v6, v7, v12, vcc
	v_lshlrev_b32_e32 v7, 16, v4
	v_mov_b32_e32 v12, 0x3b800000
	v_lshlrev_b32_e32 v3, 20, v3
	v_and_b32_e32 v7, 0x80000000, v7
	v_lshl_add_u32 v6, v6, 23, v12
	v_or3_b32 v6, v7, v6, v3
.LBB3_976:
	s_or_b64 exec, exec, s[6:7]
	s_nop 0
	v_mfma_f32_16x16x4f32 a[0:3], v2, v6, a[0:3]
	s_movk_i32 s4, 0xff
	v_and_b32_sdwa v3, v8, s4 dst_sel:DWORD dst_unused:UNUSED_PAD src0_sel:WORD_1 src1_sel:DWORD
	s_movk_i32 s4, 0x7f
	v_cmp_lt_i16_e32 vcc, s4, v3
	s_mov_b64 s[4:5], 0
                                        ; implicit-def: $sgpr10
	s_and_saveexec_b64 s[6:7], vcc
	s_xor_b64 s[6:7], exec, s[6:7]
	s_cbranch_execnz .LBB3_3025
; %bb.977:
	s_or_saveexec_b64 s[6:7], s[6:7]
	v_mov_b32_e32 v2, s10
	s_xor_b64 exec, exec, s[6:7]
	s_cbranch_execnz .LBB3_3028
.LBB3_978:
	s_or_b64 exec, exec, s[6:7]
	s_and_saveexec_b64 s[6:7], s[4:5]
	s_cbranch_execz .LBB3_980
.LBB3_979:
	v_bfe_u32 v2, v8, 16, 3
	v_ffbh_u32_e32 v7, v2
	v_min_u32_e32 v7, 32, v7
	v_lshrrev_b32_e32 v3, 19, v8
	v_subrev_u32_e32 v12, 28, v7
	v_and_b32_e32 v3, 15, v3
	v_lshlrev_b32_sdwa v12, v12, v8 dst_sel:DWORD dst_unused:UNUSED_PAD src0_sel:DWORD src1_sel:WORD_1
	v_bfe_u32 v6, v8, 19, 4
	v_sub_u32_e32 v7, 29, v7
	v_and_b32_e32 v12, 7, v12
	v_cmp_eq_u16_e32 vcc, 0, v3
	v_cndmask_b32_e32 v2, v2, v12, vcc
	v_cndmask_b32_e32 v3, v6, v7, vcc
	v_lshlrev_b32_e32 v6, 8, v8
	v_mov_b32_e32 v7, 0x3b800000
	v_lshlrev_b32_e32 v2, 20, v2
	v_and_b32_e32 v6, 0x80000000, v6
	v_lshl_add_u32 v3, v3, 23, v7
	v_or3_b32 v2, v6, v3, v2
.LBB3_980:
	s_or_b64 exec, exec, s[6:7]
	s_movk_i32 s4, 0xff
	v_and_b32_sdwa v3, v4, s4 dst_sel:DWORD dst_unused:UNUSED_PAD src0_sel:WORD_1 src1_sel:DWORD
	s_movk_i32 s4, 0x7f
	v_cmp_lt_i16_e32 vcc, s4, v3
	s_mov_b64 s[4:5], 0
                                        ; implicit-def: $sgpr10
	s_and_saveexec_b64 s[6:7], vcc
	s_xor_b64 s[6:7], exec, s[6:7]
	s_cbranch_execnz .LBB3_3029
; %bb.981:
	s_or_saveexec_b64 s[6:7], s[6:7]
	v_mov_b32_e32 v6, s10
	s_xor_b64 exec, exec, s[6:7]
	s_cbranch_execnz .LBB3_3032
.LBB3_982:
	s_or_b64 exec, exec, s[6:7]
	s_and_saveexec_b64 s[6:7], s[4:5]
	s_cbranch_execz .LBB3_984
.LBB3_983:
	v_bfe_u32 v3, v4, 16, 3
	v_ffbh_u32_e32 v12, v3
	v_min_u32_e32 v12, 32, v12
	v_lshrrev_b32_e32 v6, 19, v4
	v_subrev_u32_e32 v13, 28, v12
	v_and_b32_e32 v6, 15, v6
	v_lshlrev_b32_sdwa v13, v13, v4 dst_sel:DWORD dst_unused:UNUSED_PAD src0_sel:DWORD src1_sel:WORD_1
	v_bfe_u32 v7, v4, 19, 4
	v_sub_u32_e32 v12, 29, v12
	v_and_b32_e32 v13, 7, v13
	v_cmp_eq_u16_e32 vcc, 0, v6
	v_cndmask_b32_e32 v3, v3, v13, vcc
	v_cndmask_b32_e32 v6, v7, v12, vcc
	v_lshlrev_b32_e32 v7, 8, v4
	v_mov_b32_e32 v12, 0x3b800000
	v_lshlrev_b32_e32 v3, 20, v3
	v_and_b32_e32 v7, 0x80000000, v7
	v_lshl_add_u32 v6, v6, 23, v12
	v_or3_b32 v6, v7, v6, v3
.LBB3_984:
	s_or_b64 exec, exec, s[6:7]
	s_nop 0
	v_mfma_f32_16x16x4f32 a[0:3], v2, v6, a[0:3]
	s_movk_i32 s4, 0x7f
	v_cmp_gt_i16_sdwa s[6:7], v8, s4 src0_sel:BYTE_3 src1_sel:DWORD
	s_mov_b64 s[4:5], 0
                                        ; implicit-def: $sgpr10
	s_and_saveexec_b64 s[8:9], s[6:7]
	s_xor_b64 s[6:7], exec, s[8:9]
	s_cbranch_execnz .LBB3_3033
; %bb.985:
	s_or_saveexec_b64 s[6:7], s[6:7]
	v_mov_b32_e32 v2, s10
	s_xor_b64 exec, exec, s[6:7]
	s_cbranch_execnz .LBB3_3036
.LBB3_986:
	s_or_b64 exec, exec, s[6:7]
	s_and_saveexec_b64 s[6:7], s[4:5]
	s_cbranch_execz .LBB3_988
.LBB3_987:
	v_bfe_u32 v2, v8, 24, 3
	v_ffbh_u32_e32 v12, v2
	v_min_u32_e32 v12, 32, v12
	v_lshrrev_b32_e32 v6, 27, v8
	v_subrev_u32_e32 v13, 28, v12
	v_and_b32_e32 v3, 0x80000000, v8
	v_and_b32_e32 v6, 15, v6
	v_bfe_u32 v7, v8, 27, 4
	v_lshlrev_b32_sdwa v8, v13, v8 dst_sel:DWORD dst_unused:UNUSED_PAD src0_sel:DWORD src1_sel:BYTE_3
	v_sub_u32_e32 v12, 29, v12
	v_and_b32_e32 v8, 7, v8
	v_cmp_eq_u16_e32 vcc, 0, v6
	v_cndmask_b32_e32 v2, v2, v8, vcc
	v_cndmask_b32_e32 v6, v7, v12, vcc
	v_mov_b32_e32 v7, 0x3b800000
	v_lshlrev_b32_e32 v2, 20, v2
	v_lshl_add_u32 v6, v6, 23, v7
	v_or3_b32 v2, v3, v6, v2
.LBB3_988:
	s_or_b64 exec, exec, s[6:7]
	s_movk_i32 s4, 0x7f
	v_cmp_gt_i16_sdwa s[6:7], v4, s4 src0_sel:BYTE_3 src1_sel:DWORD
	s_mov_b64 s[4:5], 0
                                        ; implicit-def: $sgpr10
	s_and_saveexec_b64 s[8:9], s[6:7]
	s_xor_b64 s[6:7], exec, s[8:9]
	s_cbranch_execnz .LBB3_3037
; %bb.989:
	s_or_saveexec_b64 s[6:7], s[6:7]
	v_mov_b32_e32 v3, s10
	s_xor_b64 exec, exec, s[6:7]
	s_cbranch_execnz .LBB3_3040
.LBB3_990:
	s_or_b64 exec, exec, s[6:7]
	s_and_saveexec_b64 s[6:7], s[4:5]
	s_cbranch_execz .LBB3_992
.LBB3_991:
	v_bfe_u32 v3, v4, 24, 3
	v_ffbh_u32_e32 v12, v3
	v_min_u32_e32 v12, 32, v12
	v_lshrrev_b32_e32 v7, 27, v4
	v_subrev_u32_e32 v13, 28, v12
	v_and_b32_e32 v6, 0x80000000, v4
	v_and_b32_e32 v7, 15, v7
	v_bfe_u32 v8, v4, 27, 4
	v_lshlrev_b32_sdwa v4, v13, v4 dst_sel:DWORD dst_unused:UNUSED_PAD src0_sel:DWORD src1_sel:BYTE_3
	v_sub_u32_e32 v12, 29, v12
	v_and_b32_e32 v4, 7, v4
	v_cmp_eq_u16_e32 vcc, 0, v7
	v_cndmask_b32_e32 v3, v3, v4, vcc
	v_cndmask_b32_e32 v4, v8, v12, vcc
	v_mov_b32_e32 v7, 0x3b800000
	v_lshlrev_b32_e32 v3, 20, v3
	v_lshl_add_u32 v4, v4, 23, v7
	v_or3_b32 v3, v6, v4, v3
.LBB3_992:
	s_or_b64 exec, exec, s[6:7]
	s_nop 0
	v_mfma_f32_16x16x4f32 a[0:3], v2, v3, a[0:3]
	s_movk_i32 s4, 0x7f
	v_cmp_gt_i16_sdwa s[6:7], v9, s4 src0_sel:BYTE_0 src1_sel:DWORD
	s_mov_b64 s[4:5], 0
                                        ; implicit-def: $sgpr10
	s_and_saveexec_b64 s[8:9], s[6:7]
	s_xor_b64 s[6:7], exec, s[8:9]
	s_cbranch_execnz .LBB3_3041
; %bb.993:
	s_or_saveexec_b64 s[6:7], s[6:7]
	v_mov_b32_e32 v2, s10
	s_xor_b64 exec, exec, s[6:7]
	s_cbranch_execnz .LBB3_3044
.LBB3_994:
	s_or_b64 exec, exec, s[6:7]
	s_and_saveexec_b64 s[6:7], s[4:5]
	s_cbranch_execz .LBB3_996
.LBB3_995:
	v_mov_b32_e32 v2, 8
	v_and_b32_e32 v3, 7, v9
	v_lshrrev_b32_sdwa v2, v2, v9 dst_sel:BYTE_1 dst_unused:UNUSED_PAD src0_sel:DWORD src1_sel:DWORD
	v_ffbh_u32_e32 v4, v3
	v_or_b32_sdwa v2, v9, v2 dst_sel:DWORD dst_unused:UNUSED_PAD src0_sel:BYTE_0 src1_sel:DWORD
	v_min_u32_e32 v4, 32, v4
	v_lshrrev_b16_e32 v2, 3, v2
	v_subrev_u32_e32 v6, 28, v4
	v_and_b32_e32 v2, 15, v2
	v_lshlrev_b32_e32 v6, v6, v9
	v_sub_u32_e32 v4, 29, v4
	v_and_b32_e32 v6, 7, v6
	v_cmp_eq_u16_e32 vcc, 0, v2
	v_cndmask_b32_e32 v3, v3, v6, vcc
	v_cndmask_b32_e32 v2, v2, v4, vcc
	v_lshlrev_b32_e32 v4, 24, v9
	v_mov_b32_e32 v6, 0x3b800000
	v_lshlrev_b32_e32 v3, 20, v3
	v_and_b32_e32 v4, 0x80000000, v4
	v_lshl_add_u32 v2, v2, 23, v6
	v_or3_b32 v2, v4, v2, v3
.LBB3_996:
	s_or_b64 exec, exec, s[6:7]
	s_movk_i32 s4, 0x7f
	v_cmp_gt_i16_sdwa s[6:7], v5, s4 src0_sel:BYTE_0 src1_sel:DWORD
	s_mov_b64 s[4:5], 0
                                        ; implicit-def: $sgpr10
	s_and_saveexec_b64 s[8:9], s[6:7]
	s_xor_b64 s[6:7], exec, s[8:9]
	s_cbranch_execnz .LBB3_3045
; %bb.997:
	s_or_saveexec_b64 s[6:7], s[6:7]
	v_mov_b32_e32 v3, s10
	s_xor_b64 exec, exec, s[6:7]
	s_cbranch_execnz .LBB3_3048
.LBB3_998:
	s_or_b64 exec, exec, s[6:7]
	s_and_saveexec_b64 s[6:7], s[4:5]
	s_cbranch_execz .LBB3_1000
.LBB3_999:
	v_mov_b32_e32 v3, 8
	v_and_b32_e32 v4, 7, v5
	v_lshrrev_b32_sdwa v3, v3, v5 dst_sel:BYTE_1 dst_unused:UNUSED_PAD src0_sel:DWORD src1_sel:DWORD
	v_ffbh_u32_e32 v6, v4
	v_or_b32_sdwa v3, v5, v3 dst_sel:DWORD dst_unused:UNUSED_PAD src0_sel:BYTE_0 src1_sel:DWORD
	v_min_u32_e32 v6, 32, v6
	v_lshrrev_b16_e32 v3, 3, v3
	v_subrev_u32_e32 v7, 28, v6
	v_and_b32_e32 v3, 15, v3
	v_lshlrev_b32_e32 v7, v7, v5
	v_sub_u32_e32 v6, 29, v6
	v_and_b32_e32 v7, 7, v7
	v_cmp_eq_u16_e32 vcc, 0, v3
	v_cndmask_b32_e32 v4, v4, v7, vcc
	v_cndmask_b32_e32 v3, v3, v6, vcc
	v_lshlrev_b32_e32 v6, 24, v5
	v_mov_b32_e32 v7, 0x3b800000
	v_lshlrev_b32_e32 v4, 20, v4
	v_and_b32_e32 v6, 0x80000000, v6
	v_lshl_add_u32 v3, v3, 23, v7
	v_or3_b32 v3, v6, v3, v4
.LBB3_1000:
	s_or_b64 exec, exec, s[6:7]
	s_nop 0
	v_mfma_f32_16x16x4f32 a[0:3], v2, v3, a[0:3]
	v_lshrrev_b32_e32 v3, 8, v9
	s_movk_i32 s4, 0x7f
	v_cmp_gt_i16_sdwa s[6:7], v3, s4 src0_sel:BYTE_0 src1_sel:DWORD
	s_mov_b64 s[4:5], 0
                                        ; implicit-def: $sgpr10
	s_and_saveexec_b64 s[8:9], s[6:7]
	s_xor_b64 s[6:7], exec, s[8:9]
	s_cbranch_execnz .LBB3_3049
; %bb.1001:
	s_or_saveexec_b64 s[6:7], s[6:7]
	v_mov_b32_e32 v2, s10
	s_xor_b64 exec, exec, s[6:7]
	s_cbranch_execnz .LBB3_3052
.LBB3_1002:
	s_or_b64 exec, exec, s[6:7]
	s_and_saveexec_b64 s[6:7], s[4:5]
	s_cbranch_execz .LBB3_1004
.LBB3_1003:
	v_bfe_u32 v2, v9, 8, 3
	v_ffbh_u32_e32 v6, v2
	v_min_u32_e32 v6, 32, v6
	v_lshrrev_b16_e32 v4, 3, v3
	v_subrev_u32_e32 v7, 28, v6
	v_and_b32_e32 v4, 15, v4
	v_lshlrev_b32_e32 v3, v7, v3
	v_sub_u32_e32 v6, 29, v6
	v_and_b32_e32 v3, 7, v3
	v_cmp_eq_u16_e32 vcc, 0, v4
	v_cndmask_b32_e32 v2, v2, v3, vcc
	v_cndmask_b32_e32 v3, v4, v6, vcc
	v_lshlrev_b32_e32 v4, 16, v9
	v_mov_b32_e32 v6, 0x3b800000
	v_lshlrev_b32_e32 v2, 20, v2
	v_and_b32_e32 v4, 0x80000000, v4
	v_lshl_add_u32 v3, v3, 23, v6
	v_or3_b32 v2, v4, v3, v2
.LBB3_1004:
	s_or_b64 exec, exec, s[6:7]
	v_lshrrev_b32_e32 v3, 8, v5
	s_movk_i32 s4, 0x7f
	v_cmp_gt_i16_sdwa s[6:7], v3, s4 src0_sel:BYTE_0 src1_sel:DWORD
	s_mov_b64 s[4:5], 0
                                        ; implicit-def: $sgpr10
	s_and_saveexec_b64 s[8:9], s[6:7]
	s_xor_b64 s[6:7], exec, s[8:9]
	s_cbranch_execnz .LBB3_3053
; %bb.1005:
	s_or_saveexec_b64 s[6:7], s[6:7]
	v_mov_b32_e32 v4, s10
	s_xor_b64 exec, exec, s[6:7]
	s_cbranch_execnz .LBB3_3056
.LBB3_1006:
	s_or_b64 exec, exec, s[6:7]
	s_and_saveexec_b64 s[6:7], s[4:5]
	s_cbranch_execz .LBB3_1008
.LBB3_1007:
	v_bfe_u32 v4, v5, 8, 3
	v_ffbh_u32_e32 v7, v4
	v_min_u32_e32 v7, 32, v7
	v_lshrrev_b16_e32 v6, 3, v3
	v_subrev_u32_e32 v8, 28, v7
	v_and_b32_e32 v6, 15, v6
	v_lshlrev_b32_e32 v3, v8, v3
	v_sub_u32_e32 v7, 29, v7
	v_and_b32_e32 v3, 7, v3
	v_cmp_eq_u16_e32 vcc, 0, v6
	v_cndmask_b32_e32 v3, v4, v3, vcc
	v_cndmask_b32_e32 v4, v6, v7, vcc
	v_lshlrev_b32_e32 v6, 16, v5
	v_mov_b32_e32 v7, 0x3b800000
	v_lshlrev_b32_e32 v3, 20, v3
	v_and_b32_e32 v6, 0x80000000, v6
	v_lshl_add_u32 v4, v4, 23, v7
	v_or3_b32 v4, v6, v4, v3
.LBB3_1008:
	s_or_b64 exec, exec, s[6:7]
	s_nop 0
	v_mfma_f32_16x16x4f32 a[0:3], v2, v4, a[0:3]
	s_movk_i32 s4, 0xff
	v_and_b32_sdwa v3, v9, s4 dst_sel:DWORD dst_unused:UNUSED_PAD src0_sel:WORD_1 src1_sel:DWORD
	s_movk_i32 s4, 0x7f
	v_cmp_lt_i16_e32 vcc, s4, v3
	s_mov_b64 s[4:5], 0
                                        ; implicit-def: $sgpr10
	s_and_saveexec_b64 s[6:7], vcc
	s_xor_b64 s[6:7], exec, s[6:7]
	s_cbranch_execnz .LBB3_3057
; %bb.1009:
	s_or_saveexec_b64 s[6:7], s[6:7]
	v_mov_b32_e32 v2, s10
	s_xor_b64 exec, exec, s[6:7]
	s_cbranch_execnz .LBB3_3060
.LBB3_1010:
	s_or_b64 exec, exec, s[6:7]
	s_and_saveexec_b64 s[6:7], s[4:5]
	s_cbranch_execz .LBB3_1012
.LBB3_1011:
	v_bfe_u32 v2, v9, 16, 3
	v_ffbh_u32_e32 v6, v2
	v_min_u32_e32 v6, 32, v6
	v_lshrrev_b32_e32 v3, 19, v9
	v_subrev_u32_e32 v7, 28, v6
	v_and_b32_e32 v3, 15, v3
	v_lshlrev_b32_sdwa v7, v7, v9 dst_sel:DWORD dst_unused:UNUSED_PAD src0_sel:DWORD src1_sel:WORD_1
	v_bfe_u32 v4, v9, 19, 4
	v_sub_u32_e32 v6, 29, v6
	v_and_b32_e32 v7, 7, v7
	v_cmp_eq_u16_e32 vcc, 0, v3
	v_cndmask_b32_e32 v2, v2, v7, vcc
	v_cndmask_b32_e32 v3, v4, v6, vcc
	v_lshlrev_b32_e32 v4, 8, v9
	v_mov_b32_e32 v6, 0x3b800000
	v_lshlrev_b32_e32 v2, 20, v2
	v_and_b32_e32 v4, 0x80000000, v4
	v_lshl_add_u32 v3, v3, 23, v6
	v_or3_b32 v2, v4, v3, v2
.LBB3_1012:
	s_or_b64 exec, exec, s[6:7]
	s_movk_i32 s4, 0xff
	v_and_b32_sdwa v3, v5, s4 dst_sel:DWORD dst_unused:UNUSED_PAD src0_sel:WORD_1 src1_sel:DWORD
	s_movk_i32 s4, 0x7f
	v_cmp_lt_i16_e32 vcc, s4, v3
	s_mov_b64 s[4:5], 0
                                        ; implicit-def: $sgpr10
	s_and_saveexec_b64 s[6:7], vcc
	s_xor_b64 s[6:7], exec, s[6:7]
	s_cbranch_execnz .LBB3_3061
; %bb.1013:
	s_or_saveexec_b64 s[6:7], s[6:7]
	v_mov_b32_e32 v4, s10
	s_xor_b64 exec, exec, s[6:7]
	s_cbranch_execnz .LBB3_3064
.LBB3_1014:
	s_or_b64 exec, exec, s[6:7]
	s_and_saveexec_b64 s[6:7], s[4:5]
	s_cbranch_execz .LBB3_1016
.LBB3_1015:
	v_bfe_u32 v3, v5, 16, 3
	v_ffbh_u32_e32 v7, v3
	v_min_u32_e32 v7, 32, v7
	v_lshrrev_b32_e32 v4, 19, v5
	v_subrev_u32_e32 v8, 28, v7
	v_and_b32_e32 v4, 15, v4
	v_lshlrev_b32_sdwa v8, v8, v5 dst_sel:DWORD dst_unused:UNUSED_PAD src0_sel:DWORD src1_sel:WORD_1
	v_bfe_u32 v6, v5, 19, 4
	v_sub_u32_e32 v7, 29, v7
	v_and_b32_e32 v8, 7, v8
	v_cmp_eq_u16_e32 vcc, 0, v4
	v_cndmask_b32_e32 v3, v3, v8, vcc
	v_cndmask_b32_e32 v4, v6, v7, vcc
	v_lshlrev_b32_e32 v6, 8, v5
	v_mov_b32_e32 v7, 0x3b800000
	v_lshlrev_b32_e32 v3, 20, v3
	v_and_b32_e32 v6, 0x80000000, v6
	v_lshl_add_u32 v4, v4, 23, v7
	v_or3_b32 v4, v6, v4, v3
.LBB3_1016:
	s_or_b64 exec, exec, s[6:7]
	s_nop 0
	v_mfma_f32_16x16x4f32 a[0:3], v2, v4, a[0:3]
	s_movk_i32 s4, 0x7f
	v_cmp_gt_i16_sdwa s[6:7], v9, s4 src0_sel:BYTE_3 src1_sel:DWORD
	s_mov_b64 s[4:5], 0
                                        ; implicit-def: $sgpr10
	s_and_saveexec_b64 s[8:9], s[6:7]
	s_xor_b64 s[6:7], exec, s[8:9]
	s_cbranch_execnz .LBB3_3065
; %bb.1017:
	s_or_saveexec_b64 s[6:7], s[6:7]
	v_mov_b32_e32 v2, s10
	s_xor_b64 exec, exec, s[6:7]
	s_cbranch_execnz .LBB3_3068
.LBB3_1018:
	s_or_b64 exec, exec, s[6:7]
	s_and_saveexec_b64 s[6:7], s[4:5]
	s_cbranch_execz .LBB3_1020
.LBB3_1019:
	v_bfe_u32 v2, v9, 24, 3
	v_ffbh_u32_e32 v7, v2
	v_min_u32_e32 v7, 32, v7
	v_lshrrev_b32_e32 v4, 27, v9
	v_subrev_u32_e32 v8, 28, v7
	v_and_b32_e32 v4, 15, v4
	v_lshlrev_b32_sdwa v8, v8, v9 dst_sel:DWORD dst_unused:UNUSED_PAD src0_sel:DWORD src1_sel:BYTE_3
	v_bfe_u32 v6, v9, 27, 4
	v_sub_u32_e32 v7, 29, v7
	v_and_b32_e32 v8, 7, v8
	v_cmp_eq_u16_e32 vcc, 0, v4
	v_cndmask_b32_e32 v2, v2, v8, vcc
	v_cndmask_b32_e32 v4, v6, v7, vcc
	v_mov_b32_e32 v6, 0x3b800000
	v_and_b32_e32 v3, 0x80000000, v9
	v_lshlrev_b32_e32 v2, 20, v2
	v_lshl_add_u32 v4, v4, 23, v6
	v_or3_b32 v2, v3, v4, v2
.LBB3_1020:
	s_or_b64 exec, exec, s[6:7]
	s_movk_i32 s4, 0x7f
	v_cmp_gt_i16_sdwa s[6:7], v5, s4 src0_sel:BYTE_3 src1_sel:DWORD
	s_mov_b64 s[4:5], 0
                                        ; implicit-def: $sgpr10
	s_and_saveexec_b64 s[8:9], s[6:7]
	s_xor_b64 s[6:7], exec, s[8:9]
	s_cbranch_execnz .LBB3_3069
; %bb.1021:
	s_or_saveexec_b64 s[6:7], s[6:7]
	v_mov_b32_e32 v3, s10
	s_xor_b64 exec, exec, s[6:7]
	s_cbranch_execnz .LBB3_3072
.LBB3_1022:
	s_or_b64 exec, exec, s[6:7]
	s_and_saveexec_b64 s[6:7], s[4:5]
	s_cbranch_execz .LBB3_1024
.LBB3_1023:
	v_bfe_u32 v3, v5, 24, 3
	v_ffbh_u32_e32 v8, v3
	v_min_u32_e32 v8, 32, v8
	v_lshrrev_b32_e32 v6, 27, v5
	v_subrev_u32_e32 v9, 28, v8
	v_and_b32_e32 v4, 0x80000000, v5
	v_and_b32_e32 v6, 15, v6
	v_bfe_u32 v7, v5, 27, 4
	v_lshlrev_b32_sdwa v5, v9, v5 dst_sel:DWORD dst_unused:UNUSED_PAD src0_sel:DWORD src1_sel:BYTE_3
	v_sub_u32_e32 v8, 29, v8
	v_and_b32_e32 v5, 7, v5
	v_cmp_eq_u16_e32 vcc, 0, v6
	v_cndmask_b32_e32 v3, v3, v5, vcc
	v_cndmask_b32_e32 v5, v7, v8, vcc
	v_mov_b32_e32 v6, 0x3b800000
	v_lshlrev_b32_e32 v3, 20, v3
	v_lshl_add_u32 v5, v5, 23, v6
	v_or3_b32 v3, v4, v5, v3
.LBB3_1024:
	s_or_b64 exec, exec, s[6:7]
	s_nop 0
	v_mfma_f32_16x16x4f32 a[0:3], v2, v3, a[0:3]
	s_movk_i32 s4, 0x7f
                                        ; implicit-def: $sgpr10
	s_nop 7
	s_nop 1
	flat_store_dwordx4 v[10:11], a[0:3] offset:112
	flat_load_dwordx4 v[12:15], v[0:1] offset:8
	s_nop 0
	flat_load_dwordx2 v[10:11], v[0:1] offset:32
	s_waitcnt vmcnt(0) lgkmcnt(0)
	flat_load_dwordx4 v[6:9], v[12:13] offset:64
	flat_load_dwordx4 v[2:5], v[14:15]
	s_waitcnt vmcnt(0) lgkmcnt(0)
	v_cmp_gt_i16_sdwa s[6:7], v6, s4 src0_sel:BYTE_0 src1_sel:DWORD
	s_mov_b64 s[4:5], 0
	s_and_saveexec_b64 s[8:9], s[6:7]
	s_xor_b64 s[6:7], exec, s[8:9]
	s_cbranch_execnz .LBB3_3073
; %bb.1025:
	s_or_saveexec_b64 s[6:7], s[6:7]
	v_mov_b32_e32 v12, s10
	s_xor_b64 exec, exec, s[6:7]
	s_cbranch_execnz .LBB3_3076
.LBB3_1026:
	s_or_b64 exec, exec, s[6:7]
	s_and_saveexec_b64 s[6:7], s[4:5]
	s_cbranch_execz .LBB3_1028
.LBB3_1027:
	v_and_b32_e32 v12, 7, v6
	v_ffbh_u32_e32 v14, v12
	v_min_u32_e32 v14, 32, v14
	v_lshrrev_b16_e32 v13, 3, v6
	v_subrev_u32_e32 v15, 28, v14
	v_and_b32_e32 v13, 15, v13
	v_lshlrev_b32_e32 v15, v15, v6
	v_sub_u32_e32 v14, 29, v14
	v_and_b32_e32 v15, 7, v15
	v_cmp_eq_u16_e32 vcc, 0, v13
	v_cndmask_b32_e32 v12, v12, v15, vcc
	v_cndmask_b32_e32 v13, v13, v14, vcc
	v_lshlrev_b32_e32 v14, 24, v6
	v_mov_b32_e32 v15, 0x3b800000
	v_lshlrev_b32_e32 v12, 20, v12
	v_and_b32_e32 v14, 0x80000000, v14
	v_lshl_add_u32 v13, v13, 23, v15
	v_or3_b32 v12, v14, v13, v12
.LBB3_1028:
	s_or_b64 exec, exec, s[6:7]
	s_movk_i32 s4, 0x7f
	v_cmp_gt_i16_sdwa s[6:7], v2, s4 src0_sel:BYTE_0 src1_sel:DWORD
	s_mov_b64 s[4:5], 0
                                        ; implicit-def: $sgpr10
	s_and_saveexec_b64 s[8:9], s[6:7]
	s_xor_b64 s[6:7], exec, s[8:9]
	s_cbranch_execnz .LBB3_3077
; %bb.1029:
	s_or_saveexec_b64 s[6:7], s[6:7]
	v_mov_b32_e32 v13, s10
	s_xor_b64 exec, exec, s[6:7]
	s_cbranch_execnz .LBB3_3080
.LBB3_1030:
	s_or_b64 exec, exec, s[6:7]
	s_and_saveexec_b64 s[6:7], s[4:5]
	s_cbranch_execz .LBB3_1032
.LBB3_1031:
	v_and_b32_e32 v13, 7, v2
	v_ffbh_u32_e32 v15, v13
	v_min_u32_e32 v15, 32, v15
	v_lshrrev_b16_e32 v14, 3, v2
	v_subrev_u32_e32 v16, 28, v15
	v_and_b32_e32 v14, 15, v14
	v_lshlrev_b32_e32 v16, v16, v2
	v_sub_u32_e32 v15, 29, v15
	v_and_b32_e32 v16, 7, v16
	v_cmp_eq_u16_e32 vcc, 0, v14
	v_cndmask_b32_e32 v13, v13, v16, vcc
	v_cndmask_b32_e32 v14, v14, v15, vcc
	v_lshlrev_b32_e32 v15, 24, v2
	v_mov_b32_e32 v16, 0x3b800000
	v_lshlrev_b32_e32 v13, 20, v13
	v_and_b32_e32 v15, 0x80000000, v15
	v_lshl_add_u32 v14, v14, 23, v16
	v_or3_b32 v13, v15, v14, v13
.LBB3_1032:
	s_or_b64 exec, exec, s[6:7]
	flat_load_dwordx4 a[0:3], v[10:11] offset:128
	s_movk_i32 s4, 0x7f
                                        ; implicit-def: $sgpr10
	s_waitcnt vmcnt(0) lgkmcnt(0)
	v_mfma_f32_16x16x4f32 a[0:3], v12, v13, a[0:3]
	v_lshrrev_b32_e32 v13, 8, v6
	v_cmp_gt_i16_sdwa s[6:7], v13, s4 src0_sel:BYTE_0 src1_sel:DWORD
	s_mov_b64 s[4:5], 0
	s_and_saveexec_b64 s[8:9], s[6:7]
	s_xor_b64 s[6:7], exec, s[8:9]
	s_cbranch_execnz .LBB3_3081
; %bb.1033:
	s_or_saveexec_b64 s[6:7], s[6:7]
	v_mov_b32_e32 v12, s10
	s_xor_b64 exec, exec, s[6:7]
	s_cbranch_execnz .LBB3_3084
.LBB3_1034:
	s_or_b64 exec, exec, s[6:7]
	s_and_saveexec_b64 s[6:7], s[4:5]
	s_cbranch_execz .LBB3_1036
.LBB3_1035:
	v_bfe_u32 v12, v6, 8, 3
	v_ffbh_u32_e32 v15, v12
	v_min_u32_e32 v15, 32, v15
	v_lshrrev_b16_e32 v14, 3, v13
	v_subrev_u32_e32 v16, 28, v15
	v_and_b32_e32 v14, 15, v14
	v_lshlrev_b32_e32 v13, v16, v13
	v_sub_u32_e32 v15, 29, v15
	v_and_b32_e32 v13, 7, v13
	v_cmp_eq_u16_e32 vcc, 0, v14
	v_cndmask_b32_e32 v12, v12, v13, vcc
	v_cndmask_b32_e32 v13, v14, v15, vcc
	v_lshlrev_b32_e32 v14, 16, v6
	v_mov_b32_e32 v15, 0x3b800000
	v_lshlrev_b32_e32 v12, 20, v12
	v_and_b32_e32 v14, 0x80000000, v14
	v_lshl_add_u32 v13, v13, 23, v15
	v_or3_b32 v12, v14, v13, v12
.LBB3_1036:
	s_or_b64 exec, exec, s[6:7]
	v_lshrrev_b32_e32 v13, 8, v2
	s_movk_i32 s4, 0x7f
	v_cmp_gt_i16_sdwa s[6:7], v13, s4 src0_sel:BYTE_0 src1_sel:DWORD
	s_mov_b64 s[4:5], 0
                                        ; implicit-def: $sgpr10
	s_and_saveexec_b64 s[8:9], s[6:7]
	s_xor_b64 s[6:7], exec, s[8:9]
	s_cbranch_execnz .LBB3_3085
; %bb.1037:
	s_or_saveexec_b64 s[6:7], s[6:7]
	v_mov_b32_e32 v14, s10
	s_xor_b64 exec, exec, s[6:7]
	s_cbranch_execnz .LBB3_3088
.LBB3_1038:
	s_or_b64 exec, exec, s[6:7]
	s_and_saveexec_b64 s[6:7], s[4:5]
	s_cbranch_execz .LBB3_1040
.LBB3_1039:
	v_bfe_u32 v14, v2, 8, 3
	v_ffbh_u32_e32 v16, v14
	v_min_u32_e32 v16, 32, v16
	v_lshrrev_b16_e32 v15, 3, v13
	v_subrev_u32_e32 v17, 28, v16
	v_and_b32_e32 v15, 15, v15
	v_lshlrev_b32_e32 v13, v17, v13
	v_sub_u32_e32 v16, 29, v16
	v_and_b32_e32 v13, 7, v13
	v_cmp_eq_u16_e32 vcc, 0, v15
	v_cndmask_b32_e32 v13, v14, v13, vcc
	v_cndmask_b32_e32 v14, v15, v16, vcc
	v_lshlrev_b32_e32 v15, 16, v2
	v_mov_b32_e32 v16, 0x3b800000
	v_lshlrev_b32_e32 v13, 20, v13
	v_and_b32_e32 v15, 0x80000000, v15
	v_lshl_add_u32 v14, v14, 23, v16
	v_or3_b32 v14, v15, v14, v13
.LBB3_1040:
	s_or_b64 exec, exec, s[6:7]
	s_nop 0
	v_mfma_f32_16x16x4f32 a[0:3], v12, v14, a[0:3]
	s_movk_i32 s4, 0xff
	v_and_b32_sdwa v13, v6, s4 dst_sel:DWORD dst_unused:UNUSED_PAD src0_sel:WORD_1 src1_sel:DWORD
	s_movk_i32 s4, 0x7f
	v_cmp_lt_i16_e32 vcc, s4, v13
	s_mov_b64 s[4:5], 0
                                        ; implicit-def: $sgpr10
	s_and_saveexec_b64 s[6:7], vcc
	s_xor_b64 s[6:7], exec, s[6:7]
	s_cbranch_execnz .LBB3_3089
; %bb.1041:
	s_or_saveexec_b64 s[6:7], s[6:7]
	v_mov_b32_e32 v12, s10
	s_xor_b64 exec, exec, s[6:7]
	s_cbranch_execnz .LBB3_3092
.LBB3_1042:
	s_or_b64 exec, exec, s[6:7]
	s_and_saveexec_b64 s[6:7], s[4:5]
	s_cbranch_execz .LBB3_1044
.LBB3_1043:
	v_bfe_u32 v12, v6, 16, 3
	v_ffbh_u32_e32 v15, v12
	v_min_u32_e32 v15, 32, v15
	v_lshrrev_b32_e32 v13, 19, v6
	v_subrev_u32_e32 v16, 28, v15
	v_and_b32_e32 v13, 15, v13
	v_lshlrev_b32_sdwa v16, v16, v6 dst_sel:DWORD dst_unused:UNUSED_PAD src0_sel:DWORD src1_sel:WORD_1
	v_bfe_u32 v14, v6, 19, 4
	v_sub_u32_e32 v15, 29, v15
	v_and_b32_e32 v16, 7, v16
	v_cmp_eq_u16_e32 vcc, 0, v13
	v_cndmask_b32_e32 v12, v12, v16, vcc
	v_cndmask_b32_e32 v13, v14, v15, vcc
	v_lshlrev_b32_e32 v14, 8, v6
	v_mov_b32_e32 v15, 0x3b800000
	v_lshlrev_b32_e32 v12, 20, v12
	v_and_b32_e32 v14, 0x80000000, v14
	v_lshl_add_u32 v13, v13, 23, v15
	v_or3_b32 v12, v14, v13, v12
.LBB3_1044:
	s_or_b64 exec, exec, s[6:7]
	s_movk_i32 s4, 0xff
	v_and_b32_sdwa v13, v2, s4 dst_sel:DWORD dst_unused:UNUSED_PAD src0_sel:WORD_1 src1_sel:DWORD
	s_movk_i32 s4, 0x7f
	v_cmp_lt_i16_e32 vcc, s4, v13
	s_mov_b64 s[4:5], 0
                                        ; implicit-def: $sgpr10
	s_and_saveexec_b64 s[6:7], vcc
	s_xor_b64 s[6:7], exec, s[6:7]
	s_cbranch_execnz .LBB3_3093
; %bb.1045:
	s_or_saveexec_b64 s[6:7], s[6:7]
	v_mov_b32_e32 v14, s10
	s_xor_b64 exec, exec, s[6:7]
	s_cbranch_execnz .LBB3_3096
.LBB3_1046:
	s_or_b64 exec, exec, s[6:7]
	s_and_saveexec_b64 s[6:7], s[4:5]
	s_cbranch_execz .LBB3_1048
.LBB3_1047:
	v_bfe_u32 v13, v2, 16, 3
	v_ffbh_u32_e32 v16, v13
	v_min_u32_e32 v16, 32, v16
	v_lshrrev_b32_e32 v14, 19, v2
	v_subrev_u32_e32 v17, 28, v16
	v_and_b32_e32 v14, 15, v14
	v_lshlrev_b32_sdwa v17, v17, v2 dst_sel:DWORD dst_unused:UNUSED_PAD src0_sel:DWORD src1_sel:WORD_1
	v_bfe_u32 v15, v2, 19, 4
	v_sub_u32_e32 v16, 29, v16
	v_and_b32_e32 v17, 7, v17
	v_cmp_eq_u16_e32 vcc, 0, v14
	v_cndmask_b32_e32 v13, v13, v17, vcc
	v_cndmask_b32_e32 v14, v15, v16, vcc
	v_lshlrev_b32_e32 v15, 8, v2
	v_mov_b32_e32 v16, 0x3b800000
	v_lshlrev_b32_e32 v13, 20, v13
	v_and_b32_e32 v15, 0x80000000, v15
	v_lshl_add_u32 v14, v14, 23, v16
	v_or3_b32 v14, v15, v14, v13
.LBB3_1048:
	s_or_b64 exec, exec, s[6:7]
	s_nop 0
	v_mfma_f32_16x16x4f32 a[0:3], v12, v14, a[0:3]
	s_movk_i32 s4, 0x7f
	v_cmp_gt_i16_sdwa s[6:7], v6, s4 src0_sel:BYTE_3 src1_sel:DWORD
	s_mov_b64 s[4:5], 0
                                        ; implicit-def: $sgpr10
	s_and_saveexec_b64 s[8:9], s[6:7]
	s_xor_b64 s[6:7], exec, s[8:9]
	s_cbranch_execnz .LBB3_3097
; %bb.1049:
	s_or_saveexec_b64 s[6:7], s[6:7]
	v_mov_b32_e32 v12, s10
	s_xor_b64 exec, exec, s[6:7]
	s_cbranch_execnz .LBB3_3100
.LBB3_1050:
	s_or_b64 exec, exec, s[6:7]
	s_and_saveexec_b64 s[6:7], s[4:5]
	s_cbranch_execz .LBB3_1052
.LBB3_1051:
	v_bfe_u32 v12, v6, 24, 3
	v_ffbh_u32_e32 v16, v12
	v_min_u32_e32 v16, 32, v16
	v_lshrrev_b32_e32 v14, 27, v6
	v_subrev_u32_e32 v17, 28, v16
	v_and_b32_e32 v13, 0x80000000, v6
	v_and_b32_e32 v14, 15, v14
	v_bfe_u32 v15, v6, 27, 4
	v_lshlrev_b32_sdwa v6, v17, v6 dst_sel:DWORD dst_unused:UNUSED_PAD src0_sel:DWORD src1_sel:BYTE_3
	v_sub_u32_e32 v16, 29, v16
	v_and_b32_e32 v6, 7, v6
	v_cmp_eq_u16_e32 vcc, 0, v14
	v_cndmask_b32_e32 v6, v12, v6, vcc
	v_cndmask_b32_e32 v12, v15, v16, vcc
	v_mov_b32_e32 v14, 0x3b800000
	v_lshlrev_b32_e32 v6, 20, v6
	v_lshl_add_u32 v12, v12, 23, v14
	v_or3_b32 v12, v13, v12, v6
.LBB3_1052:
	s_or_b64 exec, exec, s[6:7]
	s_movk_i32 s4, 0x7f
	v_cmp_gt_i16_sdwa s[6:7], v2, s4 src0_sel:BYTE_3 src1_sel:DWORD
	s_mov_b64 s[4:5], 0
                                        ; implicit-def: $sgpr10
	s_and_saveexec_b64 s[8:9], s[6:7]
	s_xor_b64 s[6:7], exec, s[8:9]
	s_cbranch_execnz .LBB3_3101
; %bb.1053:
	s_or_saveexec_b64 s[6:7], s[6:7]
	v_mov_b32_e32 v6, s10
	s_xor_b64 exec, exec, s[6:7]
	s_cbranch_execnz .LBB3_3104
.LBB3_1054:
	s_or_b64 exec, exec, s[6:7]
	s_and_saveexec_b64 s[6:7], s[4:5]
	s_cbranch_execz .LBB3_1056
.LBB3_1055:
	v_bfe_u32 v6, v2, 24, 3
	v_ffbh_u32_e32 v16, v6
	v_min_u32_e32 v16, 32, v16
	v_lshrrev_b32_e32 v14, 27, v2
	v_subrev_u32_e32 v17, 28, v16
	v_and_b32_e32 v13, 0x80000000, v2
	v_and_b32_e32 v14, 15, v14
	v_bfe_u32 v15, v2, 27, 4
	v_lshlrev_b32_sdwa v2, v17, v2 dst_sel:DWORD dst_unused:UNUSED_PAD src0_sel:DWORD src1_sel:BYTE_3
	v_sub_u32_e32 v16, 29, v16
	v_and_b32_e32 v2, 7, v2
	v_cmp_eq_u16_e32 vcc, 0, v14
	v_cndmask_b32_e32 v2, v6, v2, vcc
	v_cndmask_b32_e32 v6, v15, v16, vcc
	v_mov_b32_e32 v14, 0x3b800000
	v_lshlrev_b32_e32 v2, 20, v2
	v_lshl_add_u32 v6, v6, 23, v14
	v_or3_b32 v6, v13, v6, v2
.LBB3_1056:
	s_or_b64 exec, exec, s[6:7]
	s_nop 0
	v_mfma_f32_16x16x4f32 a[0:3], v12, v6, a[0:3]
	s_movk_i32 s4, 0x7f
	v_cmp_gt_i16_sdwa s[6:7], v7, s4 src0_sel:BYTE_0 src1_sel:DWORD
	s_mov_b64 s[4:5], 0
                                        ; implicit-def: $sgpr10
	s_and_saveexec_b64 s[8:9], s[6:7]
	s_xor_b64 s[6:7], exec, s[8:9]
	s_cbranch_execnz .LBB3_3105
; %bb.1057:
	s_or_saveexec_b64 s[6:7], s[6:7]
	v_mov_b32_e32 v2, s10
	s_xor_b64 exec, exec, s[6:7]
	s_cbranch_execnz .LBB3_3108
.LBB3_1058:
	s_or_b64 exec, exec, s[6:7]
	s_and_saveexec_b64 s[6:7], s[4:5]
	s_cbranch_execz .LBB3_1060
.LBB3_1059:
	v_and_b32_e32 v2, 7, v7
	v_ffbh_u32_e32 v12, v2
	v_min_u32_e32 v12, 32, v12
	v_lshrrev_b16_e32 v6, 3, v7
	v_subrev_u32_e32 v13, 28, v12
	v_and_b32_e32 v6, 15, v6
	v_lshlrev_b32_e32 v13, v13, v7
	v_sub_u32_e32 v12, 29, v12
	v_and_b32_e32 v13, 7, v13
	v_cmp_eq_u16_e32 vcc, 0, v6
	v_cndmask_b32_e32 v2, v2, v13, vcc
	v_cndmask_b32_e32 v6, v6, v12, vcc
	v_lshlrev_b32_e32 v12, 24, v7
	v_mov_b32_e32 v13, 0x3b800000
	v_lshlrev_b32_e32 v2, 20, v2
	v_and_b32_e32 v12, 0x80000000, v12
	v_lshl_add_u32 v6, v6, 23, v13
	v_or3_b32 v2, v12, v6, v2
.LBB3_1060:
	s_or_b64 exec, exec, s[6:7]
	s_movk_i32 s4, 0x7f
	v_cmp_gt_i16_sdwa s[6:7], v3, s4 src0_sel:BYTE_0 src1_sel:DWORD
	s_mov_b64 s[4:5], 0
                                        ; implicit-def: $sgpr10
	s_and_saveexec_b64 s[8:9], s[6:7]
	s_xor_b64 s[6:7], exec, s[8:9]
	s_cbranch_execnz .LBB3_3109
; %bb.1061:
	s_or_saveexec_b64 s[6:7], s[6:7]
	v_mov_b32_e32 v6, s10
	s_xor_b64 exec, exec, s[6:7]
	s_cbranch_execnz .LBB3_3112
.LBB3_1062:
	s_or_b64 exec, exec, s[6:7]
	s_and_saveexec_b64 s[6:7], s[4:5]
	s_cbranch_execz .LBB3_1064
.LBB3_1063:
	v_and_b32_e32 v6, 7, v3
	v_ffbh_u32_e32 v13, v6
	v_min_u32_e32 v13, 32, v13
	v_lshrrev_b16_e32 v12, 3, v3
	v_subrev_u32_e32 v14, 28, v13
	v_and_b32_e32 v12, 15, v12
	v_lshlrev_b32_e32 v14, v14, v3
	v_sub_u32_e32 v13, 29, v13
	v_and_b32_e32 v14, 7, v14
	v_cmp_eq_u16_e32 vcc, 0, v12
	v_cndmask_b32_e32 v6, v6, v14, vcc
	v_cndmask_b32_e32 v12, v12, v13, vcc
	v_lshlrev_b32_e32 v13, 24, v3
	v_mov_b32_e32 v14, 0x3b800000
	v_lshlrev_b32_e32 v6, 20, v6
	v_and_b32_e32 v13, 0x80000000, v13
	v_lshl_add_u32 v12, v12, 23, v14
	v_or3_b32 v6, v13, v12, v6
.LBB3_1064:
	s_or_b64 exec, exec, s[6:7]
	s_nop 0
	v_mfma_f32_16x16x4f32 a[0:3], v2, v6, a[0:3]
	v_lshrrev_b32_e32 v6, 8, v7
	s_movk_i32 s4, 0x7f
	v_cmp_gt_i16_sdwa s[6:7], v6, s4 src0_sel:BYTE_0 src1_sel:DWORD
	s_mov_b64 s[4:5], 0
                                        ; implicit-def: $sgpr10
	s_and_saveexec_b64 s[8:9], s[6:7]
	s_xor_b64 s[6:7], exec, s[8:9]
	s_cbranch_execnz .LBB3_3113
; %bb.1065:
	s_or_saveexec_b64 s[6:7], s[6:7]
	v_mov_b32_e32 v2, s10
	s_xor_b64 exec, exec, s[6:7]
	s_cbranch_execnz .LBB3_3116
.LBB3_1066:
	s_or_b64 exec, exec, s[6:7]
	s_and_saveexec_b64 s[6:7], s[4:5]
	s_cbranch_execz .LBB3_1068
.LBB3_1067:
	v_bfe_u32 v2, v7, 8, 3
	v_ffbh_u32_e32 v13, v2
	v_min_u32_e32 v13, 32, v13
	v_lshrrev_b16_e32 v12, 3, v6
	v_subrev_u32_e32 v14, 28, v13
	v_and_b32_e32 v12, 15, v12
	v_lshlrev_b32_e32 v6, v14, v6
	v_sub_u32_e32 v13, 29, v13
	v_and_b32_e32 v6, 7, v6
	v_cmp_eq_u16_e32 vcc, 0, v12
	v_cndmask_b32_e32 v2, v2, v6, vcc
	v_cndmask_b32_e32 v6, v12, v13, vcc
	v_lshlrev_b32_e32 v12, 16, v7
	v_mov_b32_e32 v13, 0x3b800000
	v_lshlrev_b32_e32 v2, 20, v2
	v_and_b32_e32 v12, 0x80000000, v12
	v_lshl_add_u32 v6, v6, 23, v13
	v_or3_b32 v2, v12, v6, v2
.LBB3_1068:
	s_or_b64 exec, exec, s[6:7]
	v_lshrrev_b32_e32 v6, 8, v3
	s_movk_i32 s4, 0x7f
	v_cmp_gt_i16_sdwa s[6:7], v6, s4 src0_sel:BYTE_0 src1_sel:DWORD
	s_mov_b64 s[4:5], 0
                                        ; implicit-def: $sgpr10
	s_and_saveexec_b64 s[8:9], s[6:7]
	s_xor_b64 s[6:7], exec, s[8:9]
	s_cbranch_execnz .LBB3_3117
; %bb.1069:
	s_or_saveexec_b64 s[6:7], s[6:7]
	v_mov_b32_e32 v12, s10
	s_xor_b64 exec, exec, s[6:7]
	s_cbranch_execnz .LBB3_3120
.LBB3_1070:
	s_or_b64 exec, exec, s[6:7]
	s_and_saveexec_b64 s[6:7], s[4:5]
	s_cbranch_execz .LBB3_1072
.LBB3_1071:
	v_bfe_u32 v12, v3, 8, 3
	v_ffbh_u32_e32 v14, v12
	v_min_u32_e32 v14, 32, v14
	v_lshrrev_b16_e32 v13, 3, v6
	v_subrev_u32_e32 v15, 28, v14
	v_and_b32_e32 v13, 15, v13
	v_lshlrev_b32_e32 v6, v15, v6
	v_sub_u32_e32 v14, 29, v14
	v_and_b32_e32 v6, 7, v6
	v_cmp_eq_u16_e32 vcc, 0, v13
	v_cndmask_b32_e32 v6, v12, v6, vcc
	v_cndmask_b32_e32 v12, v13, v14, vcc
	v_lshlrev_b32_e32 v13, 16, v3
	v_mov_b32_e32 v14, 0x3b800000
	v_lshlrev_b32_e32 v6, 20, v6
	v_and_b32_e32 v13, 0x80000000, v13
	v_lshl_add_u32 v12, v12, 23, v14
	v_or3_b32 v12, v13, v12, v6
.LBB3_1072:
	s_or_b64 exec, exec, s[6:7]
	s_nop 0
	v_mfma_f32_16x16x4f32 a[0:3], v2, v12, a[0:3]
	s_movk_i32 s4, 0xff
	v_and_b32_sdwa v6, v7, s4 dst_sel:DWORD dst_unused:UNUSED_PAD src0_sel:WORD_1 src1_sel:DWORD
	s_movk_i32 s4, 0x7f
	v_cmp_lt_i16_e32 vcc, s4, v6
	s_mov_b64 s[4:5], 0
                                        ; implicit-def: $sgpr10
	s_and_saveexec_b64 s[6:7], vcc
	s_xor_b64 s[6:7], exec, s[6:7]
	s_cbranch_execnz .LBB3_3121
; %bb.1073:
	s_or_saveexec_b64 s[6:7], s[6:7]
	v_mov_b32_e32 v2, s10
	s_xor_b64 exec, exec, s[6:7]
	s_cbranch_execnz .LBB3_3124
.LBB3_1074:
	s_or_b64 exec, exec, s[6:7]
	s_and_saveexec_b64 s[6:7], s[4:5]
	s_cbranch_execz .LBB3_1076
.LBB3_1075:
	v_bfe_u32 v2, v7, 16, 3
	v_ffbh_u32_e32 v13, v2
	v_min_u32_e32 v13, 32, v13
	v_lshrrev_b32_e32 v6, 19, v7
	v_subrev_u32_e32 v14, 28, v13
	v_and_b32_e32 v6, 15, v6
	v_lshlrev_b32_sdwa v14, v14, v7 dst_sel:DWORD dst_unused:UNUSED_PAD src0_sel:DWORD src1_sel:WORD_1
	v_bfe_u32 v12, v7, 19, 4
	v_sub_u32_e32 v13, 29, v13
	v_and_b32_e32 v14, 7, v14
	v_cmp_eq_u16_e32 vcc, 0, v6
	v_cndmask_b32_e32 v2, v2, v14, vcc
	v_cndmask_b32_e32 v6, v12, v13, vcc
	v_lshlrev_b32_e32 v12, 8, v7
	v_mov_b32_e32 v13, 0x3b800000
	v_lshlrev_b32_e32 v2, 20, v2
	v_and_b32_e32 v12, 0x80000000, v12
	v_lshl_add_u32 v6, v6, 23, v13
	v_or3_b32 v2, v12, v6, v2
.LBB3_1076:
	s_or_b64 exec, exec, s[6:7]
	s_movk_i32 s4, 0xff
	v_and_b32_sdwa v6, v3, s4 dst_sel:DWORD dst_unused:UNUSED_PAD src0_sel:WORD_1 src1_sel:DWORD
	s_movk_i32 s4, 0x7f
	v_cmp_lt_i16_e32 vcc, s4, v6
	s_mov_b64 s[4:5], 0
                                        ; implicit-def: $sgpr10
	s_and_saveexec_b64 s[6:7], vcc
	s_xor_b64 s[6:7], exec, s[6:7]
	s_cbranch_execnz .LBB3_3125
; %bb.1077:
	s_or_saveexec_b64 s[6:7], s[6:7]
	v_mov_b32_e32 v12, s10
	s_xor_b64 exec, exec, s[6:7]
	s_cbranch_execnz .LBB3_3128
.LBB3_1078:
	s_or_b64 exec, exec, s[6:7]
	s_and_saveexec_b64 s[6:7], s[4:5]
	s_cbranch_execz .LBB3_1080
.LBB3_1079:
	v_bfe_u32 v6, v3, 16, 3
	v_ffbh_u32_e32 v14, v6
	v_min_u32_e32 v14, 32, v14
	v_lshrrev_b32_e32 v12, 19, v3
	v_subrev_u32_e32 v15, 28, v14
	v_and_b32_e32 v12, 15, v12
	v_lshlrev_b32_sdwa v15, v15, v3 dst_sel:DWORD dst_unused:UNUSED_PAD src0_sel:DWORD src1_sel:WORD_1
	v_bfe_u32 v13, v3, 19, 4
	v_sub_u32_e32 v14, 29, v14
	v_and_b32_e32 v15, 7, v15
	v_cmp_eq_u16_e32 vcc, 0, v12
	v_cndmask_b32_e32 v6, v6, v15, vcc
	v_cndmask_b32_e32 v12, v13, v14, vcc
	v_lshlrev_b32_e32 v13, 8, v3
	v_mov_b32_e32 v14, 0x3b800000
	v_lshlrev_b32_e32 v6, 20, v6
	v_and_b32_e32 v13, 0x80000000, v13
	v_lshl_add_u32 v12, v12, 23, v14
	v_or3_b32 v12, v13, v12, v6
.LBB3_1080:
	s_or_b64 exec, exec, s[6:7]
	s_nop 0
	v_mfma_f32_16x16x4f32 a[0:3], v2, v12, a[0:3]
	s_movk_i32 s4, 0x7f
	v_cmp_gt_i16_sdwa s[6:7], v7, s4 src0_sel:BYTE_3 src1_sel:DWORD
	s_mov_b64 s[4:5], 0
                                        ; implicit-def: $sgpr10
	s_and_saveexec_b64 s[8:9], s[6:7]
	s_xor_b64 s[6:7], exec, s[8:9]
	s_cbranch_execnz .LBB3_3129
; %bb.1081:
	s_or_saveexec_b64 s[6:7], s[6:7]
	v_mov_b32_e32 v2, s10
	s_xor_b64 exec, exec, s[6:7]
	s_cbranch_execnz .LBB3_3132
.LBB3_1082:
	s_or_b64 exec, exec, s[6:7]
	s_and_saveexec_b64 s[6:7], s[4:5]
	s_cbranch_execz .LBB3_1084
.LBB3_1083:
	v_bfe_u32 v2, v7, 24, 3
	v_ffbh_u32_e32 v14, v2
	v_min_u32_e32 v14, 32, v14
	v_lshrrev_b32_e32 v12, 27, v7
	v_subrev_u32_e32 v15, 28, v14
	v_and_b32_e32 v6, 0x80000000, v7
	v_and_b32_e32 v12, 15, v12
	v_bfe_u32 v13, v7, 27, 4
	v_lshlrev_b32_sdwa v7, v15, v7 dst_sel:DWORD dst_unused:UNUSED_PAD src0_sel:DWORD src1_sel:BYTE_3
	v_sub_u32_e32 v14, 29, v14
	v_and_b32_e32 v7, 7, v7
	v_cmp_eq_u16_e32 vcc, 0, v12
	v_cndmask_b32_e32 v2, v2, v7, vcc
	v_cndmask_b32_e32 v7, v13, v14, vcc
	v_mov_b32_e32 v12, 0x3b800000
	v_lshlrev_b32_e32 v2, 20, v2
	v_lshl_add_u32 v7, v7, 23, v12
	v_or3_b32 v2, v6, v7, v2
.LBB3_1084:
	s_or_b64 exec, exec, s[6:7]
	s_movk_i32 s4, 0x7f
	v_cmp_gt_i16_sdwa s[6:7], v3, s4 src0_sel:BYTE_3 src1_sel:DWORD
	s_mov_b64 s[4:5], 0
                                        ; implicit-def: $sgpr10
	s_and_saveexec_b64 s[8:9], s[6:7]
	s_xor_b64 s[6:7], exec, s[8:9]
	s_cbranch_execnz .LBB3_3133
; %bb.1085:
	s_or_saveexec_b64 s[6:7], s[6:7]
	v_mov_b32_e32 v6, s10
	s_xor_b64 exec, exec, s[6:7]
	s_cbranch_execnz .LBB3_3136
.LBB3_1086:
	s_or_b64 exec, exec, s[6:7]
	s_and_saveexec_b64 s[6:7], s[4:5]
	s_cbranch_execz .LBB3_1088
.LBB3_1087:
	v_bfe_u32 v6, v3, 24, 3
	v_ffbh_u32_e32 v14, v6
	v_min_u32_e32 v14, 32, v14
	v_lshrrev_b32_e32 v12, 27, v3
	v_subrev_u32_e32 v15, 28, v14
	v_and_b32_e32 v7, 0x80000000, v3
	v_and_b32_e32 v12, 15, v12
	v_bfe_u32 v13, v3, 27, 4
	v_lshlrev_b32_sdwa v3, v15, v3 dst_sel:DWORD dst_unused:UNUSED_PAD src0_sel:DWORD src1_sel:BYTE_3
	v_sub_u32_e32 v14, 29, v14
	v_and_b32_e32 v3, 7, v3
	v_cmp_eq_u16_e32 vcc, 0, v12
	v_cndmask_b32_e32 v3, v6, v3, vcc
	v_cndmask_b32_e32 v6, v13, v14, vcc
	v_mov_b32_e32 v12, 0x3b800000
	v_lshlrev_b32_e32 v3, 20, v3
	v_lshl_add_u32 v6, v6, 23, v12
	v_or3_b32 v6, v7, v6, v3
.LBB3_1088:
	s_or_b64 exec, exec, s[6:7]
	s_nop 0
	v_mfma_f32_16x16x4f32 a[0:3], v2, v6, a[0:3]
	s_movk_i32 s4, 0x7f
	v_cmp_gt_i16_sdwa s[6:7], v8, s4 src0_sel:BYTE_0 src1_sel:DWORD
	s_mov_b64 s[4:5], 0
                                        ; implicit-def: $sgpr10
	s_and_saveexec_b64 s[8:9], s[6:7]
	s_xor_b64 s[6:7], exec, s[8:9]
	s_cbranch_execnz .LBB3_3137
; %bb.1089:
	s_or_saveexec_b64 s[6:7], s[6:7]
	v_mov_b32_e32 v2, s10
	s_xor_b64 exec, exec, s[6:7]
	s_cbranch_execnz .LBB3_3140
.LBB3_1090:
	s_or_b64 exec, exec, s[6:7]
	s_and_saveexec_b64 s[6:7], s[4:5]
	s_cbranch_execz .LBB3_1092
.LBB3_1091:
	v_and_b32_e32 v2, 7, v8
	v_ffbh_u32_e32 v6, v2
	v_min_u32_e32 v6, 32, v6
	v_lshrrev_b16_e32 v3, 3, v8
	v_subrev_u32_e32 v7, 28, v6
	v_and_b32_e32 v3, 15, v3
	v_lshlrev_b32_e32 v7, v7, v8
	v_sub_u32_e32 v6, 29, v6
	v_and_b32_e32 v7, 7, v7
	v_cmp_eq_u16_e32 vcc, 0, v3
	v_cndmask_b32_e32 v2, v2, v7, vcc
	v_cndmask_b32_e32 v3, v3, v6, vcc
	v_lshlrev_b32_e32 v6, 24, v8
	v_mov_b32_e32 v7, 0x3b800000
	v_lshlrev_b32_e32 v2, 20, v2
	v_and_b32_e32 v6, 0x80000000, v6
	v_lshl_add_u32 v3, v3, 23, v7
	v_or3_b32 v2, v6, v3, v2
.LBB3_1092:
	s_or_b64 exec, exec, s[6:7]
	s_movk_i32 s4, 0x7f
	v_cmp_gt_i16_sdwa s[6:7], v4, s4 src0_sel:BYTE_0 src1_sel:DWORD
	s_mov_b64 s[4:5], 0
                                        ; implicit-def: $sgpr10
	s_and_saveexec_b64 s[8:9], s[6:7]
	s_xor_b64 s[6:7], exec, s[8:9]
	s_cbranch_execnz .LBB3_3141
; %bb.1093:
	s_or_saveexec_b64 s[6:7], s[6:7]
	v_mov_b32_e32 v3, s10
	s_xor_b64 exec, exec, s[6:7]
	s_cbranch_execnz .LBB3_3144
.LBB3_1094:
	s_or_b64 exec, exec, s[6:7]
	s_and_saveexec_b64 s[6:7], s[4:5]
	s_cbranch_execz .LBB3_1096
.LBB3_1095:
	v_and_b32_e32 v3, 7, v4
	v_ffbh_u32_e32 v7, v3
	v_min_u32_e32 v7, 32, v7
	v_lshrrev_b16_e32 v6, 3, v4
	v_subrev_u32_e32 v12, 28, v7
	v_and_b32_e32 v6, 15, v6
	v_lshlrev_b32_e32 v12, v12, v4
	v_sub_u32_e32 v7, 29, v7
	v_and_b32_e32 v12, 7, v12
	v_cmp_eq_u16_e32 vcc, 0, v6
	v_cndmask_b32_e32 v3, v3, v12, vcc
	v_cndmask_b32_e32 v6, v6, v7, vcc
	v_lshlrev_b32_e32 v7, 24, v4
	v_mov_b32_e32 v12, 0x3b800000
	v_lshlrev_b32_e32 v3, 20, v3
	v_and_b32_e32 v7, 0x80000000, v7
	v_lshl_add_u32 v6, v6, 23, v12
	v_or3_b32 v3, v7, v6, v3
.LBB3_1096:
	s_or_b64 exec, exec, s[6:7]
	s_nop 0
	v_mfma_f32_16x16x4f32 a[0:3], v2, v3, a[0:3]
	v_lshrrev_b32_e32 v3, 8, v8
	s_movk_i32 s4, 0x7f
	v_cmp_gt_i16_sdwa s[6:7], v3, s4 src0_sel:BYTE_0 src1_sel:DWORD
	s_mov_b64 s[4:5], 0
                                        ; implicit-def: $sgpr10
	s_and_saveexec_b64 s[8:9], s[6:7]
	s_xor_b64 s[6:7], exec, s[8:9]
	s_cbranch_execnz .LBB3_3145
; %bb.1097:
	s_or_saveexec_b64 s[6:7], s[6:7]
	v_mov_b32_e32 v2, s10
	s_xor_b64 exec, exec, s[6:7]
	s_cbranch_execnz .LBB3_3148
.LBB3_1098:
	s_or_b64 exec, exec, s[6:7]
	s_and_saveexec_b64 s[6:7], s[4:5]
	s_cbranch_execz .LBB3_1100
.LBB3_1099:
	v_bfe_u32 v2, v8, 8, 3
	v_ffbh_u32_e32 v7, v2
	v_min_u32_e32 v7, 32, v7
	v_lshrrev_b16_e32 v6, 3, v3
	v_subrev_u32_e32 v12, 28, v7
	v_and_b32_e32 v6, 15, v6
	v_lshlrev_b32_e32 v3, v12, v3
	v_sub_u32_e32 v7, 29, v7
	v_and_b32_e32 v3, 7, v3
	v_cmp_eq_u16_e32 vcc, 0, v6
	v_cndmask_b32_e32 v2, v2, v3, vcc
	v_cndmask_b32_e32 v3, v6, v7, vcc
	v_lshlrev_b32_e32 v6, 16, v8
	v_mov_b32_e32 v7, 0x3b800000
	v_lshlrev_b32_e32 v2, 20, v2
	v_and_b32_e32 v6, 0x80000000, v6
	v_lshl_add_u32 v3, v3, 23, v7
	v_or3_b32 v2, v6, v3, v2
.LBB3_1100:
	s_or_b64 exec, exec, s[6:7]
	v_lshrrev_b32_e32 v3, 8, v4
	s_movk_i32 s4, 0x7f
	v_cmp_gt_i16_sdwa s[6:7], v3, s4 src0_sel:BYTE_0 src1_sel:DWORD
	s_mov_b64 s[4:5], 0
                                        ; implicit-def: $sgpr10
	s_and_saveexec_b64 s[8:9], s[6:7]
	s_xor_b64 s[6:7], exec, s[8:9]
	s_cbranch_execnz .LBB3_3149
; %bb.1101:
	s_or_saveexec_b64 s[6:7], s[6:7]
	v_mov_b32_e32 v6, s10
	s_xor_b64 exec, exec, s[6:7]
	s_cbranch_execnz .LBB3_3152
.LBB3_1102:
	s_or_b64 exec, exec, s[6:7]
	s_and_saveexec_b64 s[6:7], s[4:5]
	s_cbranch_execz .LBB3_1104
.LBB3_1103:
	v_bfe_u32 v6, v4, 8, 3
	v_ffbh_u32_e32 v12, v6
	v_min_u32_e32 v12, 32, v12
	v_lshrrev_b16_e32 v7, 3, v3
	v_subrev_u32_e32 v13, 28, v12
	v_and_b32_e32 v7, 15, v7
	v_lshlrev_b32_e32 v3, v13, v3
	v_sub_u32_e32 v12, 29, v12
	v_and_b32_e32 v3, 7, v3
	v_cmp_eq_u16_e32 vcc, 0, v7
	v_cndmask_b32_e32 v3, v6, v3, vcc
	v_cndmask_b32_e32 v6, v7, v12, vcc
	v_lshlrev_b32_e32 v7, 16, v4
	v_mov_b32_e32 v12, 0x3b800000
	v_lshlrev_b32_e32 v3, 20, v3
	v_and_b32_e32 v7, 0x80000000, v7
	v_lshl_add_u32 v6, v6, 23, v12
	v_or3_b32 v6, v7, v6, v3
.LBB3_1104:
	s_or_b64 exec, exec, s[6:7]
	s_nop 0
	v_mfma_f32_16x16x4f32 a[0:3], v2, v6, a[0:3]
	s_movk_i32 s4, 0xff
	v_and_b32_sdwa v3, v8, s4 dst_sel:DWORD dst_unused:UNUSED_PAD src0_sel:WORD_1 src1_sel:DWORD
	s_movk_i32 s4, 0x7f
	v_cmp_lt_i16_e32 vcc, s4, v3
	s_mov_b64 s[4:5], 0
                                        ; implicit-def: $sgpr10
	s_and_saveexec_b64 s[6:7], vcc
	s_xor_b64 s[6:7], exec, s[6:7]
	s_cbranch_execnz .LBB3_3153
; %bb.1105:
	s_or_saveexec_b64 s[6:7], s[6:7]
	v_mov_b32_e32 v2, s10
	s_xor_b64 exec, exec, s[6:7]
	s_cbranch_execnz .LBB3_3156
.LBB3_1106:
	s_or_b64 exec, exec, s[6:7]
	s_and_saveexec_b64 s[6:7], s[4:5]
	s_cbranch_execz .LBB3_1108
.LBB3_1107:
	v_bfe_u32 v2, v8, 16, 3
	v_ffbh_u32_e32 v7, v2
	v_min_u32_e32 v7, 32, v7
	v_lshrrev_b32_e32 v3, 19, v8
	v_subrev_u32_e32 v12, 28, v7
	v_and_b32_e32 v3, 15, v3
	v_lshlrev_b32_sdwa v12, v12, v8 dst_sel:DWORD dst_unused:UNUSED_PAD src0_sel:DWORD src1_sel:WORD_1
	v_bfe_u32 v6, v8, 19, 4
	v_sub_u32_e32 v7, 29, v7
	v_and_b32_e32 v12, 7, v12
	v_cmp_eq_u16_e32 vcc, 0, v3
	v_cndmask_b32_e32 v2, v2, v12, vcc
	v_cndmask_b32_e32 v3, v6, v7, vcc
	v_lshlrev_b32_e32 v6, 8, v8
	v_mov_b32_e32 v7, 0x3b800000
	v_lshlrev_b32_e32 v2, 20, v2
	v_and_b32_e32 v6, 0x80000000, v6
	v_lshl_add_u32 v3, v3, 23, v7
	v_or3_b32 v2, v6, v3, v2
.LBB3_1108:
	s_or_b64 exec, exec, s[6:7]
	s_movk_i32 s4, 0xff
	v_and_b32_sdwa v3, v4, s4 dst_sel:DWORD dst_unused:UNUSED_PAD src0_sel:WORD_1 src1_sel:DWORD
	s_movk_i32 s4, 0x7f
	v_cmp_lt_i16_e32 vcc, s4, v3
	s_mov_b64 s[4:5], 0
                                        ; implicit-def: $sgpr10
	s_and_saveexec_b64 s[6:7], vcc
	s_xor_b64 s[6:7], exec, s[6:7]
	s_cbranch_execnz .LBB3_3157
; %bb.1109:
	s_or_saveexec_b64 s[6:7], s[6:7]
	v_mov_b32_e32 v6, s10
	s_xor_b64 exec, exec, s[6:7]
	s_cbranch_execnz .LBB3_3160
.LBB3_1110:
	s_or_b64 exec, exec, s[6:7]
	s_and_saveexec_b64 s[6:7], s[4:5]
	s_cbranch_execz .LBB3_1112
.LBB3_1111:
	v_bfe_u32 v3, v4, 16, 3
	v_ffbh_u32_e32 v12, v3
	v_min_u32_e32 v12, 32, v12
	v_lshrrev_b32_e32 v6, 19, v4
	v_subrev_u32_e32 v13, 28, v12
	v_and_b32_e32 v6, 15, v6
	v_lshlrev_b32_sdwa v13, v13, v4 dst_sel:DWORD dst_unused:UNUSED_PAD src0_sel:DWORD src1_sel:WORD_1
	v_bfe_u32 v7, v4, 19, 4
	v_sub_u32_e32 v12, 29, v12
	v_and_b32_e32 v13, 7, v13
	v_cmp_eq_u16_e32 vcc, 0, v6
	v_cndmask_b32_e32 v3, v3, v13, vcc
	v_cndmask_b32_e32 v6, v7, v12, vcc
	v_lshlrev_b32_e32 v7, 8, v4
	v_mov_b32_e32 v12, 0x3b800000
	v_lshlrev_b32_e32 v3, 20, v3
	v_and_b32_e32 v7, 0x80000000, v7
	v_lshl_add_u32 v6, v6, 23, v12
	v_or3_b32 v6, v7, v6, v3
.LBB3_1112:
	s_or_b64 exec, exec, s[6:7]
	s_nop 0
	v_mfma_f32_16x16x4f32 a[0:3], v2, v6, a[0:3]
	s_movk_i32 s4, 0x7f
	v_cmp_gt_i16_sdwa s[6:7], v8, s4 src0_sel:BYTE_3 src1_sel:DWORD
	s_mov_b64 s[4:5], 0
                                        ; implicit-def: $sgpr10
	s_and_saveexec_b64 s[8:9], s[6:7]
	s_xor_b64 s[6:7], exec, s[8:9]
	s_cbranch_execnz .LBB3_3161
; %bb.1113:
	s_or_saveexec_b64 s[6:7], s[6:7]
	v_mov_b32_e32 v2, s10
	s_xor_b64 exec, exec, s[6:7]
	s_cbranch_execnz .LBB3_3164
.LBB3_1114:
	s_or_b64 exec, exec, s[6:7]
	s_and_saveexec_b64 s[6:7], s[4:5]
	s_cbranch_execz .LBB3_1116
.LBB3_1115:
	v_bfe_u32 v2, v8, 24, 3
	v_ffbh_u32_e32 v12, v2
	v_min_u32_e32 v12, 32, v12
	v_lshrrev_b32_e32 v6, 27, v8
	v_subrev_u32_e32 v13, 28, v12
	v_and_b32_e32 v3, 0x80000000, v8
	v_and_b32_e32 v6, 15, v6
	v_bfe_u32 v7, v8, 27, 4
	v_lshlrev_b32_sdwa v8, v13, v8 dst_sel:DWORD dst_unused:UNUSED_PAD src0_sel:DWORD src1_sel:BYTE_3
	v_sub_u32_e32 v12, 29, v12
	v_and_b32_e32 v8, 7, v8
	v_cmp_eq_u16_e32 vcc, 0, v6
	v_cndmask_b32_e32 v2, v2, v8, vcc
	v_cndmask_b32_e32 v6, v7, v12, vcc
	v_mov_b32_e32 v7, 0x3b800000
	v_lshlrev_b32_e32 v2, 20, v2
	v_lshl_add_u32 v6, v6, 23, v7
	v_or3_b32 v2, v3, v6, v2
.LBB3_1116:
	s_or_b64 exec, exec, s[6:7]
	s_movk_i32 s4, 0x7f
	v_cmp_gt_i16_sdwa s[6:7], v4, s4 src0_sel:BYTE_3 src1_sel:DWORD
	s_mov_b64 s[4:5], 0
                                        ; implicit-def: $sgpr10
	s_and_saveexec_b64 s[8:9], s[6:7]
	s_xor_b64 s[6:7], exec, s[8:9]
	s_cbranch_execnz .LBB3_3165
; %bb.1117:
	s_or_saveexec_b64 s[6:7], s[6:7]
	v_mov_b32_e32 v3, s10
	s_xor_b64 exec, exec, s[6:7]
	s_cbranch_execnz .LBB3_3168
.LBB3_1118:
	s_or_b64 exec, exec, s[6:7]
	s_and_saveexec_b64 s[6:7], s[4:5]
	s_cbranch_execz .LBB3_1120
.LBB3_1119:
	v_bfe_u32 v3, v4, 24, 3
	v_ffbh_u32_e32 v12, v3
	v_min_u32_e32 v12, 32, v12
	v_lshrrev_b32_e32 v7, 27, v4
	v_subrev_u32_e32 v13, 28, v12
	v_and_b32_e32 v6, 0x80000000, v4
	v_and_b32_e32 v7, 15, v7
	v_bfe_u32 v8, v4, 27, 4
	v_lshlrev_b32_sdwa v4, v13, v4 dst_sel:DWORD dst_unused:UNUSED_PAD src0_sel:DWORD src1_sel:BYTE_3
	v_sub_u32_e32 v12, 29, v12
	v_and_b32_e32 v4, 7, v4
	v_cmp_eq_u16_e32 vcc, 0, v7
	v_cndmask_b32_e32 v3, v3, v4, vcc
	v_cndmask_b32_e32 v4, v8, v12, vcc
	v_mov_b32_e32 v7, 0x3b800000
	v_lshlrev_b32_e32 v3, 20, v3
	v_lshl_add_u32 v4, v4, 23, v7
	v_or3_b32 v3, v6, v4, v3
.LBB3_1120:
	s_or_b64 exec, exec, s[6:7]
	s_nop 0
	v_mfma_f32_16x16x4f32 a[0:3], v2, v3, a[0:3]
	s_movk_i32 s4, 0x7f
	v_cmp_gt_i16_sdwa s[6:7], v9, s4 src0_sel:BYTE_0 src1_sel:DWORD
	s_mov_b64 s[4:5], 0
                                        ; implicit-def: $sgpr10
	s_and_saveexec_b64 s[8:9], s[6:7]
	s_xor_b64 s[6:7], exec, s[8:9]
	s_cbranch_execnz .LBB3_3169
; %bb.1121:
	s_or_saveexec_b64 s[6:7], s[6:7]
	v_mov_b32_e32 v2, s10
	s_xor_b64 exec, exec, s[6:7]
	s_cbranch_execnz .LBB3_3172
.LBB3_1122:
	s_or_b64 exec, exec, s[6:7]
	s_and_saveexec_b64 s[6:7], s[4:5]
	s_cbranch_execz .LBB3_1124
.LBB3_1123:
	v_mov_b32_e32 v2, 8
	v_and_b32_e32 v3, 7, v9
	v_lshrrev_b32_sdwa v2, v2, v9 dst_sel:BYTE_1 dst_unused:UNUSED_PAD src0_sel:DWORD src1_sel:DWORD
	v_ffbh_u32_e32 v4, v3
	v_or_b32_sdwa v2, v9, v2 dst_sel:DWORD dst_unused:UNUSED_PAD src0_sel:BYTE_0 src1_sel:DWORD
	v_min_u32_e32 v4, 32, v4
	v_lshrrev_b16_e32 v2, 3, v2
	v_subrev_u32_e32 v6, 28, v4
	v_and_b32_e32 v2, 15, v2
	v_lshlrev_b32_e32 v6, v6, v9
	v_sub_u32_e32 v4, 29, v4
	v_and_b32_e32 v6, 7, v6
	v_cmp_eq_u16_e32 vcc, 0, v2
	v_cndmask_b32_e32 v3, v3, v6, vcc
	v_cndmask_b32_e32 v2, v2, v4, vcc
	v_lshlrev_b32_e32 v4, 24, v9
	v_mov_b32_e32 v6, 0x3b800000
	v_lshlrev_b32_e32 v3, 20, v3
	v_and_b32_e32 v4, 0x80000000, v4
	v_lshl_add_u32 v2, v2, 23, v6
	v_or3_b32 v2, v4, v2, v3
.LBB3_1124:
	s_or_b64 exec, exec, s[6:7]
	s_movk_i32 s4, 0x7f
	v_cmp_gt_i16_sdwa s[6:7], v5, s4 src0_sel:BYTE_0 src1_sel:DWORD
	s_mov_b64 s[4:5], 0
                                        ; implicit-def: $sgpr10
	s_and_saveexec_b64 s[8:9], s[6:7]
	s_xor_b64 s[6:7], exec, s[8:9]
	s_cbranch_execnz .LBB3_3173
; %bb.1125:
	s_or_saveexec_b64 s[6:7], s[6:7]
	v_mov_b32_e32 v3, s10
	s_xor_b64 exec, exec, s[6:7]
	s_cbranch_execnz .LBB3_3176
.LBB3_1126:
	s_or_b64 exec, exec, s[6:7]
	s_and_saveexec_b64 s[6:7], s[4:5]
	s_cbranch_execz .LBB3_1128
.LBB3_1127:
	v_mov_b32_e32 v3, 8
	v_and_b32_e32 v4, 7, v5
	v_lshrrev_b32_sdwa v3, v3, v5 dst_sel:BYTE_1 dst_unused:UNUSED_PAD src0_sel:DWORD src1_sel:DWORD
	v_ffbh_u32_e32 v6, v4
	v_or_b32_sdwa v3, v5, v3 dst_sel:DWORD dst_unused:UNUSED_PAD src0_sel:BYTE_0 src1_sel:DWORD
	v_min_u32_e32 v6, 32, v6
	v_lshrrev_b16_e32 v3, 3, v3
	v_subrev_u32_e32 v7, 28, v6
	v_and_b32_e32 v3, 15, v3
	v_lshlrev_b32_e32 v7, v7, v5
	v_sub_u32_e32 v6, 29, v6
	v_and_b32_e32 v7, 7, v7
	v_cmp_eq_u16_e32 vcc, 0, v3
	v_cndmask_b32_e32 v4, v4, v7, vcc
	v_cndmask_b32_e32 v3, v3, v6, vcc
	v_lshlrev_b32_e32 v6, 24, v5
	v_mov_b32_e32 v7, 0x3b800000
	v_lshlrev_b32_e32 v4, 20, v4
	v_and_b32_e32 v6, 0x80000000, v6
	v_lshl_add_u32 v3, v3, 23, v7
	v_or3_b32 v3, v6, v3, v4
.LBB3_1128:
	s_or_b64 exec, exec, s[6:7]
	s_nop 0
	v_mfma_f32_16x16x4f32 a[0:3], v2, v3, a[0:3]
	v_lshrrev_b32_e32 v3, 8, v9
	s_movk_i32 s4, 0x7f
	v_cmp_gt_i16_sdwa s[6:7], v3, s4 src0_sel:BYTE_0 src1_sel:DWORD
	s_mov_b64 s[4:5], 0
                                        ; implicit-def: $sgpr10
	s_and_saveexec_b64 s[8:9], s[6:7]
	s_xor_b64 s[6:7], exec, s[8:9]
	s_cbranch_execnz .LBB3_3177
; %bb.1129:
	s_or_saveexec_b64 s[6:7], s[6:7]
	v_mov_b32_e32 v2, s10
	s_xor_b64 exec, exec, s[6:7]
	s_cbranch_execnz .LBB3_3180
.LBB3_1130:
	s_or_b64 exec, exec, s[6:7]
	s_and_saveexec_b64 s[6:7], s[4:5]
	s_cbranch_execz .LBB3_1132
.LBB3_1131:
	v_bfe_u32 v2, v9, 8, 3
	v_ffbh_u32_e32 v6, v2
	v_min_u32_e32 v6, 32, v6
	v_lshrrev_b16_e32 v4, 3, v3
	v_subrev_u32_e32 v7, 28, v6
	v_and_b32_e32 v4, 15, v4
	v_lshlrev_b32_e32 v3, v7, v3
	v_sub_u32_e32 v6, 29, v6
	v_and_b32_e32 v3, 7, v3
	v_cmp_eq_u16_e32 vcc, 0, v4
	v_cndmask_b32_e32 v2, v2, v3, vcc
	v_cndmask_b32_e32 v3, v4, v6, vcc
	v_lshlrev_b32_e32 v4, 16, v9
	v_mov_b32_e32 v6, 0x3b800000
	v_lshlrev_b32_e32 v2, 20, v2
	v_and_b32_e32 v4, 0x80000000, v4
	v_lshl_add_u32 v3, v3, 23, v6
	v_or3_b32 v2, v4, v3, v2
.LBB3_1132:
	s_or_b64 exec, exec, s[6:7]
	v_lshrrev_b32_e32 v3, 8, v5
	s_movk_i32 s4, 0x7f
	v_cmp_gt_i16_sdwa s[6:7], v3, s4 src0_sel:BYTE_0 src1_sel:DWORD
	s_mov_b64 s[4:5], 0
                                        ; implicit-def: $sgpr10
	s_and_saveexec_b64 s[8:9], s[6:7]
	s_xor_b64 s[6:7], exec, s[8:9]
	s_cbranch_execnz .LBB3_3181
; %bb.1133:
	s_or_saveexec_b64 s[6:7], s[6:7]
	v_mov_b32_e32 v4, s10
	s_xor_b64 exec, exec, s[6:7]
	s_cbranch_execnz .LBB3_3184
.LBB3_1134:
	s_or_b64 exec, exec, s[6:7]
	s_and_saveexec_b64 s[6:7], s[4:5]
	s_cbranch_execz .LBB3_1136
.LBB3_1135:
	v_bfe_u32 v4, v5, 8, 3
	v_ffbh_u32_e32 v7, v4
	v_min_u32_e32 v7, 32, v7
	v_lshrrev_b16_e32 v6, 3, v3
	v_subrev_u32_e32 v8, 28, v7
	v_and_b32_e32 v6, 15, v6
	v_lshlrev_b32_e32 v3, v8, v3
	v_sub_u32_e32 v7, 29, v7
	v_and_b32_e32 v3, 7, v3
	v_cmp_eq_u16_e32 vcc, 0, v6
	v_cndmask_b32_e32 v3, v4, v3, vcc
	v_cndmask_b32_e32 v4, v6, v7, vcc
	v_lshlrev_b32_e32 v6, 16, v5
	v_mov_b32_e32 v7, 0x3b800000
	v_lshlrev_b32_e32 v3, 20, v3
	v_and_b32_e32 v6, 0x80000000, v6
	v_lshl_add_u32 v4, v4, 23, v7
	v_or3_b32 v4, v6, v4, v3
.LBB3_1136:
	s_or_b64 exec, exec, s[6:7]
	s_nop 0
	v_mfma_f32_16x16x4f32 a[0:3], v2, v4, a[0:3]
	s_movk_i32 s4, 0xff
	v_and_b32_sdwa v3, v9, s4 dst_sel:DWORD dst_unused:UNUSED_PAD src0_sel:WORD_1 src1_sel:DWORD
	s_movk_i32 s4, 0x7f
	v_cmp_lt_i16_e32 vcc, s4, v3
	s_mov_b64 s[4:5], 0
                                        ; implicit-def: $sgpr10
	s_and_saveexec_b64 s[6:7], vcc
	s_xor_b64 s[6:7], exec, s[6:7]
	s_cbranch_execnz .LBB3_3185
; %bb.1137:
	s_or_saveexec_b64 s[6:7], s[6:7]
	v_mov_b32_e32 v2, s10
	s_xor_b64 exec, exec, s[6:7]
	s_cbranch_execnz .LBB3_3188
.LBB3_1138:
	s_or_b64 exec, exec, s[6:7]
	s_and_saveexec_b64 s[6:7], s[4:5]
	s_cbranch_execz .LBB3_1140
.LBB3_1139:
	v_bfe_u32 v2, v9, 16, 3
	v_ffbh_u32_e32 v6, v2
	v_min_u32_e32 v6, 32, v6
	v_lshrrev_b32_e32 v3, 19, v9
	v_subrev_u32_e32 v7, 28, v6
	v_and_b32_e32 v3, 15, v3
	v_lshlrev_b32_sdwa v7, v7, v9 dst_sel:DWORD dst_unused:UNUSED_PAD src0_sel:DWORD src1_sel:WORD_1
	v_bfe_u32 v4, v9, 19, 4
	v_sub_u32_e32 v6, 29, v6
	v_and_b32_e32 v7, 7, v7
	v_cmp_eq_u16_e32 vcc, 0, v3
	v_cndmask_b32_e32 v2, v2, v7, vcc
	v_cndmask_b32_e32 v3, v4, v6, vcc
	v_lshlrev_b32_e32 v4, 8, v9
	v_mov_b32_e32 v6, 0x3b800000
	v_lshlrev_b32_e32 v2, 20, v2
	v_and_b32_e32 v4, 0x80000000, v4
	v_lshl_add_u32 v3, v3, 23, v6
	v_or3_b32 v2, v4, v3, v2
.LBB3_1140:
	s_or_b64 exec, exec, s[6:7]
	s_movk_i32 s4, 0xff
	v_and_b32_sdwa v3, v5, s4 dst_sel:DWORD dst_unused:UNUSED_PAD src0_sel:WORD_1 src1_sel:DWORD
	s_movk_i32 s4, 0x7f
	v_cmp_lt_i16_e32 vcc, s4, v3
	s_mov_b64 s[4:5], 0
                                        ; implicit-def: $sgpr10
	s_and_saveexec_b64 s[6:7], vcc
	s_xor_b64 s[6:7], exec, s[6:7]
	s_cbranch_execnz .LBB3_3189
; %bb.1141:
	s_or_saveexec_b64 s[6:7], s[6:7]
	v_mov_b32_e32 v4, s10
	s_xor_b64 exec, exec, s[6:7]
	s_cbranch_execnz .LBB3_3192
.LBB3_1142:
	s_or_b64 exec, exec, s[6:7]
	s_and_saveexec_b64 s[6:7], s[4:5]
	s_cbranch_execz .LBB3_1144
.LBB3_1143:
	v_bfe_u32 v3, v5, 16, 3
	v_ffbh_u32_e32 v7, v3
	v_min_u32_e32 v7, 32, v7
	v_lshrrev_b32_e32 v4, 19, v5
	v_subrev_u32_e32 v8, 28, v7
	v_and_b32_e32 v4, 15, v4
	v_lshlrev_b32_sdwa v8, v8, v5 dst_sel:DWORD dst_unused:UNUSED_PAD src0_sel:DWORD src1_sel:WORD_1
	v_bfe_u32 v6, v5, 19, 4
	v_sub_u32_e32 v7, 29, v7
	v_and_b32_e32 v8, 7, v8
	v_cmp_eq_u16_e32 vcc, 0, v4
	v_cndmask_b32_e32 v3, v3, v8, vcc
	v_cndmask_b32_e32 v4, v6, v7, vcc
	v_lshlrev_b32_e32 v6, 8, v5
	v_mov_b32_e32 v7, 0x3b800000
	v_lshlrev_b32_e32 v3, 20, v3
	v_and_b32_e32 v6, 0x80000000, v6
	v_lshl_add_u32 v4, v4, 23, v7
	v_or3_b32 v4, v6, v4, v3
.LBB3_1144:
	s_or_b64 exec, exec, s[6:7]
	s_nop 0
	v_mfma_f32_16x16x4f32 a[0:3], v2, v4, a[0:3]
	s_movk_i32 s4, 0x7f
	v_cmp_gt_i16_sdwa s[6:7], v9, s4 src0_sel:BYTE_3 src1_sel:DWORD
	s_mov_b64 s[4:5], 0
                                        ; implicit-def: $sgpr10
	s_and_saveexec_b64 s[8:9], s[6:7]
	s_xor_b64 s[6:7], exec, s[8:9]
	s_cbranch_execnz .LBB3_3193
; %bb.1145:
	s_or_saveexec_b64 s[6:7], s[6:7]
	v_mov_b32_e32 v2, s10
	s_xor_b64 exec, exec, s[6:7]
	s_cbranch_execnz .LBB3_3196
.LBB3_1146:
	s_or_b64 exec, exec, s[6:7]
	s_and_saveexec_b64 s[6:7], s[4:5]
	s_cbranch_execz .LBB3_1148
.LBB3_1147:
	v_bfe_u32 v2, v9, 24, 3
	v_ffbh_u32_e32 v7, v2
	v_min_u32_e32 v7, 32, v7
	v_lshrrev_b32_e32 v4, 27, v9
	v_subrev_u32_e32 v8, 28, v7
	v_and_b32_e32 v4, 15, v4
	v_lshlrev_b32_sdwa v8, v8, v9 dst_sel:DWORD dst_unused:UNUSED_PAD src0_sel:DWORD src1_sel:BYTE_3
	v_bfe_u32 v6, v9, 27, 4
	v_sub_u32_e32 v7, 29, v7
	v_and_b32_e32 v8, 7, v8
	v_cmp_eq_u16_e32 vcc, 0, v4
	v_cndmask_b32_e32 v2, v2, v8, vcc
	v_cndmask_b32_e32 v4, v6, v7, vcc
	v_mov_b32_e32 v6, 0x3b800000
	v_and_b32_e32 v3, 0x80000000, v9
	v_lshlrev_b32_e32 v2, 20, v2
	v_lshl_add_u32 v4, v4, 23, v6
	v_or3_b32 v2, v3, v4, v2
.LBB3_1148:
	s_or_b64 exec, exec, s[6:7]
	s_movk_i32 s4, 0x7f
	v_cmp_gt_i16_sdwa s[6:7], v5, s4 src0_sel:BYTE_3 src1_sel:DWORD
	s_mov_b64 s[4:5], 0
                                        ; implicit-def: $sgpr10
	s_and_saveexec_b64 s[8:9], s[6:7]
	s_xor_b64 s[6:7], exec, s[8:9]
	s_cbranch_execnz .LBB3_3197
; %bb.1149:
	s_or_saveexec_b64 s[6:7], s[6:7]
	v_mov_b32_e32 v3, s10
	s_xor_b64 exec, exec, s[6:7]
	s_cbranch_execnz .LBB3_3200
.LBB3_1150:
	s_or_b64 exec, exec, s[6:7]
	s_and_saveexec_b64 s[6:7], s[4:5]
	s_cbranch_execz .LBB3_1152
.LBB3_1151:
	v_bfe_u32 v3, v5, 24, 3
	v_ffbh_u32_e32 v8, v3
	v_min_u32_e32 v8, 32, v8
	v_lshrrev_b32_e32 v6, 27, v5
	v_subrev_u32_e32 v9, 28, v8
	v_and_b32_e32 v4, 0x80000000, v5
	v_and_b32_e32 v6, 15, v6
	v_bfe_u32 v7, v5, 27, 4
	v_lshlrev_b32_sdwa v5, v9, v5 dst_sel:DWORD dst_unused:UNUSED_PAD src0_sel:DWORD src1_sel:BYTE_3
	v_sub_u32_e32 v8, 29, v8
	v_and_b32_e32 v5, 7, v5
	v_cmp_eq_u16_e32 vcc, 0, v6
	v_cndmask_b32_e32 v3, v3, v5, vcc
	v_cndmask_b32_e32 v5, v7, v8, vcc
	v_mov_b32_e32 v6, 0x3b800000
	v_lshlrev_b32_e32 v3, 20, v3
	v_lshl_add_u32 v5, v5, 23, v6
	v_or3_b32 v3, v4, v5, v3
.LBB3_1152:
	s_or_b64 exec, exec, s[6:7]
	s_nop 0
	v_mfma_f32_16x16x4f32 a[0:3], v2, v3, a[0:3]
	s_movk_i32 s4, 0x7f
                                        ; implicit-def: $sgpr10
	s_nop 7
	s_nop 1
	flat_store_dwordx4 v[10:11], a[0:3] offset:128
	flat_load_dwordx4 v[12:15], v[0:1] offset:8
	s_nop 0
	flat_load_dwordx2 v[10:11], v[0:1] offset:32
	s_waitcnt vmcnt(0) lgkmcnt(0)
	flat_load_dwordx4 v[6:9], v[12:13] offset:64
	flat_load_dwordx4 v[2:5], v[14:15] offset:32
	s_waitcnt vmcnt(0) lgkmcnt(0)
	v_cmp_gt_i16_sdwa s[6:7], v6, s4 src0_sel:BYTE_0 src1_sel:DWORD
	s_mov_b64 s[4:5], 0
	s_and_saveexec_b64 s[8:9], s[6:7]
	s_xor_b64 s[6:7], exec, s[8:9]
	s_cbranch_execnz .LBB3_3201
; %bb.1153:
	s_or_saveexec_b64 s[6:7], s[6:7]
	v_mov_b32_e32 v12, s10
	s_xor_b64 exec, exec, s[6:7]
	s_cbranch_execnz .LBB3_3204
.LBB3_1154:
	s_or_b64 exec, exec, s[6:7]
	s_and_saveexec_b64 s[6:7], s[4:5]
	s_cbranch_execz .LBB3_1156
.LBB3_1155:
	v_and_b32_e32 v12, 7, v6
	v_ffbh_u32_e32 v14, v12
	v_min_u32_e32 v14, 32, v14
	v_lshrrev_b16_e32 v13, 3, v6
	v_subrev_u32_e32 v15, 28, v14
	v_and_b32_e32 v13, 15, v13
	v_lshlrev_b32_e32 v15, v15, v6
	v_sub_u32_e32 v14, 29, v14
	v_and_b32_e32 v15, 7, v15
	v_cmp_eq_u16_e32 vcc, 0, v13
	v_cndmask_b32_e32 v12, v12, v15, vcc
	v_cndmask_b32_e32 v13, v13, v14, vcc
	v_lshlrev_b32_e32 v14, 24, v6
	v_mov_b32_e32 v15, 0x3b800000
	v_lshlrev_b32_e32 v12, 20, v12
	v_and_b32_e32 v14, 0x80000000, v14
	v_lshl_add_u32 v13, v13, 23, v15
	v_or3_b32 v12, v14, v13, v12
.LBB3_1156:
	s_or_b64 exec, exec, s[6:7]
	s_movk_i32 s4, 0x7f
	v_cmp_gt_i16_sdwa s[6:7], v2, s4 src0_sel:BYTE_0 src1_sel:DWORD
	s_mov_b64 s[4:5], 0
                                        ; implicit-def: $sgpr10
	s_and_saveexec_b64 s[8:9], s[6:7]
	s_xor_b64 s[6:7], exec, s[8:9]
	s_cbranch_execnz .LBB3_3205
; %bb.1157:
	s_or_saveexec_b64 s[6:7], s[6:7]
	v_mov_b32_e32 v13, s10
	s_xor_b64 exec, exec, s[6:7]
	s_cbranch_execnz .LBB3_3208
.LBB3_1158:
	s_or_b64 exec, exec, s[6:7]
	s_and_saveexec_b64 s[6:7], s[4:5]
	s_cbranch_execz .LBB3_1160
.LBB3_1159:
	v_and_b32_e32 v13, 7, v2
	v_ffbh_u32_e32 v15, v13
	v_min_u32_e32 v15, 32, v15
	v_lshrrev_b16_e32 v14, 3, v2
	v_subrev_u32_e32 v16, 28, v15
	v_and_b32_e32 v14, 15, v14
	v_lshlrev_b32_e32 v16, v16, v2
	v_sub_u32_e32 v15, 29, v15
	v_and_b32_e32 v16, 7, v16
	v_cmp_eq_u16_e32 vcc, 0, v14
	v_cndmask_b32_e32 v13, v13, v16, vcc
	v_cndmask_b32_e32 v14, v14, v15, vcc
	v_lshlrev_b32_e32 v15, 24, v2
	v_mov_b32_e32 v16, 0x3b800000
	v_lshlrev_b32_e32 v13, 20, v13
	v_and_b32_e32 v15, 0x80000000, v15
	v_lshl_add_u32 v14, v14, 23, v16
	v_or3_b32 v13, v15, v14, v13
.LBB3_1160:
	s_or_b64 exec, exec, s[6:7]
	flat_load_dwordx4 a[0:3], v[10:11] offset:144
	s_movk_i32 s4, 0x7f
                                        ; implicit-def: $sgpr10
	s_waitcnt vmcnt(0) lgkmcnt(0)
	v_mfma_f32_16x16x4f32 a[0:3], v12, v13, a[0:3]
	v_lshrrev_b32_e32 v13, 8, v6
	v_cmp_gt_i16_sdwa s[6:7], v13, s4 src0_sel:BYTE_0 src1_sel:DWORD
	s_mov_b64 s[4:5], 0
	s_and_saveexec_b64 s[8:9], s[6:7]
	s_xor_b64 s[6:7], exec, s[8:9]
	s_cbranch_execnz .LBB3_3209
; %bb.1161:
	s_or_saveexec_b64 s[6:7], s[6:7]
	v_mov_b32_e32 v12, s10
	s_xor_b64 exec, exec, s[6:7]
	s_cbranch_execnz .LBB3_3212
.LBB3_1162:
	s_or_b64 exec, exec, s[6:7]
	s_and_saveexec_b64 s[6:7], s[4:5]
	s_cbranch_execz .LBB3_1164
.LBB3_1163:
	v_bfe_u32 v12, v6, 8, 3
	v_ffbh_u32_e32 v15, v12
	v_min_u32_e32 v15, 32, v15
	v_lshrrev_b16_e32 v14, 3, v13
	v_subrev_u32_e32 v16, 28, v15
	v_and_b32_e32 v14, 15, v14
	v_lshlrev_b32_e32 v13, v16, v13
	v_sub_u32_e32 v15, 29, v15
	v_and_b32_e32 v13, 7, v13
	v_cmp_eq_u16_e32 vcc, 0, v14
	v_cndmask_b32_e32 v12, v12, v13, vcc
	v_cndmask_b32_e32 v13, v14, v15, vcc
	v_lshlrev_b32_e32 v14, 16, v6
	v_mov_b32_e32 v15, 0x3b800000
	v_lshlrev_b32_e32 v12, 20, v12
	v_and_b32_e32 v14, 0x80000000, v14
	v_lshl_add_u32 v13, v13, 23, v15
	v_or3_b32 v12, v14, v13, v12
.LBB3_1164:
	s_or_b64 exec, exec, s[6:7]
	v_lshrrev_b32_e32 v13, 8, v2
	s_movk_i32 s4, 0x7f
	v_cmp_gt_i16_sdwa s[6:7], v13, s4 src0_sel:BYTE_0 src1_sel:DWORD
	s_mov_b64 s[4:5], 0
                                        ; implicit-def: $sgpr10
	s_and_saveexec_b64 s[8:9], s[6:7]
	s_xor_b64 s[6:7], exec, s[8:9]
	s_cbranch_execnz .LBB3_3213
; %bb.1165:
	s_or_saveexec_b64 s[6:7], s[6:7]
	v_mov_b32_e32 v14, s10
	s_xor_b64 exec, exec, s[6:7]
	s_cbranch_execnz .LBB3_3216
.LBB3_1166:
	s_or_b64 exec, exec, s[6:7]
	s_and_saveexec_b64 s[6:7], s[4:5]
	s_cbranch_execz .LBB3_1168
.LBB3_1167:
	v_bfe_u32 v14, v2, 8, 3
	v_ffbh_u32_e32 v16, v14
	v_min_u32_e32 v16, 32, v16
	v_lshrrev_b16_e32 v15, 3, v13
	v_subrev_u32_e32 v17, 28, v16
	v_and_b32_e32 v15, 15, v15
	v_lshlrev_b32_e32 v13, v17, v13
	v_sub_u32_e32 v16, 29, v16
	v_and_b32_e32 v13, 7, v13
	v_cmp_eq_u16_e32 vcc, 0, v15
	v_cndmask_b32_e32 v13, v14, v13, vcc
	v_cndmask_b32_e32 v14, v15, v16, vcc
	v_lshlrev_b32_e32 v15, 16, v2
	v_mov_b32_e32 v16, 0x3b800000
	v_lshlrev_b32_e32 v13, 20, v13
	v_and_b32_e32 v15, 0x80000000, v15
	v_lshl_add_u32 v14, v14, 23, v16
	v_or3_b32 v14, v15, v14, v13
.LBB3_1168:
	s_or_b64 exec, exec, s[6:7]
	s_nop 0
	v_mfma_f32_16x16x4f32 a[0:3], v12, v14, a[0:3]
	s_movk_i32 s4, 0xff
	v_and_b32_sdwa v13, v6, s4 dst_sel:DWORD dst_unused:UNUSED_PAD src0_sel:WORD_1 src1_sel:DWORD
	s_movk_i32 s4, 0x7f
	v_cmp_lt_i16_e32 vcc, s4, v13
	s_mov_b64 s[4:5], 0
                                        ; implicit-def: $sgpr10
	s_and_saveexec_b64 s[6:7], vcc
	s_xor_b64 s[6:7], exec, s[6:7]
	s_cbranch_execnz .LBB3_3217
; %bb.1169:
	s_or_saveexec_b64 s[6:7], s[6:7]
	v_mov_b32_e32 v12, s10
	s_xor_b64 exec, exec, s[6:7]
	s_cbranch_execnz .LBB3_3220
.LBB3_1170:
	s_or_b64 exec, exec, s[6:7]
	s_and_saveexec_b64 s[6:7], s[4:5]
	s_cbranch_execz .LBB3_1172
.LBB3_1171:
	v_bfe_u32 v12, v6, 16, 3
	v_ffbh_u32_e32 v15, v12
	v_min_u32_e32 v15, 32, v15
	v_lshrrev_b32_e32 v13, 19, v6
	v_subrev_u32_e32 v16, 28, v15
	v_and_b32_e32 v13, 15, v13
	v_lshlrev_b32_sdwa v16, v16, v6 dst_sel:DWORD dst_unused:UNUSED_PAD src0_sel:DWORD src1_sel:WORD_1
	v_bfe_u32 v14, v6, 19, 4
	v_sub_u32_e32 v15, 29, v15
	v_and_b32_e32 v16, 7, v16
	v_cmp_eq_u16_e32 vcc, 0, v13
	v_cndmask_b32_e32 v12, v12, v16, vcc
	v_cndmask_b32_e32 v13, v14, v15, vcc
	v_lshlrev_b32_e32 v14, 8, v6
	v_mov_b32_e32 v15, 0x3b800000
	v_lshlrev_b32_e32 v12, 20, v12
	v_and_b32_e32 v14, 0x80000000, v14
	v_lshl_add_u32 v13, v13, 23, v15
	v_or3_b32 v12, v14, v13, v12
.LBB3_1172:
	s_or_b64 exec, exec, s[6:7]
	s_movk_i32 s4, 0xff
	v_and_b32_sdwa v13, v2, s4 dst_sel:DWORD dst_unused:UNUSED_PAD src0_sel:WORD_1 src1_sel:DWORD
	s_movk_i32 s4, 0x7f
	v_cmp_lt_i16_e32 vcc, s4, v13
	s_mov_b64 s[4:5], 0
                                        ; implicit-def: $sgpr10
	s_and_saveexec_b64 s[6:7], vcc
	s_xor_b64 s[6:7], exec, s[6:7]
	s_cbranch_execnz .LBB3_3221
; %bb.1173:
	s_or_saveexec_b64 s[6:7], s[6:7]
	v_mov_b32_e32 v14, s10
	s_xor_b64 exec, exec, s[6:7]
	s_cbranch_execnz .LBB3_3224
.LBB3_1174:
	s_or_b64 exec, exec, s[6:7]
	s_and_saveexec_b64 s[6:7], s[4:5]
	s_cbranch_execz .LBB3_1176
.LBB3_1175:
	v_bfe_u32 v13, v2, 16, 3
	v_ffbh_u32_e32 v16, v13
	v_min_u32_e32 v16, 32, v16
	v_lshrrev_b32_e32 v14, 19, v2
	v_subrev_u32_e32 v17, 28, v16
	v_and_b32_e32 v14, 15, v14
	v_lshlrev_b32_sdwa v17, v17, v2 dst_sel:DWORD dst_unused:UNUSED_PAD src0_sel:DWORD src1_sel:WORD_1
	v_bfe_u32 v15, v2, 19, 4
	v_sub_u32_e32 v16, 29, v16
	v_and_b32_e32 v17, 7, v17
	v_cmp_eq_u16_e32 vcc, 0, v14
	v_cndmask_b32_e32 v13, v13, v17, vcc
	v_cndmask_b32_e32 v14, v15, v16, vcc
	v_lshlrev_b32_e32 v15, 8, v2
	v_mov_b32_e32 v16, 0x3b800000
	v_lshlrev_b32_e32 v13, 20, v13
	v_and_b32_e32 v15, 0x80000000, v15
	v_lshl_add_u32 v14, v14, 23, v16
	v_or3_b32 v14, v15, v14, v13
.LBB3_1176:
	s_or_b64 exec, exec, s[6:7]
	s_nop 0
	v_mfma_f32_16x16x4f32 a[0:3], v12, v14, a[0:3]
	s_movk_i32 s4, 0x7f
	v_cmp_gt_i16_sdwa s[6:7], v6, s4 src0_sel:BYTE_3 src1_sel:DWORD
	s_mov_b64 s[4:5], 0
                                        ; implicit-def: $sgpr10
	s_and_saveexec_b64 s[8:9], s[6:7]
	s_xor_b64 s[6:7], exec, s[8:9]
	s_cbranch_execnz .LBB3_3225
; %bb.1177:
	s_or_saveexec_b64 s[6:7], s[6:7]
	v_mov_b32_e32 v12, s10
	s_xor_b64 exec, exec, s[6:7]
	s_cbranch_execnz .LBB3_3228
.LBB3_1178:
	s_or_b64 exec, exec, s[6:7]
	s_and_saveexec_b64 s[6:7], s[4:5]
	s_cbranch_execz .LBB3_1180
.LBB3_1179:
	v_bfe_u32 v12, v6, 24, 3
	v_ffbh_u32_e32 v16, v12
	v_min_u32_e32 v16, 32, v16
	v_lshrrev_b32_e32 v14, 27, v6
	v_subrev_u32_e32 v17, 28, v16
	v_and_b32_e32 v13, 0x80000000, v6
	v_and_b32_e32 v14, 15, v14
	v_bfe_u32 v15, v6, 27, 4
	v_lshlrev_b32_sdwa v6, v17, v6 dst_sel:DWORD dst_unused:UNUSED_PAD src0_sel:DWORD src1_sel:BYTE_3
	v_sub_u32_e32 v16, 29, v16
	v_and_b32_e32 v6, 7, v6
	v_cmp_eq_u16_e32 vcc, 0, v14
	v_cndmask_b32_e32 v6, v12, v6, vcc
	v_cndmask_b32_e32 v12, v15, v16, vcc
	v_mov_b32_e32 v14, 0x3b800000
	v_lshlrev_b32_e32 v6, 20, v6
	v_lshl_add_u32 v12, v12, 23, v14
	v_or3_b32 v12, v13, v12, v6
.LBB3_1180:
	s_or_b64 exec, exec, s[6:7]
	s_movk_i32 s4, 0x7f
	v_cmp_gt_i16_sdwa s[6:7], v2, s4 src0_sel:BYTE_3 src1_sel:DWORD
	s_mov_b64 s[4:5], 0
                                        ; implicit-def: $sgpr10
	s_and_saveexec_b64 s[8:9], s[6:7]
	s_xor_b64 s[6:7], exec, s[8:9]
	s_cbranch_execnz .LBB3_3229
; %bb.1181:
	s_or_saveexec_b64 s[6:7], s[6:7]
	v_mov_b32_e32 v6, s10
	s_xor_b64 exec, exec, s[6:7]
	s_cbranch_execnz .LBB3_3232
.LBB3_1182:
	s_or_b64 exec, exec, s[6:7]
	s_and_saveexec_b64 s[6:7], s[4:5]
	s_cbranch_execz .LBB3_1184
.LBB3_1183:
	v_bfe_u32 v6, v2, 24, 3
	v_ffbh_u32_e32 v16, v6
	v_min_u32_e32 v16, 32, v16
	v_lshrrev_b32_e32 v14, 27, v2
	v_subrev_u32_e32 v17, 28, v16
	v_and_b32_e32 v13, 0x80000000, v2
	v_and_b32_e32 v14, 15, v14
	v_bfe_u32 v15, v2, 27, 4
	v_lshlrev_b32_sdwa v2, v17, v2 dst_sel:DWORD dst_unused:UNUSED_PAD src0_sel:DWORD src1_sel:BYTE_3
	v_sub_u32_e32 v16, 29, v16
	v_and_b32_e32 v2, 7, v2
	v_cmp_eq_u16_e32 vcc, 0, v14
	v_cndmask_b32_e32 v2, v6, v2, vcc
	v_cndmask_b32_e32 v6, v15, v16, vcc
	v_mov_b32_e32 v14, 0x3b800000
	v_lshlrev_b32_e32 v2, 20, v2
	v_lshl_add_u32 v6, v6, 23, v14
	v_or3_b32 v6, v13, v6, v2
.LBB3_1184:
	s_or_b64 exec, exec, s[6:7]
	s_nop 0
	v_mfma_f32_16x16x4f32 a[0:3], v12, v6, a[0:3]
	s_movk_i32 s4, 0x7f
	v_cmp_gt_i16_sdwa s[6:7], v7, s4 src0_sel:BYTE_0 src1_sel:DWORD
	s_mov_b64 s[4:5], 0
                                        ; implicit-def: $sgpr10
	s_and_saveexec_b64 s[8:9], s[6:7]
	s_xor_b64 s[6:7], exec, s[8:9]
	s_cbranch_execnz .LBB3_3233
; %bb.1185:
	s_or_saveexec_b64 s[6:7], s[6:7]
	v_mov_b32_e32 v2, s10
	s_xor_b64 exec, exec, s[6:7]
	s_cbranch_execnz .LBB3_3236
.LBB3_1186:
	s_or_b64 exec, exec, s[6:7]
	s_and_saveexec_b64 s[6:7], s[4:5]
	s_cbranch_execz .LBB3_1188
.LBB3_1187:
	v_and_b32_e32 v2, 7, v7
	v_ffbh_u32_e32 v12, v2
	v_min_u32_e32 v12, 32, v12
	v_lshrrev_b16_e32 v6, 3, v7
	v_subrev_u32_e32 v13, 28, v12
	v_and_b32_e32 v6, 15, v6
	v_lshlrev_b32_e32 v13, v13, v7
	v_sub_u32_e32 v12, 29, v12
	v_and_b32_e32 v13, 7, v13
	v_cmp_eq_u16_e32 vcc, 0, v6
	v_cndmask_b32_e32 v2, v2, v13, vcc
	v_cndmask_b32_e32 v6, v6, v12, vcc
	v_lshlrev_b32_e32 v12, 24, v7
	v_mov_b32_e32 v13, 0x3b800000
	v_lshlrev_b32_e32 v2, 20, v2
	v_and_b32_e32 v12, 0x80000000, v12
	v_lshl_add_u32 v6, v6, 23, v13
	v_or3_b32 v2, v12, v6, v2
.LBB3_1188:
	s_or_b64 exec, exec, s[6:7]
	s_movk_i32 s4, 0x7f
	v_cmp_gt_i16_sdwa s[6:7], v3, s4 src0_sel:BYTE_0 src1_sel:DWORD
	s_mov_b64 s[4:5], 0
                                        ; implicit-def: $sgpr10
	s_and_saveexec_b64 s[8:9], s[6:7]
	s_xor_b64 s[6:7], exec, s[8:9]
	s_cbranch_execnz .LBB3_3237
; %bb.1189:
	s_or_saveexec_b64 s[6:7], s[6:7]
	v_mov_b32_e32 v6, s10
	s_xor_b64 exec, exec, s[6:7]
	s_cbranch_execnz .LBB3_3240
.LBB3_1190:
	s_or_b64 exec, exec, s[6:7]
	s_and_saveexec_b64 s[6:7], s[4:5]
	s_cbranch_execz .LBB3_1192
.LBB3_1191:
	v_and_b32_e32 v6, 7, v3
	v_ffbh_u32_e32 v13, v6
	v_min_u32_e32 v13, 32, v13
	v_lshrrev_b16_e32 v12, 3, v3
	v_subrev_u32_e32 v14, 28, v13
	v_and_b32_e32 v12, 15, v12
	v_lshlrev_b32_e32 v14, v14, v3
	v_sub_u32_e32 v13, 29, v13
	v_and_b32_e32 v14, 7, v14
	v_cmp_eq_u16_e32 vcc, 0, v12
	v_cndmask_b32_e32 v6, v6, v14, vcc
	v_cndmask_b32_e32 v12, v12, v13, vcc
	v_lshlrev_b32_e32 v13, 24, v3
	v_mov_b32_e32 v14, 0x3b800000
	v_lshlrev_b32_e32 v6, 20, v6
	v_and_b32_e32 v13, 0x80000000, v13
	v_lshl_add_u32 v12, v12, 23, v14
	v_or3_b32 v6, v13, v12, v6
.LBB3_1192:
	s_or_b64 exec, exec, s[6:7]
	s_nop 0
	v_mfma_f32_16x16x4f32 a[0:3], v2, v6, a[0:3]
	v_lshrrev_b32_e32 v6, 8, v7
	s_movk_i32 s4, 0x7f
	v_cmp_gt_i16_sdwa s[6:7], v6, s4 src0_sel:BYTE_0 src1_sel:DWORD
	s_mov_b64 s[4:5], 0
                                        ; implicit-def: $sgpr10
	s_and_saveexec_b64 s[8:9], s[6:7]
	s_xor_b64 s[6:7], exec, s[8:9]
	s_cbranch_execnz .LBB3_3241
; %bb.1193:
	s_or_saveexec_b64 s[6:7], s[6:7]
	v_mov_b32_e32 v2, s10
	s_xor_b64 exec, exec, s[6:7]
	s_cbranch_execnz .LBB3_3244
.LBB3_1194:
	s_or_b64 exec, exec, s[6:7]
	s_and_saveexec_b64 s[6:7], s[4:5]
	s_cbranch_execz .LBB3_1196
.LBB3_1195:
	v_bfe_u32 v2, v7, 8, 3
	v_ffbh_u32_e32 v13, v2
	v_min_u32_e32 v13, 32, v13
	v_lshrrev_b16_e32 v12, 3, v6
	v_subrev_u32_e32 v14, 28, v13
	v_and_b32_e32 v12, 15, v12
	v_lshlrev_b32_e32 v6, v14, v6
	v_sub_u32_e32 v13, 29, v13
	v_and_b32_e32 v6, 7, v6
	v_cmp_eq_u16_e32 vcc, 0, v12
	v_cndmask_b32_e32 v2, v2, v6, vcc
	v_cndmask_b32_e32 v6, v12, v13, vcc
	v_lshlrev_b32_e32 v12, 16, v7
	v_mov_b32_e32 v13, 0x3b800000
	v_lshlrev_b32_e32 v2, 20, v2
	v_and_b32_e32 v12, 0x80000000, v12
	v_lshl_add_u32 v6, v6, 23, v13
	v_or3_b32 v2, v12, v6, v2
.LBB3_1196:
	s_or_b64 exec, exec, s[6:7]
	v_lshrrev_b32_e32 v6, 8, v3
	s_movk_i32 s4, 0x7f
	v_cmp_gt_i16_sdwa s[6:7], v6, s4 src0_sel:BYTE_0 src1_sel:DWORD
	s_mov_b64 s[4:5], 0
                                        ; implicit-def: $sgpr10
	s_and_saveexec_b64 s[8:9], s[6:7]
	s_xor_b64 s[6:7], exec, s[8:9]
	s_cbranch_execnz .LBB3_3245
; %bb.1197:
	s_or_saveexec_b64 s[6:7], s[6:7]
	v_mov_b32_e32 v12, s10
	s_xor_b64 exec, exec, s[6:7]
	s_cbranch_execnz .LBB3_3248
.LBB3_1198:
	s_or_b64 exec, exec, s[6:7]
	s_and_saveexec_b64 s[6:7], s[4:5]
	s_cbranch_execz .LBB3_1200
.LBB3_1199:
	v_bfe_u32 v12, v3, 8, 3
	v_ffbh_u32_e32 v14, v12
	v_min_u32_e32 v14, 32, v14
	v_lshrrev_b16_e32 v13, 3, v6
	v_subrev_u32_e32 v15, 28, v14
	v_and_b32_e32 v13, 15, v13
	v_lshlrev_b32_e32 v6, v15, v6
	v_sub_u32_e32 v14, 29, v14
	v_and_b32_e32 v6, 7, v6
	v_cmp_eq_u16_e32 vcc, 0, v13
	v_cndmask_b32_e32 v6, v12, v6, vcc
	v_cndmask_b32_e32 v12, v13, v14, vcc
	v_lshlrev_b32_e32 v13, 16, v3
	v_mov_b32_e32 v14, 0x3b800000
	v_lshlrev_b32_e32 v6, 20, v6
	v_and_b32_e32 v13, 0x80000000, v13
	v_lshl_add_u32 v12, v12, 23, v14
	v_or3_b32 v12, v13, v12, v6
.LBB3_1200:
	s_or_b64 exec, exec, s[6:7]
	s_nop 0
	v_mfma_f32_16x16x4f32 a[0:3], v2, v12, a[0:3]
	s_movk_i32 s4, 0xff
	v_and_b32_sdwa v6, v7, s4 dst_sel:DWORD dst_unused:UNUSED_PAD src0_sel:WORD_1 src1_sel:DWORD
	s_movk_i32 s4, 0x7f
	v_cmp_lt_i16_e32 vcc, s4, v6
	s_mov_b64 s[4:5], 0
                                        ; implicit-def: $sgpr10
	s_and_saveexec_b64 s[6:7], vcc
	s_xor_b64 s[6:7], exec, s[6:7]
	s_cbranch_execnz .LBB3_3249
; %bb.1201:
	s_or_saveexec_b64 s[6:7], s[6:7]
	v_mov_b32_e32 v2, s10
	s_xor_b64 exec, exec, s[6:7]
	s_cbranch_execnz .LBB3_3252
.LBB3_1202:
	s_or_b64 exec, exec, s[6:7]
	s_and_saveexec_b64 s[6:7], s[4:5]
	s_cbranch_execz .LBB3_1204
.LBB3_1203:
	v_bfe_u32 v2, v7, 16, 3
	v_ffbh_u32_e32 v13, v2
	v_min_u32_e32 v13, 32, v13
	v_lshrrev_b32_e32 v6, 19, v7
	v_subrev_u32_e32 v14, 28, v13
	v_and_b32_e32 v6, 15, v6
	v_lshlrev_b32_sdwa v14, v14, v7 dst_sel:DWORD dst_unused:UNUSED_PAD src0_sel:DWORD src1_sel:WORD_1
	v_bfe_u32 v12, v7, 19, 4
	v_sub_u32_e32 v13, 29, v13
	v_and_b32_e32 v14, 7, v14
	v_cmp_eq_u16_e32 vcc, 0, v6
	v_cndmask_b32_e32 v2, v2, v14, vcc
	v_cndmask_b32_e32 v6, v12, v13, vcc
	v_lshlrev_b32_e32 v12, 8, v7
	v_mov_b32_e32 v13, 0x3b800000
	v_lshlrev_b32_e32 v2, 20, v2
	v_and_b32_e32 v12, 0x80000000, v12
	v_lshl_add_u32 v6, v6, 23, v13
	v_or3_b32 v2, v12, v6, v2
.LBB3_1204:
	s_or_b64 exec, exec, s[6:7]
	s_movk_i32 s4, 0xff
	v_and_b32_sdwa v6, v3, s4 dst_sel:DWORD dst_unused:UNUSED_PAD src0_sel:WORD_1 src1_sel:DWORD
	s_movk_i32 s4, 0x7f
	v_cmp_lt_i16_e32 vcc, s4, v6
	s_mov_b64 s[4:5], 0
                                        ; implicit-def: $sgpr10
	s_and_saveexec_b64 s[6:7], vcc
	s_xor_b64 s[6:7], exec, s[6:7]
	s_cbranch_execnz .LBB3_3253
; %bb.1205:
	s_or_saveexec_b64 s[6:7], s[6:7]
	v_mov_b32_e32 v12, s10
	s_xor_b64 exec, exec, s[6:7]
	s_cbranch_execnz .LBB3_3256
.LBB3_1206:
	s_or_b64 exec, exec, s[6:7]
	s_and_saveexec_b64 s[6:7], s[4:5]
	s_cbranch_execz .LBB3_1208
.LBB3_1207:
	v_bfe_u32 v6, v3, 16, 3
	v_ffbh_u32_e32 v14, v6
	v_min_u32_e32 v14, 32, v14
	v_lshrrev_b32_e32 v12, 19, v3
	v_subrev_u32_e32 v15, 28, v14
	v_and_b32_e32 v12, 15, v12
	v_lshlrev_b32_sdwa v15, v15, v3 dst_sel:DWORD dst_unused:UNUSED_PAD src0_sel:DWORD src1_sel:WORD_1
	v_bfe_u32 v13, v3, 19, 4
	v_sub_u32_e32 v14, 29, v14
	v_and_b32_e32 v15, 7, v15
	v_cmp_eq_u16_e32 vcc, 0, v12
	v_cndmask_b32_e32 v6, v6, v15, vcc
	v_cndmask_b32_e32 v12, v13, v14, vcc
	v_lshlrev_b32_e32 v13, 8, v3
	v_mov_b32_e32 v14, 0x3b800000
	v_lshlrev_b32_e32 v6, 20, v6
	v_and_b32_e32 v13, 0x80000000, v13
	v_lshl_add_u32 v12, v12, 23, v14
	v_or3_b32 v12, v13, v12, v6
.LBB3_1208:
	s_or_b64 exec, exec, s[6:7]
	s_nop 0
	v_mfma_f32_16x16x4f32 a[0:3], v2, v12, a[0:3]
	s_movk_i32 s4, 0x7f
	v_cmp_gt_i16_sdwa s[6:7], v7, s4 src0_sel:BYTE_3 src1_sel:DWORD
	s_mov_b64 s[4:5], 0
                                        ; implicit-def: $sgpr10
	s_and_saveexec_b64 s[8:9], s[6:7]
	s_xor_b64 s[6:7], exec, s[8:9]
	s_cbranch_execnz .LBB3_3257
; %bb.1209:
	s_or_saveexec_b64 s[6:7], s[6:7]
	v_mov_b32_e32 v2, s10
	s_xor_b64 exec, exec, s[6:7]
	s_cbranch_execnz .LBB3_3260
.LBB3_1210:
	s_or_b64 exec, exec, s[6:7]
	s_and_saveexec_b64 s[6:7], s[4:5]
	s_cbranch_execz .LBB3_1212
.LBB3_1211:
	v_bfe_u32 v2, v7, 24, 3
	v_ffbh_u32_e32 v14, v2
	v_min_u32_e32 v14, 32, v14
	v_lshrrev_b32_e32 v12, 27, v7
	v_subrev_u32_e32 v15, 28, v14
	v_and_b32_e32 v6, 0x80000000, v7
	v_and_b32_e32 v12, 15, v12
	v_bfe_u32 v13, v7, 27, 4
	v_lshlrev_b32_sdwa v7, v15, v7 dst_sel:DWORD dst_unused:UNUSED_PAD src0_sel:DWORD src1_sel:BYTE_3
	v_sub_u32_e32 v14, 29, v14
	v_and_b32_e32 v7, 7, v7
	v_cmp_eq_u16_e32 vcc, 0, v12
	v_cndmask_b32_e32 v2, v2, v7, vcc
	v_cndmask_b32_e32 v7, v13, v14, vcc
	v_mov_b32_e32 v12, 0x3b800000
	v_lshlrev_b32_e32 v2, 20, v2
	v_lshl_add_u32 v7, v7, 23, v12
	v_or3_b32 v2, v6, v7, v2
.LBB3_1212:
	s_or_b64 exec, exec, s[6:7]
	s_movk_i32 s4, 0x7f
	v_cmp_gt_i16_sdwa s[6:7], v3, s4 src0_sel:BYTE_3 src1_sel:DWORD
	s_mov_b64 s[4:5], 0
                                        ; implicit-def: $sgpr10
	s_and_saveexec_b64 s[8:9], s[6:7]
	s_xor_b64 s[6:7], exec, s[8:9]
	s_cbranch_execnz .LBB3_3261
; %bb.1213:
	s_or_saveexec_b64 s[6:7], s[6:7]
	v_mov_b32_e32 v6, s10
	s_xor_b64 exec, exec, s[6:7]
	s_cbranch_execnz .LBB3_3264
.LBB3_1214:
	s_or_b64 exec, exec, s[6:7]
	s_and_saveexec_b64 s[6:7], s[4:5]
	s_cbranch_execz .LBB3_1216
.LBB3_1215:
	v_bfe_u32 v6, v3, 24, 3
	v_ffbh_u32_e32 v14, v6
	v_min_u32_e32 v14, 32, v14
	v_lshrrev_b32_e32 v12, 27, v3
	v_subrev_u32_e32 v15, 28, v14
	v_and_b32_e32 v7, 0x80000000, v3
	v_and_b32_e32 v12, 15, v12
	v_bfe_u32 v13, v3, 27, 4
	v_lshlrev_b32_sdwa v3, v15, v3 dst_sel:DWORD dst_unused:UNUSED_PAD src0_sel:DWORD src1_sel:BYTE_3
	v_sub_u32_e32 v14, 29, v14
	v_and_b32_e32 v3, 7, v3
	v_cmp_eq_u16_e32 vcc, 0, v12
	v_cndmask_b32_e32 v3, v6, v3, vcc
	v_cndmask_b32_e32 v6, v13, v14, vcc
	v_mov_b32_e32 v12, 0x3b800000
	v_lshlrev_b32_e32 v3, 20, v3
	v_lshl_add_u32 v6, v6, 23, v12
	v_or3_b32 v6, v7, v6, v3
.LBB3_1216:
	s_or_b64 exec, exec, s[6:7]
	s_nop 0
	v_mfma_f32_16x16x4f32 a[0:3], v2, v6, a[0:3]
	s_movk_i32 s4, 0x7f
	v_cmp_gt_i16_sdwa s[6:7], v8, s4 src0_sel:BYTE_0 src1_sel:DWORD
	s_mov_b64 s[4:5], 0
                                        ; implicit-def: $sgpr10
	s_and_saveexec_b64 s[8:9], s[6:7]
	s_xor_b64 s[6:7], exec, s[8:9]
	s_cbranch_execnz .LBB3_3265
; %bb.1217:
	s_or_saveexec_b64 s[6:7], s[6:7]
	v_mov_b32_e32 v2, s10
	s_xor_b64 exec, exec, s[6:7]
	s_cbranch_execnz .LBB3_3268
.LBB3_1218:
	s_or_b64 exec, exec, s[6:7]
	s_and_saveexec_b64 s[6:7], s[4:5]
	s_cbranch_execz .LBB3_1220
.LBB3_1219:
	v_and_b32_e32 v2, 7, v8
	v_ffbh_u32_e32 v6, v2
	v_min_u32_e32 v6, 32, v6
	v_lshrrev_b16_e32 v3, 3, v8
	v_subrev_u32_e32 v7, 28, v6
	v_and_b32_e32 v3, 15, v3
	v_lshlrev_b32_e32 v7, v7, v8
	v_sub_u32_e32 v6, 29, v6
	v_and_b32_e32 v7, 7, v7
	v_cmp_eq_u16_e32 vcc, 0, v3
	v_cndmask_b32_e32 v2, v2, v7, vcc
	v_cndmask_b32_e32 v3, v3, v6, vcc
	v_lshlrev_b32_e32 v6, 24, v8
	v_mov_b32_e32 v7, 0x3b800000
	v_lshlrev_b32_e32 v2, 20, v2
	v_and_b32_e32 v6, 0x80000000, v6
	v_lshl_add_u32 v3, v3, 23, v7
	v_or3_b32 v2, v6, v3, v2
.LBB3_1220:
	s_or_b64 exec, exec, s[6:7]
	s_movk_i32 s4, 0x7f
	v_cmp_gt_i16_sdwa s[6:7], v4, s4 src0_sel:BYTE_0 src1_sel:DWORD
	s_mov_b64 s[4:5], 0
                                        ; implicit-def: $sgpr10
	s_and_saveexec_b64 s[8:9], s[6:7]
	s_xor_b64 s[6:7], exec, s[8:9]
	s_cbranch_execnz .LBB3_3269
; %bb.1221:
	s_or_saveexec_b64 s[6:7], s[6:7]
	v_mov_b32_e32 v3, s10
	s_xor_b64 exec, exec, s[6:7]
	s_cbranch_execnz .LBB3_3272
.LBB3_1222:
	s_or_b64 exec, exec, s[6:7]
	s_and_saveexec_b64 s[6:7], s[4:5]
	s_cbranch_execz .LBB3_1224
.LBB3_1223:
	v_and_b32_e32 v3, 7, v4
	v_ffbh_u32_e32 v7, v3
	v_min_u32_e32 v7, 32, v7
	v_lshrrev_b16_e32 v6, 3, v4
	v_subrev_u32_e32 v12, 28, v7
	v_and_b32_e32 v6, 15, v6
	v_lshlrev_b32_e32 v12, v12, v4
	v_sub_u32_e32 v7, 29, v7
	v_and_b32_e32 v12, 7, v12
	v_cmp_eq_u16_e32 vcc, 0, v6
	v_cndmask_b32_e32 v3, v3, v12, vcc
	v_cndmask_b32_e32 v6, v6, v7, vcc
	v_lshlrev_b32_e32 v7, 24, v4
	v_mov_b32_e32 v12, 0x3b800000
	v_lshlrev_b32_e32 v3, 20, v3
	v_and_b32_e32 v7, 0x80000000, v7
	v_lshl_add_u32 v6, v6, 23, v12
	v_or3_b32 v3, v7, v6, v3
.LBB3_1224:
	s_or_b64 exec, exec, s[6:7]
	s_nop 0
	v_mfma_f32_16x16x4f32 a[0:3], v2, v3, a[0:3]
	v_lshrrev_b32_e32 v3, 8, v8
	s_movk_i32 s4, 0x7f
	v_cmp_gt_i16_sdwa s[6:7], v3, s4 src0_sel:BYTE_0 src1_sel:DWORD
	s_mov_b64 s[4:5], 0
                                        ; implicit-def: $sgpr10
	s_and_saveexec_b64 s[8:9], s[6:7]
	s_xor_b64 s[6:7], exec, s[8:9]
	s_cbranch_execnz .LBB3_3273
; %bb.1225:
	s_or_saveexec_b64 s[6:7], s[6:7]
	v_mov_b32_e32 v2, s10
	s_xor_b64 exec, exec, s[6:7]
	s_cbranch_execnz .LBB3_3276
.LBB3_1226:
	s_or_b64 exec, exec, s[6:7]
	s_and_saveexec_b64 s[6:7], s[4:5]
	s_cbranch_execz .LBB3_1228
.LBB3_1227:
	v_bfe_u32 v2, v8, 8, 3
	v_ffbh_u32_e32 v7, v2
	v_min_u32_e32 v7, 32, v7
	v_lshrrev_b16_e32 v6, 3, v3
	v_subrev_u32_e32 v12, 28, v7
	v_and_b32_e32 v6, 15, v6
	v_lshlrev_b32_e32 v3, v12, v3
	v_sub_u32_e32 v7, 29, v7
	v_and_b32_e32 v3, 7, v3
	v_cmp_eq_u16_e32 vcc, 0, v6
	v_cndmask_b32_e32 v2, v2, v3, vcc
	v_cndmask_b32_e32 v3, v6, v7, vcc
	v_lshlrev_b32_e32 v6, 16, v8
	v_mov_b32_e32 v7, 0x3b800000
	v_lshlrev_b32_e32 v2, 20, v2
	v_and_b32_e32 v6, 0x80000000, v6
	v_lshl_add_u32 v3, v3, 23, v7
	v_or3_b32 v2, v6, v3, v2
.LBB3_1228:
	s_or_b64 exec, exec, s[6:7]
	v_lshrrev_b32_e32 v3, 8, v4
	s_movk_i32 s4, 0x7f
	v_cmp_gt_i16_sdwa s[6:7], v3, s4 src0_sel:BYTE_0 src1_sel:DWORD
	s_mov_b64 s[4:5], 0
                                        ; implicit-def: $sgpr10
	s_and_saveexec_b64 s[8:9], s[6:7]
	s_xor_b64 s[6:7], exec, s[8:9]
	s_cbranch_execnz .LBB3_3277
; %bb.1229:
	s_or_saveexec_b64 s[6:7], s[6:7]
	v_mov_b32_e32 v6, s10
	s_xor_b64 exec, exec, s[6:7]
	s_cbranch_execnz .LBB3_3280
.LBB3_1230:
	s_or_b64 exec, exec, s[6:7]
	s_and_saveexec_b64 s[6:7], s[4:5]
	s_cbranch_execz .LBB3_1232
.LBB3_1231:
	v_bfe_u32 v6, v4, 8, 3
	v_ffbh_u32_e32 v12, v6
	v_min_u32_e32 v12, 32, v12
	v_lshrrev_b16_e32 v7, 3, v3
	v_subrev_u32_e32 v13, 28, v12
	v_and_b32_e32 v7, 15, v7
	v_lshlrev_b32_e32 v3, v13, v3
	v_sub_u32_e32 v12, 29, v12
	v_and_b32_e32 v3, 7, v3
	v_cmp_eq_u16_e32 vcc, 0, v7
	v_cndmask_b32_e32 v3, v6, v3, vcc
	v_cndmask_b32_e32 v6, v7, v12, vcc
	v_lshlrev_b32_e32 v7, 16, v4
	v_mov_b32_e32 v12, 0x3b800000
	v_lshlrev_b32_e32 v3, 20, v3
	v_and_b32_e32 v7, 0x80000000, v7
	v_lshl_add_u32 v6, v6, 23, v12
	v_or3_b32 v6, v7, v6, v3
.LBB3_1232:
	s_or_b64 exec, exec, s[6:7]
	s_nop 0
	v_mfma_f32_16x16x4f32 a[0:3], v2, v6, a[0:3]
	s_movk_i32 s4, 0xff
	v_and_b32_sdwa v3, v8, s4 dst_sel:DWORD dst_unused:UNUSED_PAD src0_sel:WORD_1 src1_sel:DWORD
	s_movk_i32 s4, 0x7f
	v_cmp_lt_i16_e32 vcc, s4, v3
	s_mov_b64 s[4:5], 0
                                        ; implicit-def: $sgpr10
	s_and_saveexec_b64 s[6:7], vcc
	s_xor_b64 s[6:7], exec, s[6:7]
	s_cbranch_execnz .LBB3_3281
; %bb.1233:
	s_or_saveexec_b64 s[6:7], s[6:7]
	v_mov_b32_e32 v2, s10
	s_xor_b64 exec, exec, s[6:7]
	s_cbranch_execnz .LBB3_3284
.LBB3_1234:
	s_or_b64 exec, exec, s[6:7]
	s_and_saveexec_b64 s[6:7], s[4:5]
	s_cbranch_execz .LBB3_1236
.LBB3_1235:
	v_bfe_u32 v2, v8, 16, 3
	v_ffbh_u32_e32 v7, v2
	v_min_u32_e32 v7, 32, v7
	v_lshrrev_b32_e32 v3, 19, v8
	v_subrev_u32_e32 v12, 28, v7
	v_and_b32_e32 v3, 15, v3
	v_lshlrev_b32_sdwa v12, v12, v8 dst_sel:DWORD dst_unused:UNUSED_PAD src0_sel:DWORD src1_sel:WORD_1
	v_bfe_u32 v6, v8, 19, 4
	v_sub_u32_e32 v7, 29, v7
	v_and_b32_e32 v12, 7, v12
	v_cmp_eq_u16_e32 vcc, 0, v3
	v_cndmask_b32_e32 v2, v2, v12, vcc
	v_cndmask_b32_e32 v3, v6, v7, vcc
	v_lshlrev_b32_e32 v6, 8, v8
	v_mov_b32_e32 v7, 0x3b800000
	v_lshlrev_b32_e32 v2, 20, v2
	v_and_b32_e32 v6, 0x80000000, v6
	v_lshl_add_u32 v3, v3, 23, v7
	v_or3_b32 v2, v6, v3, v2
.LBB3_1236:
	s_or_b64 exec, exec, s[6:7]
	s_movk_i32 s4, 0xff
	v_and_b32_sdwa v3, v4, s4 dst_sel:DWORD dst_unused:UNUSED_PAD src0_sel:WORD_1 src1_sel:DWORD
	s_movk_i32 s4, 0x7f
	v_cmp_lt_i16_e32 vcc, s4, v3
	s_mov_b64 s[4:5], 0
                                        ; implicit-def: $sgpr10
	s_and_saveexec_b64 s[6:7], vcc
	s_xor_b64 s[6:7], exec, s[6:7]
	s_cbranch_execnz .LBB3_3285
; %bb.1237:
	s_or_saveexec_b64 s[6:7], s[6:7]
	v_mov_b32_e32 v6, s10
	s_xor_b64 exec, exec, s[6:7]
	s_cbranch_execnz .LBB3_3288
.LBB3_1238:
	s_or_b64 exec, exec, s[6:7]
	s_and_saveexec_b64 s[6:7], s[4:5]
	s_cbranch_execz .LBB3_1240
.LBB3_1239:
	v_bfe_u32 v3, v4, 16, 3
	v_ffbh_u32_e32 v12, v3
	v_min_u32_e32 v12, 32, v12
	v_lshrrev_b32_e32 v6, 19, v4
	v_subrev_u32_e32 v13, 28, v12
	v_and_b32_e32 v6, 15, v6
	v_lshlrev_b32_sdwa v13, v13, v4 dst_sel:DWORD dst_unused:UNUSED_PAD src0_sel:DWORD src1_sel:WORD_1
	v_bfe_u32 v7, v4, 19, 4
	v_sub_u32_e32 v12, 29, v12
	v_and_b32_e32 v13, 7, v13
	v_cmp_eq_u16_e32 vcc, 0, v6
	v_cndmask_b32_e32 v3, v3, v13, vcc
	v_cndmask_b32_e32 v6, v7, v12, vcc
	v_lshlrev_b32_e32 v7, 8, v4
	v_mov_b32_e32 v12, 0x3b800000
	v_lshlrev_b32_e32 v3, 20, v3
	v_and_b32_e32 v7, 0x80000000, v7
	v_lshl_add_u32 v6, v6, 23, v12
	v_or3_b32 v6, v7, v6, v3
.LBB3_1240:
	s_or_b64 exec, exec, s[6:7]
	s_nop 0
	v_mfma_f32_16x16x4f32 a[0:3], v2, v6, a[0:3]
	s_movk_i32 s4, 0x7f
	v_cmp_gt_i16_sdwa s[6:7], v8, s4 src0_sel:BYTE_3 src1_sel:DWORD
	s_mov_b64 s[4:5], 0
                                        ; implicit-def: $sgpr10
	s_and_saveexec_b64 s[8:9], s[6:7]
	s_xor_b64 s[6:7], exec, s[8:9]
	s_cbranch_execnz .LBB3_3289
; %bb.1241:
	s_or_saveexec_b64 s[6:7], s[6:7]
	v_mov_b32_e32 v2, s10
	s_xor_b64 exec, exec, s[6:7]
	s_cbranch_execnz .LBB3_3292
.LBB3_1242:
	s_or_b64 exec, exec, s[6:7]
	s_and_saveexec_b64 s[6:7], s[4:5]
	s_cbranch_execz .LBB3_1244
.LBB3_1243:
	v_bfe_u32 v2, v8, 24, 3
	v_ffbh_u32_e32 v12, v2
	v_min_u32_e32 v12, 32, v12
	v_lshrrev_b32_e32 v6, 27, v8
	v_subrev_u32_e32 v13, 28, v12
	v_and_b32_e32 v3, 0x80000000, v8
	v_and_b32_e32 v6, 15, v6
	v_bfe_u32 v7, v8, 27, 4
	v_lshlrev_b32_sdwa v8, v13, v8 dst_sel:DWORD dst_unused:UNUSED_PAD src0_sel:DWORD src1_sel:BYTE_3
	v_sub_u32_e32 v12, 29, v12
	v_and_b32_e32 v8, 7, v8
	v_cmp_eq_u16_e32 vcc, 0, v6
	v_cndmask_b32_e32 v2, v2, v8, vcc
	v_cndmask_b32_e32 v6, v7, v12, vcc
	v_mov_b32_e32 v7, 0x3b800000
	v_lshlrev_b32_e32 v2, 20, v2
	v_lshl_add_u32 v6, v6, 23, v7
	v_or3_b32 v2, v3, v6, v2
.LBB3_1244:
	s_or_b64 exec, exec, s[6:7]
	s_movk_i32 s4, 0x7f
	v_cmp_gt_i16_sdwa s[6:7], v4, s4 src0_sel:BYTE_3 src1_sel:DWORD
	s_mov_b64 s[4:5], 0
                                        ; implicit-def: $sgpr10
	s_and_saveexec_b64 s[8:9], s[6:7]
	s_xor_b64 s[6:7], exec, s[8:9]
	s_cbranch_execnz .LBB3_3293
; %bb.1245:
	s_or_saveexec_b64 s[6:7], s[6:7]
	v_mov_b32_e32 v3, s10
	s_xor_b64 exec, exec, s[6:7]
	s_cbranch_execnz .LBB3_3296
.LBB3_1246:
	s_or_b64 exec, exec, s[6:7]
	s_and_saveexec_b64 s[6:7], s[4:5]
	s_cbranch_execz .LBB3_1248
.LBB3_1247:
	v_bfe_u32 v3, v4, 24, 3
	v_ffbh_u32_e32 v12, v3
	v_min_u32_e32 v12, 32, v12
	v_lshrrev_b32_e32 v7, 27, v4
	v_subrev_u32_e32 v13, 28, v12
	v_and_b32_e32 v6, 0x80000000, v4
	v_and_b32_e32 v7, 15, v7
	v_bfe_u32 v8, v4, 27, 4
	v_lshlrev_b32_sdwa v4, v13, v4 dst_sel:DWORD dst_unused:UNUSED_PAD src0_sel:DWORD src1_sel:BYTE_3
	v_sub_u32_e32 v12, 29, v12
	v_and_b32_e32 v4, 7, v4
	v_cmp_eq_u16_e32 vcc, 0, v7
	v_cndmask_b32_e32 v3, v3, v4, vcc
	v_cndmask_b32_e32 v4, v8, v12, vcc
	v_mov_b32_e32 v7, 0x3b800000
	v_lshlrev_b32_e32 v3, 20, v3
	v_lshl_add_u32 v4, v4, 23, v7
	v_or3_b32 v3, v6, v4, v3
.LBB3_1248:
	s_or_b64 exec, exec, s[6:7]
	s_nop 0
	v_mfma_f32_16x16x4f32 a[0:3], v2, v3, a[0:3]
	s_movk_i32 s4, 0x7f
	v_cmp_gt_i16_sdwa s[6:7], v9, s4 src0_sel:BYTE_0 src1_sel:DWORD
	s_mov_b64 s[4:5], 0
                                        ; implicit-def: $sgpr10
	s_and_saveexec_b64 s[8:9], s[6:7]
	s_xor_b64 s[6:7], exec, s[8:9]
	s_cbranch_execnz .LBB3_3297
; %bb.1249:
	s_or_saveexec_b64 s[6:7], s[6:7]
	v_mov_b32_e32 v2, s10
	s_xor_b64 exec, exec, s[6:7]
	s_cbranch_execnz .LBB3_3300
.LBB3_1250:
	s_or_b64 exec, exec, s[6:7]
	s_and_saveexec_b64 s[6:7], s[4:5]
	s_cbranch_execz .LBB3_1252
.LBB3_1251:
	v_mov_b32_e32 v2, 8
	v_and_b32_e32 v3, 7, v9
	v_lshrrev_b32_sdwa v2, v2, v9 dst_sel:BYTE_1 dst_unused:UNUSED_PAD src0_sel:DWORD src1_sel:DWORD
	v_ffbh_u32_e32 v4, v3
	v_or_b32_sdwa v2, v9, v2 dst_sel:DWORD dst_unused:UNUSED_PAD src0_sel:BYTE_0 src1_sel:DWORD
	v_min_u32_e32 v4, 32, v4
	v_lshrrev_b16_e32 v2, 3, v2
	v_subrev_u32_e32 v6, 28, v4
	v_and_b32_e32 v2, 15, v2
	v_lshlrev_b32_e32 v6, v6, v9
	v_sub_u32_e32 v4, 29, v4
	v_and_b32_e32 v6, 7, v6
	v_cmp_eq_u16_e32 vcc, 0, v2
	v_cndmask_b32_e32 v3, v3, v6, vcc
	v_cndmask_b32_e32 v2, v2, v4, vcc
	v_lshlrev_b32_e32 v4, 24, v9
	v_mov_b32_e32 v6, 0x3b800000
	v_lshlrev_b32_e32 v3, 20, v3
	v_and_b32_e32 v4, 0x80000000, v4
	v_lshl_add_u32 v2, v2, 23, v6
	v_or3_b32 v2, v4, v2, v3
.LBB3_1252:
	s_or_b64 exec, exec, s[6:7]
	s_movk_i32 s4, 0x7f
	v_cmp_gt_i16_sdwa s[6:7], v5, s4 src0_sel:BYTE_0 src1_sel:DWORD
	s_mov_b64 s[4:5], 0
                                        ; implicit-def: $sgpr10
	s_and_saveexec_b64 s[8:9], s[6:7]
	s_xor_b64 s[6:7], exec, s[8:9]
	s_cbranch_execnz .LBB3_3301
; %bb.1253:
	s_or_saveexec_b64 s[6:7], s[6:7]
	v_mov_b32_e32 v3, s10
	s_xor_b64 exec, exec, s[6:7]
	s_cbranch_execnz .LBB3_3304
.LBB3_1254:
	s_or_b64 exec, exec, s[6:7]
	s_and_saveexec_b64 s[6:7], s[4:5]
	s_cbranch_execz .LBB3_1256
.LBB3_1255:
	v_mov_b32_e32 v3, 8
	v_and_b32_e32 v4, 7, v5
	v_lshrrev_b32_sdwa v3, v3, v5 dst_sel:BYTE_1 dst_unused:UNUSED_PAD src0_sel:DWORD src1_sel:DWORD
	v_ffbh_u32_e32 v6, v4
	v_or_b32_sdwa v3, v5, v3 dst_sel:DWORD dst_unused:UNUSED_PAD src0_sel:BYTE_0 src1_sel:DWORD
	v_min_u32_e32 v6, 32, v6
	v_lshrrev_b16_e32 v3, 3, v3
	v_subrev_u32_e32 v7, 28, v6
	v_and_b32_e32 v3, 15, v3
	v_lshlrev_b32_e32 v7, v7, v5
	v_sub_u32_e32 v6, 29, v6
	v_and_b32_e32 v7, 7, v7
	v_cmp_eq_u16_e32 vcc, 0, v3
	v_cndmask_b32_e32 v4, v4, v7, vcc
	v_cndmask_b32_e32 v3, v3, v6, vcc
	v_lshlrev_b32_e32 v6, 24, v5
	v_mov_b32_e32 v7, 0x3b800000
	v_lshlrev_b32_e32 v4, 20, v4
	v_and_b32_e32 v6, 0x80000000, v6
	v_lshl_add_u32 v3, v3, 23, v7
	v_or3_b32 v3, v6, v3, v4
.LBB3_1256:
	s_or_b64 exec, exec, s[6:7]
	s_nop 0
	v_mfma_f32_16x16x4f32 a[0:3], v2, v3, a[0:3]
	v_lshrrev_b32_e32 v3, 8, v9
	s_movk_i32 s4, 0x7f
	v_cmp_gt_i16_sdwa s[6:7], v3, s4 src0_sel:BYTE_0 src1_sel:DWORD
	s_mov_b64 s[4:5], 0
                                        ; implicit-def: $sgpr10
	s_and_saveexec_b64 s[8:9], s[6:7]
	s_xor_b64 s[6:7], exec, s[8:9]
	s_cbranch_execnz .LBB3_3305
; %bb.1257:
	s_or_saveexec_b64 s[6:7], s[6:7]
	v_mov_b32_e32 v2, s10
	s_xor_b64 exec, exec, s[6:7]
	s_cbranch_execnz .LBB3_3308
.LBB3_1258:
	s_or_b64 exec, exec, s[6:7]
	s_and_saveexec_b64 s[6:7], s[4:5]
	s_cbranch_execz .LBB3_1260
.LBB3_1259:
	v_bfe_u32 v2, v9, 8, 3
	v_ffbh_u32_e32 v6, v2
	v_min_u32_e32 v6, 32, v6
	v_lshrrev_b16_e32 v4, 3, v3
	v_subrev_u32_e32 v7, 28, v6
	v_and_b32_e32 v4, 15, v4
	v_lshlrev_b32_e32 v3, v7, v3
	v_sub_u32_e32 v6, 29, v6
	v_and_b32_e32 v3, 7, v3
	v_cmp_eq_u16_e32 vcc, 0, v4
	v_cndmask_b32_e32 v2, v2, v3, vcc
	v_cndmask_b32_e32 v3, v4, v6, vcc
	v_lshlrev_b32_e32 v4, 16, v9
	v_mov_b32_e32 v6, 0x3b800000
	v_lshlrev_b32_e32 v2, 20, v2
	v_and_b32_e32 v4, 0x80000000, v4
	v_lshl_add_u32 v3, v3, 23, v6
	v_or3_b32 v2, v4, v3, v2
.LBB3_1260:
	s_or_b64 exec, exec, s[6:7]
	v_lshrrev_b32_e32 v3, 8, v5
	s_movk_i32 s4, 0x7f
	v_cmp_gt_i16_sdwa s[6:7], v3, s4 src0_sel:BYTE_0 src1_sel:DWORD
	s_mov_b64 s[4:5], 0
                                        ; implicit-def: $sgpr10
	s_and_saveexec_b64 s[8:9], s[6:7]
	s_xor_b64 s[6:7], exec, s[8:9]
	s_cbranch_execnz .LBB3_3309
; %bb.1261:
	s_or_saveexec_b64 s[6:7], s[6:7]
	v_mov_b32_e32 v4, s10
	s_xor_b64 exec, exec, s[6:7]
	s_cbranch_execnz .LBB3_3312
.LBB3_1262:
	s_or_b64 exec, exec, s[6:7]
	s_and_saveexec_b64 s[6:7], s[4:5]
	s_cbranch_execz .LBB3_1264
.LBB3_1263:
	v_bfe_u32 v4, v5, 8, 3
	v_ffbh_u32_e32 v7, v4
	v_min_u32_e32 v7, 32, v7
	v_lshrrev_b16_e32 v6, 3, v3
	v_subrev_u32_e32 v8, 28, v7
	v_and_b32_e32 v6, 15, v6
	v_lshlrev_b32_e32 v3, v8, v3
	v_sub_u32_e32 v7, 29, v7
	v_and_b32_e32 v3, 7, v3
	v_cmp_eq_u16_e32 vcc, 0, v6
	v_cndmask_b32_e32 v3, v4, v3, vcc
	v_cndmask_b32_e32 v4, v6, v7, vcc
	v_lshlrev_b32_e32 v6, 16, v5
	v_mov_b32_e32 v7, 0x3b800000
	v_lshlrev_b32_e32 v3, 20, v3
	v_and_b32_e32 v6, 0x80000000, v6
	v_lshl_add_u32 v4, v4, 23, v7
	v_or3_b32 v4, v6, v4, v3
.LBB3_1264:
	s_or_b64 exec, exec, s[6:7]
	s_nop 0
	v_mfma_f32_16x16x4f32 a[0:3], v2, v4, a[0:3]
	s_movk_i32 s4, 0xff
	v_and_b32_sdwa v3, v9, s4 dst_sel:DWORD dst_unused:UNUSED_PAD src0_sel:WORD_1 src1_sel:DWORD
	s_movk_i32 s4, 0x7f
	v_cmp_lt_i16_e32 vcc, s4, v3
	s_mov_b64 s[4:5], 0
                                        ; implicit-def: $sgpr10
	s_and_saveexec_b64 s[6:7], vcc
	s_xor_b64 s[6:7], exec, s[6:7]
	s_cbranch_execnz .LBB3_3313
; %bb.1265:
	s_or_saveexec_b64 s[6:7], s[6:7]
	v_mov_b32_e32 v2, s10
	s_xor_b64 exec, exec, s[6:7]
	s_cbranch_execnz .LBB3_3316
.LBB3_1266:
	s_or_b64 exec, exec, s[6:7]
	s_and_saveexec_b64 s[6:7], s[4:5]
	s_cbranch_execz .LBB3_1268
.LBB3_1267:
	v_bfe_u32 v2, v9, 16, 3
	v_ffbh_u32_e32 v6, v2
	v_min_u32_e32 v6, 32, v6
	v_lshrrev_b32_e32 v3, 19, v9
	v_subrev_u32_e32 v7, 28, v6
	v_and_b32_e32 v3, 15, v3
	v_lshlrev_b32_sdwa v7, v7, v9 dst_sel:DWORD dst_unused:UNUSED_PAD src0_sel:DWORD src1_sel:WORD_1
	v_bfe_u32 v4, v9, 19, 4
	v_sub_u32_e32 v6, 29, v6
	v_and_b32_e32 v7, 7, v7
	v_cmp_eq_u16_e32 vcc, 0, v3
	v_cndmask_b32_e32 v2, v2, v7, vcc
	v_cndmask_b32_e32 v3, v4, v6, vcc
	v_lshlrev_b32_e32 v4, 8, v9
	v_mov_b32_e32 v6, 0x3b800000
	v_lshlrev_b32_e32 v2, 20, v2
	v_and_b32_e32 v4, 0x80000000, v4
	v_lshl_add_u32 v3, v3, 23, v6
	v_or3_b32 v2, v4, v3, v2
.LBB3_1268:
	s_or_b64 exec, exec, s[6:7]
	s_movk_i32 s4, 0xff
	v_and_b32_sdwa v3, v5, s4 dst_sel:DWORD dst_unused:UNUSED_PAD src0_sel:WORD_1 src1_sel:DWORD
	s_movk_i32 s4, 0x7f
	v_cmp_lt_i16_e32 vcc, s4, v3
	s_mov_b64 s[4:5], 0
                                        ; implicit-def: $sgpr10
	s_and_saveexec_b64 s[6:7], vcc
	s_xor_b64 s[6:7], exec, s[6:7]
	s_cbranch_execnz .LBB3_3317
; %bb.1269:
	s_or_saveexec_b64 s[6:7], s[6:7]
	v_mov_b32_e32 v4, s10
	s_xor_b64 exec, exec, s[6:7]
	s_cbranch_execnz .LBB3_3320
.LBB3_1270:
	s_or_b64 exec, exec, s[6:7]
	s_and_saveexec_b64 s[6:7], s[4:5]
	s_cbranch_execz .LBB3_1272
.LBB3_1271:
	v_bfe_u32 v3, v5, 16, 3
	v_ffbh_u32_e32 v7, v3
	v_min_u32_e32 v7, 32, v7
	v_lshrrev_b32_e32 v4, 19, v5
	v_subrev_u32_e32 v8, 28, v7
	v_and_b32_e32 v4, 15, v4
	v_lshlrev_b32_sdwa v8, v8, v5 dst_sel:DWORD dst_unused:UNUSED_PAD src0_sel:DWORD src1_sel:WORD_1
	v_bfe_u32 v6, v5, 19, 4
	v_sub_u32_e32 v7, 29, v7
	v_and_b32_e32 v8, 7, v8
	v_cmp_eq_u16_e32 vcc, 0, v4
	v_cndmask_b32_e32 v3, v3, v8, vcc
	v_cndmask_b32_e32 v4, v6, v7, vcc
	v_lshlrev_b32_e32 v6, 8, v5
	v_mov_b32_e32 v7, 0x3b800000
	v_lshlrev_b32_e32 v3, 20, v3
	v_and_b32_e32 v6, 0x80000000, v6
	v_lshl_add_u32 v4, v4, 23, v7
	v_or3_b32 v4, v6, v4, v3
.LBB3_1272:
	s_or_b64 exec, exec, s[6:7]
	s_nop 0
	v_mfma_f32_16x16x4f32 a[0:3], v2, v4, a[0:3]
	s_movk_i32 s4, 0x7f
	v_cmp_gt_i16_sdwa s[6:7], v9, s4 src0_sel:BYTE_3 src1_sel:DWORD
	s_mov_b64 s[4:5], 0
                                        ; implicit-def: $sgpr10
	s_and_saveexec_b64 s[8:9], s[6:7]
	s_xor_b64 s[6:7], exec, s[8:9]
	s_cbranch_execnz .LBB3_3321
; %bb.1273:
	s_or_saveexec_b64 s[6:7], s[6:7]
	v_mov_b32_e32 v2, s10
	s_xor_b64 exec, exec, s[6:7]
	s_cbranch_execnz .LBB3_3324
.LBB3_1274:
	s_or_b64 exec, exec, s[6:7]
	s_and_saveexec_b64 s[6:7], s[4:5]
	s_cbranch_execz .LBB3_1276
.LBB3_1275:
	v_bfe_u32 v2, v9, 24, 3
	v_ffbh_u32_e32 v7, v2
	v_min_u32_e32 v7, 32, v7
	v_lshrrev_b32_e32 v4, 27, v9
	v_subrev_u32_e32 v8, 28, v7
	v_and_b32_e32 v4, 15, v4
	v_lshlrev_b32_sdwa v8, v8, v9 dst_sel:DWORD dst_unused:UNUSED_PAD src0_sel:DWORD src1_sel:BYTE_3
	v_bfe_u32 v6, v9, 27, 4
	v_sub_u32_e32 v7, 29, v7
	v_and_b32_e32 v8, 7, v8
	v_cmp_eq_u16_e32 vcc, 0, v4
	v_cndmask_b32_e32 v2, v2, v8, vcc
	v_cndmask_b32_e32 v4, v6, v7, vcc
	v_mov_b32_e32 v6, 0x3b800000
	v_and_b32_e32 v3, 0x80000000, v9
	v_lshlrev_b32_e32 v2, 20, v2
	v_lshl_add_u32 v4, v4, 23, v6
	v_or3_b32 v2, v3, v4, v2
.LBB3_1276:
	s_or_b64 exec, exec, s[6:7]
	s_movk_i32 s4, 0x7f
	v_cmp_gt_i16_sdwa s[6:7], v5, s4 src0_sel:BYTE_3 src1_sel:DWORD
	s_mov_b64 s[4:5], 0
                                        ; implicit-def: $sgpr10
	s_and_saveexec_b64 s[8:9], s[6:7]
	s_xor_b64 s[6:7], exec, s[8:9]
	s_cbranch_execnz .LBB3_3325
; %bb.1277:
	s_or_saveexec_b64 s[6:7], s[6:7]
	v_mov_b32_e32 v3, s10
	s_xor_b64 exec, exec, s[6:7]
	s_cbranch_execnz .LBB3_3328
.LBB3_1278:
	s_or_b64 exec, exec, s[6:7]
	s_and_saveexec_b64 s[6:7], s[4:5]
	s_cbranch_execz .LBB3_1280
.LBB3_1279:
	v_bfe_u32 v3, v5, 24, 3
	v_ffbh_u32_e32 v8, v3
	v_min_u32_e32 v8, 32, v8
	v_lshrrev_b32_e32 v6, 27, v5
	v_subrev_u32_e32 v9, 28, v8
	v_and_b32_e32 v4, 0x80000000, v5
	v_and_b32_e32 v6, 15, v6
	v_bfe_u32 v7, v5, 27, 4
	v_lshlrev_b32_sdwa v5, v9, v5 dst_sel:DWORD dst_unused:UNUSED_PAD src0_sel:DWORD src1_sel:BYTE_3
	v_sub_u32_e32 v8, 29, v8
	v_and_b32_e32 v5, 7, v5
	v_cmp_eq_u16_e32 vcc, 0, v6
	v_cndmask_b32_e32 v3, v3, v5, vcc
	v_cndmask_b32_e32 v5, v7, v8, vcc
	v_mov_b32_e32 v6, 0x3b800000
	v_lshlrev_b32_e32 v3, 20, v3
	v_lshl_add_u32 v5, v5, 23, v6
	v_or3_b32 v3, v4, v5, v3
.LBB3_1280:
	s_or_b64 exec, exec, s[6:7]
	s_nop 0
	v_mfma_f32_16x16x4f32 a[0:3], v2, v3, a[0:3]
	s_movk_i32 s4, 0x7f
                                        ; implicit-def: $sgpr10
	s_nop 7
	s_nop 1
	flat_store_dwordx4 v[10:11], a[0:3] offset:144
	flat_load_dwordx4 v[12:15], v[0:1] offset:8
	s_nop 0
	flat_load_dwordx2 v[10:11], v[0:1] offset:32
	s_waitcnt vmcnt(0) lgkmcnt(0)
	flat_load_dwordx4 v[6:9], v[12:13] offset:64
	flat_load_dwordx4 v[2:5], v[14:15] offset:64
	s_waitcnt vmcnt(0) lgkmcnt(0)
	v_cmp_gt_i16_sdwa s[6:7], v6, s4 src0_sel:BYTE_0 src1_sel:DWORD
	s_mov_b64 s[4:5], 0
	s_and_saveexec_b64 s[8:9], s[6:7]
	s_xor_b64 s[6:7], exec, s[8:9]
	s_cbranch_execnz .LBB3_3329
; %bb.1281:
	s_or_saveexec_b64 s[6:7], s[6:7]
	v_mov_b32_e32 v12, s10
	s_xor_b64 exec, exec, s[6:7]
	s_cbranch_execnz .LBB3_3332
.LBB3_1282:
	s_or_b64 exec, exec, s[6:7]
	s_and_saveexec_b64 s[6:7], s[4:5]
	s_cbranch_execz .LBB3_1284
.LBB3_1283:
	v_and_b32_e32 v12, 7, v6
	v_ffbh_u32_e32 v14, v12
	v_min_u32_e32 v14, 32, v14
	v_lshrrev_b16_e32 v13, 3, v6
	v_subrev_u32_e32 v15, 28, v14
	v_and_b32_e32 v13, 15, v13
	v_lshlrev_b32_e32 v15, v15, v6
	v_sub_u32_e32 v14, 29, v14
	v_and_b32_e32 v15, 7, v15
	v_cmp_eq_u16_e32 vcc, 0, v13
	v_cndmask_b32_e32 v12, v12, v15, vcc
	v_cndmask_b32_e32 v13, v13, v14, vcc
	v_lshlrev_b32_e32 v14, 24, v6
	v_mov_b32_e32 v15, 0x3b800000
	v_lshlrev_b32_e32 v12, 20, v12
	v_and_b32_e32 v14, 0x80000000, v14
	v_lshl_add_u32 v13, v13, 23, v15
	v_or3_b32 v12, v14, v13, v12
.LBB3_1284:
	s_or_b64 exec, exec, s[6:7]
	s_movk_i32 s4, 0x7f
	v_cmp_gt_i16_sdwa s[6:7], v2, s4 src0_sel:BYTE_0 src1_sel:DWORD
	s_mov_b64 s[4:5], 0
                                        ; implicit-def: $sgpr10
	s_and_saveexec_b64 s[8:9], s[6:7]
	s_xor_b64 s[6:7], exec, s[8:9]
	s_cbranch_execnz .LBB3_3333
; %bb.1285:
	s_or_saveexec_b64 s[6:7], s[6:7]
	v_mov_b32_e32 v13, s10
	s_xor_b64 exec, exec, s[6:7]
	s_cbranch_execnz .LBB3_3336
.LBB3_1286:
	s_or_b64 exec, exec, s[6:7]
	s_and_saveexec_b64 s[6:7], s[4:5]
	s_cbranch_execz .LBB3_1288
.LBB3_1287:
	v_and_b32_e32 v13, 7, v2
	v_ffbh_u32_e32 v15, v13
	v_min_u32_e32 v15, 32, v15
	v_lshrrev_b16_e32 v14, 3, v2
	v_subrev_u32_e32 v16, 28, v15
	v_and_b32_e32 v14, 15, v14
	v_lshlrev_b32_e32 v16, v16, v2
	v_sub_u32_e32 v15, 29, v15
	v_and_b32_e32 v16, 7, v16
	v_cmp_eq_u16_e32 vcc, 0, v14
	v_cndmask_b32_e32 v13, v13, v16, vcc
	v_cndmask_b32_e32 v14, v14, v15, vcc
	v_lshlrev_b32_e32 v15, 24, v2
	v_mov_b32_e32 v16, 0x3b800000
	v_lshlrev_b32_e32 v13, 20, v13
	v_and_b32_e32 v15, 0x80000000, v15
	v_lshl_add_u32 v14, v14, 23, v16
	v_or3_b32 v13, v15, v14, v13
.LBB3_1288:
	s_or_b64 exec, exec, s[6:7]
	flat_load_dwordx4 a[0:3], v[10:11] offset:160
	s_movk_i32 s4, 0x7f
                                        ; implicit-def: $sgpr10
	s_waitcnt vmcnt(0) lgkmcnt(0)
	v_mfma_f32_16x16x4f32 a[0:3], v12, v13, a[0:3]
	v_lshrrev_b32_e32 v13, 8, v6
	v_cmp_gt_i16_sdwa s[6:7], v13, s4 src0_sel:BYTE_0 src1_sel:DWORD
	s_mov_b64 s[4:5], 0
	s_and_saveexec_b64 s[8:9], s[6:7]
	s_xor_b64 s[6:7], exec, s[8:9]
	s_cbranch_execnz .LBB3_3337
; %bb.1289:
	s_or_saveexec_b64 s[6:7], s[6:7]
	v_mov_b32_e32 v12, s10
	s_xor_b64 exec, exec, s[6:7]
	s_cbranch_execnz .LBB3_3340
.LBB3_1290:
	s_or_b64 exec, exec, s[6:7]
	s_and_saveexec_b64 s[6:7], s[4:5]
	s_cbranch_execz .LBB3_1292
.LBB3_1291:
	v_bfe_u32 v12, v6, 8, 3
	v_ffbh_u32_e32 v15, v12
	v_min_u32_e32 v15, 32, v15
	v_lshrrev_b16_e32 v14, 3, v13
	v_subrev_u32_e32 v16, 28, v15
	v_and_b32_e32 v14, 15, v14
	v_lshlrev_b32_e32 v13, v16, v13
	v_sub_u32_e32 v15, 29, v15
	v_and_b32_e32 v13, 7, v13
	v_cmp_eq_u16_e32 vcc, 0, v14
	v_cndmask_b32_e32 v12, v12, v13, vcc
	v_cndmask_b32_e32 v13, v14, v15, vcc
	v_lshlrev_b32_e32 v14, 16, v6
	v_mov_b32_e32 v15, 0x3b800000
	v_lshlrev_b32_e32 v12, 20, v12
	v_and_b32_e32 v14, 0x80000000, v14
	v_lshl_add_u32 v13, v13, 23, v15
	v_or3_b32 v12, v14, v13, v12
.LBB3_1292:
	s_or_b64 exec, exec, s[6:7]
	v_lshrrev_b32_e32 v13, 8, v2
	s_movk_i32 s4, 0x7f
	v_cmp_gt_i16_sdwa s[6:7], v13, s4 src0_sel:BYTE_0 src1_sel:DWORD
	s_mov_b64 s[4:5], 0
                                        ; implicit-def: $sgpr10
	s_and_saveexec_b64 s[8:9], s[6:7]
	s_xor_b64 s[6:7], exec, s[8:9]
	s_cbranch_execnz .LBB3_3341
; %bb.1293:
	s_or_saveexec_b64 s[6:7], s[6:7]
	v_mov_b32_e32 v14, s10
	s_xor_b64 exec, exec, s[6:7]
	s_cbranch_execnz .LBB3_3344
.LBB3_1294:
	s_or_b64 exec, exec, s[6:7]
	s_and_saveexec_b64 s[6:7], s[4:5]
	s_cbranch_execz .LBB3_1296
.LBB3_1295:
	v_bfe_u32 v14, v2, 8, 3
	v_ffbh_u32_e32 v16, v14
	v_min_u32_e32 v16, 32, v16
	v_lshrrev_b16_e32 v15, 3, v13
	v_subrev_u32_e32 v17, 28, v16
	v_and_b32_e32 v15, 15, v15
	v_lshlrev_b32_e32 v13, v17, v13
	v_sub_u32_e32 v16, 29, v16
	v_and_b32_e32 v13, 7, v13
	v_cmp_eq_u16_e32 vcc, 0, v15
	v_cndmask_b32_e32 v13, v14, v13, vcc
	v_cndmask_b32_e32 v14, v15, v16, vcc
	v_lshlrev_b32_e32 v15, 16, v2
	v_mov_b32_e32 v16, 0x3b800000
	v_lshlrev_b32_e32 v13, 20, v13
	v_and_b32_e32 v15, 0x80000000, v15
	v_lshl_add_u32 v14, v14, 23, v16
	v_or3_b32 v14, v15, v14, v13
.LBB3_1296:
	s_or_b64 exec, exec, s[6:7]
	s_nop 0
	v_mfma_f32_16x16x4f32 a[0:3], v12, v14, a[0:3]
	s_movk_i32 s4, 0xff
	v_and_b32_sdwa v13, v6, s4 dst_sel:DWORD dst_unused:UNUSED_PAD src0_sel:WORD_1 src1_sel:DWORD
	s_movk_i32 s4, 0x7f
	v_cmp_lt_i16_e32 vcc, s4, v13
	s_mov_b64 s[4:5], 0
                                        ; implicit-def: $sgpr10
	s_and_saveexec_b64 s[6:7], vcc
	s_xor_b64 s[6:7], exec, s[6:7]
	s_cbranch_execnz .LBB3_3345
; %bb.1297:
	s_or_saveexec_b64 s[6:7], s[6:7]
	v_mov_b32_e32 v12, s10
	s_xor_b64 exec, exec, s[6:7]
	s_cbranch_execnz .LBB3_3348
.LBB3_1298:
	s_or_b64 exec, exec, s[6:7]
	s_and_saveexec_b64 s[6:7], s[4:5]
	s_cbranch_execz .LBB3_1300
.LBB3_1299:
	v_bfe_u32 v12, v6, 16, 3
	v_ffbh_u32_e32 v15, v12
	v_min_u32_e32 v15, 32, v15
	v_lshrrev_b32_e32 v13, 19, v6
	v_subrev_u32_e32 v16, 28, v15
	v_and_b32_e32 v13, 15, v13
	v_lshlrev_b32_sdwa v16, v16, v6 dst_sel:DWORD dst_unused:UNUSED_PAD src0_sel:DWORD src1_sel:WORD_1
	v_bfe_u32 v14, v6, 19, 4
	v_sub_u32_e32 v15, 29, v15
	v_and_b32_e32 v16, 7, v16
	v_cmp_eq_u16_e32 vcc, 0, v13
	v_cndmask_b32_e32 v12, v12, v16, vcc
	v_cndmask_b32_e32 v13, v14, v15, vcc
	v_lshlrev_b32_e32 v14, 8, v6
	v_mov_b32_e32 v15, 0x3b800000
	v_lshlrev_b32_e32 v12, 20, v12
	v_and_b32_e32 v14, 0x80000000, v14
	v_lshl_add_u32 v13, v13, 23, v15
	v_or3_b32 v12, v14, v13, v12
.LBB3_1300:
	s_or_b64 exec, exec, s[6:7]
	s_movk_i32 s4, 0xff
	v_and_b32_sdwa v13, v2, s4 dst_sel:DWORD dst_unused:UNUSED_PAD src0_sel:WORD_1 src1_sel:DWORD
	s_movk_i32 s4, 0x7f
	v_cmp_lt_i16_e32 vcc, s4, v13
	s_mov_b64 s[4:5], 0
                                        ; implicit-def: $sgpr10
	s_and_saveexec_b64 s[6:7], vcc
	s_xor_b64 s[6:7], exec, s[6:7]
	s_cbranch_execnz .LBB3_3349
; %bb.1301:
	s_or_saveexec_b64 s[6:7], s[6:7]
	v_mov_b32_e32 v14, s10
	s_xor_b64 exec, exec, s[6:7]
	s_cbranch_execnz .LBB3_3352
.LBB3_1302:
	s_or_b64 exec, exec, s[6:7]
	s_and_saveexec_b64 s[6:7], s[4:5]
	s_cbranch_execz .LBB3_1304
.LBB3_1303:
	v_bfe_u32 v13, v2, 16, 3
	v_ffbh_u32_e32 v16, v13
	v_min_u32_e32 v16, 32, v16
	v_lshrrev_b32_e32 v14, 19, v2
	v_subrev_u32_e32 v17, 28, v16
	v_and_b32_e32 v14, 15, v14
	v_lshlrev_b32_sdwa v17, v17, v2 dst_sel:DWORD dst_unused:UNUSED_PAD src0_sel:DWORD src1_sel:WORD_1
	v_bfe_u32 v15, v2, 19, 4
	v_sub_u32_e32 v16, 29, v16
	v_and_b32_e32 v17, 7, v17
	v_cmp_eq_u16_e32 vcc, 0, v14
	v_cndmask_b32_e32 v13, v13, v17, vcc
	v_cndmask_b32_e32 v14, v15, v16, vcc
	v_lshlrev_b32_e32 v15, 8, v2
	v_mov_b32_e32 v16, 0x3b800000
	v_lshlrev_b32_e32 v13, 20, v13
	v_and_b32_e32 v15, 0x80000000, v15
	v_lshl_add_u32 v14, v14, 23, v16
	v_or3_b32 v14, v15, v14, v13
.LBB3_1304:
	s_or_b64 exec, exec, s[6:7]
	s_nop 0
	v_mfma_f32_16x16x4f32 a[0:3], v12, v14, a[0:3]
	s_movk_i32 s4, 0x7f
	v_cmp_gt_i16_sdwa s[6:7], v6, s4 src0_sel:BYTE_3 src1_sel:DWORD
	s_mov_b64 s[4:5], 0
                                        ; implicit-def: $sgpr10
	s_and_saveexec_b64 s[8:9], s[6:7]
	s_xor_b64 s[6:7], exec, s[8:9]
	s_cbranch_execnz .LBB3_3353
; %bb.1305:
	s_or_saveexec_b64 s[6:7], s[6:7]
	v_mov_b32_e32 v12, s10
	s_xor_b64 exec, exec, s[6:7]
	s_cbranch_execnz .LBB3_3356
.LBB3_1306:
	s_or_b64 exec, exec, s[6:7]
	s_and_saveexec_b64 s[6:7], s[4:5]
	s_cbranch_execz .LBB3_1308
.LBB3_1307:
	v_bfe_u32 v12, v6, 24, 3
	v_ffbh_u32_e32 v16, v12
	v_min_u32_e32 v16, 32, v16
	v_lshrrev_b32_e32 v14, 27, v6
	v_subrev_u32_e32 v17, 28, v16
	v_and_b32_e32 v13, 0x80000000, v6
	v_and_b32_e32 v14, 15, v14
	v_bfe_u32 v15, v6, 27, 4
	v_lshlrev_b32_sdwa v6, v17, v6 dst_sel:DWORD dst_unused:UNUSED_PAD src0_sel:DWORD src1_sel:BYTE_3
	v_sub_u32_e32 v16, 29, v16
	v_and_b32_e32 v6, 7, v6
	v_cmp_eq_u16_e32 vcc, 0, v14
	v_cndmask_b32_e32 v6, v12, v6, vcc
	v_cndmask_b32_e32 v12, v15, v16, vcc
	v_mov_b32_e32 v14, 0x3b800000
	v_lshlrev_b32_e32 v6, 20, v6
	v_lshl_add_u32 v12, v12, 23, v14
	v_or3_b32 v12, v13, v12, v6
.LBB3_1308:
	s_or_b64 exec, exec, s[6:7]
	s_movk_i32 s4, 0x7f
	v_cmp_gt_i16_sdwa s[6:7], v2, s4 src0_sel:BYTE_3 src1_sel:DWORD
	s_mov_b64 s[4:5], 0
                                        ; implicit-def: $sgpr10
	s_and_saveexec_b64 s[8:9], s[6:7]
	s_xor_b64 s[6:7], exec, s[8:9]
	s_cbranch_execnz .LBB3_3357
; %bb.1309:
	s_or_saveexec_b64 s[6:7], s[6:7]
	v_mov_b32_e32 v6, s10
	s_xor_b64 exec, exec, s[6:7]
	s_cbranch_execnz .LBB3_3360
.LBB3_1310:
	s_or_b64 exec, exec, s[6:7]
	s_and_saveexec_b64 s[6:7], s[4:5]
	s_cbranch_execz .LBB3_1312
.LBB3_1311:
	v_bfe_u32 v6, v2, 24, 3
	v_ffbh_u32_e32 v16, v6
	v_min_u32_e32 v16, 32, v16
	v_lshrrev_b32_e32 v14, 27, v2
	v_subrev_u32_e32 v17, 28, v16
	v_and_b32_e32 v13, 0x80000000, v2
	v_and_b32_e32 v14, 15, v14
	v_bfe_u32 v15, v2, 27, 4
	v_lshlrev_b32_sdwa v2, v17, v2 dst_sel:DWORD dst_unused:UNUSED_PAD src0_sel:DWORD src1_sel:BYTE_3
	v_sub_u32_e32 v16, 29, v16
	v_and_b32_e32 v2, 7, v2
	v_cmp_eq_u16_e32 vcc, 0, v14
	v_cndmask_b32_e32 v2, v6, v2, vcc
	v_cndmask_b32_e32 v6, v15, v16, vcc
	v_mov_b32_e32 v14, 0x3b800000
	v_lshlrev_b32_e32 v2, 20, v2
	v_lshl_add_u32 v6, v6, 23, v14
	v_or3_b32 v6, v13, v6, v2
.LBB3_1312:
	s_or_b64 exec, exec, s[6:7]
	s_nop 0
	v_mfma_f32_16x16x4f32 a[0:3], v12, v6, a[0:3]
	s_movk_i32 s4, 0x7f
	v_cmp_gt_i16_sdwa s[6:7], v7, s4 src0_sel:BYTE_0 src1_sel:DWORD
	s_mov_b64 s[4:5], 0
                                        ; implicit-def: $sgpr10
	s_and_saveexec_b64 s[8:9], s[6:7]
	s_xor_b64 s[6:7], exec, s[8:9]
	s_cbranch_execnz .LBB3_3361
; %bb.1313:
	s_or_saveexec_b64 s[6:7], s[6:7]
	v_mov_b32_e32 v2, s10
	s_xor_b64 exec, exec, s[6:7]
	s_cbranch_execnz .LBB3_3364
.LBB3_1314:
	s_or_b64 exec, exec, s[6:7]
	s_and_saveexec_b64 s[6:7], s[4:5]
	s_cbranch_execz .LBB3_1316
.LBB3_1315:
	v_and_b32_e32 v2, 7, v7
	v_ffbh_u32_e32 v12, v2
	v_min_u32_e32 v12, 32, v12
	v_lshrrev_b16_e32 v6, 3, v7
	v_subrev_u32_e32 v13, 28, v12
	v_and_b32_e32 v6, 15, v6
	v_lshlrev_b32_e32 v13, v13, v7
	v_sub_u32_e32 v12, 29, v12
	v_and_b32_e32 v13, 7, v13
	v_cmp_eq_u16_e32 vcc, 0, v6
	v_cndmask_b32_e32 v2, v2, v13, vcc
	v_cndmask_b32_e32 v6, v6, v12, vcc
	v_lshlrev_b32_e32 v12, 24, v7
	v_mov_b32_e32 v13, 0x3b800000
	v_lshlrev_b32_e32 v2, 20, v2
	v_and_b32_e32 v12, 0x80000000, v12
	v_lshl_add_u32 v6, v6, 23, v13
	v_or3_b32 v2, v12, v6, v2
.LBB3_1316:
	s_or_b64 exec, exec, s[6:7]
	s_movk_i32 s4, 0x7f
	v_cmp_gt_i16_sdwa s[6:7], v3, s4 src0_sel:BYTE_0 src1_sel:DWORD
	s_mov_b64 s[4:5], 0
                                        ; implicit-def: $sgpr10
	s_and_saveexec_b64 s[8:9], s[6:7]
	s_xor_b64 s[6:7], exec, s[8:9]
	s_cbranch_execnz .LBB3_3365
; %bb.1317:
	s_or_saveexec_b64 s[6:7], s[6:7]
	v_mov_b32_e32 v6, s10
	s_xor_b64 exec, exec, s[6:7]
	s_cbranch_execnz .LBB3_3368
.LBB3_1318:
	s_or_b64 exec, exec, s[6:7]
	s_and_saveexec_b64 s[6:7], s[4:5]
	s_cbranch_execz .LBB3_1320
.LBB3_1319:
	v_and_b32_e32 v6, 7, v3
	v_ffbh_u32_e32 v13, v6
	v_min_u32_e32 v13, 32, v13
	v_lshrrev_b16_e32 v12, 3, v3
	v_subrev_u32_e32 v14, 28, v13
	v_and_b32_e32 v12, 15, v12
	v_lshlrev_b32_e32 v14, v14, v3
	v_sub_u32_e32 v13, 29, v13
	v_and_b32_e32 v14, 7, v14
	v_cmp_eq_u16_e32 vcc, 0, v12
	v_cndmask_b32_e32 v6, v6, v14, vcc
	v_cndmask_b32_e32 v12, v12, v13, vcc
	v_lshlrev_b32_e32 v13, 24, v3
	v_mov_b32_e32 v14, 0x3b800000
	v_lshlrev_b32_e32 v6, 20, v6
	v_and_b32_e32 v13, 0x80000000, v13
	v_lshl_add_u32 v12, v12, 23, v14
	v_or3_b32 v6, v13, v12, v6
.LBB3_1320:
	s_or_b64 exec, exec, s[6:7]
	s_nop 0
	v_mfma_f32_16x16x4f32 a[0:3], v2, v6, a[0:3]
	v_lshrrev_b32_e32 v6, 8, v7
	s_movk_i32 s4, 0x7f
	v_cmp_gt_i16_sdwa s[6:7], v6, s4 src0_sel:BYTE_0 src1_sel:DWORD
	s_mov_b64 s[4:5], 0
                                        ; implicit-def: $sgpr10
	s_and_saveexec_b64 s[8:9], s[6:7]
	s_xor_b64 s[6:7], exec, s[8:9]
	s_cbranch_execnz .LBB3_3369
; %bb.1321:
	s_or_saveexec_b64 s[6:7], s[6:7]
	v_mov_b32_e32 v2, s10
	s_xor_b64 exec, exec, s[6:7]
	s_cbranch_execnz .LBB3_3372
.LBB3_1322:
	s_or_b64 exec, exec, s[6:7]
	s_and_saveexec_b64 s[6:7], s[4:5]
	s_cbranch_execz .LBB3_1324
.LBB3_1323:
	v_bfe_u32 v2, v7, 8, 3
	v_ffbh_u32_e32 v13, v2
	v_min_u32_e32 v13, 32, v13
	v_lshrrev_b16_e32 v12, 3, v6
	v_subrev_u32_e32 v14, 28, v13
	v_and_b32_e32 v12, 15, v12
	v_lshlrev_b32_e32 v6, v14, v6
	v_sub_u32_e32 v13, 29, v13
	v_and_b32_e32 v6, 7, v6
	v_cmp_eq_u16_e32 vcc, 0, v12
	v_cndmask_b32_e32 v2, v2, v6, vcc
	v_cndmask_b32_e32 v6, v12, v13, vcc
	v_lshlrev_b32_e32 v12, 16, v7
	v_mov_b32_e32 v13, 0x3b800000
	v_lshlrev_b32_e32 v2, 20, v2
	v_and_b32_e32 v12, 0x80000000, v12
	v_lshl_add_u32 v6, v6, 23, v13
	v_or3_b32 v2, v12, v6, v2
.LBB3_1324:
	s_or_b64 exec, exec, s[6:7]
	v_lshrrev_b32_e32 v6, 8, v3
	s_movk_i32 s4, 0x7f
	v_cmp_gt_i16_sdwa s[6:7], v6, s4 src0_sel:BYTE_0 src1_sel:DWORD
	s_mov_b64 s[4:5], 0
                                        ; implicit-def: $sgpr10
	s_and_saveexec_b64 s[8:9], s[6:7]
	s_xor_b64 s[6:7], exec, s[8:9]
	s_cbranch_execnz .LBB3_3373
; %bb.1325:
	s_or_saveexec_b64 s[6:7], s[6:7]
	v_mov_b32_e32 v12, s10
	s_xor_b64 exec, exec, s[6:7]
	s_cbranch_execnz .LBB3_3376
.LBB3_1326:
	s_or_b64 exec, exec, s[6:7]
	s_and_saveexec_b64 s[6:7], s[4:5]
	s_cbranch_execz .LBB3_1328
.LBB3_1327:
	v_bfe_u32 v12, v3, 8, 3
	v_ffbh_u32_e32 v14, v12
	v_min_u32_e32 v14, 32, v14
	v_lshrrev_b16_e32 v13, 3, v6
	v_subrev_u32_e32 v15, 28, v14
	v_and_b32_e32 v13, 15, v13
	v_lshlrev_b32_e32 v6, v15, v6
	v_sub_u32_e32 v14, 29, v14
	v_and_b32_e32 v6, 7, v6
	v_cmp_eq_u16_e32 vcc, 0, v13
	v_cndmask_b32_e32 v6, v12, v6, vcc
	v_cndmask_b32_e32 v12, v13, v14, vcc
	v_lshlrev_b32_e32 v13, 16, v3
	v_mov_b32_e32 v14, 0x3b800000
	v_lshlrev_b32_e32 v6, 20, v6
	v_and_b32_e32 v13, 0x80000000, v13
	v_lshl_add_u32 v12, v12, 23, v14
	v_or3_b32 v12, v13, v12, v6
.LBB3_1328:
	s_or_b64 exec, exec, s[6:7]
	s_nop 0
	v_mfma_f32_16x16x4f32 a[0:3], v2, v12, a[0:3]
	s_movk_i32 s4, 0xff
	v_and_b32_sdwa v6, v7, s4 dst_sel:DWORD dst_unused:UNUSED_PAD src0_sel:WORD_1 src1_sel:DWORD
	s_movk_i32 s4, 0x7f
	v_cmp_lt_i16_e32 vcc, s4, v6
	s_mov_b64 s[4:5], 0
                                        ; implicit-def: $sgpr10
	s_and_saveexec_b64 s[6:7], vcc
	s_xor_b64 s[6:7], exec, s[6:7]
	s_cbranch_execnz .LBB3_3377
; %bb.1329:
	s_or_saveexec_b64 s[6:7], s[6:7]
	v_mov_b32_e32 v2, s10
	s_xor_b64 exec, exec, s[6:7]
	s_cbranch_execnz .LBB3_3380
.LBB3_1330:
	s_or_b64 exec, exec, s[6:7]
	s_and_saveexec_b64 s[6:7], s[4:5]
	s_cbranch_execz .LBB3_1332
.LBB3_1331:
	v_bfe_u32 v2, v7, 16, 3
	v_ffbh_u32_e32 v13, v2
	v_min_u32_e32 v13, 32, v13
	v_lshrrev_b32_e32 v6, 19, v7
	v_subrev_u32_e32 v14, 28, v13
	v_and_b32_e32 v6, 15, v6
	v_lshlrev_b32_sdwa v14, v14, v7 dst_sel:DWORD dst_unused:UNUSED_PAD src0_sel:DWORD src1_sel:WORD_1
	v_bfe_u32 v12, v7, 19, 4
	v_sub_u32_e32 v13, 29, v13
	v_and_b32_e32 v14, 7, v14
	v_cmp_eq_u16_e32 vcc, 0, v6
	v_cndmask_b32_e32 v2, v2, v14, vcc
	v_cndmask_b32_e32 v6, v12, v13, vcc
	v_lshlrev_b32_e32 v12, 8, v7
	v_mov_b32_e32 v13, 0x3b800000
	v_lshlrev_b32_e32 v2, 20, v2
	v_and_b32_e32 v12, 0x80000000, v12
	v_lshl_add_u32 v6, v6, 23, v13
	v_or3_b32 v2, v12, v6, v2
.LBB3_1332:
	s_or_b64 exec, exec, s[6:7]
	s_movk_i32 s4, 0xff
	v_and_b32_sdwa v6, v3, s4 dst_sel:DWORD dst_unused:UNUSED_PAD src0_sel:WORD_1 src1_sel:DWORD
	s_movk_i32 s4, 0x7f
	v_cmp_lt_i16_e32 vcc, s4, v6
	s_mov_b64 s[4:5], 0
                                        ; implicit-def: $sgpr10
	s_and_saveexec_b64 s[6:7], vcc
	s_xor_b64 s[6:7], exec, s[6:7]
	s_cbranch_execnz .LBB3_3381
; %bb.1333:
	s_or_saveexec_b64 s[6:7], s[6:7]
	v_mov_b32_e32 v12, s10
	s_xor_b64 exec, exec, s[6:7]
	s_cbranch_execnz .LBB3_3384
.LBB3_1334:
	s_or_b64 exec, exec, s[6:7]
	s_and_saveexec_b64 s[6:7], s[4:5]
	s_cbranch_execz .LBB3_1336
.LBB3_1335:
	v_bfe_u32 v6, v3, 16, 3
	v_ffbh_u32_e32 v14, v6
	v_min_u32_e32 v14, 32, v14
	v_lshrrev_b32_e32 v12, 19, v3
	v_subrev_u32_e32 v15, 28, v14
	v_and_b32_e32 v12, 15, v12
	v_lshlrev_b32_sdwa v15, v15, v3 dst_sel:DWORD dst_unused:UNUSED_PAD src0_sel:DWORD src1_sel:WORD_1
	v_bfe_u32 v13, v3, 19, 4
	v_sub_u32_e32 v14, 29, v14
	v_and_b32_e32 v15, 7, v15
	v_cmp_eq_u16_e32 vcc, 0, v12
	v_cndmask_b32_e32 v6, v6, v15, vcc
	v_cndmask_b32_e32 v12, v13, v14, vcc
	v_lshlrev_b32_e32 v13, 8, v3
	v_mov_b32_e32 v14, 0x3b800000
	v_lshlrev_b32_e32 v6, 20, v6
	v_and_b32_e32 v13, 0x80000000, v13
	v_lshl_add_u32 v12, v12, 23, v14
	v_or3_b32 v12, v13, v12, v6
.LBB3_1336:
	s_or_b64 exec, exec, s[6:7]
	s_nop 0
	v_mfma_f32_16x16x4f32 a[0:3], v2, v12, a[0:3]
	s_movk_i32 s4, 0x7f
	v_cmp_gt_i16_sdwa s[6:7], v7, s4 src0_sel:BYTE_3 src1_sel:DWORD
	s_mov_b64 s[4:5], 0
                                        ; implicit-def: $sgpr10
	s_and_saveexec_b64 s[8:9], s[6:7]
	s_xor_b64 s[6:7], exec, s[8:9]
	s_cbranch_execnz .LBB3_3385
; %bb.1337:
	s_or_saveexec_b64 s[6:7], s[6:7]
	v_mov_b32_e32 v2, s10
	s_xor_b64 exec, exec, s[6:7]
	s_cbranch_execnz .LBB3_3388
.LBB3_1338:
	s_or_b64 exec, exec, s[6:7]
	s_and_saveexec_b64 s[6:7], s[4:5]
	s_cbranch_execz .LBB3_1340
.LBB3_1339:
	v_bfe_u32 v2, v7, 24, 3
	v_ffbh_u32_e32 v14, v2
	v_min_u32_e32 v14, 32, v14
	v_lshrrev_b32_e32 v12, 27, v7
	v_subrev_u32_e32 v15, 28, v14
	v_and_b32_e32 v6, 0x80000000, v7
	v_and_b32_e32 v12, 15, v12
	v_bfe_u32 v13, v7, 27, 4
	v_lshlrev_b32_sdwa v7, v15, v7 dst_sel:DWORD dst_unused:UNUSED_PAD src0_sel:DWORD src1_sel:BYTE_3
	v_sub_u32_e32 v14, 29, v14
	v_and_b32_e32 v7, 7, v7
	v_cmp_eq_u16_e32 vcc, 0, v12
	v_cndmask_b32_e32 v2, v2, v7, vcc
	v_cndmask_b32_e32 v7, v13, v14, vcc
	v_mov_b32_e32 v12, 0x3b800000
	v_lshlrev_b32_e32 v2, 20, v2
	v_lshl_add_u32 v7, v7, 23, v12
	v_or3_b32 v2, v6, v7, v2
.LBB3_1340:
	s_or_b64 exec, exec, s[6:7]
	s_movk_i32 s4, 0x7f
	v_cmp_gt_i16_sdwa s[6:7], v3, s4 src0_sel:BYTE_3 src1_sel:DWORD
	s_mov_b64 s[4:5], 0
                                        ; implicit-def: $sgpr10
	s_and_saveexec_b64 s[8:9], s[6:7]
	s_xor_b64 s[6:7], exec, s[8:9]
	s_cbranch_execnz .LBB3_3389
; %bb.1341:
	s_or_saveexec_b64 s[6:7], s[6:7]
	v_mov_b32_e32 v6, s10
	s_xor_b64 exec, exec, s[6:7]
	s_cbranch_execnz .LBB3_3392
.LBB3_1342:
	s_or_b64 exec, exec, s[6:7]
	s_and_saveexec_b64 s[6:7], s[4:5]
	s_cbranch_execz .LBB3_1344
.LBB3_1343:
	v_bfe_u32 v6, v3, 24, 3
	v_ffbh_u32_e32 v14, v6
	v_min_u32_e32 v14, 32, v14
	v_lshrrev_b32_e32 v12, 27, v3
	v_subrev_u32_e32 v15, 28, v14
	v_and_b32_e32 v7, 0x80000000, v3
	v_and_b32_e32 v12, 15, v12
	v_bfe_u32 v13, v3, 27, 4
	v_lshlrev_b32_sdwa v3, v15, v3 dst_sel:DWORD dst_unused:UNUSED_PAD src0_sel:DWORD src1_sel:BYTE_3
	v_sub_u32_e32 v14, 29, v14
	v_and_b32_e32 v3, 7, v3
	v_cmp_eq_u16_e32 vcc, 0, v12
	v_cndmask_b32_e32 v3, v6, v3, vcc
	v_cndmask_b32_e32 v6, v13, v14, vcc
	v_mov_b32_e32 v12, 0x3b800000
	v_lshlrev_b32_e32 v3, 20, v3
	v_lshl_add_u32 v6, v6, 23, v12
	v_or3_b32 v6, v7, v6, v3
.LBB3_1344:
	s_or_b64 exec, exec, s[6:7]
	s_nop 0
	v_mfma_f32_16x16x4f32 a[0:3], v2, v6, a[0:3]
	s_movk_i32 s4, 0x7f
	v_cmp_gt_i16_sdwa s[6:7], v8, s4 src0_sel:BYTE_0 src1_sel:DWORD
	s_mov_b64 s[4:5], 0
                                        ; implicit-def: $sgpr10
	s_and_saveexec_b64 s[8:9], s[6:7]
	s_xor_b64 s[6:7], exec, s[8:9]
	s_cbranch_execnz .LBB3_3393
; %bb.1345:
	s_or_saveexec_b64 s[6:7], s[6:7]
	v_mov_b32_e32 v2, s10
	s_xor_b64 exec, exec, s[6:7]
	s_cbranch_execnz .LBB3_3396
.LBB3_1346:
	s_or_b64 exec, exec, s[6:7]
	s_and_saveexec_b64 s[6:7], s[4:5]
	s_cbranch_execz .LBB3_1348
.LBB3_1347:
	v_and_b32_e32 v2, 7, v8
	v_ffbh_u32_e32 v6, v2
	v_min_u32_e32 v6, 32, v6
	v_lshrrev_b16_e32 v3, 3, v8
	v_subrev_u32_e32 v7, 28, v6
	v_and_b32_e32 v3, 15, v3
	v_lshlrev_b32_e32 v7, v7, v8
	v_sub_u32_e32 v6, 29, v6
	v_and_b32_e32 v7, 7, v7
	v_cmp_eq_u16_e32 vcc, 0, v3
	v_cndmask_b32_e32 v2, v2, v7, vcc
	v_cndmask_b32_e32 v3, v3, v6, vcc
	v_lshlrev_b32_e32 v6, 24, v8
	v_mov_b32_e32 v7, 0x3b800000
	v_lshlrev_b32_e32 v2, 20, v2
	v_and_b32_e32 v6, 0x80000000, v6
	v_lshl_add_u32 v3, v3, 23, v7
	v_or3_b32 v2, v6, v3, v2
.LBB3_1348:
	s_or_b64 exec, exec, s[6:7]
	s_movk_i32 s4, 0x7f
	v_cmp_gt_i16_sdwa s[6:7], v4, s4 src0_sel:BYTE_0 src1_sel:DWORD
	s_mov_b64 s[4:5], 0
                                        ; implicit-def: $sgpr10
	s_and_saveexec_b64 s[8:9], s[6:7]
	s_xor_b64 s[6:7], exec, s[8:9]
	s_cbranch_execnz .LBB3_3397
; %bb.1349:
	s_or_saveexec_b64 s[6:7], s[6:7]
	v_mov_b32_e32 v3, s10
	s_xor_b64 exec, exec, s[6:7]
	s_cbranch_execnz .LBB3_3400
.LBB3_1350:
	s_or_b64 exec, exec, s[6:7]
	s_and_saveexec_b64 s[6:7], s[4:5]
	s_cbranch_execz .LBB3_1352
.LBB3_1351:
	v_and_b32_e32 v3, 7, v4
	v_ffbh_u32_e32 v7, v3
	v_min_u32_e32 v7, 32, v7
	v_lshrrev_b16_e32 v6, 3, v4
	v_subrev_u32_e32 v12, 28, v7
	v_and_b32_e32 v6, 15, v6
	v_lshlrev_b32_e32 v12, v12, v4
	v_sub_u32_e32 v7, 29, v7
	v_and_b32_e32 v12, 7, v12
	v_cmp_eq_u16_e32 vcc, 0, v6
	v_cndmask_b32_e32 v3, v3, v12, vcc
	v_cndmask_b32_e32 v6, v6, v7, vcc
	v_lshlrev_b32_e32 v7, 24, v4
	v_mov_b32_e32 v12, 0x3b800000
	v_lshlrev_b32_e32 v3, 20, v3
	v_and_b32_e32 v7, 0x80000000, v7
	v_lshl_add_u32 v6, v6, 23, v12
	v_or3_b32 v3, v7, v6, v3
.LBB3_1352:
	s_or_b64 exec, exec, s[6:7]
	s_nop 0
	v_mfma_f32_16x16x4f32 a[0:3], v2, v3, a[0:3]
	v_lshrrev_b32_e32 v3, 8, v8
	s_movk_i32 s4, 0x7f
	v_cmp_gt_i16_sdwa s[6:7], v3, s4 src0_sel:BYTE_0 src1_sel:DWORD
	s_mov_b64 s[4:5], 0
                                        ; implicit-def: $sgpr10
	s_and_saveexec_b64 s[8:9], s[6:7]
	s_xor_b64 s[6:7], exec, s[8:9]
	s_cbranch_execnz .LBB3_3401
; %bb.1353:
	s_or_saveexec_b64 s[6:7], s[6:7]
	v_mov_b32_e32 v2, s10
	s_xor_b64 exec, exec, s[6:7]
	s_cbranch_execnz .LBB3_3404
.LBB3_1354:
	s_or_b64 exec, exec, s[6:7]
	s_and_saveexec_b64 s[6:7], s[4:5]
	s_cbranch_execz .LBB3_1356
.LBB3_1355:
	v_bfe_u32 v2, v8, 8, 3
	v_ffbh_u32_e32 v7, v2
	v_min_u32_e32 v7, 32, v7
	v_lshrrev_b16_e32 v6, 3, v3
	v_subrev_u32_e32 v12, 28, v7
	v_and_b32_e32 v6, 15, v6
	v_lshlrev_b32_e32 v3, v12, v3
	v_sub_u32_e32 v7, 29, v7
	v_and_b32_e32 v3, 7, v3
	v_cmp_eq_u16_e32 vcc, 0, v6
	v_cndmask_b32_e32 v2, v2, v3, vcc
	v_cndmask_b32_e32 v3, v6, v7, vcc
	v_lshlrev_b32_e32 v6, 16, v8
	v_mov_b32_e32 v7, 0x3b800000
	v_lshlrev_b32_e32 v2, 20, v2
	v_and_b32_e32 v6, 0x80000000, v6
	v_lshl_add_u32 v3, v3, 23, v7
	v_or3_b32 v2, v6, v3, v2
.LBB3_1356:
	s_or_b64 exec, exec, s[6:7]
	v_lshrrev_b32_e32 v3, 8, v4
	s_movk_i32 s4, 0x7f
	v_cmp_gt_i16_sdwa s[6:7], v3, s4 src0_sel:BYTE_0 src1_sel:DWORD
	s_mov_b64 s[4:5], 0
                                        ; implicit-def: $sgpr10
	s_and_saveexec_b64 s[8:9], s[6:7]
	s_xor_b64 s[6:7], exec, s[8:9]
	s_cbranch_execnz .LBB3_3405
; %bb.1357:
	s_or_saveexec_b64 s[6:7], s[6:7]
	v_mov_b32_e32 v6, s10
	s_xor_b64 exec, exec, s[6:7]
	s_cbranch_execnz .LBB3_3408
.LBB3_1358:
	s_or_b64 exec, exec, s[6:7]
	s_and_saveexec_b64 s[6:7], s[4:5]
	s_cbranch_execz .LBB3_1360
.LBB3_1359:
	v_bfe_u32 v6, v4, 8, 3
	v_ffbh_u32_e32 v12, v6
	v_min_u32_e32 v12, 32, v12
	v_lshrrev_b16_e32 v7, 3, v3
	v_subrev_u32_e32 v13, 28, v12
	v_and_b32_e32 v7, 15, v7
	v_lshlrev_b32_e32 v3, v13, v3
	v_sub_u32_e32 v12, 29, v12
	v_and_b32_e32 v3, 7, v3
	v_cmp_eq_u16_e32 vcc, 0, v7
	v_cndmask_b32_e32 v3, v6, v3, vcc
	v_cndmask_b32_e32 v6, v7, v12, vcc
	v_lshlrev_b32_e32 v7, 16, v4
	v_mov_b32_e32 v12, 0x3b800000
	v_lshlrev_b32_e32 v3, 20, v3
	v_and_b32_e32 v7, 0x80000000, v7
	v_lshl_add_u32 v6, v6, 23, v12
	v_or3_b32 v6, v7, v6, v3
.LBB3_1360:
	s_or_b64 exec, exec, s[6:7]
	s_nop 0
	v_mfma_f32_16x16x4f32 a[0:3], v2, v6, a[0:3]
	s_movk_i32 s4, 0xff
	v_and_b32_sdwa v3, v8, s4 dst_sel:DWORD dst_unused:UNUSED_PAD src0_sel:WORD_1 src1_sel:DWORD
	s_movk_i32 s4, 0x7f
	v_cmp_lt_i16_e32 vcc, s4, v3
	s_mov_b64 s[4:5], 0
                                        ; implicit-def: $sgpr10
	s_and_saveexec_b64 s[6:7], vcc
	s_xor_b64 s[6:7], exec, s[6:7]
	s_cbranch_execnz .LBB3_3409
; %bb.1361:
	s_or_saveexec_b64 s[6:7], s[6:7]
	v_mov_b32_e32 v2, s10
	s_xor_b64 exec, exec, s[6:7]
	s_cbranch_execnz .LBB3_3412
.LBB3_1362:
	s_or_b64 exec, exec, s[6:7]
	s_and_saveexec_b64 s[6:7], s[4:5]
	s_cbranch_execz .LBB3_1364
.LBB3_1363:
	v_bfe_u32 v2, v8, 16, 3
	v_ffbh_u32_e32 v7, v2
	v_min_u32_e32 v7, 32, v7
	v_lshrrev_b32_e32 v3, 19, v8
	v_subrev_u32_e32 v12, 28, v7
	v_and_b32_e32 v3, 15, v3
	v_lshlrev_b32_sdwa v12, v12, v8 dst_sel:DWORD dst_unused:UNUSED_PAD src0_sel:DWORD src1_sel:WORD_1
	v_bfe_u32 v6, v8, 19, 4
	v_sub_u32_e32 v7, 29, v7
	v_and_b32_e32 v12, 7, v12
	v_cmp_eq_u16_e32 vcc, 0, v3
	v_cndmask_b32_e32 v2, v2, v12, vcc
	v_cndmask_b32_e32 v3, v6, v7, vcc
	v_lshlrev_b32_e32 v6, 8, v8
	v_mov_b32_e32 v7, 0x3b800000
	v_lshlrev_b32_e32 v2, 20, v2
	v_and_b32_e32 v6, 0x80000000, v6
	v_lshl_add_u32 v3, v3, 23, v7
	v_or3_b32 v2, v6, v3, v2
.LBB3_1364:
	s_or_b64 exec, exec, s[6:7]
	s_movk_i32 s4, 0xff
	v_and_b32_sdwa v3, v4, s4 dst_sel:DWORD dst_unused:UNUSED_PAD src0_sel:WORD_1 src1_sel:DWORD
	s_movk_i32 s4, 0x7f
	v_cmp_lt_i16_e32 vcc, s4, v3
	s_mov_b64 s[4:5], 0
                                        ; implicit-def: $sgpr10
	s_and_saveexec_b64 s[6:7], vcc
	s_xor_b64 s[6:7], exec, s[6:7]
	s_cbranch_execnz .LBB3_3413
; %bb.1365:
	s_or_saveexec_b64 s[6:7], s[6:7]
	v_mov_b32_e32 v6, s10
	s_xor_b64 exec, exec, s[6:7]
	s_cbranch_execnz .LBB3_3416
.LBB3_1366:
	s_or_b64 exec, exec, s[6:7]
	s_and_saveexec_b64 s[6:7], s[4:5]
	s_cbranch_execz .LBB3_1368
.LBB3_1367:
	v_bfe_u32 v3, v4, 16, 3
	v_ffbh_u32_e32 v12, v3
	v_min_u32_e32 v12, 32, v12
	v_lshrrev_b32_e32 v6, 19, v4
	v_subrev_u32_e32 v13, 28, v12
	v_and_b32_e32 v6, 15, v6
	v_lshlrev_b32_sdwa v13, v13, v4 dst_sel:DWORD dst_unused:UNUSED_PAD src0_sel:DWORD src1_sel:WORD_1
	v_bfe_u32 v7, v4, 19, 4
	v_sub_u32_e32 v12, 29, v12
	v_and_b32_e32 v13, 7, v13
	v_cmp_eq_u16_e32 vcc, 0, v6
	v_cndmask_b32_e32 v3, v3, v13, vcc
	v_cndmask_b32_e32 v6, v7, v12, vcc
	v_lshlrev_b32_e32 v7, 8, v4
	v_mov_b32_e32 v12, 0x3b800000
	v_lshlrev_b32_e32 v3, 20, v3
	v_and_b32_e32 v7, 0x80000000, v7
	v_lshl_add_u32 v6, v6, 23, v12
	v_or3_b32 v6, v7, v6, v3
.LBB3_1368:
	s_or_b64 exec, exec, s[6:7]
	s_nop 0
	v_mfma_f32_16x16x4f32 a[0:3], v2, v6, a[0:3]
	s_movk_i32 s4, 0x7f
	v_cmp_gt_i16_sdwa s[6:7], v8, s4 src0_sel:BYTE_3 src1_sel:DWORD
	s_mov_b64 s[4:5], 0
                                        ; implicit-def: $sgpr10
	s_and_saveexec_b64 s[8:9], s[6:7]
	s_xor_b64 s[6:7], exec, s[8:9]
	s_cbranch_execnz .LBB3_3417
; %bb.1369:
	s_or_saveexec_b64 s[6:7], s[6:7]
	v_mov_b32_e32 v2, s10
	s_xor_b64 exec, exec, s[6:7]
	s_cbranch_execnz .LBB3_3420
.LBB3_1370:
	s_or_b64 exec, exec, s[6:7]
	s_and_saveexec_b64 s[6:7], s[4:5]
	s_cbranch_execz .LBB3_1372
.LBB3_1371:
	v_bfe_u32 v2, v8, 24, 3
	v_ffbh_u32_e32 v12, v2
	v_min_u32_e32 v12, 32, v12
	v_lshrrev_b32_e32 v6, 27, v8
	v_subrev_u32_e32 v13, 28, v12
	v_and_b32_e32 v3, 0x80000000, v8
	v_and_b32_e32 v6, 15, v6
	v_bfe_u32 v7, v8, 27, 4
	v_lshlrev_b32_sdwa v8, v13, v8 dst_sel:DWORD dst_unused:UNUSED_PAD src0_sel:DWORD src1_sel:BYTE_3
	v_sub_u32_e32 v12, 29, v12
	v_and_b32_e32 v8, 7, v8
	v_cmp_eq_u16_e32 vcc, 0, v6
	v_cndmask_b32_e32 v2, v2, v8, vcc
	v_cndmask_b32_e32 v6, v7, v12, vcc
	v_mov_b32_e32 v7, 0x3b800000
	v_lshlrev_b32_e32 v2, 20, v2
	v_lshl_add_u32 v6, v6, 23, v7
	v_or3_b32 v2, v3, v6, v2
.LBB3_1372:
	s_or_b64 exec, exec, s[6:7]
	s_movk_i32 s4, 0x7f
	v_cmp_gt_i16_sdwa s[6:7], v4, s4 src0_sel:BYTE_3 src1_sel:DWORD
	s_mov_b64 s[4:5], 0
                                        ; implicit-def: $sgpr10
	s_and_saveexec_b64 s[8:9], s[6:7]
	s_xor_b64 s[6:7], exec, s[8:9]
	s_cbranch_execnz .LBB3_3421
; %bb.1373:
	s_or_saveexec_b64 s[6:7], s[6:7]
	v_mov_b32_e32 v3, s10
	s_xor_b64 exec, exec, s[6:7]
	s_cbranch_execnz .LBB3_3424
.LBB3_1374:
	s_or_b64 exec, exec, s[6:7]
	s_and_saveexec_b64 s[6:7], s[4:5]
	s_cbranch_execz .LBB3_1376
.LBB3_1375:
	v_bfe_u32 v3, v4, 24, 3
	v_ffbh_u32_e32 v12, v3
	v_min_u32_e32 v12, 32, v12
	v_lshrrev_b32_e32 v7, 27, v4
	v_subrev_u32_e32 v13, 28, v12
	v_and_b32_e32 v6, 0x80000000, v4
	v_and_b32_e32 v7, 15, v7
	v_bfe_u32 v8, v4, 27, 4
	v_lshlrev_b32_sdwa v4, v13, v4 dst_sel:DWORD dst_unused:UNUSED_PAD src0_sel:DWORD src1_sel:BYTE_3
	v_sub_u32_e32 v12, 29, v12
	v_and_b32_e32 v4, 7, v4
	v_cmp_eq_u16_e32 vcc, 0, v7
	v_cndmask_b32_e32 v3, v3, v4, vcc
	v_cndmask_b32_e32 v4, v8, v12, vcc
	v_mov_b32_e32 v7, 0x3b800000
	v_lshlrev_b32_e32 v3, 20, v3
	v_lshl_add_u32 v4, v4, 23, v7
	v_or3_b32 v3, v6, v4, v3
.LBB3_1376:
	s_or_b64 exec, exec, s[6:7]
	s_nop 0
	v_mfma_f32_16x16x4f32 a[0:3], v2, v3, a[0:3]
	s_movk_i32 s4, 0x7f
	v_cmp_gt_i16_sdwa s[6:7], v9, s4 src0_sel:BYTE_0 src1_sel:DWORD
	s_mov_b64 s[4:5], 0
                                        ; implicit-def: $sgpr10
	s_and_saveexec_b64 s[8:9], s[6:7]
	s_xor_b64 s[6:7], exec, s[8:9]
	s_cbranch_execnz .LBB3_3425
; %bb.1377:
	s_or_saveexec_b64 s[6:7], s[6:7]
	v_mov_b32_e32 v2, s10
	s_xor_b64 exec, exec, s[6:7]
	s_cbranch_execnz .LBB3_3428
.LBB3_1378:
	s_or_b64 exec, exec, s[6:7]
	s_and_saveexec_b64 s[6:7], s[4:5]
	s_cbranch_execz .LBB3_1380
.LBB3_1379:
	v_mov_b32_e32 v2, 8
	v_and_b32_e32 v3, 7, v9
	v_lshrrev_b32_sdwa v2, v2, v9 dst_sel:BYTE_1 dst_unused:UNUSED_PAD src0_sel:DWORD src1_sel:DWORD
	v_ffbh_u32_e32 v4, v3
	v_or_b32_sdwa v2, v9, v2 dst_sel:DWORD dst_unused:UNUSED_PAD src0_sel:BYTE_0 src1_sel:DWORD
	v_min_u32_e32 v4, 32, v4
	v_lshrrev_b16_e32 v2, 3, v2
	v_subrev_u32_e32 v6, 28, v4
	v_and_b32_e32 v2, 15, v2
	v_lshlrev_b32_e32 v6, v6, v9
	v_sub_u32_e32 v4, 29, v4
	v_and_b32_e32 v6, 7, v6
	v_cmp_eq_u16_e32 vcc, 0, v2
	v_cndmask_b32_e32 v3, v3, v6, vcc
	v_cndmask_b32_e32 v2, v2, v4, vcc
	v_lshlrev_b32_e32 v4, 24, v9
	v_mov_b32_e32 v6, 0x3b800000
	v_lshlrev_b32_e32 v3, 20, v3
	v_and_b32_e32 v4, 0x80000000, v4
	v_lshl_add_u32 v2, v2, 23, v6
	v_or3_b32 v2, v4, v2, v3
.LBB3_1380:
	s_or_b64 exec, exec, s[6:7]
	s_movk_i32 s4, 0x7f
	v_cmp_gt_i16_sdwa s[6:7], v5, s4 src0_sel:BYTE_0 src1_sel:DWORD
	s_mov_b64 s[4:5], 0
                                        ; implicit-def: $sgpr10
	s_and_saveexec_b64 s[8:9], s[6:7]
	s_xor_b64 s[6:7], exec, s[8:9]
	s_cbranch_execnz .LBB3_3429
; %bb.1381:
	s_or_saveexec_b64 s[6:7], s[6:7]
	v_mov_b32_e32 v3, s10
	s_xor_b64 exec, exec, s[6:7]
	s_cbranch_execnz .LBB3_3432
.LBB3_1382:
	s_or_b64 exec, exec, s[6:7]
	s_and_saveexec_b64 s[6:7], s[4:5]
	s_cbranch_execz .LBB3_1384
.LBB3_1383:
	v_mov_b32_e32 v3, 8
	v_and_b32_e32 v4, 7, v5
	v_lshrrev_b32_sdwa v3, v3, v5 dst_sel:BYTE_1 dst_unused:UNUSED_PAD src0_sel:DWORD src1_sel:DWORD
	v_ffbh_u32_e32 v6, v4
	v_or_b32_sdwa v3, v5, v3 dst_sel:DWORD dst_unused:UNUSED_PAD src0_sel:BYTE_0 src1_sel:DWORD
	v_min_u32_e32 v6, 32, v6
	v_lshrrev_b16_e32 v3, 3, v3
	v_subrev_u32_e32 v7, 28, v6
	v_and_b32_e32 v3, 15, v3
	v_lshlrev_b32_e32 v7, v7, v5
	v_sub_u32_e32 v6, 29, v6
	v_and_b32_e32 v7, 7, v7
	v_cmp_eq_u16_e32 vcc, 0, v3
	v_cndmask_b32_e32 v4, v4, v7, vcc
	v_cndmask_b32_e32 v3, v3, v6, vcc
	v_lshlrev_b32_e32 v6, 24, v5
	v_mov_b32_e32 v7, 0x3b800000
	v_lshlrev_b32_e32 v4, 20, v4
	v_and_b32_e32 v6, 0x80000000, v6
	v_lshl_add_u32 v3, v3, 23, v7
	v_or3_b32 v3, v6, v3, v4
.LBB3_1384:
	s_or_b64 exec, exec, s[6:7]
	s_nop 0
	v_mfma_f32_16x16x4f32 a[0:3], v2, v3, a[0:3]
	v_lshrrev_b32_e32 v3, 8, v9
	s_movk_i32 s4, 0x7f
	v_cmp_gt_i16_sdwa s[6:7], v3, s4 src0_sel:BYTE_0 src1_sel:DWORD
	s_mov_b64 s[4:5], 0
                                        ; implicit-def: $sgpr10
	s_and_saveexec_b64 s[8:9], s[6:7]
	s_xor_b64 s[6:7], exec, s[8:9]
	s_cbranch_execnz .LBB3_3433
; %bb.1385:
	s_or_saveexec_b64 s[6:7], s[6:7]
	v_mov_b32_e32 v2, s10
	s_xor_b64 exec, exec, s[6:7]
	s_cbranch_execnz .LBB3_3436
.LBB3_1386:
	s_or_b64 exec, exec, s[6:7]
	s_and_saveexec_b64 s[6:7], s[4:5]
	s_cbranch_execz .LBB3_1388
.LBB3_1387:
	v_bfe_u32 v2, v9, 8, 3
	v_ffbh_u32_e32 v6, v2
	v_min_u32_e32 v6, 32, v6
	v_lshrrev_b16_e32 v4, 3, v3
	v_subrev_u32_e32 v7, 28, v6
	v_and_b32_e32 v4, 15, v4
	v_lshlrev_b32_e32 v3, v7, v3
	v_sub_u32_e32 v6, 29, v6
	v_and_b32_e32 v3, 7, v3
	v_cmp_eq_u16_e32 vcc, 0, v4
	v_cndmask_b32_e32 v2, v2, v3, vcc
	v_cndmask_b32_e32 v3, v4, v6, vcc
	v_lshlrev_b32_e32 v4, 16, v9
	v_mov_b32_e32 v6, 0x3b800000
	v_lshlrev_b32_e32 v2, 20, v2
	v_and_b32_e32 v4, 0x80000000, v4
	v_lshl_add_u32 v3, v3, 23, v6
	v_or3_b32 v2, v4, v3, v2
.LBB3_1388:
	s_or_b64 exec, exec, s[6:7]
	v_lshrrev_b32_e32 v3, 8, v5
	s_movk_i32 s4, 0x7f
	v_cmp_gt_i16_sdwa s[6:7], v3, s4 src0_sel:BYTE_0 src1_sel:DWORD
	s_mov_b64 s[4:5], 0
                                        ; implicit-def: $sgpr10
	s_and_saveexec_b64 s[8:9], s[6:7]
	s_xor_b64 s[6:7], exec, s[8:9]
	s_cbranch_execnz .LBB3_3437
; %bb.1389:
	s_or_saveexec_b64 s[6:7], s[6:7]
	v_mov_b32_e32 v4, s10
	s_xor_b64 exec, exec, s[6:7]
	s_cbranch_execnz .LBB3_3440
.LBB3_1390:
	s_or_b64 exec, exec, s[6:7]
	s_and_saveexec_b64 s[6:7], s[4:5]
	s_cbranch_execz .LBB3_1392
.LBB3_1391:
	v_bfe_u32 v4, v5, 8, 3
	v_ffbh_u32_e32 v7, v4
	v_min_u32_e32 v7, 32, v7
	v_lshrrev_b16_e32 v6, 3, v3
	v_subrev_u32_e32 v8, 28, v7
	v_and_b32_e32 v6, 15, v6
	v_lshlrev_b32_e32 v3, v8, v3
	v_sub_u32_e32 v7, 29, v7
	v_and_b32_e32 v3, 7, v3
	v_cmp_eq_u16_e32 vcc, 0, v6
	v_cndmask_b32_e32 v3, v4, v3, vcc
	v_cndmask_b32_e32 v4, v6, v7, vcc
	v_lshlrev_b32_e32 v6, 16, v5
	v_mov_b32_e32 v7, 0x3b800000
	v_lshlrev_b32_e32 v3, 20, v3
	v_and_b32_e32 v6, 0x80000000, v6
	v_lshl_add_u32 v4, v4, 23, v7
	v_or3_b32 v4, v6, v4, v3
.LBB3_1392:
	s_or_b64 exec, exec, s[6:7]
	s_nop 0
	v_mfma_f32_16x16x4f32 a[0:3], v2, v4, a[0:3]
	s_movk_i32 s4, 0xff
	v_and_b32_sdwa v3, v9, s4 dst_sel:DWORD dst_unused:UNUSED_PAD src0_sel:WORD_1 src1_sel:DWORD
	s_movk_i32 s4, 0x7f
	v_cmp_lt_i16_e32 vcc, s4, v3
	s_mov_b64 s[4:5], 0
                                        ; implicit-def: $sgpr10
	s_and_saveexec_b64 s[6:7], vcc
	s_xor_b64 s[6:7], exec, s[6:7]
	s_cbranch_execnz .LBB3_3441
; %bb.1393:
	s_or_saveexec_b64 s[6:7], s[6:7]
	v_mov_b32_e32 v2, s10
	s_xor_b64 exec, exec, s[6:7]
	s_cbranch_execnz .LBB3_3444
.LBB3_1394:
	s_or_b64 exec, exec, s[6:7]
	s_and_saveexec_b64 s[6:7], s[4:5]
	s_cbranch_execz .LBB3_1396
.LBB3_1395:
	v_bfe_u32 v2, v9, 16, 3
	v_ffbh_u32_e32 v6, v2
	v_min_u32_e32 v6, 32, v6
	v_lshrrev_b32_e32 v3, 19, v9
	v_subrev_u32_e32 v7, 28, v6
	v_and_b32_e32 v3, 15, v3
	v_lshlrev_b32_sdwa v7, v7, v9 dst_sel:DWORD dst_unused:UNUSED_PAD src0_sel:DWORD src1_sel:WORD_1
	v_bfe_u32 v4, v9, 19, 4
	v_sub_u32_e32 v6, 29, v6
	v_and_b32_e32 v7, 7, v7
	v_cmp_eq_u16_e32 vcc, 0, v3
	v_cndmask_b32_e32 v2, v2, v7, vcc
	v_cndmask_b32_e32 v3, v4, v6, vcc
	v_lshlrev_b32_e32 v4, 8, v9
	v_mov_b32_e32 v6, 0x3b800000
	v_lshlrev_b32_e32 v2, 20, v2
	v_and_b32_e32 v4, 0x80000000, v4
	v_lshl_add_u32 v3, v3, 23, v6
	v_or3_b32 v2, v4, v3, v2
.LBB3_1396:
	s_or_b64 exec, exec, s[6:7]
	s_movk_i32 s4, 0xff
	v_and_b32_sdwa v3, v5, s4 dst_sel:DWORD dst_unused:UNUSED_PAD src0_sel:WORD_1 src1_sel:DWORD
	s_movk_i32 s4, 0x7f
	v_cmp_lt_i16_e32 vcc, s4, v3
	s_mov_b64 s[4:5], 0
                                        ; implicit-def: $sgpr10
	s_and_saveexec_b64 s[6:7], vcc
	s_xor_b64 s[6:7], exec, s[6:7]
	s_cbranch_execnz .LBB3_3445
; %bb.1397:
	s_or_saveexec_b64 s[6:7], s[6:7]
	v_mov_b32_e32 v4, s10
	s_xor_b64 exec, exec, s[6:7]
	s_cbranch_execnz .LBB3_3448
.LBB3_1398:
	s_or_b64 exec, exec, s[6:7]
	s_and_saveexec_b64 s[6:7], s[4:5]
	s_cbranch_execz .LBB3_1400
.LBB3_1399:
	v_bfe_u32 v3, v5, 16, 3
	v_ffbh_u32_e32 v7, v3
	v_min_u32_e32 v7, 32, v7
	v_lshrrev_b32_e32 v4, 19, v5
	v_subrev_u32_e32 v8, 28, v7
	v_and_b32_e32 v4, 15, v4
	v_lshlrev_b32_sdwa v8, v8, v5 dst_sel:DWORD dst_unused:UNUSED_PAD src0_sel:DWORD src1_sel:WORD_1
	v_bfe_u32 v6, v5, 19, 4
	v_sub_u32_e32 v7, 29, v7
	v_and_b32_e32 v8, 7, v8
	v_cmp_eq_u16_e32 vcc, 0, v4
	v_cndmask_b32_e32 v3, v3, v8, vcc
	v_cndmask_b32_e32 v4, v6, v7, vcc
	v_lshlrev_b32_e32 v6, 8, v5
	v_mov_b32_e32 v7, 0x3b800000
	v_lshlrev_b32_e32 v3, 20, v3
	v_and_b32_e32 v6, 0x80000000, v6
	v_lshl_add_u32 v4, v4, 23, v7
	v_or3_b32 v4, v6, v4, v3
.LBB3_1400:
	s_or_b64 exec, exec, s[6:7]
	s_nop 0
	v_mfma_f32_16x16x4f32 a[0:3], v2, v4, a[0:3]
	s_movk_i32 s4, 0x7f
	v_cmp_gt_i16_sdwa s[6:7], v9, s4 src0_sel:BYTE_3 src1_sel:DWORD
	s_mov_b64 s[4:5], 0
                                        ; implicit-def: $sgpr10
	s_and_saveexec_b64 s[8:9], s[6:7]
	s_xor_b64 s[6:7], exec, s[8:9]
	s_cbranch_execnz .LBB3_3449
; %bb.1401:
	s_or_saveexec_b64 s[6:7], s[6:7]
	v_mov_b32_e32 v2, s10
	s_xor_b64 exec, exec, s[6:7]
	s_cbranch_execnz .LBB3_3452
.LBB3_1402:
	s_or_b64 exec, exec, s[6:7]
	s_and_saveexec_b64 s[6:7], s[4:5]
	s_cbranch_execz .LBB3_1404
.LBB3_1403:
	v_bfe_u32 v2, v9, 24, 3
	v_ffbh_u32_e32 v7, v2
	v_min_u32_e32 v7, 32, v7
	v_lshrrev_b32_e32 v4, 27, v9
	v_subrev_u32_e32 v8, 28, v7
	v_and_b32_e32 v4, 15, v4
	v_lshlrev_b32_sdwa v8, v8, v9 dst_sel:DWORD dst_unused:UNUSED_PAD src0_sel:DWORD src1_sel:BYTE_3
	v_bfe_u32 v6, v9, 27, 4
	v_sub_u32_e32 v7, 29, v7
	v_and_b32_e32 v8, 7, v8
	v_cmp_eq_u16_e32 vcc, 0, v4
	v_cndmask_b32_e32 v2, v2, v8, vcc
	v_cndmask_b32_e32 v4, v6, v7, vcc
	v_mov_b32_e32 v6, 0x3b800000
	v_and_b32_e32 v3, 0x80000000, v9
	v_lshlrev_b32_e32 v2, 20, v2
	v_lshl_add_u32 v4, v4, 23, v6
	v_or3_b32 v2, v3, v4, v2
.LBB3_1404:
	s_or_b64 exec, exec, s[6:7]
	s_movk_i32 s4, 0x7f
	v_cmp_gt_i16_sdwa s[6:7], v5, s4 src0_sel:BYTE_3 src1_sel:DWORD
	s_mov_b64 s[4:5], 0
                                        ; implicit-def: $sgpr10
	s_and_saveexec_b64 s[8:9], s[6:7]
	s_xor_b64 s[6:7], exec, s[8:9]
	s_cbranch_execnz .LBB3_3453
; %bb.1405:
	s_or_saveexec_b64 s[6:7], s[6:7]
	v_mov_b32_e32 v3, s10
	s_xor_b64 exec, exec, s[6:7]
	s_cbranch_execnz .LBB3_3456
.LBB3_1406:
	s_or_b64 exec, exec, s[6:7]
	s_and_saveexec_b64 s[6:7], s[4:5]
	s_cbranch_execz .LBB3_1408
.LBB3_1407:
	v_bfe_u32 v3, v5, 24, 3
	v_ffbh_u32_e32 v8, v3
	v_min_u32_e32 v8, 32, v8
	v_lshrrev_b32_e32 v6, 27, v5
	v_subrev_u32_e32 v9, 28, v8
	v_and_b32_e32 v4, 0x80000000, v5
	v_and_b32_e32 v6, 15, v6
	v_bfe_u32 v7, v5, 27, 4
	v_lshlrev_b32_sdwa v5, v9, v5 dst_sel:DWORD dst_unused:UNUSED_PAD src0_sel:DWORD src1_sel:BYTE_3
	v_sub_u32_e32 v8, 29, v8
	v_and_b32_e32 v5, 7, v5
	v_cmp_eq_u16_e32 vcc, 0, v6
	v_cndmask_b32_e32 v3, v3, v5, vcc
	v_cndmask_b32_e32 v5, v7, v8, vcc
	v_mov_b32_e32 v6, 0x3b800000
	v_lshlrev_b32_e32 v3, 20, v3
	v_lshl_add_u32 v5, v5, 23, v6
	v_or3_b32 v3, v4, v5, v3
.LBB3_1408:
	s_or_b64 exec, exec, s[6:7]
	s_nop 0
	v_mfma_f32_16x16x4f32 a[0:3], v2, v3, a[0:3]
	s_movk_i32 s4, 0x7f
                                        ; implicit-def: $sgpr10
	s_nop 7
	s_nop 1
	flat_store_dwordx4 v[10:11], a[0:3] offset:160
	flat_load_dwordx4 v[12:15], v[0:1] offset:8
	s_nop 0
	flat_load_dwordx2 v[10:11], v[0:1] offset:32
	s_waitcnt vmcnt(0) lgkmcnt(0)
	flat_load_dwordx4 v[6:9], v[12:13] offset:64
	flat_load_dwordx4 v[2:5], v[14:15] offset:96
	s_waitcnt vmcnt(0) lgkmcnt(0)
	v_cmp_gt_i16_sdwa s[6:7], v6, s4 src0_sel:BYTE_0 src1_sel:DWORD
	s_mov_b64 s[4:5], 0
	s_and_saveexec_b64 s[8:9], s[6:7]
	s_xor_b64 s[6:7], exec, s[8:9]
	s_cbranch_execnz .LBB3_3457
; %bb.1409:
	s_or_saveexec_b64 s[6:7], s[6:7]
	v_mov_b32_e32 v12, s10
	s_xor_b64 exec, exec, s[6:7]
	s_cbranch_execnz .LBB3_3460
.LBB3_1410:
	s_or_b64 exec, exec, s[6:7]
	s_and_saveexec_b64 s[6:7], s[4:5]
	s_cbranch_execz .LBB3_1412
.LBB3_1411:
	v_and_b32_e32 v12, 7, v6
	v_ffbh_u32_e32 v14, v12
	v_min_u32_e32 v14, 32, v14
	v_lshrrev_b16_e32 v13, 3, v6
	v_subrev_u32_e32 v15, 28, v14
	v_and_b32_e32 v13, 15, v13
	v_lshlrev_b32_e32 v15, v15, v6
	v_sub_u32_e32 v14, 29, v14
	v_and_b32_e32 v15, 7, v15
	v_cmp_eq_u16_e32 vcc, 0, v13
	v_cndmask_b32_e32 v12, v12, v15, vcc
	v_cndmask_b32_e32 v13, v13, v14, vcc
	v_lshlrev_b32_e32 v14, 24, v6
	v_mov_b32_e32 v15, 0x3b800000
	v_lshlrev_b32_e32 v12, 20, v12
	v_and_b32_e32 v14, 0x80000000, v14
	v_lshl_add_u32 v13, v13, 23, v15
	v_or3_b32 v12, v14, v13, v12
.LBB3_1412:
	s_or_b64 exec, exec, s[6:7]
	s_movk_i32 s4, 0x7f
	v_cmp_gt_i16_sdwa s[6:7], v2, s4 src0_sel:BYTE_0 src1_sel:DWORD
	s_mov_b64 s[4:5], 0
                                        ; implicit-def: $sgpr10
	s_and_saveexec_b64 s[8:9], s[6:7]
	s_xor_b64 s[6:7], exec, s[8:9]
	s_cbranch_execnz .LBB3_3461
; %bb.1413:
	s_or_saveexec_b64 s[6:7], s[6:7]
	v_mov_b32_e32 v13, s10
	s_xor_b64 exec, exec, s[6:7]
	s_cbranch_execnz .LBB3_3464
.LBB3_1414:
	s_or_b64 exec, exec, s[6:7]
	s_and_saveexec_b64 s[6:7], s[4:5]
	s_cbranch_execz .LBB3_1416
.LBB3_1415:
	v_and_b32_e32 v13, 7, v2
	v_ffbh_u32_e32 v15, v13
	v_min_u32_e32 v15, 32, v15
	v_lshrrev_b16_e32 v14, 3, v2
	v_subrev_u32_e32 v16, 28, v15
	v_and_b32_e32 v14, 15, v14
	v_lshlrev_b32_e32 v16, v16, v2
	v_sub_u32_e32 v15, 29, v15
	v_and_b32_e32 v16, 7, v16
	v_cmp_eq_u16_e32 vcc, 0, v14
	v_cndmask_b32_e32 v13, v13, v16, vcc
	v_cndmask_b32_e32 v14, v14, v15, vcc
	v_lshlrev_b32_e32 v15, 24, v2
	v_mov_b32_e32 v16, 0x3b800000
	v_lshlrev_b32_e32 v13, 20, v13
	v_and_b32_e32 v15, 0x80000000, v15
	v_lshl_add_u32 v14, v14, 23, v16
	v_or3_b32 v13, v15, v14, v13
.LBB3_1416:
	s_or_b64 exec, exec, s[6:7]
	flat_load_dwordx4 a[0:3], v[10:11] offset:176
	s_movk_i32 s4, 0x7f
                                        ; implicit-def: $sgpr10
	s_waitcnt vmcnt(0) lgkmcnt(0)
	v_mfma_f32_16x16x4f32 a[0:3], v12, v13, a[0:3]
	v_lshrrev_b32_e32 v13, 8, v6
	v_cmp_gt_i16_sdwa s[6:7], v13, s4 src0_sel:BYTE_0 src1_sel:DWORD
	s_mov_b64 s[4:5], 0
	s_and_saveexec_b64 s[8:9], s[6:7]
	s_xor_b64 s[6:7], exec, s[8:9]
	s_cbranch_execnz .LBB3_3465
; %bb.1417:
	s_or_saveexec_b64 s[6:7], s[6:7]
	v_mov_b32_e32 v12, s10
	s_xor_b64 exec, exec, s[6:7]
	s_cbranch_execnz .LBB3_3468
.LBB3_1418:
	s_or_b64 exec, exec, s[6:7]
	s_and_saveexec_b64 s[6:7], s[4:5]
	s_cbranch_execz .LBB3_1420
.LBB3_1419:
	v_bfe_u32 v12, v6, 8, 3
	v_ffbh_u32_e32 v15, v12
	v_min_u32_e32 v15, 32, v15
	v_lshrrev_b16_e32 v14, 3, v13
	v_subrev_u32_e32 v16, 28, v15
	v_and_b32_e32 v14, 15, v14
	v_lshlrev_b32_e32 v13, v16, v13
	v_sub_u32_e32 v15, 29, v15
	v_and_b32_e32 v13, 7, v13
	v_cmp_eq_u16_e32 vcc, 0, v14
	v_cndmask_b32_e32 v12, v12, v13, vcc
	v_cndmask_b32_e32 v13, v14, v15, vcc
	v_lshlrev_b32_e32 v14, 16, v6
	v_mov_b32_e32 v15, 0x3b800000
	v_lshlrev_b32_e32 v12, 20, v12
	v_and_b32_e32 v14, 0x80000000, v14
	v_lshl_add_u32 v13, v13, 23, v15
	v_or3_b32 v12, v14, v13, v12
.LBB3_1420:
	s_or_b64 exec, exec, s[6:7]
	v_lshrrev_b32_e32 v13, 8, v2
	s_movk_i32 s4, 0x7f
	v_cmp_gt_i16_sdwa s[6:7], v13, s4 src0_sel:BYTE_0 src1_sel:DWORD
	s_mov_b64 s[4:5], 0
                                        ; implicit-def: $sgpr10
	s_and_saveexec_b64 s[8:9], s[6:7]
	s_xor_b64 s[6:7], exec, s[8:9]
	s_cbranch_execnz .LBB3_3469
; %bb.1421:
	s_or_saveexec_b64 s[6:7], s[6:7]
	v_mov_b32_e32 v14, s10
	s_xor_b64 exec, exec, s[6:7]
	s_cbranch_execnz .LBB3_3472
.LBB3_1422:
	s_or_b64 exec, exec, s[6:7]
	s_and_saveexec_b64 s[6:7], s[4:5]
	s_cbranch_execz .LBB3_1424
.LBB3_1423:
	v_bfe_u32 v14, v2, 8, 3
	v_ffbh_u32_e32 v16, v14
	v_min_u32_e32 v16, 32, v16
	v_lshrrev_b16_e32 v15, 3, v13
	v_subrev_u32_e32 v17, 28, v16
	v_and_b32_e32 v15, 15, v15
	v_lshlrev_b32_e32 v13, v17, v13
	v_sub_u32_e32 v16, 29, v16
	v_and_b32_e32 v13, 7, v13
	v_cmp_eq_u16_e32 vcc, 0, v15
	v_cndmask_b32_e32 v13, v14, v13, vcc
	v_cndmask_b32_e32 v14, v15, v16, vcc
	v_lshlrev_b32_e32 v15, 16, v2
	v_mov_b32_e32 v16, 0x3b800000
	v_lshlrev_b32_e32 v13, 20, v13
	v_and_b32_e32 v15, 0x80000000, v15
	v_lshl_add_u32 v14, v14, 23, v16
	v_or3_b32 v14, v15, v14, v13
.LBB3_1424:
	s_or_b64 exec, exec, s[6:7]
	s_nop 0
	v_mfma_f32_16x16x4f32 a[0:3], v12, v14, a[0:3]
	s_movk_i32 s4, 0xff
	v_and_b32_sdwa v13, v6, s4 dst_sel:DWORD dst_unused:UNUSED_PAD src0_sel:WORD_1 src1_sel:DWORD
	s_movk_i32 s4, 0x7f
	v_cmp_lt_i16_e32 vcc, s4, v13
	s_mov_b64 s[4:5], 0
                                        ; implicit-def: $sgpr10
	s_and_saveexec_b64 s[6:7], vcc
	s_xor_b64 s[6:7], exec, s[6:7]
	s_cbranch_execnz .LBB3_3473
; %bb.1425:
	s_or_saveexec_b64 s[6:7], s[6:7]
	v_mov_b32_e32 v12, s10
	s_xor_b64 exec, exec, s[6:7]
	s_cbranch_execnz .LBB3_3476
.LBB3_1426:
	s_or_b64 exec, exec, s[6:7]
	s_and_saveexec_b64 s[6:7], s[4:5]
	s_cbranch_execz .LBB3_1428
.LBB3_1427:
	v_bfe_u32 v12, v6, 16, 3
	v_ffbh_u32_e32 v15, v12
	v_min_u32_e32 v15, 32, v15
	v_lshrrev_b32_e32 v13, 19, v6
	v_subrev_u32_e32 v16, 28, v15
	v_and_b32_e32 v13, 15, v13
	v_lshlrev_b32_sdwa v16, v16, v6 dst_sel:DWORD dst_unused:UNUSED_PAD src0_sel:DWORD src1_sel:WORD_1
	v_bfe_u32 v14, v6, 19, 4
	v_sub_u32_e32 v15, 29, v15
	v_and_b32_e32 v16, 7, v16
	v_cmp_eq_u16_e32 vcc, 0, v13
	v_cndmask_b32_e32 v12, v12, v16, vcc
	v_cndmask_b32_e32 v13, v14, v15, vcc
	v_lshlrev_b32_e32 v14, 8, v6
	v_mov_b32_e32 v15, 0x3b800000
	v_lshlrev_b32_e32 v12, 20, v12
	v_and_b32_e32 v14, 0x80000000, v14
	v_lshl_add_u32 v13, v13, 23, v15
	v_or3_b32 v12, v14, v13, v12
.LBB3_1428:
	s_or_b64 exec, exec, s[6:7]
	s_movk_i32 s4, 0xff
	v_and_b32_sdwa v13, v2, s4 dst_sel:DWORD dst_unused:UNUSED_PAD src0_sel:WORD_1 src1_sel:DWORD
	s_movk_i32 s4, 0x7f
	v_cmp_lt_i16_e32 vcc, s4, v13
	s_mov_b64 s[4:5], 0
                                        ; implicit-def: $sgpr10
	s_and_saveexec_b64 s[6:7], vcc
	s_xor_b64 s[6:7], exec, s[6:7]
	s_cbranch_execnz .LBB3_3477
; %bb.1429:
	s_or_saveexec_b64 s[6:7], s[6:7]
	v_mov_b32_e32 v14, s10
	s_xor_b64 exec, exec, s[6:7]
	s_cbranch_execnz .LBB3_3480
.LBB3_1430:
	s_or_b64 exec, exec, s[6:7]
	s_and_saveexec_b64 s[6:7], s[4:5]
	s_cbranch_execz .LBB3_1432
.LBB3_1431:
	v_bfe_u32 v13, v2, 16, 3
	v_ffbh_u32_e32 v16, v13
	v_min_u32_e32 v16, 32, v16
	v_lshrrev_b32_e32 v14, 19, v2
	v_subrev_u32_e32 v17, 28, v16
	v_and_b32_e32 v14, 15, v14
	v_lshlrev_b32_sdwa v17, v17, v2 dst_sel:DWORD dst_unused:UNUSED_PAD src0_sel:DWORD src1_sel:WORD_1
	v_bfe_u32 v15, v2, 19, 4
	v_sub_u32_e32 v16, 29, v16
	v_and_b32_e32 v17, 7, v17
	v_cmp_eq_u16_e32 vcc, 0, v14
	v_cndmask_b32_e32 v13, v13, v17, vcc
	v_cndmask_b32_e32 v14, v15, v16, vcc
	v_lshlrev_b32_e32 v15, 8, v2
	v_mov_b32_e32 v16, 0x3b800000
	v_lshlrev_b32_e32 v13, 20, v13
	v_and_b32_e32 v15, 0x80000000, v15
	v_lshl_add_u32 v14, v14, 23, v16
	v_or3_b32 v14, v15, v14, v13
.LBB3_1432:
	s_or_b64 exec, exec, s[6:7]
	s_nop 0
	v_mfma_f32_16x16x4f32 a[0:3], v12, v14, a[0:3]
	s_movk_i32 s4, 0x7f
	v_cmp_gt_i16_sdwa s[6:7], v6, s4 src0_sel:BYTE_3 src1_sel:DWORD
	s_mov_b64 s[4:5], 0
                                        ; implicit-def: $sgpr10
	s_and_saveexec_b64 s[8:9], s[6:7]
	s_xor_b64 s[6:7], exec, s[8:9]
	s_cbranch_execnz .LBB3_3481
; %bb.1433:
	s_or_saveexec_b64 s[6:7], s[6:7]
	v_mov_b32_e32 v12, s10
	s_xor_b64 exec, exec, s[6:7]
	s_cbranch_execnz .LBB3_3484
.LBB3_1434:
	s_or_b64 exec, exec, s[6:7]
	s_and_saveexec_b64 s[6:7], s[4:5]
	s_cbranch_execz .LBB3_1436
.LBB3_1435:
	v_bfe_u32 v12, v6, 24, 3
	v_ffbh_u32_e32 v16, v12
	v_min_u32_e32 v16, 32, v16
	v_lshrrev_b32_e32 v14, 27, v6
	v_subrev_u32_e32 v17, 28, v16
	v_and_b32_e32 v13, 0x80000000, v6
	v_and_b32_e32 v14, 15, v14
	v_bfe_u32 v15, v6, 27, 4
	v_lshlrev_b32_sdwa v6, v17, v6 dst_sel:DWORD dst_unused:UNUSED_PAD src0_sel:DWORD src1_sel:BYTE_3
	v_sub_u32_e32 v16, 29, v16
	v_and_b32_e32 v6, 7, v6
	v_cmp_eq_u16_e32 vcc, 0, v14
	v_cndmask_b32_e32 v6, v12, v6, vcc
	v_cndmask_b32_e32 v12, v15, v16, vcc
	v_mov_b32_e32 v14, 0x3b800000
	v_lshlrev_b32_e32 v6, 20, v6
	v_lshl_add_u32 v12, v12, 23, v14
	v_or3_b32 v12, v13, v12, v6
.LBB3_1436:
	s_or_b64 exec, exec, s[6:7]
	s_movk_i32 s4, 0x7f
	v_cmp_gt_i16_sdwa s[6:7], v2, s4 src0_sel:BYTE_3 src1_sel:DWORD
	s_mov_b64 s[4:5], 0
                                        ; implicit-def: $sgpr10
	s_and_saveexec_b64 s[8:9], s[6:7]
	s_xor_b64 s[6:7], exec, s[8:9]
	s_cbranch_execnz .LBB3_3485
; %bb.1437:
	s_or_saveexec_b64 s[6:7], s[6:7]
	v_mov_b32_e32 v6, s10
	s_xor_b64 exec, exec, s[6:7]
	s_cbranch_execnz .LBB3_3488
.LBB3_1438:
	s_or_b64 exec, exec, s[6:7]
	s_and_saveexec_b64 s[6:7], s[4:5]
	s_cbranch_execz .LBB3_1440
.LBB3_1439:
	v_bfe_u32 v6, v2, 24, 3
	v_ffbh_u32_e32 v16, v6
	v_min_u32_e32 v16, 32, v16
	v_lshrrev_b32_e32 v14, 27, v2
	v_subrev_u32_e32 v17, 28, v16
	v_and_b32_e32 v13, 0x80000000, v2
	v_and_b32_e32 v14, 15, v14
	v_bfe_u32 v15, v2, 27, 4
	v_lshlrev_b32_sdwa v2, v17, v2 dst_sel:DWORD dst_unused:UNUSED_PAD src0_sel:DWORD src1_sel:BYTE_3
	v_sub_u32_e32 v16, 29, v16
	v_and_b32_e32 v2, 7, v2
	v_cmp_eq_u16_e32 vcc, 0, v14
	v_cndmask_b32_e32 v2, v6, v2, vcc
	v_cndmask_b32_e32 v6, v15, v16, vcc
	v_mov_b32_e32 v14, 0x3b800000
	v_lshlrev_b32_e32 v2, 20, v2
	v_lshl_add_u32 v6, v6, 23, v14
	v_or3_b32 v6, v13, v6, v2
.LBB3_1440:
	s_or_b64 exec, exec, s[6:7]
	s_nop 0
	v_mfma_f32_16x16x4f32 a[0:3], v12, v6, a[0:3]
	s_movk_i32 s4, 0x7f
	v_cmp_gt_i16_sdwa s[6:7], v7, s4 src0_sel:BYTE_0 src1_sel:DWORD
	s_mov_b64 s[4:5], 0
                                        ; implicit-def: $sgpr10
	s_and_saveexec_b64 s[8:9], s[6:7]
	s_xor_b64 s[6:7], exec, s[8:9]
	s_cbranch_execnz .LBB3_3489
; %bb.1441:
	s_or_saveexec_b64 s[6:7], s[6:7]
	v_mov_b32_e32 v2, s10
	s_xor_b64 exec, exec, s[6:7]
	s_cbranch_execnz .LBB3_3492
.LBB3_1442:
	s_or_b64 exec, exec, s[6:7]
	s_and_saveexec_b64 s[6:7], s[4:5]
	s_cbranch_execz .LBB3_1444
.LBB3_1443:
	v_and_b32_e32 v2, 7, v7
	v_ffbh_u32_e32 v12, v2
	v_min_u32_e32 v12, 32, v12
	v_lshrrev_b16_e32 v6, 3, v7
	v_subrev_u32_e32 v13, 28, v12
	v_and_b32_e32 v6, 15, v6
	v_lshlrev_b32_e32 v13, v13, v7
	v_sub_u32_e32 v12, 29, v12
	v_and_b32_e32 v13, 7, v13
	v_cmp_eq_u16_e32 vcc, 0, v6
	v_cndmask_b32_e32 v2, v2, v13, vcc
	v_cndmask_b32_e32 v6, v6, v12, vcc
	v_lshlrev_b32_e32 v12, 24, v7
	v_mov_b32_e32 v13, 0x3b800000
	v_lshlrev_b32_e32 v2, 20, v2
	v_and_b32_e32 v12, 0x80000000, v12
	v_lshl_add_u32 v6, v6, 23, v13
	v_or3_b32 v2, v12, v6, v2
.LBB3_1444:
	s_or_b64 exec, exec, s[6:7]
	s_movk_i32 s4, 0x7f
	v_cmp_gt_i16_sdwa s[6:7], v3, s4 src0_sel:BYTE_0 src1_sel:DWORD
	s_mov_b64 s[4:5], 0
                                        ; implicit-def: $sgpr10
	s_and_saveexec_b64 s[8:9], s[6:7]
	s_xor_b64 s[6:7], exec, s[8:9]
	s_cbranch_execnz .LBB3_3493
; %bb.1445:
	s_or_saveexec_b64 s[6:7], s[6:7]
	v_mov_b32_e32 v6, s10
	s_xor_b64 exec, exec, s[6:7]
	s_cbranch_execnz .LBB3_3496
.LBB3_1446:
	s_or_b64 exec, exec, s[6:7]
	s_and_saveexec_b64 s[6:7], s[4:5]
	s_cbranch_execz .LBB3_1448
.LBB3_1447:
	v_and_b32_e32 v6, 7, v3
	v_ffbh_u32_e32 v13, v6
	v_min_u32_e32 v13, 32, v13
	v_lshrrev_b16_e32 v12, 3, v3
	v_subrev_u32_e32 v14, 28, v13
	v_and_b32_e32 v12, 15, v12
	v_lshlrev_b32_e32 v14, v14, v3
	v_sub_u32_e32 v13, 29, v13
	v_and_b32_e32 v14, 7, v14
	v_cmp_eq_u16_e32 vcc, 0, v12
	v_cndmask_b32_e32 v6, v6, v14, vcc
	v_cndmask_b32_e32 v12, v12, v13, vcc
	v_lshlrev_b32_e32 v13, 24, v3
	v_mov_b32_e32 v14, 0x3b800000
	v_lshlrev_b32_e32 v6, 20, v6
	v_and_b32_e32 v13, 0x80000000, v13
	v_lshl_add_u32 v12, v12, 23, v14
	v_or3_b32 v6, v13, v12, v6
.LBB3_1448:
	s_or_b64 exec, exec, s[6:7]
	s_nop 0
	v_mfma_f32_16x16x4f32 a[0:3], v2, v6, a[0:3]
	v_lshrrev_b32_e32 v6, 8, v7
	s_movk_i32 s4, 0x7f
	v_cmp_gt_i16_sdwa s[6:7], v6, s4 src0_sel:BYTE_0 src1_sel:DWORD
	s_mov_b64 s[4:5], 0
                                        ; implicit-def: $sgpr10
	s_and_saveexec_b64 s[8:9], s[6:7]
	s_xor_b64 s[6:7], exec, s[8:9]
	s_cbranch_execnz .LBB3_3497
; %bb.1449:
	s_or_saveexec_b64 s[6:7], s[6:7]
	v_mov_b32_e32 v2, s10
	s_xor_b64 exec, exec, s[6:7]
	s_cbranch_execnz .LBB3_3500
.LBB3_1450:
	s_or_b64 exec, exec, s[6:7]
	s_and_saveexec_b64 s[6:7], s[4:5]
	s_cbranch_execz .LBB3_1452
.LBB3_1451:
	v_bfe_u32 v2, v7, 8, 3
	v_ffbh_u32_e32 v13, v2
	v_min_u32_e32 v13, 32, v13
	v_lshrrev_b16_e32 v12, 3, v6
	v_subrev_u32_e32 v14, 28, v13
	v_and_b32_e32 v12, 15, v12
	v_lshlrev_b32_e32 v6, v14, v6
	v_sub_u32_e32 v13, 29, v13
	v_and_b32_e32 v6, 7, v6
	v_cmp_eq_u16_e32 vcc, 0, v12
	v_cndmask_b32_e32 v2, v2, v6, vcc
	v_cndmask_b32_e32 v6, v12, v13, vcc
	v_lshlrev_b32_e32 v12, 16, v7
	v_mov_b32_e32 v13, 0x3b800000
	v_lshlrev_b32_e32 v2, 20, v2
	v_and_b32_e32 v12, 0x80000000, v12
	v_lshl_add_u32 v6, v6, 23, v13
	v_or3_b32 v2, v12, v6, v2
.LBB3_1452:
	s_or_b64 exec, exec, s[6:7]
	v_lshrrev_b32_e32 v6, 8, v3
	s_movk_i32 s4, 0x7f
	v_cmp_gt_i16_sdwa s[6:7], v6, s4 src0_sel:BYTE_0 src1_sel:DWORD
	s_mov_b64 s[4:5], 0
                                        ; implicit-def: $sgpr10
	s_and_saveexec_b64 s[8:9], s[6:7]
	s_xor_b64 s[6:7], exec, s[8:9]
	s_cbranch_execnz .LBB3_3501
; %bb.1453:
	s_or_saveexec_b64 s[6:7], s[6:7]
	v_mov_b32_e32 v12, s10
	s_xor_b64 exec, exec, s[6:7]
	s_cbranch_execnz .LBB3_3504
.LBB3_1454:
	s_or_b64 exec, exec, s[6:7]
	s_and_saveexec_b64 s[6:7], s[4:5]
	s_cbranch_execz .LBB3_1456
.LBB3_1455:
	v_bfe_u32 v12, v3, 8, 3
	v_ffbh_u32_e32 v14, v12
	v_min_u32_e32 v14, 32, v14
	v_lshrrev_b16_e32 v13, 3, v6
	v_subrev_u32_e32 v15, 28, v14
	v_and_b32_e32 v13, 15, v13
	v_lshlrev_b32_e32 v6, v15, v6
	v_sub_u32_e32 v14, 29, v14
	v_and_b32_e32 v6, 7, v6
	v_cmp_eq_u16_e32 vcc, 0, v13
	v_cndmask_b32_e32 v6, v12, v6, vcc
	v_cndmask_b32_e32 v12, v13, v14, vcc
	v_lshlrev_b32_e32 v13, 16, v3
	v_mov_b32_e32 v14, 0x3b800000
	v_lshlrev_b32_e32 v6, 20, v6
	v_and_b32_e32 v13, 0x80000000, v13
	v_lshl_add_u32 v12, v12, 23, v14
	v_or3_b32 v12, v13, v12, v6
.LBB3_1456:
	s_or_b64 exec, exec, s[6:7]
	s_nop 0
	v_mfma_f32_16x16x4f32 a[0:3], v2, v12, a[0:3]
	s_movk_i32 s4, 0xff
	v_and_b32_sdwa v6, v7, s4 dst_sel:DWORD dst_unused:UNUSED_PAD src0_sel:WORD_1 src1_sel:DWORD
	s_movk_i32 s4, 0x7f
	v_cmp_lt_i16_e32 vcc, s4, v6
	s_mov_b64 s[4:5], 0
                                        ; implicit-def: $sgpr10
	s_and_saveexec_b64 s[6:7], vcc
	s_xor_b64 s[6:7], exec, s[6:7]
	s_cbranch_execnz .LBB3_3505
; %bb.1457:
	s_or_saveexec_b64 s[6:7], s[6:7]
	v_mov_b32_e32 v2, s10
	s_xor_b64 exec, exec, s[6:7]
	s_cbranch_execnz .LBB3_3508
.LBB3_1458:
	s_or_b64 exec, exec, s[6:7]
	s_and_saveexec_b64 s[6:7], s[4:5]
	s_cbranch_execz .LBB3_1460
.LBB3_1459:
	v_bfe_u32 v2, v7, 16, 3
	v_ffbh_u32_e32 v13, v2
	v_min_u32_e32 v13, 32, v13
	v_lshrrev_b32_e32 v6, 19, v7
	v_subrev_u32_e32 v14, 28, v13
	v_and_b32_e32 v6, 15, v6
	v_lshlrev_b32_sdwa v14, v14, v7 dst_sel:DWORD dst_unused:UNUSED_PAD src0_sel:DWORD src1_sel:WORD_1
	v_bfe_u32 v12, v7, 19, 4
	v_sub_u32_e32 v13, 29, v13
	v_and_b32_e32 v14, 7, v14
	v_cmp_eq_u16_e32 vcc, 0, v6
	v_cndmask_b32_e32 v2, v2, v14, vcc
	v_cndmask_b32_e32 v6, v12, v13, vcc
	v_lshlrev_b32_e32 v12, 8, v7
	v_mov_b32_e32 v13, 0x3b800000
	v_lshlrev_b32_e32 v2, 20, v2
	v_and_b32_e32 v12, 0x80000000, v12
	v_lshl_add_u32 v6, v6, 23, v13
	v_or3_b32 v2, v12, v6, v2
.LBB3_1460:
	s_or_b64 exec, exec, s[6:7]
	s_movk_i32 s4, 0xff
	v_and_b32_sdwa v6, v3, s4 dst_sel:DWORD dst_unused:UNUSED_PAD src0_sel:WORD_1 src1_sel:DWORD
	s_movk_i32 s4, 0x7f
	v_cmp_lt_i16_e32 vcc, s4, v6
	s_mov_b64 s[4:5], 0
                                        ; implicit-def: $sgpr10
	s_and_saveexec_b64 s[6:7], vcc
	s_xor_b64 s[6:7], exec, s[6:7]
	s_cbranch_execnz .LBB3_3509
; %bb.1461:
	s_or_saveexec_b64 s[6:7], s[6:7]
	v_mov_b32_e32 v12, s10
	s_xor_b64 exec, exec, s[6:7]
	s_cbranch_execnz .LBB3_3512
.LBB3_1462:
	s_or_b64 exec, exec, s[6:7]
	s_and_saveexec_b64 s[6:7], s[4:5]
	s_cbranch_execz .LBB3_1464
.LBB3_1463:
	v_bfe_u32 v6, v3, 16, 3
	v_ffbh_u32_e32 v14, v6
	v_min_u32_e32 v14, 32, v14
	v_lshrrev_b32_e32 v12, 19, v3
	v_subrev_u32_e32 v15, 28, v14
	v_and_b32_e32 v12, 15, v12
	v_lshlrev_b32_sdwa v15, v15, v3 dst_sel:DWORD dst_unused:UNUSED_PAD src0_sel:DWORD src1_sel:WORD_1
	v_bfe_u32 v13, v3, 19, 4
	v_sub_u32_e32 v14, 29, v14
	v_and_b32_e32 v15, 7, v15
	v_cmp_eq_u16_e32 vcc, 0, v12
	v_cndmask_b32_e32 v6, v6, v15, vcc
	v_cndmask_b32_e32 v12, v13, v14, vcc
	v_lshlrev_b32_e32 v13, 8, v3
	v_mov_b32_e32 v14, 0x3b800000
	v_lshlrev_b32_e32 v6, 20, v6
	v_and_b32_e32 v13, 0x80000000, v13
	v_lshl_add_u32 v12, v12, 23, v14
	v_or3_b32 v12, v13, v12, v6
.LBB3_1464:
	s_or_b64 exec, exec, s[6:7]
	s_nop 0
	v_mfma_f32_16x16x4f32 a[0:3], v2, v12, a[0:3]
	s_movk_i32 s4, 0x7f
	v_cmp_gt_i16_sdwa s[6:7], v7, s4 src0_sel:BYTE_3 src1_sel:DWORD
	s_mov_b64 s[4:5], 0
                                        ; implicit-def: $sgpr10
	s_and_saveexec_b64 s[8:9], s[6:7]
	s_xor_b64 s[6:7], exec, s[8:9]
	s_cbranch_execnz .LBB3_3513
; %bb.1465:
	s_or_saveexec_b64 s[6:7], s[6:7]
	v_mov_b32_e32 v2, s10
	s_xor_b64 exec, exec, s[6:7]
	s_cbranch_execnz .LBB3_3516
.LBB3_1466:
	s_or_b64 exec, exec, s[6:7]
	s_and_saveexec_b64 s[6:7], s[4:5]
	s_cbranch_execz .LBB3_1468
.LBB3_1467:
	v_bfe_u32 v2, v7, 24, 3
	v_ffbh_u32_e32 v14, v2
	v_min_u32_e32 v14, 32, v14
	v_lshrrev_b32_e32 v12, 27, v7
	v_subrev_u32_e32 v15, 28, v14
	v_and_b32_e32 v6, 0x80000000, v7
	v_and_b32_e32 v12, 15, v12
	v_bfe_u32 v13, v7, 27, 4
	v_lshlrev_b32_sdwa v7, v15, v7 dst_sel:DWORD dst_unused:UNUSED_PAD src0_sel:DWORD src1_sel:BYTE_3
	v_sub_u32_e32 v14, 29, v14
	v_and_b32_e32 v7, 7, v7
	v_cmp_eq_u16_e32 vcc, 0, v12
	v_cndmask_b32_e32 v2, v2, v7, vcc
	v_cndmask_b32_e32 v7, v13, v14, vcc
	v_mov_b32_e32 v12, 0x3b800000
	v_lshlrev_b32_e32 v2, 20, v2
	v_lshl_add_u32 v7, v7, 23, v12
	v_or3_b32 v2, v6, v7, v2
.LBB3_1468:
	s_or_b64 exec, exec, s[6:7]
	s_movk_i32 s4, 0x7f
	v_cmp_gt_i16_sdwa s[6:7], v3, s4 src0_sel:BYTE_3 src1_sel:DWORD
	s_mov_b64 s[4:5], 0
                                        ; implicit-def: $sgpr10
	s_and_saveexec_b64 s[8:9], s[6:7]
	s_xor_b64 s[6:7], exec, s[8:9]
	s_cbranch_execnz .LBB3_3517
; %bb.1469:
	s_or_saveexec_b64 s[6:7], s[6:7]
	v_mov_b32_e32 v6, s10
	s_xor_b64 exec, exec, s[6:7]
	s_cbranch_execnz .LBB3_3520
.LBB3_1470:
	s_or_b64 exec, exec, s[6:7]
	s_and_saveexec_b64 s[6:7], s[4:5]
	s_cbranch_execz .LBB3_1472
.LBB3_1471:
	v_bfe_u32 v6, v3, 24, 3
	v_ffbh_u32_e32 v14, v6
	v_min_u32_e32 v14, 32, v14
	v_lshrrev_b32_e32 v12, 27, v3
	v_subrev_u32_e32 v15, 28, v14
	v_and_b32_e32 v7, 0x80000000, v3
	v_and_b32_e32 v12, 15, v12
	v_bfe_u32 v13, v3, 27, 4
	v_lshlrev_b32_sdwa v3, v15, v3 dst_sel:DWORD dst_unused:UNUSED_PAD src0_sel:DWORD src1_sel:BYTE_3
	v_sub_u32_e32 v14, 29, v14
	v_and_b32_e32 v3, 7, v3
	v_cmp_eq_u16_e32 vcc, 0, v12
	v_cndmask_b32_e32 v3, v6, v3, vcc
	v_cndmask_b32_e32 v6, v13, v14, vcc
	v_mov_b32_e32 v12, 0x3b800000
	v_lshlrev_b32_e32 v3, 20, v3
	v_lshl_add_u32 v6, v6, 23, v12
	v_or3_b32 v6, v7, v6, v3
.LBB3_1472:
	s_or_b64 exec, exec, s[6:7]
	s_nop 0
	v_mfma_f32_16x16x4f32 a[0:3], v2, v6, a[0:3]
	s_movk_i32 s4, 0x7f
	v_cmp_gt_i16_sdwa s[6:7], v8, s4 src0_sel:BYTE_0 src1_sel:DWORD
	s_mov_b64 s[4:5], 0
                                        ; implicit-def: $sgpr10
	s_and_saveexec_b64 s[8:9], s[6:7]
	s_xor_b64 s[6:7], exec, s[8:9]
	s_cbranch_execnz .LBB3_3521
; %bb.1473:
	s_or_saveexec_b64 s[6:7], s[6:7]
	v_mov_b32_e32 v2, s10
	s_xor_b64 exec, exec, s[6:7]
	s_cbranch_execnz .LBB3_3524
.LBB3_1474:
	s_or_b64 exec, exec, s[6:7]
	s_and_saveexec_b64 s[6:7], s[4:5]
	s_cbranch_execz .LBB3_1476
.LBB3_1475:
	v_and_b32_e32 v2, 7, v8
	v_ffbh_u32_e32 v6, v2
	v_min_u32_e32 v6, 32, v6
	v_lshrrev_b16_e32 v3, 3, v8
	v_subrev_u32_e32 v7, 28, v6
	v_and_b32_e32 v3, 15, v3
	v_lshlrev_b32_e32 v7, v7, v8
	v_sub_u32_e32 v6, 29, v6
	v_and_b32_e32 v7, 7, v7
	v_cmp_eq_u16_e32 vcc, 0, v3
	v_cndmask_b32_e32 v2, v2, v7, vcc
	v_cndmask_b32_e32 v3, v3, v6, vcc
	v_lshlrev_b32_e32 v6, 24, v8
	v_mov_b32_e32 v7, 0x3b800000
	v_lshlrev_b32_e32 v2, 20, v2
	v_and_b32_e32 v6, 0x80000000, v6
	v_lshl_add_u32 v3, v3, 23, v7
	v_or3_b32 v2, v6, v3, v2
.LBB3_1476:
	s_or_b64 exec, exec, s[6:7]
	s_movk_i32 s4, 0x7f
	v_cmp_gt_i16_sdwa s[6:7], v4, s4 src0_sel:BYTE_0 src1_sel:DWORD
	s_mov_b64 s[4:5], 0
                                        ; implicit-def: $sgpr10
	s_and_saveexec_b64 s[8:9], s[6:7]
	s_xor_b64 s[6:7], exec, s[8:9]
	s_cbranch_execnz .LBB3_3525
; %bb.1477:
	s_or_saveexec_b64 s[6:7], s[6:7]
	v_mov_b32_e32 v3, s10
	s_xor_b64 exec, exec, s[6:7]
	s_cbranch_execnz .LBB3_3528
.LBB3_1478:
	s_or_b64 exec, exec, s[6:7]
	s_and_saveexec_b64 s[6:7], s[4:5]
	s_cbranch_execz .LBB3_1480
.LBB3_1479:
	v_and_b32_e32 v3, 7, v4
	v_ffbh_u32_e32 v7, v3
	v_min_u32_e32 v7, 32, v7
	v_lshrrev_b16_e32 v6, 3, v4
	v_subrev_u32_e32 v12, 28, v7
	v_and_b32_e32 v6, 15, v6
	v_lshlrev_b32_e32 v12, v12, v4
	v_sub_u32_e32 v7, 29, v7
	v_and_b32_e32 v12, 7, v12
	v_cmp_eq_u16_e32 vcc, 0, v6
	v_cndmask_b32_e32 v3, v3, v12, vcc
	v_cndmask_b32_e32 v6, v6, v7, vcc
	v_lshlrev_b32_e32 v7, 24, v4
	v_mov_b32_e32 v12, 0x3b800000
	v_lshlrev_b32_e32 v3, 20, v3
	v_and_b32_e32 v7, 0x80000000, v7
	v_lshl_add_u32 v6, v6, 23, v12
	v_or3_b32 v3, v7, v6, v3
.LBB3_1480:
	s_or_b64 exec, exec, s[6:7]
	s_nop 0
	v_mfma_f32_16x16x4f32 a[0:3], v2, v3, a[0:3]
	v_lshrrev_b32_e32 v3, 8, v8
	s_movk_i32 s4, 0x7f
	v_cmp_gt_i16_sdwa s[6:7], v3, s4 src0_sel:BYTE_0 src1_sel:DWORD
	s_mov_b64 s[4:5], 0
                                        ; implicit-def: $sgpr10
	s_and_saveexec_b64 s[8:9], s[6:7]
	s_xor_b64 s[6:7], exec, s[8:9]
	s_cbranch_execnz .LBB3_3529
; %bb.1481:
	s_or_saveexec_b64 s[6:7], s[6:7]
	v_mov_b32_e32 v2, s10
	s_xor_b64 exec, exec, s[6:7]
	s_cbranch_execnz .LBB3_3532
.LBB3_1482:
	s_or_b64 exec, exec, s[6:7]
	s_and_saveexec_b64 s[6:7], s[4:5]
	s_cbranch_execz .LBB3_1484
.LBB3_1483:
	v_bfe_u32 v2, v8, 8, 3
	v_ffbh_u32_e32 v7, v2
	v_min_u32_e32 v7, 32, v7
	v_lshrrev_b16_e32 v6, 3, v3
	v_subrev_u32_e32 v12, 28, v7
	v_and_b32_e32 v6, 15, v6
	v_lshlrev_b32_e32 v3, v12, v3
	v_sub_u32_e32 v7, 29, v7
	v_and_b32_e32 v3, 7, v3
	v_cmp_eq_u16_e32 vcc, 0, v6
	v_cndmask_b32_e32 v2, v2, v3, vcc
	v_cndmask_b32_e32 v3, v6, v7, vcc
	v_lshlrev_b32_e32 v6, 16, v8
	v_mov_b32_e32 v7, 0x3b800000
	v_lshlrev_b32_e32 v2, 20, v2
	v_and_b32_e32 v6, 0x80000000, v6
	v_lshl_add_u32 v3, v3, 23, v7
	v_or3_b32 v2, v6, v3, v2
.LBB3_1484:
	s_or_b64 exec, exec, s[6:7]
	v_lshrrev_b32_e32 v3, 8, v4
	s_movk_i32 s4, 0x7f
	v_cmp_gt_i16_sdwa s[6:7], v3, s4 src0_sel:BYTE_0 src1_sel:DWORD
	s_mov_b64 s[4:5], 0
                                        ; implicit-def: $sgpr10
	s_and_saveexec_b64 s[8:9], s[6:7]
	s_xor_b64 s[6:7], exec, s[8:9]
	s_cbranch_execnz .LBB3_3533
; %bb.1485:
	s_or_saveexec_b64 s[6:7], s[6:7]
	v_mov_b32_e32 v6, s10
	s_xor_b64 exec, exec, s[6:7]
	s_cbranch_execnz .LBB3_3536
.LBB3_1486:
	s_or_b64 exec, exec, s[6:7]
	s_and_saveexec_b64 s[6:7], s[4:5]
	s_cbranch_execz .LBB3_1488
.LBB3_1487:
	v_bfe_u32 v6, v4, 8, 3
	v_ffbh_u32_e32 v12, v6
	v_min_u32_e32 v12, 32, v12
	v_lshrrev_b16_e32 v7, 3, v3
	v_subrev_u32_e32 v13, 28, v12
	v_and_b32_e32 v7, 15, v7
	v_lshlrev_b32_e32 v3, v13, v3
	v_sub_u32_e32 v12, 29, v12
	v_and_b32_e32 v3, 7, v3
	v_cmp_eq_u16_e32 vcc, 0, v7
	v_cndmask_b32_e32 v3, v6, v3, vcc
	v_cndmask_b32_e32 v6, v7, v12, vcc
	v_lshlrev_b32_e32 v7, 16, v4
	v_mov_b32_e32 v12, 0x3b800000
	v_lshlrev_b32_e32 v3, 20, v3
	v_and_b32_e32 v7, 0x80000000, v7
	v_lshl_add_u32 v6, v6, 23, v12
	v_or3_b32 v6, v7, v6, v3
.LBB3_1488:
	s_or_b64 exec, exec, s[6:7]
	s_nop 0
	v_mfma_f32_16x16x4f32 a[0:3], v2, v6, a[0:3]
	s_movk_i32 s4, 0xff
	v_and_b32_sdwa v3, v8, s4 dst_sel:DWORD dst_unused:UNUSED_PAD src0_sel:WORD_1 src1_sel:DWORD
	s_movk_i32 s4, 0x7f
	v_cmp_lt_i16_e32 vcc, s4, v3
	s_mov_b64 s[4:5], 0
                                        ; implicit-def: $sgpr10
	s_and_saveexec_b64 s[6:7], vcc
	s_xor_b64 s[6:7], exec, s[6:7]
	s_cbranch_execnz .LBB3_3537
; %bb.1489:
	s_or_saveexec_b64 s[6:7], s[6:7]
	v_mov_b32_e32 v2, s10
	s_xor_b64 exec, exec, s[6:7]
	s_cbranch_execnz .LBB3_3540
.LBB3_1490:
	s_or_b64 exec, exec, s[6:7]
	s_and_saveexec_b64 s[6:7], s[4:5]
	s_cbranch_execz .LBB3_1492
.LBB3_1491:
	v_bfe_u32 v2, v8, 16, 3
	v_ffbh_u32_e32 v7, v2
	v_min_u32_e32 v7, 32, v7
	v_lshrrev_b32_e32 v3, 19, v8
	v_subrev_u32_e32 v12, 28, v7
	v_and_b32_e32 v3, 15, v3
	v_lshlrev_b32_sdwa v12, v12, v8 dst_sel:DWORD dst_unused:UNUSED_PAD src0_sel:DWORD src1_sel:WORD_1
	v_bfe_u32 v6, v8, 19, 4
	v_sub_u32_e32 v7, 29, v7
	v_and_b32_e32 v12, 7, v12
	v_cmp_eq_u16_e32 vcc, 0, v3
	v_cndmask_b32_e32 v2, v2, v12, vcc
	v_cndmask_b32_e32 v3, v6, v7, vcc
	v_lshlrev_b32_e32 v6, 8, v8
	v_mov_b32_e32 v7, 0x3b800000
	v_lshlrev_b32_e32 v2, 20, v2
	v_and_b32_e32 v6, 0x80000000, v6
	v_lshl_add_u32 v3, v3, 23, v7
	v_or3_b32 v2, v6, v3, v2
.LBB3_1492:
	s_or_b64 exec, exec, s[6:7]
	s_movk_i32 s4, 0xff
	v_and_b32_sdwa v3, v4, s4 dst_sel:DWORD dst_unused:UNUSED_PAD src0_sel:WORD_1 src1_sel:DWORD
	s_movk_i32 s4, 0x7f
	v_cmp_lt_i16_e32 vcc, s4, v3
	s_mov_b64 s[4:5], 0
                                        ; implicit-def: $sgpr10
	s_and_saveexec_b64 s[6:7], vcc
	s_xor_b64 s[6:7], exec, s[6:7]
	s_cbranch_execnz .LBB3_3541
; %bb.1493:
	s_or_saveexec_b64 s[6:7], s[6:7]
	v_mov_b32_e32 v6, s10
	s_xor_b64 exec, exec, s[6:7]
	s_cbranch_execnz .LBB3_3544
.LBB3_1494:
	s_or_b64 exec, exec, s[6:7]
	s_and_saveexec_b64 s[6:7], s[4:5]
	s_cbranch_execz .LBB3_1496
.LBB3_1495:
	v_bfe_u32 v3, v4, 16, 3
	v_ffbh_u32_e32 v12, v3
	v_min_u32_e32 v12, 32, v12
	v_lshrrev_b32_e32 v6, 19, v4
	v_subrev_u32_e32 v13, 28, v12
	v_and_b32_e32 v6, 15, v6
	v_lshlrev_b32_sdwa v13, v13, v4 dst_sel:DWORD dst_unused:UNUSED_PAD src0_sel:DWORD src1_sel:WORD_1
	v_bfe_u32 v7, v4, 19, 4
	v_sub_u32_e32 v12, 29, v12
	v_and_b32_e32 v13, 7, v13
	v_cmp_eq_u16_e32 vcc, 0, v6
	v_cndmask_b32_e32 v3, v3, v13, vcc
	v_cndmask_b32_e32 v6, v7, v12, vcc
	v_lshlrev_b32_e32 v7, 8, v4
	v_mov_b32_e32 v12, 0x3b800000
	v_lshlrev_b32_e32 v3, 20, v3
	v_and_b32_e32 v7, 0x80000000, v7
	v_lshl_add_u32 v6, v6, 23, v12
	v_or3_b32 v6, v7, v6, v3
.LBB3_1496:
	s_or_b64 exec, exec, s[6:7]
	s_nop 0
	v_mfma_f32_16x16x4f32 a[0:3], v2, v6, a[0:3]
	s_movk_i32 s4, 0x7f
	v_cmp_gt_i16_sdwa s[6:7], v8, s4 src0_sel:BYTE_3 src1_sel:DWORD
	s_mov_b64 s[4:5], 0
                                        ; implicit-def: $sgpr10
	s_and_saveexec_b64 s[8:9], s[6:7]
	s_xor_b64 s[6:7], exec, s[8:9]
	s_cbranch_execnz .LBB3_3545
; %bb.1497:
	s_or_saveexec_b64 s[6:7], s[6:7]
	v_mov_b32_e32 v2, s10
	s_xor_b64 exec, exec, s[6:7]
	s_cbranch_execnz .LBB3_3548
.LBB3_1498:
	s_or_b64 exec, exec, s[6:7]
	s_and_saveexec_b64 s[6:7], s[4:5]
	s_cbranch_execz .LBB3_1500
.LBB3_1499:
	v_bfe_u32 v2, v8, 24, 3
	v_ffbh_u32_e32 v12, v2
	v_min_u32_e32 v12, 32, v12
	v_lshrrev_b32_e32 v6, 27, v8
	v_subrev_u32_e32 v13, 28, v12
	v_and_b32_e32 v3, 0x80000000, v8
	v_and_b32_e32 v6, 15, v6
	v_bfe_u32 v7, v8, 27, 4
	v_lshlrev_b32_sdwa v8, v13, v8 dst_sel:DWORD dst_unused:UNUSED_PAD src0_sel:DWORD src1_sel:BYTE_3
	v_sub_u32_e32 v12, 29, v12
	v_and_b32_e32 v8, 7, v8
	v_cmp_eq_u16_e32 vcc, 0, v6
	v_cndmask_b32_e32 v2, v2, v8, vcc
	v_cndmask_b32_e32 v6, v7, v12, vcc
	v_mov_b32_e32 v7, 0x3b800000
	v_lshlrev_b32_e32 v2, 20, v2
	v_lshl_add_u32 v6, v6, 23, v7
	v_or3_b32 v2, v3, v6, v2
.LBB3_1500:
	s_or_b64 exec, exec, s[6:7]
	s_movk_i32 s4, 0x7f
	v_cmp_gt_i16_sdwa s[6:7], v4, s4 src0_sel:BYTE_3 src1_sel:DWORD
	s_mov_b64 s[4:5], 0
                                        ; implicit-def: $sgpr10
	s_and_saveexec_b64 s[8:9], s[6:7]
	s_xor_b64 s[6:7], exec, s[8:9]
	s_cbranch_execnz .LBB3_3549
; %bb.1501:
	s_or_saveexec_b64 s[6:7], s[6:7]
	v_mov_b32_e32 v3, s10
	s_xor_b64 exec, exec, s[6:7]
	s_cbranch_execnz .LBB3_3552
.LBB3_1502:
	s_or_b64 exec, exec, s[6:7]
	s_and_saveexec_b64 s[6:7], s[4:5]
	s_cbranch_execz .LBB3_1504
.LBB3_1503:
	v_bfe_u32 v3, v4, 24, 3
	v_ffbh_u32_e32 v12, v3
	v_min_u32_e32 v12, 32, v12
	v_lshrrev_b32_e32 v7, 27, v4
	v_subrev_u32_e32 v13, 28, v12
	v_and_b32_e32 v6, 0x80000000, v4
	v_and_b32_e32 v7, 15, v7
	v_bfe_u32 v8, v4, 27, 4
	v_lshlrev_b32_sdwa v4, v13, v4 dst_sel:DWORD dst_unused:UNUSED_PAD src0_sel:DWORD src1_sel:BYTE_3
	v_sub_u32_e32 v12, 29, v12
	v_and_b32_e32 v4, 7, v4
	v_cmp_eq_u16_e32 vcc, 0, v7
	v_cndmask_b32_e32 v3, v3, v4, vcc
	v_cndmask_b32_e32 v4, v8, v12, vcc
	v_mov_b32_e32 v7, 0x3b800000
	v_lshlrev_b32_e32 v3, 20, v3
	v_lshl_add_u32 v4, v4, 23, v7
	v_or3_b32 v3, v6, v4, v3
.LBB3_1504:
	s_or_b64 exec, exec, s[6:7]
	s_nop 0
	v_mfma_f32_16x16x4f32 a[0:3], v2, v3, a[0:3]
	s_movk_i32 s4, 0x7f
	v_cmp_gt_i16_sdwa s[6:7], v9, s4 src0_sel:BYTE_0 src1_sel:DWORD
	s_mov_b64 s[4:5], 0
                                        ; implicit-def: $sgpr10
	s_and_saveexec_b64 s[8:9], s[6:7]
	s_xor_b64 s[6:7], exec, s[8:9]
	s_cbranch_execnz .LBB3_3553
; %bb.1505:
	s_or_saveexec_b64 s[6:7], s[6:7]
	v_mov_b32_e32 v2, s10
	s_xor_b64 exec, exec, s[6:7]
	s_cbranch_execnz .LBB3_3556
.LBB3_1506:
	s_or_b64 exec, exec, s[6:7]
	s_and_saveexec_b64 s[6:7], s[4:5]
	s_cbranch_execz .LBB3_1508
.LBB3_1507:
	v_mov_b32_e32 v2, 8
	v_and_b32_e32 v3, 7, v9
	v_lshrrev_b32_sdwa v2, v2, v9 dst_sel:BYTE_1 dst_unused:UNUSED_PAD src0_sel:DWORD src1_sel:DWORD
	v_ffbh_u32_e32 v4, v3
	v_or_b32_sdwa v2, v9, v2 dst_sel:DWORD dst_unused:UNUSED_PAD src0_sel:BYTE_0 src1_sel:DWORD
	v_min_u32_e32 v4, 32, v4
	v_lshrrev_b16_e32 v2, 3, v2
	v_subrev_u32_e32 v6, 28, v4
	v_and_b32_e32 v2, 15, v2
	v_lshlrev_b32_e32 v6, v6, v9
	v_sub_u32_e32 v4, 29, v4
	v_and_b32_e32 v6, 7, v6
	v_cmp_eq_u16_e32 vcc, 0, v2
	v_cndmask_b32_e32 v3, v3, v6, vcc
	v_cndmask_b32_e32 v2, v2, v4, vcc
	v_lshlrev_b32_e32 v4, 24, v9
	v_mov_b32_e32 v6, 0x3b800000
	v_lshlrev_b32_e32 v3, 20, v3
	v_and_b32_e32 v4, 0x80000000, v4
	v_lshl_add_u32 v2, v2, 23, v6
	v_or3_b32 v2, v4, v2, v3
.LBB3_1508:
	s_or_b64 exec, exec, s[6:7]
	s_movk_i32 s4, 0x7f
	v_cmp_gt_i16_sdwa s[6:7], v5, s4 src0_sel:BYTE_0 src1_sel:DWORD
	s_mov_b64 s[4:5], 0
                                        ; implicit-def: $sgpr10
	s_and_saveexec_b64 s[8:9], s[6:7]
	s_xor_b64 s[6:7], exec, s[8:9]
	s_cbranch_execnz .LBB3_3557
; %bb.1509:
	s_or_saveexec_b64 s[6:7], s[6:7]
	v_mov_b32_e32 v3, s10
	s_xor_b64 exec, exec, s[6:7]
	s_cbranch_execnz .LBB3_3560
.LBB3_1510:
	s_or_b64 exec, exec, s[6:7]
	s_and_saveexec_b64 s[6:7], s[4:5]
	s_cbranch_execz .LBB3_1512
.LBB3_1511:
	v_mov_b32_e32 v3, 8
	v_and_b32_e32 v4, 7, v5
	v_lshrrev_b32_sdwa v3, v3, v5 dst_sel:BYTE_1 dst_unused:UNUSED_PAD src0_sel:DWORD src1_sel:DWORD
	v_ffbh_u32_e32 v6, v4
	v_or_b32_sdwa v3, v5, v3 dst_sel:DWORD dst_unused:UNUSED_PAD src0_sel:BYTE_0 src1_sel:DWORD
	v_min_u32_e32 v6, 32, v6
	v_lshrrev_b16_e32 v3, 3, v3
	v_subrev_u32_e32 v7, 28, v6
	v_and_b32_e32 v3, 15, v3
	v_lshlrev_b32_e32 v7, v7, v5
	v_sub_u32_e32 v6, 29, v6
	v_and_b32_e32 v7, 7, v7
	v_cmp_eq_u16_e32 vcc, 0, v3
	v_cndmask_b32_e32 v4, v4, v7, vcc
	v_cndmask_b32_e32 v3, v3, v6, vcc
	v_lshlrev_b32_e32 v6, 24, v5
	v_mov_b32_e32 v7, 0x3b800000
	v_lshlrev_b32_e32 v4, 20, v4
	v_and_b32_e32 v6, 0x80000000, v6
	v_lshl_add_u32 v3, v3, 23, v7
	v_or3_b32 v3, v6, v3, v4
.LBB3_1512:
	s_or_b64 exec, exec, s[6:7]
	s_nop 0
	v_mfma_f32_16x16x4f32 a[0:3], v2, v3, a[0:3]
	v_lshrrev_b32_e32 v3, 8, v9
	s_movk_i32 s4, 0x7f
	v_cmp_gt_i16_sdwa s[6:7], v3, s4 src0_sel:BYTE_0 src1_sel:DWORD
	s_mov_b64 s[4:5], 0
                                        ; implicit-def: $sgpr10
	s_and_saveexec_b64 s[8:9], s[6:7]
	s_xor_b64 s[6:7], exec, s[8:9]
	s_cbranch_execnz .LBB3_3561
; %bb.1513:
	s_or_saveexec_b64 s[6:7], s[6:7]
	v_mov_b32_e32 v2, s10
	s_xor_b64 exec, exec, s[6:7]
	s_cbranch_execnz .LBB3_3564
.LBB3_1514:
	s_or_b64 exec, exec, s[6:7]
	s_and_saveexec_b64 s[6:7], s[4:5]
	s_cbranch_execz .LBB3_1516
.LBB3_1515:
	v_bfe_u32 v2, v9, 8, 3
	v_ffbh_u32_e32 v6, v2
	v_min_u32_e32 v6, 32, v6
	v_lshrrev_b16_e32 v4, 3, v3
	v_subrev_u32_e32 v7, 28, v6
	v_and_b32_e32 v4, 15, v4
	v_lshlrev_b32_e32 v3, v7, v3
	v_sub_u32_e32 v6, 29, v6
	v_and_b32_e32 v3, 7, v3
	v_cmp_eq_u16_e32 vcc, 0, v4
	v_cndmask_b32_e32 v2, v2, v3, vcc
	v_cndmask_b32_e32 v3, v4, v6, vcc
	v_lshlrev_b32_e32 v4, 16, v9
	v_mov_b32_e32 v6, 0x3b800000
	v_lshlrev_b32_e32 v2, 20, v2
	v_and_b32_e32 v4, 0x80000000, v4
	v_lshl_add_u32 v3, v3, 23, v6
	v_or3_b32 v2, v4, v3, v2
.LBB3_1516:
	s_or_b64 exec, exec, s[6:7]
	v_lshrrev_b32_e32 v3, 8, v5
	s_movk_i32 s4, 0x7f
	v_cmp_gt_i16_sdwa s[6:7], v3, s4 src0_sel:BYTE_0 src1_sel:DWORD
	s_mov_b64 s[4:5], 0
                                        ; implicit-def: $sgpr10
	s_and_saveexec_b64 s[8:9], s[6:7]
	s_xor_b64 s[6:7], exec, s[8:9]
	s_cbranch_execnz .LBB3_3565
; %bb.1517:
	s_or_saveexec_b64 s[6:7], s[6:7]
	v_mov_b32_e32 v4, s10
	s_xor_b64 exec, exec, s[6:7]
	s_cbranch_execnz .LBB3_3568
.LBB3_1518:
	s_or_b64 exec, exec, s[6:7]
	s_and_saveexec_b64 s[6:7], s[4:5]
	s_cbranch_execz .LBB3_1520
.LBB3_1519:
	v_bfe_u32 v4, v5, 8, 3
	v_ffbh_u32_e32 v7, v4
	v_min_u32_e32 v7, 32, v7
	v_lshrrev_b16_e32 v6, 3, v3
	v_subrev_u32_e32 v8, 28, v7
	v_and_b32_e32 v6, 15, v6
	v_lshlrev_b32_e32 v3, v8, v3
	v_sub_u32_e32 v7, 29, v7
	v_and_b32_e32 v3, 7, v3
	v_cmp_eq_u16_e32 vcc, 0, v6
	v_cndmask_b32_e32 v3, v4, v3, vcc
	v_cndmask_b32_e32 v4, v6, v7, vcc
	v_lshlrev_b32_e32 v6, 16, v5
	v_mov_b32_e32 v7, 0x3b800000
	v_lshlrev_b32_e32 v3, 20, v3
	v_and_b32_e32 v6, 0x80000000, v6
	v_lshl_add_u32 v4, v4, 23, v7
	v_or3_b32 v4, v6, v4, v3
.LBB3_1520:
	s_or_b64 exec, exec, s[6:7]
	s_nop 0
	v_mfma_f32_16x16x4f32 a[0:3], v2, v4, a[0:3]
	s_movk_i32 s4, 0xff
	v_and_b32_sdwa v3, v9, s4 dst_sel:DWORD dst_unused:UNUSED_PAD src0_sel:WORD_1 src1_sel:DWORD
	s_movk_i32 s4, 0x7f
	v_cmp_lt_i16_e32 vcc, s4, v3
	s_mov_b64 s[4:5], 0
                                        ; implicit-def: $sgpr10
	s_and_saveexec_b64 s[6:7], vcc
	s_xor_b64 s[6:7], exec, s[6:7]
	s_cbranch_execnz .LBB3_3569
; %bb.1521:
	s_or_saveexec_b64 s[6:7], s[6:7]
	v_mov_b32_e32 v2, s10
	s_xor_b64 exec, exec, s[6:7]
	s_cbranch_execnz .LBB3_3572
.LBB3_1522:
	s_or_b64 exec, exec, s[6:7]
	s_and_saveexec_b64 s[6:7], s[4:5]
	s_cbranch_execz .LBB3_1524
.LBB3_1523:
	v_bfe_u32 v2, v9, 16, 3
	v_ffbh_u32_e32 v6, v2
	v_min_u32_e32 v6, 32, v6
	v_lshrrev_b32_e32 v3, 19, v9
	v_subrev_u32_e32 v7, 28, v6
	v_and_b32_e32 v3, 15, v3
	v_lshlrev_b32_sdwa v7, v7, v9 dst_sel:DWORD dst_unused:UNUSED_PAD src0_sel:DWORD src1_sel:WORD_1
	v_bfe_u32 v4, v9, 19, 4
	v_sub_u32_e32 v6, 29, v6
	v_and_b32_e32 v7, 7, v7
	v_cmp_eq_u16_e32 vcc, 0, v3
	v_cndmask_b32_e32 v2, v2, v7, vcc
	v_cndmask_b32_e32 v3, v4, v6, vcc
	v_lshlrev_b32_e32 v4, 8, v9
	v_mov_b32_e32 v6, 0x3b800000
	v_lshlrev_b32_e32 v2, 20, v2
	v_and_b32_e32 v4, 0x80000000, v4
	v_lshl_add_u32 v3, v3, 23, v6
	v_or3_b32 v2, v4, v3, v2
.LBB3_1524:
	s_or_b64 exec, exec, s[6:7]
	s_movk_i32 s4, 0xff
	v_and_b32_sdwa v3, v5, s4 dst_sel:DWORD dst_unused:UNUSED_PAD src0_sel:WORD_1 src1_sel:DWORD
	s_movk_i32 s4, 0x7f
	v_cmp_lt_i16_e32 vcc, s4, v3
	s_mov_b64 s[4:5], 0
                                        ; implicit-def: $sgpr10
	s_and_saveexec_b64 s[6:7], vcc
	s_xor_b64 s[6:7], exec, s[6:7]
	s_cbranch_execnz .LBB3_3573
; %bb.1525:
	s_or_saveexec_b64 s[6:7], s[6:7]
	v_mov_b32_e32 v4, s10
	s_xor_b64 exec, exec, s[6:7]
	s_cbranch_execnz .LBB3_3576
.LBB3_1526:
	s_or_b64 exec, exec, s[6:7]
	s_and_saveexec_b64 s[6:7], s[4:5]
	s_cbranch_execz .LBB3_1528
.LBB3_1527:
	v_bfe_u32 v3, v5, 16, 3
	v_ffbh_u32_e32 v7, v3
	v_min_u32_e32 v7, 32, v7
	v_lshrrev_b32_e32 v4, 19, v5
	v_subrev_u32_e32 v8, 28, v7
	v_and_b32_e32 v4, 15, v4
	v_lshlrev_b32_sdwa v8, v8, v5 dst_sel:DWORD dst_unused:UNUSED_PAD src0_sel:DWORD src1_sel:WORD_1
	v_bfe_u32 v6, v5, 19, 4
	v_sub_u32_e32 v7, 29, v7
	v_and_b32_e32 v8, 7, v8
	v_cmp_eq_u16_e32 vcc, 0, v4
	v_cndmask_b32_e32 v3, v3, v8, vcc
	v_cndmask_b32_e32 v4, v6, v7, vcc
	v_lshlrev_b32_e32 v6, 8, v5
	v_mov_b32_e32 v7, 0x3b800000
	v_lshlrev_b32_e32 v3, 20, v3
	v_and_b32_e32 v6, 0x80000000, v6
	v_lshl_add_u32 v4, v4, 23, v7
	v_or3_b32 v4, v6, v4, v3
.LBB3_1528:
	s_or_b64 exec, exec, s[6:7]
	s_nop 0
	v_mfma_f32_16x16x4f32 a[0:3], v2, v4, a[0:3]
	s_movk_i32 s4, 0x7f
	v_cmp_gt_i16_sdwa s[6:7], v9, s4 src0_sel:BYTE_3 src1_sel:DWORD
	s_mov_b64 s[4:5], 0
                                        ; implicit-def: $sgpr10
	s_and_saveexec_b64 s[8:9], s[6:7]
	s_xor_b64 s[6:7], exec, s[8:9]
	s_cbranch_execnz .LBB3_3577
; %bb.1529:
	s_or_saveexec_b64 s[6:7], s[6:7]
	v_mov_b32_e32 v2, s10
	s_xor_b64 exec, exec, s[6:7]
	s_cbranch_execnz .LBB3_3580
.LBB3_1530:
	s_or_b64 exec, exec, s[6:7]
	s_and_saveexec_b64 s[6:7], s[4:5]
	s_cbranch_execz .LBB3_1532
.LBB3_1531:
	v_bfe_u32 v2, v9, 24, 3
	v_ffbh_u32_e32 v7, v2
	v_min_u32_e32 v7, 32, v7
	v_lshrrev_b32_e32 v4, 27, v9
	v_subrev_u32_e32 v8, 28, v7
	v_and_b32_e32 v4, 15, v4
	v_lshlrev_b32_sdwa v8, v8, v9 dst_sel:DWORD dst_unused:UNUSED_PAD src0_sel:DWORD src1_sel:BYTE_3
	v_bfe_u32 v6, v9, 27, 4
	v_sub_u32_e32 v7, 29, v7
	v_and_b32_e32 v8, 7, v8
	v_cmp_eq_u16_e32 vcc, 0, v4
	v_cndmask_b32_e32 v2, v2, v8, vcc
	v_cndmask_b32_e32 v4, v6, v7, vcc
	v_mov_b32_e32 v6, 0x3b800000
	v_and_b32_e32 v3, 0x80000000, v9
	v_lshlrev_b32_e32 v2, 20, v2
	v_lshl_add_u32 v4, v4, 23, v6
	v_or3_b32 v2, v3, v4, v2
.LBB3_1532:
	s_or_b64 exec, exec, s[6:7]
	s_movk_i32 s4, 0x7f
	v_cmp_gt_i16_sdwa s[6:7], v5, s4 src0_sel:BYTE_3 src1_sel:DWORD
	s_mov_b64 s[4:5], 0
                                        ; implicit-def: $sgpr10
	s_and_saveexec_b64 s[8:9], s[6:7]
	s_xor_b64 s[6:7], exec, s[8:9]
	s_cbranch_execnz .LBB3_3581
; %bb.1533:
	s_or_saveexec_b64 s[6:7], s[6:7]
	v_mov_b32_e32 v3, s10
	s_xor_b64 exec, exec, s[6:7]
	s_cbranch_execnz .LBB3_3584
.LBB3_1534:
	s_or_b64 exec, exec, s[6:7]
	s_and_saveexec_b64 s[6:7], s[4:5]
	s_cbranch_execz .LBB3_1536
.LBB3_1535:
	v_bfe_u32 v3, v5, 24, 3
	v_ffbh_u32_e32 v8, v3
	v_min_u32_e32 v8, 32, v8
	v_lshrrev_b32_e32 v6, 27, v5
	v_subrev_u32_e32 v9, 28, v8
	v_and_b32_e32 v4, 0x80000000, v5
	v_and_b32_e32 v6, 15, v6
	v_bfe_u32 v7, v5, 27, 4
	v_lshlrev_b32_sdwa v5, v9, v5 dst_sel:DWORD dst_unused:UNUSED_PAD src0_sel:DWORD src1_sel:BYTE_3
	v_sub_u32_e32 v8, 29, v8
	v_and_b32_e32 v5, 7, v5
	v_cmp_eq_u16_e32 vcc, 0, v6
	v_cndmask_b32_e32 v3, v3, v5, vcc
	v_cndmask_b32_e32 v5, v7, v8, vcc
	v_mov_b32_e32 v6, 0x3b800000
	v_lshlrev_b32_e32 v3, 20, v3
	v_lshl_add_u32 v5, v5, 23, v6
	v_or3_b32 v3, v4, v5, v3
.LBB3_1536:
	s_or_b64 exec, exec, s[6:7]
	s_nop 0
	v_mfma_f32_16x16x4f32 a[0:3], v2, v3, a[0:3]
	s_movk_i32 s4, 0x7f
                                        ; implicit-def: $sgpr10
	s_nop 7
	s_nop 1
	flat_store_dwordx4 v[10:11], a[0:3] offset:176
	flat_load_dwordx4 v[12:15], v[0:1] offset:8
	s_nop 0
	flat_load_dwordx2 v[10:11], v[0:1] offset:32
	s_waitcnt vmcnt(0) lgkmcnt(0)
	flat_load_dwordx4 v[6:9], v[12:13] offset:96
	flat_load_dwordx4 v[2:5], v[14:15]
	s_waitcnt vmcnt(0) lgkmcnt(0)
	v_cmp_gt_i16_sdwa s[6:7], v6, s4 src0_sel:BYTE_0 src1_sel:DWORD
	s_mov_b64 s[4:5], 0
	s_and_saveexec_b64 s[8:9], s[6:7]
	s_xor_b64 s[6:7], exec, s[8:9]
	s_cbranch_execnz .LBB3_3585
; %bb.1537:
	s_or_saveexec_b64 s[6:7], s[6:7]
	v_mov_b32_e32 v12, s10
	s_xor_b64 exec, exec, s[6:7]
	s_cbranch_execnz .LBB3_3588
.LBB3_1538:
	s_or_b64 exec, exec, s[6:7]
	s_and_saveexec_b64 s[6:7], s[4:5]
	s_cbranch_execz .LBB3_1540
.LBB3_1539:
	v_and_b32_e32 v12, 7, v6
	v_ffbh_u32_e32 v14, v12
	v_min_u32_e32 v14, 32, v14
	v_lshrrev_b16_e32 v13, 3, v6
	v_subrev_u32_e32 v15, 28, v14
	v_and_b32_e32 v13, 15, v13
	v_lshlrev_b32_e32 v15, v15, v6
	v_sub_u32_e32 v14, 29, v14
	v_and_b32_e32 v15, 7, v15
	v_cmp_eq_u16_e32 vcc, 0, v13
	v_cndmask_b32_e32 v12, v12, v15, vcc
	v_cndmask_b32_e32 v13, v13, v14, vcc
	v_lshlrev_b32_e32 v14, 24, v6
	v_mov_b32_e32 v15, 0x3b800000
	v_lshlrev_b32_e32 v12, 20, v12
	v_and_b32_e32 v14, 0x80000000, v14
	v_lshl_add_u32 v13, v13, 23, v15
	v_or3_b32 v12, v14, v13, v12
.LBB3_1540:
	s_or_b64 exec, exec, s[6:7]
	s_movk_i32 s4, 0x7f
	v_cmp_gt_i16_sdwa s[6:7], v2, s4 src0_sel:BYTE_0 src1_sel:DWORD
	s_mov_b64 s[4:5], 0
                                        ; implicit-def: $sgpr10
	s_and_saveexec_b64 s[8:9], s[6:7]
	s_xor_b64 s[6:7], exec, s[8:9]
	s_cbranch_execnz .LBB3_3589
; %bb.1541:
	s_or_saveexec_b64 s[6:7], s[6:7]
	v_mov_b32_e32 v13, s10
	s_xor_b64 exec, exec, s[6:7]
	s_cbranch_execnz .LBB3_3592
.LBB3_1542:
	s_or_b64 exec, exec, s[6:7]
	s_and_saveexec_b64 s[6:7], s[4:5]
	s_cbranch_execz .LBB3_1544
.LBB3_1543:
	v_and_b32_e32 v13, 7, v2
	v_ffbh_u32_e32 v15, v13
	v_min_u32_e32 v15, 32, v15
	v_lshrrev_b16_e32 v14, 3, v2
	v_subrev_u32_e32 v16, 28, v15
	v_and_b32_e32 v14, 15, v14
	v_lshlrev_b32_e32 v16, v16, v2
	v_sub_u32_e32 v15, 29, v15
	v_and_b32_e32 v16, 7, v16
	v_cmp_eq_u16_e32 vcc, 0, v14
	v_cndmask_b32_e32 v13, v13, v16, vcc
	v_cndmask_b32_e32 v14, v14, v15, vcc
	v_lshlrev_b32_e32 v15, 24, v2
	v_mov_b32_e32 v16, 0x3b800000
	v_lshlrev_b32_e32 v13, 20, v13
	v_and_b32_e32 v15, 0x80000000, v15
	v_lshl_add_u32 v14, v14, 23, v16
	v_or3_b32 v13, v15, v14, v13
.LBB3_1544:
	s_or_b64 exec, exec, s[6:7]
	flat_load_dwordx4 a[0:3], v[10:11] offset:192
	s_movk_i32 s4, 0x7f
                                        ; implicit-def: $sgpr10
	s_waitcnt vmcnt(0) lgkmcnt(0)
	v_mfma_f32_16x16x4f32 a[0:3], v12, v13, a[0:3]
	v_lshrrev_b32_e32 v13, 8, v6
	v_cmp_gt_i16_sdwa s[6:7], v13, s4 src0_sel:BYTE_0 src1_sel:DWORD
	s_mov_b64 s[4:5], 0
	s_and_saveexec_b64 s[8:9], s[6:7]
	s_xor_b64 s[6:7], exec, s[8:9]
	s_cbranch_execnz .LBB3_3593
; %bb.1545:
	s_or_saveexec_b64 s[6:7], s[6:7]
	v_mov_b32_e32 v12, s10
	s_xor_b64 exec, exec, s[6:7]
	s_cbranch_execnz .LBB3_3596
.LBB3_1546:
	s_or_b64 exec, exec, s[6:7]
	s_and_saveexec_b64 s[6:7], s[4:5]
	s_cbranch_execz .LBB3_1548
.LBB3_1547:
	v_bfe_u32 v12, v6, 8, 3
	v_ffbh_u32_e32 v15, v12
	v_min_u32_e32 v15, 32, v15
	v_lshrrev_b16_e32 v14, 3, v13
	v_subrev_u32_e32 v16, 28, v15
	v_and_b32_e32 v14, 15, v14
	v_lshlrev_b32_e32 v13, v16, v13
	v_sub_u32_e32 v15, 29, v15
	v_and_b32_e32 v13, 7, v13
	v_cmp_eq_u16_e32 vcc, 0, v14
	v_cndmask_b32_e32 v12, v12, v13, vcc
	v_cndmask_b32_e32 v13, v14, v15, vcc
	v_lshlrev_b32_e32 v14, 16, v6
	v_mov_b32_e32 v15, 0x3b800000
	v_lshlrev_b32_e32 v12, 20, v12
	v_and_b32_e32 v14, 0x80000000, v14
	v_lshl_add_u32 v13, v13, 23, v15
	v_or3_b32 v12, v14, v13, v12
.LBB3_1548:
	s_or_b64 exec, exec, s[6:7]
	v_lshrrev_b32_e32 v13, 8, v2
	s_movk_i32 s4, 0x7f
	v_cmp_gt_i16_sdwa s[6:7], v13, s4 src0_sel:BYTE_0 src1_sel:DWORD
	s_mov_b64 s[4:5], 0
                                        ; implicit-def: $sgpr10
	s_and_saveexec_b64 s[8:9], s[6:7]
	s_xor_b64 s[6:7], exec, s[8:9]
	s_cbranch_execnz .LBB3_3597
; %bb.1549:
	s_or_saveexec_b64 s[6:7], s[6:7]
	v_mov_b32_e32 v14, s10
	s_xor_b64 exec, exec, s[6:7]
	s_cbranch_execnz .LBB3_3600
.LBB3_1550:
	s_or_b64 exec, exec, s[6:7]
	s_and_saveexec_b64 s[6:7], s[4:5]
	s_cbranch_execz .LBB3_1552
.LBB3_1551:
	v_bfe_u32 v14, v2, 8, 3
	v_ffbh_u32_e32 v16, v14
	v_min_u32_e32 v16, 32, v16
	v_lshrrev_b16_e32 v15, 3, v13
	v_subrev_u32_e32 v17, 28, v16
	v_and_b32_e32 v15, 15, v15
	v_lshlrev_b32_e32 v13, v17, v13
	v_sub_u32_e32 v16, 29, v16
	v_and_b32_e32 v13, 7, v13
	v_cmp_eq_u16_e32 vcc, 0, v15
	v_cndmask_b32_e32 v13, v14, v13, vcc
	v_cndmask_b32_e32 v14, v15, v16, vcc
	v_lshlrev_b32_e32 v15, 16, v2
	v_mov_b32_e32 v16, 0x3b800000
	v_lshlrev_b32_e32 v13, 20, v13
	v_and_b32_e32 v15, 0x80000000, v15
	v_lshl_add_u32 v14, v14, 23, v16
	v_or3_b32 v14, v15, v14, v13
.LBB3_1552:
	s_or_b64 exec, exec, s[6:7]
	s_nop 0
	v_mfma_f32_16x16x4f32 a[0:3], v12, v14, a[0:3]
	s_movk_i32 s4, 0xff
	v_and_b32_sdwa v13, v6, s4 dst_sel:DWORD dst_unused:UNUSED_PAD src0_sel:WORD_1 src1_sel:DWORD
	s_movk_i32 s4, 0x7f
	v_cmp_lt_i16_e32 vcc, s4, v13
	s_mov_b64 s[4:5], 0
                                        ; implicit-def: $sgpr10
	s_and_saveexec_b64 s[6:7], vcc
	s_xor_b64 s[6:7], exec, s[6:7]
	s_cbranch_execnz .LBB3_3601
; %bb.1553:
	s_or_saveexec_b64 s[6:7], s[6:7]
	v_mov_b32_e32 v12, s10
	s_xor_b64 exec, exec, s[6:7]
	s_cbranch_execnz .LBB3_3604
.LBB3_1554:
	s_or_b64 exec, exec, s[6:7]
	s_and_saveexec_b64 s[6:7], s[4:5]
	s_cbranch_execz .LBB3_1556
.LBB3_1555:
	v_bfe_u32 v12, v6, 16, 3
	v_ffbh_u32_e32 v15, v12
	v_min_u32_e32 v15, 32, v15
	v_lshrrev_b32_e32 v13, 19, v6
	v_subrev_u32_e32 v16, 28, v15
	v_and_b32_e32 v13, 15, v13
	v_lshlrev_b32_sdwa v16, v16, v6 dst_sel:DWORD dst_unused:UNUSED_PAD src0_sel:DWORD src1_sel:WORD_1
	v_bfe_u32 v14, v6, 19, 4
	v_sub_u32_e32 v15, 29, v15
	v_and_b32_e32 v16, 7, v16
	v_cmp_eq_u16_e32 vcc, 0, v13
	v_cndmask_b32_e32 v12, v12, v16, vcc
	v_cndmask_b32_e32 v13, v14, v15, vcc
	v_lshlrev_b32_e32 v14, 8, v6
	v_mov_b32_e32 v15, 0x3b800000
	v_lshlrev_b32_e32 v12, 20, v12
	v_and_b32_e32 v14, 0x80000000, v14
	v_lshl_add_u32 v13, v13, 23, v15
	v_or3_b32 v12, v14, v13, v12
.LBB3_1556:
	s_or_b64 exec, exec, s[6:7]
	s_movk_i32 s4, 0xff
	v_and_b32_sdwa v13, v2, s4 dst_sel:DWORD dst_unused:UNUSED_PAD src0_sel:WORD_1 src1_sel:DWORD
	s_movk_i32 s4, 0x7f
	v_cmp_lt_i16_e32 vcc, s4, v13
	s_mov_b64 s[4:5], 0
                                        ; implicit-def: $sgpr10
	s_and_saveexec_b64 s[6:7], vcc
	s_xor_b64 s[6:7], exec, s[6:7]
	s_cbranch_execnz .LBB3_3605
; %bb.1557:
	s_or_saveexec_b64 s[6:7], s[6:7]
	v_mov_b32_e32 v14, s10
	s_xor_b64 exec, exec, s[6:7]
	s_cbranch_execnz .LBB3_3608
.LBB3_1558:
	s_or_b64 exec, exec, s[6:7]
	s_and_saveexec_b64 s[6:7], s[4:5]
	s_cbranch_execz .LBB3_1560
.LBB3_1559:
	v_bfe_u32 v13, v2, 16, 3
	v_ffbh_u32_e32 v16, v13
	v_min_u32_e32 v16, 32, v16
	v_lshrrev_b32_e32 v14, 19, v2
	v_subrev_u32_e32 v17, 28, v16
	v_and_b32_e32 v14, 15, v14
	v_lshlrev_b32_sdwa v17, v17, v2 dst_sel:DWORD dst_unused:UNUSED_PAD src0_sel:DWORD src1_sel:WORD_1
	v_bfe_u32 v15, v2, 19, 4
	v_sub_u32_e32 v16, 29, v16
	v_and_b32_e32 v17, 7, v17
	v_cmp_eq_u16_e32 vcc, 0, v14
	v_cndmask_b32_e32 v13, v13, v17, vcc
	v_cndmask_b32_e32 v14, v15, v16, vcc
	v_lshlrev_b32_e32 v15, 8, v2
	v_mov_b32_e32 v16, 0x3b800000
	v_lshlrev_b32_e32 v13, 20, v13
	v_and_b32_e32 v15, 0x80000000, v15
	v_lshl_add_u32 v14, v14, 23, v16
	v_or3_b32 v14, v15, v14, v13
.LBB3_1560:
	s_or_b64 exec, exec, s[6:7]
	s_nop 0
	v_mfma_f32_16x16x4f32 a[0:3], v12, v14, a[0:3]
	s_movk_i32 s4, 0x7f
	v_cmp_gt_i16_sdwa s[6:7], v6, s4 src0_sel:BYTE_3 src1_sel:DWORD
	s_mov_b64 s[4:5], 0
                                        ; implicit-def: $sgpr10
	s_and_saveexec_b64 s[8:9], s[6:7]
	s_xor_b64 s[6:7], exec, s[8:9]
	s_cbranch_execnz .LBB3_3609
; %bb.1561:
	s_or_saveexec_b64 s[6:7], s[6:7]
	v_mov_b32_e32 v12, s10
	s_xor_b64 exec, exec, s[6:7]
	s_cbranch_execnz .LBB3_3612
.LBB3_1562:
	s_or_b64 exec, exec, s[6:7]
	s_and_saveexec_b64 s[6:7], s[4:5]
	s_cbranch_execz .LBB3_1564
.LBB3_1563:
	v_bfe_u32 v12, v6, 24, 3
	v_ffbh_u32_e32 v16, v12
	v_min_u32_e32 v16, 32, v16
	v_lshrrev_b32_e32 v14, 27, v6
	v_subrev_u32_e32 v17, 28, v16
	v_and_b32_e32 v13, 0x80000000, v6
	v_and_b32_e32 v14, 15, v14
	v_bfe_u32 v15, v6, 27, 4
	v_lshlrev_b32_sdwa v6, v17, v6 dst_sel:DWORD dst_unused:UNUSED_PAD src0_sel:DWORD src1_sel:BYTE_3
	v_sub_u32_e32 v16, 29, v16
	v_and_b32_e32 v6, 7, v6
	v_cmp_eq_u16_e32 vcc, 0, v14
	v_cndmask_b32_e32 v6, v12, v6, vcc
	v_cndmask_b32_e32 v12, v15, v16, vcc
	v_mov_b32_e32 v14, 0x3b800000
	v_lshlrev_b32_e32 v6, 20, v6
	v_lshl_add_u32 v12, v12, 23, v14
	v_or3_b32 v12, v13, v12, v6
.LBB3_1564:
	s_or_b64 exec, exec, s[6:7]
	s_movk_i32 s4, 0x7f
	v_cmp_gt_i16_sdwa s[6:7], v2, s4 src0_sel:BYTE_3 src1_sel:DWORD
	s_mov_b64 s[4:5], 0
                                        ; implicit-def: $sgpr10
	s_and_saveexec_b64 s[8:9], s[6:7]
	s_xor_b64 s[6:7], exec, s[8:9]
	s_cbranch_execnz .LBB3_3613
; %bb.1565:
	s_or_saveexec_b64 s[6:7], s[6:7]
	v_mov_b32_e32 v6, s10
	s_xor_b64 exec, exec, s[6:7]
	s_cbranch_execnz .LBB3_3616
.LBB3_1566:
	s_or_b64 exec, exec, s[6:7]
	s_and_saveexec_b64 s[6:7], s[4:5]
	s_cbranch_execz .LBB3_1568
.LBB3_1567:
	v_bfe_u32 v6, v2, 24, 3
	v_ffbh_u32_e32 v16, v6
	v_min_u32_e32 v16, 32, v16
	v_lshrrev_b32_e32 v14, 27, v2
	v_subrev_u32_e32 v17, 28, v16
	v_and_b32_e32 v13, 0x80000000, v2
	v_and_b32_e32 v14, 15, v14
	v_bfe_u32 v15, v2, 27, 4
	v_lshlrev_b32_sdwa v2, v17, v2 dst_sel:DWORD dst_unused:UNUSED_PAD src0_sel:DWORD src1_sel:BYTE_3
	v_sub_u32_e32 v16, 29, v16
	v_and_b32_e32 v2, 7, v2
	v_cmp_eq_u16_e32 vcc, 0, v14
	v_cndmask_b32_e32 v2, v6, v2, vcc
	v_cndmask_b32_e32 v6, v15, v16, vcc
	v_mov_b32_e32 v14, 0x3b800000
	v_lshlrev_b32_e32 v2, 20, v2
	v_lshl_add_u32 v6, v6, 23, v14
	v_or3_b32 v6, v13, v6, v2
.LBB3_1568:
	s_or_b64 exec, exec, s[6:7]
	s_nop 0
	v_mfma_f32_16x16x4f32 a[0:3], v12, v6, a[0:3]
	s_movk_i32 s4, 0x7f
	v_cmp_gt_i16_sdwa s[6:7], v7, s4 src0_sel:BYTE_0 src1_sel:DWORD
	s_mov_b64 s[4:5], 0
                                        ; implicit-def: $sgpr10
	s_and_saveexec_b64 s[8:9], s[6:7]
	s_xor_b64 s[6:7], exec, s[8:9]
	s_cbranch_execnz .LBB3_3617
; %bb.1569:
	s_or_saveexec_b64 s[6:7], s[6:7]
	v_mov_b32_e32 v2, s10
	s_xor_b64 exec, exec, s[6:7]
	s_cbranch_execnz .LBB3_3620
.LBB3_1570:
	s_or_b64 exec, exec, s[6:7]
	s_and_saveexec_b64 s[6:7], s[4:5]
	s_cbranch_execz .LBB3_1572
.LBB3_1571:
	v_and_b32_e32 v2, 7, v7
	v_ffbh_u32_e32 v12, v2
	v_min_u32_e32 v12, 32, v12
	v_lshrrev_b16_e32 v6, 3, v7
	v_subrev_u32_e32 v13, 28, v12
	v_and_b32_e32 v6, 15, v6
	v_lshlrev_b32_e32 v13, v13, v7
	v_sub_u32_e32 v12, 29, v12
	v_and_b32_e32 v13, 7, v13
	v_cmp_eq_u16_e32 vcc, 0, v6
	v_cndmask_b32_e32 v2, v2, v13, vcc
	v_cndmask_b32_e32 v6, v6, v12, vcc
	v_lshlrev_b32_e32 v12, 24, v7
	v_mov_b32_e32 v13, 0x3b800000
	v_lshlrev_b32_e32 v2, 20, v2
	v_and_b32_e32 v12, 0x80000000, v12
	v_lshl_add_u32 v6, v6, 23, v13
	v_or3_b32 v2, v12, v6, v2
.LBB3_1572:
	s_or_b64 exec, exec, s[6:7]
	s_movk_i32 s4, 0x7f
	v_cmp_gt_i16_sdwa s[6:7], v3, s4 src0_sel:BYTE_0 src1_sel:DWORD
	s_mov_b64 s[4:5], 0
                                        ; implicit-def: $sgpr10
	s_and_saveexec_b64 s[8:9], s[6:7]
	s_xor_b64 s[6:7], exec, s[8:9]
	s_cbranch_execnz .LBB3_3621
; %bb.1573:
	s_or_saveexec_b64 s[6:7], s[6:7]
	v_mov_b32_e32 v6, s10
	s_xor_b64 exec, exec, s[6:7]
	s_cbranch_execnz .LBB3_3624
.LBB3_1574:
	s_or_b64 exec, exec, s[6:7]
	s_and_saveexec_b64 s[6:7], s[4:5]
	s_cbranch_execz .LBB3_1576
.LBB3_1575:
	v_and_b32_e32 v6, 7, v3
	v_ffbh_u32_e32 v13, v6
	v_min_u32_e32 v13, 32, v13
	v_lshrrev_b16_e32 v12, 3, v3
	v_subrev_u32_e32 v14, 28, v13
	v_and_b32_e32 v12, 15, v12
	v_lshlrev_b32_e32 v14, v14, v3
	v_sub_u32_e32 v13, 29, v13
	v_and_b32_e32 v14, 7, v14
	v_cmp_eq_u16_e32 vcc, 0, v12
	v_cndmask_b32_e32 v6, v6, v14, vcc
	v_cndmask_b32_e32 v12, v12, v13, vcc
	v_lshlrev_b32_e32 v13, 24, v3
	v_mov_b32_e32 v14, 0x3b800000
	v_lshlrev_b32_e32 v6, 20, v6
	v_and_b32_e32 v13, 0x80000000, v13
	v_lshl_add_u32 v12, v12, 23, v14
	v_or3_b32 v6, v13, v12, v6
.LBB3_1576:
	s_or_b64 exec, exec, s[6:7]
	s_nop 0
	v_mfma_f32_16x16x4f32 a[0:3], v2, v6, a[0:3]
	v_lshrrev_b32_e32 v6, 8, v7
	s_movk_i32 s4, 0x7f
	v_cmp_gt_i16_sdwa s[6:7], v6, s4 src0_sel:BYTE_0 src1_sel:DWORD
	s_mov_b64 s[4:5], 0
                                        ; implicit-def: $sgpr10
	s_and_saveexec_b64 s[8:9], s[6:7]
	s_xor_b64 s[6:7], exec, s[8:9]
	s_cbranch_execnz .LBB3_3625
; %bb.1577:
	s_or_saveexec_b64 s[6:7], s[6:7]
	v_mov_b32_e32 v2, s10
	s_xor_b64 exec, exec, s[6:7]
	s_cbranch_execnz .LBB3_3628
.LBB3_1578:
	s_or_b64 exec, exec, s[6:7]
	s_and_saveexec_b64 s[6:7], s[4:5]
	s_cbranch_execz .LBB3_1580
.LBB3_1579:
	v_bfe_u32 v2, v7, 8, 3
	v_ffbh_u32_e32 v13, v2
	v_min_u32_e32 v13, 32, v13
	v_lshrrev_b16_e32 v12, 3, v6
	v_subrev_u32_e32 v14, 28, v13
	v_and_b32_e32 v12, 15, v12
	v_lshlrev_b32_e32 v6, v14, v6
	v_sub_u32_e32 v13, 29, v13
	v_and_b32_e32 v6, 7, v6
	v_cmp_eq_u16_e32 vcc, 0, v12
	v_cndmask_b32_e32 v2, v2, v6, vcc
	v_cndmask_b32_e32 v6, v12, v13, vcc
	v_lshlrev_b32_e32 v12, 16, v7
	v_mov_b32_e32 v13, 0x3b800000
	v_lshlrev_b32_e32 v2, 20, v2
	v_and_b32_e32 v12, 0x80000000, v12
	v_lshl_add_u32 v6, v6, 23, v13
	v_or3_b32 v2, v12, v6, v2
.LBB3_1580:
	s_or_b64 exec, exec, s[6:7]
	v_lshrrev_b32_e32 v6, 8, v3
	s_movk_i32 s4, 0x7f
	v_cmp_gt_i16_sdwa s[6:7], v6, s4 src0_sel:BYTE_0 src1_sel:DWORD
	s_mov_b64 s[4:5], 0
                                        ; implicit-def: $sgpr10
	s_and_saveexec_b64 s[8:9], s[6:7]
	s_xor_b64 s[6:7], exec, s[8:9]
	s_cbranch_execnz .LBB3_3629
; %bb.1581:
	s_or_saveexec_b64 s[6:7], s[6:7]
	v_mov_b32_e32 v12, s10
	s_xor_b64 exec, exec, s[6:7]
	s_cbranch_execnz .LBB3_3632
.LBB3_1582:
	s_or_b64 exec, exec, s[6:7]
	s_and_saveexec_b64 s[6:7], s[4:5]
	s_cbranch_execz .LBB3_1584
.LBB3_1583:
	v_bfe_u32 v12, v3, 8, 3
	v_ffbh_u32_e32 v14, v12
	v_min_u32_e32 v14, 32, v14
	v_lshrrev_b16_e32 v13, 3, v6
	v_subrev_u32_e32 v15, 28, v14
	v_and_b32_e32 v13, 15, v13
	v_lshlrev_b32_e32 v6, v15, v6
	v_sub_u32_e32 v14, 29, v14
	v_and_b32_e32 v6, 7, v6
	v_cmp_eq_u16_e32 vcc, 0, v13
	v_cndmask_b32_e32 v6, v12, v6, vcc
	v_cndmask_b32_e32 v12, v13, v14, vcc
	v_lshlrev_b32_e32 v13, 16, v3
	v_mov_b32_e32 v14, 0x3b800000
	v_lshlrev_b32_e32 v6, 20, v6
	v_and_b32_e32 v13, 0x80000000, v13
	v_lshl_add_u32 v12, v12, 23, v14
	v_or3_b32 v12, v13, v12, v6
.LBB3_1584:
	s_or_b64 exec, exec, s[6:7]
	s_nop 0
	v_mfma_f32_16x16x4f32 a[0:3], v2, v12, a[0:3]
	s_movk_i32 s4, 0xff
	v_and_b32_sdwa v6, v7, s4 dst_sel:DWORD dst_unused:UNUSED_PAD src0_sel:WORD_1 src1_sel:DWORD
	s_movk_i32 s4, 0x7f
	v_cmp_lt_i16_e32 vcc, s4, v6
	s_mov_b64 s[4:5], 0
                                        ; implicit-def: $sgpr10
	s_and_saveexec_b64 s[6:7], vcc
	s_xor_b64 s[6:7], exec, s[6:7]
	s_cbranch_execnz .LBB3_3633
; %bb.1585:
	s_or_saveexec_b64 s[6:7], s[6:7]
	v_mov_b32_e32 v2, s10
	s_xor_b64 exec, exec, s[6:7]
	s_cbranch_execnz .LBB3_3636
.LBB3_1586:
	s_or_b64 exec, exec, s[6:7]
	s_and_saveexec_b64 s[6:7], s[4:5]
	s_cbranch_execz .LBB3_1588
.LBB3_1587:
	v_bfe_u32 v2, v7, 16, 3
	v_ffbh_u32_e32 v13, v2
	v_min_u32_e32 v13, 32, v13
	v_lshrrev_b32_e32 v6, 19, v7
	v_subrev_u32_e32 v14, 28, v13
	v_and_b32_e32 v6, 15, v6
	v_lshlrev_b32_sdwa v14, v14, v7 dst_sel:DWORD dst_unused:UNUSED_PAD src0_sel:DWORD src1_sel:WORD_1
	v_bfe_u32 v12, v7, 19, 4
	v_sub_u32_e32 v13, 29, v13
	v_and_b32_e32 v14, 7, v14
	v_cmp_eq_u16_e32 vcc, 0, v6
	v_cndmask_b32_e32 v2, v2, v14, vcc
	v_cndmask_b32_e32 v6, v12, v13, vcc
	v_lshlrev_b32_e32 v12, 8, v7
	v_mov_b32_e32 v13, 0x3b800000
	v_lshlrev_b32_e32 v2, 20, v2
	v_and_b32_e32 v12, 0x80000000, v12
	v_lshl_add_u32 v6, v6, 23, v13
	v_or3_b32 v2, v12, v6, v2
.LBB3_1588:
	s_or_b64 exec, exec, s[6:7]
	s_movk_i32 s4, 0xff
	v_and_b32_sdwa v6, v3, s4 dst_sel:DWORD dst_unused:UNUSED_PAD src0_sel:WORD_1 src1_sel:DWORD
	s_movk_i32 s4, 0x7f
	v_cmp_lt_i16_e32 vcc, s4, v6
	s_mov_b64 s[4:5], 0
                                        ; implicit-def: $sgpr10
	s_and_saveexec_b64 s[6:7], vcc
	s_xor_b64 s[6:7], exec, s[6:7]
	s_cbranch_execnz .LBB3_3637
; %bb.1589:
	s_or_saveexec_b64 s[6:7], s[6:7]
	v_mov_b32_e32 v12, s10
	s_xor_b64 exec, exec, s[6:7]
	s_cbranch_execnz .LBB3_3640
.LBB3_1590:
	s_or_b64 exec, exec, s[6:7]
	s_and_saveexec_b64 s[6:7], s[4:5]
	s_cbranch_execz .LBB3_1592
.LBB3_1591:
	v_bfe_u32 v6, v3, 16, 3
	v_ffbh_u32_e32 v14, v6
	v_min_u32_e32 v14, 32, v14
	v_lshrrev_b32_e32 v12, 19, v3
	v_subrev_u32_e32 v15, 28, v14
	v_and_b32_e32 v12, 15, v12
	v_lshlrev_b32_sdwa v15, v15, v3 dst_sel:DWORD dst_unused:UNUSED_PAD src0_sel:DWORD src1_sel:WORD_1
	v_bfe_u32 v13, v3, 19, 4
	v_sub_u32_e32 v14, 29, v14
	v_and_b32_e32 v15, 7, v15
	v_cmp_eq_u16_e32 vcc, 0, v12
	v_cndmask_b32_e32 v6, v6, v15, vcc
	v_cndmask_b32_e32 v12, v13, v14, vcc
	v_lshlrev_b32_e32 v13, 8, v3
	v_mov_b32_e32 v14, 0x3b800000
	v_lshlrev_b32_e32 v6, 20, v6
	v_and_b32_e32 v13, 0x80000000, v13
	v_lshl_add_u32 v12, v12, 23, v14
	v_or3_b32 v12, v13, v12, v6
.LBB3_1592:
	s_or_b64 exec, exec, s[6:7]
	s_nop 0
	v_mfma_f32_16x16x4f32 a[0:3], v2, v12, a[0:3]
	s_movk_i32 s4, 0x7f
	v_cmp_gt_i16_sdwa s[6:7], v7, s4 src0_sel:BYTE_3 src1_sel:DWORD
	s_mov_b64 s[4:5], 0
                                        ; implicit-def: $sgpr10
	s_and_saveexec_b64 s[8:9], s[6:7]
	s_xor_b64 s[6:7], exec, s[8:9]
	s_cbranch_execnz .LBB3_3641
; %bb.1593:
	s_or_saveexec_b64 s[6:7], s[6:7]
	v_mov_b32_e32 v2, s10
	s_xor_b64 exec, exec, s[6:7]
	s_cbranch_execnz .LBB3_3644
.LBB3_1594:
	s_or_b64 exec, exec, s[6:7]
	s_and_saveexec_b64 s[6:7], s[4:5]
	s_cbranch_execz .LBB3_1596
.LBB3_1595:
	v_bfe_u32 v2, v7, 24, 3
	v_ffbh_u32_e32 v14, v2
	v_min_u32_e32 v14, 32, v14
	v_lshrrev_b32_e32 v12, 27, v7
	v_subrev_u32_e32 v15, 28, v14
	v_and_b32_e32 v6, 0x80000000, v7
	v_and_b32_e32 v12, 15, v12
	v_bfe_u32 v13, v7, 27, 4
	v_lshlrev_b32_sdwa v7, v15, v7 dst_sel:DWORD dst_unused:UNUSED_PAD src0_sel:DWORD src1_sel:BYTE_3
	v_sub_u32_e32 v14, 29, v14
	v_and_b32_e32 v7, 7, v7
	v_cmp_eq_u16_e32 vcc, 0, v12
	v_cndmask_b32_e32 v2, v2, v7, vcc
	v_cndmask_b32_e32 v7, v13, v14, vcc
	v_mov_b32_e32 v12, 0x3b800000
	v_lshlrev_b32_e32 v2, 20, v2
	v_lshl_add_u32 v7, v7, 23, v12
	v_or3_b32 v2, v6, v7, v2
.LBB3_1596:
	s_or_b64 exec, exec, s[6:7]
	s_movk_i32 s4, 0x7f
	v_cmp_gt_i16_sdwa s[6:7], v3, s4 src0_sel:BYTE_3 src1_sel:DWORD
	s_mov_b64 s[4:5], 0
                                        ; implicit-def: $sgpr10
	s_and_saveexec_b64 s[8:9], s[6:7]
	s_xor_b64 s[6:7], exec, s[8:9]
	s_cbranch_execnz .LBB3_3645
; %bb.1597:
	s_or_saveexec_b64 s[6:7], s[6:7]
	v_mov_b32_e32 v6, s10
	s_xor_b64 exec, exec, s[6:7]
	s_cbranch_execnz .LBB3_3648
.LBB3_1598:
	s_or_b64 exec, exec, s[6:7]
	s_and_saveexec_b64 s[6:7], s[4:5]
	s_cbranch_execz .LBB3_1600
.LBB3_1599:
	v_bfe_u32 v6, v3, 24, 3
	v_ffbh_u32_e32 v14, v6
	v_min_u32_e32 v14, 32, v14
	v_lshrrev_b32_e32 v12, 27, v3
	v_subrev_u32_e32 v15, 28, v14
	v_and_b32_e32 v7, 0x80000000, v3
	v_and_b32_e32 v12, 15, v12
	v_bfe_u32 v13, v3, 27, 4
	v_lshlrev_b32_sdwa v3, v15, v3 dst_sel:DWORD dst_unused:UNUSED_PAD src0_sel:DWORD src1_sel:BYTE_3
	v_sub_u32_e32 v14, 29, v14
	v_and_b32_e32 v3, 7, v3
	v_cmp_eq_u16_e32 vcc, 0, v12
	v_cndmask_b32_e32 v3, v6, v3, vcc
	v_cndmask_b32_e32 v6, v13, v14, vcc
	v_mov_b32_e32 v12, 0x3b800000
	v_lshlrev_b32_e32 v3, 20, v3
	v_lshl_add_u32 v6, v6, 23, v12
	v_or3_b32 v6, v7, v6, v3
.LBB3_1600:
	s_or_b64 exec, exec, s[6:7]
	s_nop 0
	v_mfma_f32_16x16x4f32 a[0:3], v2, v6, a[0:3]
	s_movk_i32 s4, 0x7f
	v_cmp_gt_i16_sdwa s[6:7], v8, s4 src0_sel:BYTE_0 src1_sel:DWORD
	s_mov_b64 s[4:5], 0
                                        ; implicit-def: $sgpr10
	s_and_saveexec_b64 s[8:9], s[6:7]
	s_xor_b64 s[6:7], exec, s[8:9]
	s_cbranch_execnz .LBB3_3649
; %bb.1601:
	s_or_saveexec_b64 s[6:7], s[6:7]
	v_mov_b32_e32 v2, s10
	s_xor_b64 exec, exec, s[6:7]
	s_cbranch_execnz .LBB3_3652
.LBB3_1602:
	s_or_b64 exec, exec, s[6:7]
	s_and_saveexec_b64 s[6:7], s[4:5]
	s_cbranch_execz .LBB3_1604
.LBB3_1603:
	v_and_b32_e32 v2, 7, v8
	v_ffbh_u32_e32 v6, v2
	v_min_u32_e32 v6, 32, v6
	v_lshrrev_b16_e32 v3, 3, v8
	v_subrev_u32_e32 v7, 28, v6
	v_and_b32_e32 v3, 15, v3
	v_lshlrev_b32_e32 v7, v7, v8
	v_sub_u32_e32 v6, 29, v6
	v_and_b32_e32 v7, 7, v7
	v_cmp_eq_u16_e32 vcc, 0, v3
	v_cndmask_b32_e32 v2, v2, v7, vcc
	v_cndmask_b32_e32 v3, v3, v6, vcc
	v_lshlrev_b32_e32 v6, 24, v8
	v_mov_b32_e32 v7, 0x3b800000
	v_lshlrev_b32_e32 v2, 20, v2
	v_and_b32_e32 v6, 0x80000000, v6
	v_lshl_add_u32 v3, v3, 23, v7
	v_or3_b32 v2, v6, v3, v2
.LBB3_1604:
	s_or_b64 exec, exec, s[6:7]
	s_movk_i32 s4, 0x7f
	v_cmp_gt_i16_sdwa s[6:7], v4, s4 src0_sel:BYTE_0 src1_sel:DWORD
	s_mov_b64 s[4:5], 0
                                        ; implicit-def: $sgpr10
	s_and_saveexec_b64 s[8:9], s[6:7]
	s_xor_b64 s[6:7], exec, s[8:9]
	s_cbranch_execnz .LBB3_3653
; %bb.1605:
	s_or_saveexec_b64 s[6:7], s[6:7]
	v_mov_b32_e32 v3, s10
	s_xor_b64 exec, exec, s[6:7]
	s_cbranch_execnz .LBB3_3656
.LBB3_1606:
	s_or_b64 exec, exec, s[6:7]
	s_and_saveexec_b64 s[6:7], s[4:5]
	s_cbranch_execz .LBB3_1608
.LBB3_1607:
	v_and_b32_e32 v3, 7, v4
	v_ffbh_u32_e32 v7, v3
	v_min_u32_e32 v7, 32, v7
	v_lshrrev_b16_e32 v6, 3, v4
	v_subrev_u32_e32 v12, 28, v7
	v_and_b32_e32 v6, 15, v6
	v_lshlrev_b32_e32 v12, v12, v4
	v_sub_u32_e32 v7, 29, v7
	v_and_b32_e32 v12, 7, v12
	v_cmp_eq_u16_e32 vcc, 0, v6
	v_cndmask_b32_e32 v3, v3, v12, vcc
	v_cndmask_b32_e32 v6, v6, v7, vcc
	v_lshlrev_b32_e32 v7, 24, v4
	v_mov_b32_e32 v12, 0x3b800000
	v_lshlrev_b32_e32 v3, 20, v3
	v_and_b32_e32 v7, 0x80000000, v7
	v_lshl_add_u32 v6, v6, 23, v12
	v_or3_b32 v3, v7, v6, v3
.LBB3_1608:
	s_or_b64 exec, exec, s[6:7]
	s_nop 0
	v_mfma_f32_16x16x4f32 a[0:3], v2, v3, a[0:3]
	v_lshrrev_b32_e32 v3, 8, v8
	s_movk_i32 s4, 0x7f
	v_cmp_gt_i16_sdwa s[6:7], v3, s4 src0_sel:BYTE_0 src1_sel:DWORD
	s_mov_b64 s[4:5], 0
                                        ; implicit-def: $sgpr10
	s_and_saveexec_b64 s[8:9], s[6:7]
	s_xor_b64 s[6:7], exec, s[8:9]
	s_cbranch_execnz .LBB3_3657
; %bb.1609:
	s_or_saveexec_b64 s[6:7], s[6:7]
	v_mov_b32_e32 v2, s10
	s_xor_b64 exec, exec, s[6:7]
	s_cbranch_execnz .LBB3_3660
.LBB3_1610:
	s_or_b64 exec, exec, s[6:7]
	s_and_saveexec_b64 s[6:7], s[4:5]
	s_cbranch_execz .LBB3_1612
.LBB3_1611:
	v_bfe_u32 v2, v8, 8, 3
	v_ffbh_u32_e32 v7, v2
	v_min_u32_e32 v7, 32, v7
	v_lshrrev_b16_e32 v6, 3, v3
	v_subrev_u32_e32 v12, 28, v7
	v_and_b32_e32 v6, 15, v6
	v_lshlrev_b32_e32 v3, v12, v3
	v_sub_u32_e32 v7, 29, v7
	v_and_b32_e32 v3, 7, v3
	v_cmp_eq_u16_e32 vcc, 0, v6
	v_cndmask_b32_e32 v2, v2, v3, vcc
	v_cndmask_b32_e32 v3, v6, v7, vcc
	v_lshlrev_b32_e32 v6, 16, v8
	v_mov_b32_e32 v7, 0x3b800000
	v_lshlrev_b32_e32 v2, 20, v2
	v_and_b32_e32 v6, 0x80000000, v6
	v_lshl_add_u32 v3, v3, 23, v7
	v_or3_b32 v2, v6, v3, v2
.LBB3_1612:
	s_or_b64 exec, exec, s[6:7]
	v_lshrrev_b32_e32 v3, 8, v4
	s_movk_i32 s4, 0x7f
	v_cmp_gt_i16_sdwa s[6:7], v3, s4 src0_sel:BYTE_0 src1_sel:DWORD
	s_mov_b64 s[4:5], 0
                                        ; implicit-def: $sgpr10
	s_and_saveexec_b64 s[8:9], s[6:7]
	s_xor_b64 s[6:7], exec, s[8:9]
	s_cbranch_execnz .LBB3_3661
; %bb.1613:
	s_or_saveexec_b64 s[6:7], s[6:7]
	v_mov_b32_e32 v6, s10
	s_xor_b64 exec, exec, s[6:7]
	s_cbranch_execnz .LBB3_3664
.LBB3_1614:
	s_or_b64 exec, exec, s[6:7]
	s_and_saveexec_b64 s[6:7], s[4:5]
	s_cbranch_execz .LBB3_1616
.LBB3_1615:
	v_bfe_u32 v6, v4, 8, 3
	v_ffbh_u32_e32 v12, v6
	v_min_u32_e32 v12, 32, v12
	v_lshrrev_b16_e32 v7, 3, v3
	v_subrev_u32_e32 v13, 28, v12
	v_and_b32_e32 v7, 15, v7
	v_lshlrev_b32_e32 v3, v13, v3
	v_sub_u32_e32 v12, 29, v12
	v_and_b32_e32 v3, 7, v3
	v_cmp_eq_u16_e32 vcc, 0, v7
	v_cndmask_b32_e32 v3, v6, v3, vcc
	v_cndmask_b32_e32 v6, v7, v12, vcc
	v_lshlrev_b32_e32 v7, 16, v4
	v_mov_b32_e32 v12, 0x3b800000
	v_lshlrev_b32_e32 v3, 20, v3
	v_and_b32_e32 v7, 0x80000000, v7
	v_lshl_add_u32 v6, v6, 23, v12
	v_or3_b32 v6, v7, v6, v3
.LBB3_1616:
	s_or_b64 exec, exec, s[6:7]
	s_nop 0
	v_mfma_f32_16x16x4f32 a[0:3], v2, v6, a[0:3]
	s_movk_i32 s4, 0xff
	v_and_b32_sdwa v3, v8, s4 dst_sel:DWORD dst_unused:UNUSED_PAD src0_sel:WORD_1 src1_sel:DWORD
	s_movk_i32 s4, 0x7f
	v_cmp_lt_i16_e32 vcc, s4, v3
	s_mov_b64 s[4:5], 0
                                        ; implicit-def: $sgpr10
	s_and_saveexec_b64 s[6:7], vcc
	s_xor_b64 s[6:7], exec, s[6:7]
	s_cbranch_execnz .LBB3_3665
; %bb.1617:
	s_or_saveexec_b64 s[6:7], s[6:7]
	v_mov_b32_e32 v2, s10
	s_xor_b64 exec, exec, s[6:7]
	s_cbranch_execnz .LBB3_3668
.LBB3_1618:
	s_or_b64 exec, exec, s[6:7]
	s_and_saveexec_b64 s[6:7], s[4:5]
	s_cbranch_execz .LBB3_1620
.LBB3_1619:
	v_bfe_u32 v2, v8, 16, 3
	v_ffbh_u32_e32 v7, v2
	v_min_u32_e32 v7, 32, v7
	v_lshrrev_b32_e32 v3, 19, v8
	v_subrev_u32_e32 v12, 28, v7
	v_and_b32_e32 v3, 15, v3
	v_lshlrev_b32_sdwa v12, v12, v8 dst_sel:DWORD dst_unused:UNUSED_PAD src0_sel:DWORD src1_sel:WORD_1
	v_bfe_u32 v6, v8, 19, 4
	v_sub_u32_e32 v7, 29, v7
	v_and_b32_e32 v12, 7, v12
	v_cmp_eq_u16_e32 vcc, 0, v3
	v_cndmask_b32_e32 v2, v2, v12, vcc
	v_cndmask_b32_e32 v3, v6, v7, vcc
	v_lshlrev_b32_e32 v6, 8, v8
	v_mov_b32_e32 v7, 0x3b800000
	v_lshlrev_b32_e32 v2, 20, v2
	v_and_b32_e32 v6, 0x80000000, v6
	v_lshl_add_u32 v3, v3, 23, v7
	v_or3_b32 v2, v6, v3, v2
.LBB3_1620:
	s_or_b64 exec, exec, s[6:7]
	s_movk_i32 s4, 0xff
	v_and_b32_sdwa v3, v4, s4 dst_sel:DWORD dst_unused:UNUSED_PAD src0_sel:WORD_1 src1_sel:DWORD
	s_movk_i32 s4, 0x7f
	v_cmp_lt_i16_e32 vcc, s4, v3
	s_mov_b64 s[4:5], 0
                                        ; implicit-def: $sgpr10
	s_and_saveexec_b64 s[6:7], vcc
	s_xor_b64 s[6:7], exec, s[6:7]
	s_cbranch_execnz .LBB3_3669
; %bb.1621:
	s_or_saveexec_b64 s[6:7], s[6:7]
	v_mov_b32_e32 v6, s10
	s_xor_b64 exec, exec, s[6:7]
	s_cbranch_execnz .LBB3_3672
.LBB3_1622:
	s_or_b64 exec, exec, s[6:7]
	s_and_saveexec_b64 s[6:7], s[4:5]
	s_cbranch_execz .LBB3_1624
.LBB3_1623:
	v_bfe_u32 v3, v4, 16, 3
	v_ffbh_u32_e32 v12, v3
	v_min_u32_e32 v12, 32, v12
	v_lshrrev_b32_e32 v6, 19, v4
	v_subrev_u32_e32 v13, 28, v12
	v_and_b32_e32 v6, 15, v6
	v_lshlrev_b32_sdwa v13, v13, v4 dst_sel:DWORD dst_unused:UNUSED_PAD src0_sel:DWORD src1_sel:WORD_1
	v_bfe_u32 v7, v4, 19, 4
	v_sub_u32_e32 v12, 29, v12
	v_and_b32_e32 v13, 7, v13
	v_cmp_eq_u16_e32 vcc, 0, v6
	v_cndmask_b32_e32 v3, v3, v13, vcc
	v_cndmask_b32_e32 v6, v7, v12, vcc
	v_lshlrev_b32_e32 v7, 8, v4
	v_mov_b32_e32 v12, 0x3b800000
	v_lshlrev_b32_e32 v3, 20, v3
	v_and_b32_e32 v7, 0x80000000, v7
	v_lshl_add_u32 v6, v6, 23, v12
	v_or3_b32 v6, v7, v6, v3
.LBB3_1624:
	s_or_b64 exec, exec, s[6:7]
	s_nop 0
	v_mfma_f32_16x16x4f32 a[0:3], v2, v6, a[0:3]
	s_movk_i32 s4, 0x7f
	v_cmp_gt_i16_sdwa s[6:7], v8, s4 src0_sel:BYTE_3 src1_sel:DWORD
	s_mov_b64 s[4:5], 0
                                        ; implicit-def: $sgpr10
	s_and_saveexec_b64 s[8:9], s[6:7]
	s_xor_b64 s[6:7], exec, s[8:9]
	s_cbranch_execnz .LBB3_3673
; %bb.1625:
	s_or_saveexec_b64 s[6:7], s[6:7]
	v_mov_b32_e32 v2, s10
	s_xor_b64 exec, exec, s[6:7]
	s_cbranch_execnz .LBB3_3676
.LBB3_1626:
	s_or_b64 exec, exec, s[6:7]
	s_and_saveexec_b64 s[6:7], s[4:5]
	s_cbranch_execz .LBB3_1628
.LBB3_1627:
	v_bfe_u32 v2, v8, 24, 3
	v_ffbh_u32_e32 v12, v2
	v_min_u32_e32 v12, 32, v12
	v_lshrrev_b32_e32 v6, 27, v8
	v_subrev_u32_e32 v13, 28, v12
	v_and_b32_e32 v3, 0x80000000, v8
	v_and_b32_e32 v6, 15, v6
	v_bfe_u32 v7, v8, 27, 4
	v_lshlrev_b32_sdwa v8, v13, v8 dst_sel:DWORD dst_unused:UNUSED_PAD src0_sel:DWORD src1_sel:BYTE_3
	v_sub_u32_e32 v12, 29, v12
	v_and_b32_e32 v8, 7, v8
	v_cmp_eq_u16_e32 vcc, 0, v6
	v_cndmask_b32_e32 v2, v2, v8, vcc
	v_cndmask_b32_e32 v6, v7, v12, vcc
	v_mov_b32_e32 v7, 0x3b800000
	v_lshlrev_b32_e32 v2, 20, v2
	v_lshl_add_u32 v6, v6, 23, v7
	v_or3_b32 v2, v3, v6, v2
.LBB3_1628:
	s_or_b64 exec, exec, s[6:7]
	s_movk_i32 s4, 0x7f
	v_cmp_gt_i16_sdwa s[6:7], v4, s4 src0_sel:BYTE_3 src1_sel:DWORD
	s_mov_b64 s[4:5], 0
                                        ; implicit-def: $sgpr10
	s_and_saveexec_b64 s[8:9], s[6:7]
	s_xor_b64 s[6:7], exec, s[8:9]
	s_cbranch_execnz .LBB3_3677
; %bb.1629:
	s_or_saveexec_b64 s[6:7], s[6:7]
	v_mov_b32_e32 v3, s10
	s_xor_b64 exec, exec, s[6:7]
	s_cbranch_execnz .LBB3_3680
.LBB3_1630:
	s_or_b64 exec, exec, s[6:7]
	s_and_saveexec_b64 s[6:7], s[4:5]
	s_cbranch_execz .LBB3_1632
.LBB3_1631:
	v_bfe_u32 v3, v4, 24, 3
	v_ffbh_u32_e32 v12, v3
	v_min_u32_e32 v12, 32, v12
	v_lshrrev_b32_e32 v7, 27, v4
	v_subrev_u32_e32 v13, 28, v12
	v_and_b32_e32 v6, 0x80000000, v4
	v_and_b32_e32 v7, 15, v7
	v_bfe_u32 v8, v4, 27, 4
	v_lshlrev_b32_sdwa v4, v13, v4 dst_sel:DWORD dst_unused:UNUSED_PAD src0_sel:DWORD src1_sel:BYTE_3
	v_sub_u32_e32 v12, 29, v12
	v_and_b32_e32 v4, 7, v4
	v_cmp_eq_u16_e32 vcc, 0, v7
	v_cndmask_b32_e32 v3, v3, v4, vcc
	v_cndmask_b32_e32 v4, v8, v12, vcc
	v_mov_b32_e32 v7, 0x3b800000
	v_lshlrev_b32_e32 v3, 20, v3
	v_lshl_add_u32 v4, v4, 23, v7
	v_or3_b32 v3, v6, v4, v3
.LBB3_1632:
	s_or_b64 exec, exec, s[6:7]
	s_nop 0
	v_mfma_f32_16x16x4f32 a[0:3], v2, v3, a[0:3]
	s_movk_i32 s4, 0x7f
	v_cmp_gt_i16_sdwa s[6:7], v9, s4 src0_sel:BYTE_0 src1_sel:DWORD
	s_mov_b64 s[4:5], 0
                                        ; implicit-def: $sgpr10
	s_and_saveexec_b64 s[8:9], s[6:7]
	s_xor_b64 s[6:7], exec, s[8:9]
	s_cbranch_execnz .LBB3_3681
; %bb.1633:
	s_or_saveexec_b64 s[6:7], s[6:7]
	v_mov_b32_e32 v2, s10
	s_xor_b64 exec, exec, s[6:7]
	s_cbranch_execnz .LBB3_3684
.LBB3_1634:
	s_or_b64 exec, exec, s[6:7]
	s_and_saveexec_b64 s[6:7], s[4:5]
	s_cbranch_execz .LBB3_1636
.LBB3_1635:
	v_mov_b32_e32 v2, 8
	v_and_b32_e32 v3, 7, v9
	v_lshrrev_b32_sdwa v2, v2, v9 dst_sel:BYTE_1 dst_unused:UNUSED_PAD src0_sel:DWORD src1_sel:DWORD
	v_ffbh_u32_e32 v4, v3
	v_or_b32_sdwa v2, v9, v2 dst_sel:DWORD dst_unused:UNUSED_PAD src0_sel:BYTE_0 src1_sel:DWORD
	v_min_u32_e32 v4, 32, v4
	v_lshrrev_b16_e32 v2, 3, v2
	v_subrev_u32_e32 v6, 28, v4
	v_and_b32_e32 v2, 15, v2
	v_lshlrev_b32_e32 v6, v6, v9
	v_sub_u32_e32 v4, 29, v4
	v_and_b32_e32 v6, 7, v6
	v_cmp_eq_u16_e32 vcc, 0, v2
	v_cndmask_b32_e32 v3, v3, v6, vcc
	v_cndmask_b32_e32 v2, v2, v4, vcc
	v_lshlrev_b32_e32 v4, 24, v9
	v_mov_b32_e32 v6, 0x3b800000
	v_lshlrev_b32_e32 v3, 20, v3
	v_and_b32_e32 v4, 0x80000000, v4
	v_lshl_add_u32 v2, v2, 23, v6
	v_or3_b32 v2, v4, v2, v3
.LBB3_1636:
	s_or_b64 exec, exec, s[6:7]
	s_movk_i32 s4, 0x7f
	v_cmp_gt_i16_sdwa s[6:7], v5, s4 src0_sel:BYTE_0 src1_sel:DWORD
	s_mov_b64 s[4:5], 0
                                        ; implicit-def: $sgpr10
	s_and_saveexec_b64 s[8:9], s[6:7]
	s_xor_b64 s[6:7], exec, s[8:9]
	s_cbranch_execnz .LBB3_3685
; %bb.1637:
	s_or_saveexec_b64 s[6:7], s[6:7]
	v_mov_b32_e32 v3, s10
	s_xor_b64 exec, exec, s[6:7]
	s_cbranch_execnz .LBB3_3688
.LBB3_1638:
	s_or_b64 exec, exec, s[6:7]
	s_and_saveexec_b64 s[6:7], s[4:5]
	s_cbranch_execz .LBB3_1640
.LBB3_1639:
	v_mov_b32_e32 v3, 8
	v_and_b32_e32 v4, 7, v5
	v_lshrrev_b32_sdwa v3, v3, v5 dst_sel:BYTE_1 dst_unused:UNUSED_PAD src0_sel:DWORD src1_sel:DWORD
	v_ffbh_u32_e32 v6, v4
	v_or_b32_sdwa v3, v5, v3 dst_sel:DWORD dst_unused:UNUSED_PAD src0_sel:BYTE_0 src1_sel:DWORD
	v_min_u32_e32 v6, 32, v6
	v_lshrrev_b16_e32 v3, 3, v3
	v_subrev_u32_e32 v7, 28, v6
	v_and_b32_e32 v3, 15, v3
	v_lshlrev_b32_e32 v7, v7, v5
	v_sub_u32_e32 v6, 29, v6
	v_and_b32_e32 v7, 7, v7
	v_cmp_eq_u16_e32 vcc, 0, v3
	v_cndmask_b32_e32 v4, v4, v7, vcc
	v_cndmask_b32_e32 v3, v3, v6, vcc
	v_lshlrev_b32_e32 v6, 24, v5
	v_mov_b32_e32 v7, 0x3b800000
	v_lshlrev_b32_e32 v4, 20, v4
	v_and_b32_e32 v6, 0x80000000, v6
	v_lshl_add_u32 v3, v3, 23, v7
	v_or3_b32 v3, v6, v3, v4
.LBB3_1640:
	s_or_b64 exec, exec, s[6:7]
	s_nop 0
	v_mfma_f32_16x16x4f32 a[0:3], v2, v3, a[0:3]
	v_lshrrev_b32_e32 v3, 8, v9
	s_movk_i32 s4, 0x7f
	v_cmp_gt_i16_sdwa s[6:7], v3, s4 src0_sel:BYTE_0 src1_sel:DWORD
	s_mov_b64 s[4:5], 0
                                        ; implicit-def: $sgpr10
	s_and_saveexec_b64 s[8:9], s[6:7]
	s_xor_b64 s[6:7], exec, s[8:9]
	s_cbranch_execnz .LBB3_3689
; %bb.1641:
	s_or_saveexec_b64 s[6:7], s[6:7]
	v_mov_b32_e32 v2, s10
	s_xor_b64 exec, exec, s[6:7]
	s_cbranch_execnz .LBB3_3692
.LBB3_1642:
	s_or_b64 exec, exec, s[6:7]
	s_and_saveexec_b64 s[6:7], s[4:5]
	s_cbranch_execz .LBB3_1644
.LBB3_1643:
	v_bfe_u32 v2, v9, 8, 3
	v_ffbh_u32_e32 v6, v2
	v_min_u32_e32 v6, 32, v6
	v_lshrrev_b16_e32 v4, 3, v3
	v_subrev_u32_e32 v7, 28, v6
	v_and_b32_e32 v4, 15, v4
	v_lshlrev_b32_e32 v3, v7, v3
	v_sub_u32_e32 v6, 29, v6
	v_and_b32_e32 v3, 7, v3
	v_cmp_eq_u16_e32 vcc, 0, v4
	v_cndmask_b32_e32 v2, v2, v3, vcc
	v_cndmask_b32_e32 v3, v4, v6, vcc
	v_lshlrev_b32_e32 v4, 16, v9
	v_mov_b32_e32 v6, 0x3b800000
	v_lshlrev_b32_e32 v2, 20, v2
	v_and_b32_e32 v4, 0x80000000, v4
	v_lshl_add_u32 v3, v3, 23, v6
	v_or3_b32 v2, v4, v3, v2
.LBB3_1644:
	s_or_b64 exec, exec, s[6:7]
	v_lshrrev_b32_e32 v3, 8, v5
	s_movk_i32 s4, 0x7f
	v_cmp_gt_i16_sdwa s[6:7], v3, s4 src0_sel:BYTE_0 src1_sel:DWORD
	s_mov_b64 s[4:5], 0
                                        ; implicit-def: $sgpr10
	s_and_saveexec_b64 s[8:9], s[6:7]
	s_xor_b64 s[6:7], exec, s[8:9]
	s_cbranch_execnz .LBB3_3693
; %bb.1645:
	s_or_saveexec_b64 s[6:7], s[6:7]
	v_mov_b32_e32 v4, s10
	s_xor_b64 exec, exec, s[6:7]
	s_cbranch_execnz .LBB3_3696
.LBB3_1646:
	s_or_b64 exec, exec, s[6:7]
	s_and_saveexec_b64 s[6:7], s[4:5]
	s_cbranch_execz .LBB3_1648
.LBB3_1647:
	v_bfe_u32 v4, v5, 8, 3
	v_ffbh_u32_e32 v7, v4
	v_min_u32_e32 v7, 32, v7
	v_lshrrev_b16_e32 v6, 3, v3
	v_subrev_u32_e32 v8, 28, v7
	v_and_b32_e32 v6, 15, v6
	v_lshlrev_b32_e32 v3, v8, v3
	v_sub_u32_e32 v7, 29, v7
	v_and_b32_e32 v3, 7, v3
	v_cmp_eq_u16_e32 vcc, 0, v6
	v_cndmask_b32_e32 v3, v4, v3, vcc
	v_cndmask_b32_e32 v4, v6, v7, vcc
	v_lshlrev_b32_e32 v6, 16, v5
	v_mov_b32_e32 v7, 0x3b800000
	v_lshlrev_b32_e32 v3, 20, v3
	v_and_b32_e32 v6, 0x80000000, v6
	v_lshl_add_u32 v4, v4, 23, v7
	v_or3_b32 v4, v6, v4, v3
.LBB3_1648:
	s_or_b64 exec, exec, s[6:7]
	s_nop 0
	v_mfma_f32_16x16x4f32 a[0:3], v2, v4, a[0:3]
	s_movk_i32 s4, 0xff
	v_and_b32_sdwa v3, v9, s4 dst_sel:DWORD dst_unused:UNUSED_PAD src0_sel:WORD_1 src1_sel:DWORD
	s_movk_i32 s4, 0x7f
	v_cmp_lt_i16_e32 vcc, s4, v3
	s_mov_b64 s[4:5], 0
                                        ; implicit-def: $sgpr10
	s_and_saveexec_b64 s[6:7], vcc
	s_xor_b64 s[6:7], exec, s[6:7]
	s_cbranch_execnz .LBB3_3697
; %bb.1649:
	s_or_saveexec_b64 s[6:7], s[6:7]
	v_mov_b32_e32 v2, s10
	s_xor_b64 exec, exec, s[6:7]
	s_cbranch_execnz .LBB3_3700
.LBB3_1650:
	s_or_b64 exec, exec, s[6:7]
	s_and_saveexec_b64 s[6:7], s[4:5]
	s_cbranch_execz .LBB3_1652
.LBB3_1651:
	v_bfe_u32 v2, v9, 16, 3
	v_ffbh_u32_e32 v6, v2
	v_min_u32_e32 v6, 32, v6
	v_lshrrev_b32_e32 v3, 19, v9
	v_subrev_u32_e32 v7, 28, v6
	v_and_b32_e32 v3, 15, v3
	v_lshlrev_b32_sdwa v7, v7, v9 dst_sel:DWORD dst_unused:UNUSED_PAD src0_sel:DWORD src1_sel:WORD_1
	v_bfe_u32 v4, v9, 19, 4
	v_sub_u32_e32 v6, 29, v6
	v_and_b32_e32 v7, 7, v7
	v_cmp_eq_u16_e32 vcc, 0, v3
	v_cndmask_b32_e32 v2, v2, v7, vcc
	v_cndmask_b32_e32 v3, v4, v6, vcc
	v_lshlrev_b32_e32 v4, 8, v9
	v_mov_b32_e32 v6, 0x3b800000
	v_lshlrev_b32_e32 v2, 20, v2
	v_and_b32_e32 v4, 0x80000000, v4
	v_lshl_add_u32 v3, v3, 23, v6
	v_or3_b32 v2, v4, v3, v2
.LBB3_1652:
	s_or_b64 exec, exec, s[6:7]
	s_movk_i32 s4, 0xff
	v_and_b32_sdwa v3, v5, s4 dst_sel:DWORD dst_unused:UNUSED_PAD src0_sel:WORD_1 src1_sel:DWORD
	s_movk_i32 s4, 0x7f
	v_cmp_lt_i16_e32 vcc, s4, v3
	s_mov_b64 s[4:5], 0
                                        ; implicit-def: $sgpr10
	s_and_saveexec_b64 s[6:7], vcc
	s_xor_b64 s[6:7], exec, s[6:7]
	s_cbranch_execnz .LBB3_3701
; %bb.1653:
	s_or_saveexec_b64 s[6:7], s[6:7]
	v_mov_b32_e32 v4, s10
	s_xor_b64 exec, exec, s[6:7]
	s_cbranch_execnz .LBB3_3704
.LBB3_1654:
	s_or_b64 exec, exec, s[6:7]
	s_and_saveexec_b64 s[6:7], s[4:5]
	s_cbranch_execz .LBB3_1656
.LBB3_1655:
	v_bfe_u32 v3, v5, 16, 3
	v_ffbh_u32_e32 v7, v3
	v_min_u32_e32 v7, 32, v7
	v_lshrrev_b32_e32 v4, 19, v5
	v_subrev_u32_e32 v8, 28, v7
	v_and_b32_e32 v4, 15, v4
	v_lshlrev_b32_sdwa v8, v8, v5 dst_sel:DWORD dst_unused:UNUSED_PAD src0_sel:DWORD src1_sel:WORD_1
	v_bfe_u32 v6, v5, 19, 4
	v_sub_u32_e32 v7, 29, v7
	v_and_b32_e32 v8, 7, v8
	v_cmp_eq_u16_e32 vcc, 0, v4
	v_cndmask_b32_e32 v3, v3, v8, vcc
	v_cndmask_b32_e32 v4, v6, v7, vcc
	v_lshlrev_b32_e32 v6, 8, v5
	v_mov_b32_e32 v7, 0x3b800000
	v_lshlrev_b32_e32 v3, 20, v3
	v_and_b32_e32 v6, 0x80000000, v6
	v_lshl_add_u32 v4, v4, 23, v7
	v_or3_b32 v4, v6, v4, v3
.LBB3_1656:
	s_or_b64 exec, exec, s[6:7]
	s_nop 0
	v_mfma_f32_16x16x4f32 a[0:3], v2, v4, a[0:3]
	s_movk_i32 s4, 0x7f
	v_cmp_gt_i16_sdwa s[6:7], v9, s4 src0_sel:BYTE_3 src1_sel:DWORD
	s_mov_b64 s[4:5], 0
                                        ; implicit-def: $sgpr10
	s_and_saveexec_b64 s[8:9], s[6:7]
	s_xor_b64 s[6:7], exec, s[8:9]
	s_cbranch_execnz .LBB3_3705
; %bb.1657:
	s_or_saveexec_b64 s[6:7], s[6:7]
	v_mov_b32_e32 v2, s10
	s_xor_b64 exec, exec, s[6:7]
	s_cbranch_execnz .LBB3_3708
.LBB3_1658:
	s_or_b64 exec, exec, s[6:7]
	s_and_saveexec_b64 s[6:7], s[4:5]
	s_cbranch_execz .LBB3_1660
.LBB3_1659:
	v_bfe_u32 v2, v9, 24, 3
	v_ffbh_u32_e32 v7, v2
	v_min_u32_e32 v7, 32, v7
	v_lshrrev_b32_e32 v4, 27, v9
	v_subrev_u32_e32 v8, 28, v7
	v_and_b32_e32 v4, 15, v4
	v_lshlrev_b32_sdwa v8, v8, v9 dst_sel:DWORD dst_unused:UNUSED_PAD src0_sel:DWORD src1_sel:BYTE_3
	v_bfe_u32 v6, v9, 27, 4
	v_sub_u32_e32 v7, 29, v7
	v_and_b32_e32 v8, 7, v8
	v_cmp_eq_u16_e32 vcc, 0, v4
	v_cndmask_b32_e32 v2, v2, v8, vcc
	v_cndmask_b32_e32 v4, v6, v7, vcc
	v_mov_b32_e32 v6, 0x3b800000
	v_and_b32_e32 v3, 0x80000000, v9
	v_lshlrev_b32_e32 v2, 20, v2
	v_lshl_add_u32 v4, v4, 23, v6
	v_or3_b32 v2, v3, v4, v2
.LBB3_1660:
	s_or_b64 exec, exec, s[6:7]
	s_movk_i32 s4, 0x7f
	v_cmp_gt_i16_sdwa s[6:7], v5, s4 src0_sel:BYTE_3 src1_sel:DWORD
	s_mov_b64 s[4:5], 0
                                        ; implicit-def: $sgpr10
	s_and_saveexec_b64 s[8:9], s[6:7]
	s_xor_b64 s[6:7], exec, s[8:9]
	s_cbranch_execnz .LBB3_3709
; %bb.1661:
	s_or_saveexec_b64 s[6:7], s[6:7]
	v_mov_b32_e32 v3, s10
	s_xor_b64 exec, exec, s[6:7]
	s_cbranch_execnz .LBB3_3712
.LBB3_1662:
	s_or_b64 exec, exec, s[6:7]
	s_and_saveexec_b64 s[6:7], s[4:5]
	s_cbranch_execz .LBB3_1664
.LBB3_1663:
	v_bfe_u32 v3, v5, 24, 3
	v_ffbh_u32_e32 v8, v3
	v_min_u32_e32 v8, 32, v8
	v_lshrrev_b32_e32 v6, 27, v5
	v_subrev_u32_e32 v9, 28, v8
	v_and_b32_e32 v4, 0x80000000, v5
	v_and_b32_e32 v6, 15, v6
	v_bfe_u32 v7, v5, 27, 4
	v_lshlrev_b32_sdwa v5, v9, v5 dst_sel:DWORD dst_unused:UNUSED_PAD src0_sel:DWORD src1_sel:BYTE_3
	v_sub_u32_e32 v8, 29, v8
	v_and_b32_e32 v5, 7, v5
	v_cmp_eq_u16_e32 vcc, 0, v6
	v_cndmask_b32_e32 v3, v3, v5, vcc
	v_cndmask_b32_e32 v5, v7, v8, vcc
	v_mov_b32_e32 v6, 0x3b800000
	v_lshlrev_b32_e32 v3, 20, v3
	v_lshl_add_u32 v5, v5, 23, v6
	v_or3_b32 v3, v4, v5, v3
.LBB3_1664:
	s_or_b64 exec, exec, s[6:7]
	s_nop 0
	v_mfma_f32_16x16x4f32 a[0:3], v2, v3, a[0:3]
	s_movk_i32 s4, 0x7f
                                        ; implicit-def: $sgpr10
	s_nop 7
	s_nop 1
	flat_store_dwordx4 v[10:11], a[0:3] offset:192
	flat_load_dwordx4 v[12:15], v[0:1] offset:8
	s_nop 0
	flat_load_dwordx2 v[10:11], v[0:1] offset:32
	s_waitcnt vmcnt(0) lgkmcnt(0)
	flat_load_dwordx4 v[6:9], v[12:13] offset:96
	flat_load_dwordx4 v[2:5], v[14:15] offset:32
	s_waitcnt vmcnt(0) lgkmcnt(0)
	v_cmp_gt_i16_sdwa s[6:7], v6, s4 src0_sel:BYTE_0 src1_sel:DWORD
	s_mov_b64 s[4:5], 0
	s_and_saveexec_b64 s[8:9], s[6:7]
	s_xor_b64 s[6:7], exec, s[8:9]
	s_cbranch_execnz .LBB3_3713
; %bb.1665:
	s_or_saveexec_b64 s[6:7], s[6:7]
	v_mov_b32_e32 v12, s10
	s_xor_b64 exec, exec, s[6:7]
	s_cbranch_execnz .LBB3_3716
.LBB3_1666:
	s_or_b64 exec, exec, s[6:7]
	s_and_saveexec_b64 s[6:7], s[4:5]
	s_cbranch_execz .LBB3_1668
.LBB3_1667:
	v_and_b32_e32 v12, 7, v6
	v_ffbh_u32_e32 v14, v12
	v_min_u32_e32 v14, 32, v14
	v_lshrrev_b16_e32 v13, 3, v6
	v_subrev_u32_e32 v15, 28, v14
	v_and_b32_e32 v13, 15, v13
	v_lshlrev_b32_e32 v15, v15, v6
	v_sub_u32_e32 v14, 29, v14
	v_and_b32_e32 v15, 7, v15
	v_cmp_eq_u16_e32 vcc, 0, v13
	v_cndmask_b32_e32 v12, v12, v15, vcc
	v_cndmask_b32_e32 v13, v13, v14, vcc
	v_lshlrev_b32_e32 v14, 24, v6
	v_mov_b32_e32 v15, 0x3b800000
	v_lshlrev_b32_e32 v12, 20, v12
	v_and_b32_e32 v14, 0x80000000, v14
	v_lshl_add_u32 v13, v13, 23, v15
	v_or3_b32 v12, v14, v13, v12
.LBB3_1668:
	s_or_b64 exec, exec, s[6:7]
	s_movk_i32 s4, 0x7f
	v_cmp_gt_i16_sdwa s[6:7], v2, s4 src0_sel:BYTE_0 src1_sel:DWORD
	s_mov_b64 s[4:5], 0
                                        ; implicit-def: $sgpr10
	s_and_saveexec_b64 s[8:9], s[6:7]
	s_xor_b64 s[6:7], exec, s[8:9]
	s_cbranch_execnz .LBB3_3717
; %bb.1669:
	s_or_saveexec_b64 s[6:7], s[6:7]
	v_mov_b32_e32 v13, s10
	s_xor_b64 exec, exec, s[6:7]
	s_cbranch_execnz .LBB3_3720
.LBB3_1670:
	s_or_b64 exec, exec, s[6:7]
	s_and_saveexec_b64 s[6:7], s[4:5]
	s_cbranch_execz .LBB3_1672
.LBB3_1671:
	v_and_b32_e32 v13, 7, v2
	v_ffbh_u32_e32 v15, v13
	v_min_u32_e32 v15, 32, v15
	v_lshrrev_b16_e32 v14, 3, v2
	v_subrev_u32_e32 v16, 28, v15
	v_and_b32_e32 v14, 15, v14
	v_lshlrev_b32_e32 v16, v16, v2
	v_sub_u32_e32 v15, 29, v15
	v_and_b32_e32 v16, 7, v16
	v_cmp_eq_u16_e32 vcc, 0, v14
	v_cndmask_b32_e32 v13, v13, v16, vcc
	v_cndmask_b32_e32 v14, v14, v15, vcc
	v_lshlrev_b32_e32 v15, 24, v2
	v_mov_b32_e32 v16, 0x3b800000
	v_lshlrev_b32_e32 v13, 20, v13
	v_and_b32_e32 v15, 0x80000000, v15
	v_lshl_add_u32 v14, v14, 23, v16
	v_or3_b32 v13, v15, v14, v13
.LBB3_1672:
	s_or_b64 exec, exec, s[6:7]
	flat_load_dwordx4 a[0:3], v[10:11] offset:208
	s_movk_i32 s4, 0x7f
                                        ; implicit-def: $sgpr10
	s_waitcnt vmcnt(0) lgkmcnt(0)
	v_mfma_f32_16x16x4f32 a[0:3], v12, v13, a[0:3]
	v_lshrrev_b32_e32 v13, 8, v6
	v_cmp_gt_i16_sdwa s[6:7], v13, s4 src0_sel:BYTE_0 src1_sel:DWORD
	s_mov_b64 s[4:5], 0
	s_and_saveexec_b64 s[8:9], s[6:7]
	s_xor_b64 s[6:7], exec, s[8:9]
	s_cbranch_execnz .LBB3_3721
; %bb.1673:
	s_or_saveexec_b64 s[6:7], s[6:7]
	v_mov_b32_e32 v12, s10
	s_xor_b64 exec, exec, s[6:7]
	s_cbranch_execnz .LBB3_3724
.LBB3_1674:
	s_or_b64 exec, exec, s[6:7]
	s_and_saveexec_b64 s[6:7], s[4:5]
	s_cbranch_execz .LBB3_1676
.LBB3_1675:
	v_bfe_u32 v12, v6, 8, 3
	v_ffbh_u32_e32 v15, v12
	v_min_u32_e32 v15, 32, v15
	v_lshrrev_b16_e32 v14, 3, v13
	v_subrev_u32_e32 v16, 28, v15
	v_and_b32_e32 v14, 15, v14
	v_lshlrev_b32_e32 v13, v16, v13
	v_sub_u32_e32 v15, 29, v15
	v_and_b32_e32 v13, 7, v13
	v_cmp_eq_u16_e32 vcc, 0, v14
	v_cndmask_b32_e32 v12, v12, v13, vcc
	v_cndmask_b32_e32 v13, v14, v15, vcc
	v_lshlrev_b32_e32 v14, 16, v6
	v_mov_b32_e32 v15, 0x3b800000
	v_lshlrev_b32_e32 v12, 20, v12
	v_and_b32_e32 v14, 0x80000000, v14
	v_lshl_add_u32 v13, v13, 23, v15
	v_or3_b32 v12, v14, v13, v12
.LBB3_1676:
	s_or_b64 exec, exec, s[6:7]
	v_lshrrev_b32_e32 v13, 8, v2
	s_movk_i32 s4, 0x7f
	v_cmp_gt_i16_sdwa s[6:7], v13, s4 src0_sel:BYTE_0 src1_sel:DWORD
	s_mov_b64 s[4:5], 0
                                        ; implicit-def: $sgpr10
	s_and_saveexec_b64 s[8:9], s[6:7]
	s_xor_b64 s[6:7], exec, s[8:9]
	s_cbranch_execnz .LBB3_3725
; %bb.1677:
	s_or_saveexec_b64 s[6:7], s[6:7]
	v_mov_b32_e32 v14, s10
	s_xor_b64 exec, exec, s[6:7]
	s_cbranch_execnz .LBB3_3728
.LBB3_1678:
	s_or_b64 exec, exec, s[6:7]
	s_and_saveexec_b64 s[6:7], s[4:5]
	s_cbranch_execz .LBB3_1680
.LBB3_1679:
	v_bfe_u32 v14, v2, 8, 3
	v_ffbh_u32_e32 v16, v14
	v_min_u32_e32 v16, 32, v16
	v_lshrrev_b16_e32 v15, 3, v13
	v_subrev_u32_e32 v17, 28, v16
	v_and_b32_e32 v15, 15, v15
	v_lshlrev_b32_e32 v13, v17, v13
	v_sub_u32_e32 v16, 29, v16
	v_and_b32_e32 v13, 7, v13
	v_cmp_eq_u16_e32 vcc, 0, v15
	v_cndmask_b32_e32 v13, v14, v13, vcc
	v_cndmask_b32_e32 v14, v15, v16, vcc
	v_lshlrev_b32_e32 v15, 16, v2
	v_mov_b32_e32 v16, 0x3b800000
	v_lshlrev_b32_e32 v13, 20, v13
	v_and_b32_e32 v15, 0x80000000, v15
	v_lshl_add_u32 v14, v14, 23, v16
	v_or3_b32 v14, v15, v14, v13
.LBB3_1680:
	s_or_b64 exec, exec, s[6:7]
	s_nop 0
	v_mfma_f32_16x16x4f32 a[0:3], v12, v14, a[0:3]
	s_movk_i32 s4, 0xff
	v_and_b32_sdwa v13, v6, s4 dst_sel:DWORD dst_unused:UNUSED_PAD src0_sel:WORD_1 src1_sel:DWORD
	s_movk_i32 s4, 0x7f
	v_cmp_lt_i16_e32 vcc, s4, v13
	s_mov_b64 s[4:5], 0
                                        ; implicit-def: $sgpr10
	s_and_saveexec_b64 s[6:7], vcc
	s_xor_b64 s[6:7], exec, s[6:7]
	s_cbranch_execnz .LBB3_3729
; %bb.1681:
	s_or_saveexec_b64 s[6:7], s[6:7]
	v_mov_b32_e32 v12, s10
	s_xor_b64 exec, exec, s[6:7]
	s_cbranch_execnz .LBB3_3732
.LBB3_1682:
	s_or_b64 exec, exec, s[6:7]
	s_and_saveexec_b64 s[6:7], s[4:5]
	s_cbranch_execz .LBB3_1684
.LBB3_1683:
	v_bfe_u32 v12, v6, 16, 3
	v_ffbh_u32_e32 v15, v12
	v_min_u32_e32 v15, 32, v15
	v_lshrrev_b32_e32 v13, 19, v6
	v_subrev_u32_e32 v16, 28, v15
	v_and_b32_e32 v13, 15, v13
	v_lshlrev_b32_sdwa v16, v16, v6 dst_sel:DWORD dst_unused:UNUSED_PAD src0_sel:DWORD src1_sel:WORD_1
	v_bfe_u32 v14, v6, 19, 4
	v_sub_u32_e32 v15, 29, v15
	v_and_b32_e32 v16, 7, v16
	v_cmp_eq_u16_e32 vcc, 0, v13
	v_cndmask_b32_e32 v12, v12, v16, vcc
	v_cndmask_b32_e32 v13, v14, v15, vcc
	v_lshlrev_b32_e32 v14, 8, v6
	v_mov_b32_e32 v15, 0x3b800000
	v_lshlrev_b32_e32 v12, 20, v12
	v_and_b32_e32 v14, 0x80000000, v14
	v_lshl_add_u32 v13, v13, 23, v15
	v_or3_b32 v12, v14, v13, v12
.LBB3_1684:
	s_or_b64 exec, exec, s[6:7]
	s_movk_i32 s4, 0xff
	v_and_b32_sdwa v13, v2, s4 dst_sel:DWORD dst_unused:UNUSED_PAD src0_sel:WORD_1 src1_sel:DWORD
	s_movk_i32 s4, 0x7f
	v_cmp_lt_i16_e32 vcc, s4, v13
	s_mov_b64 s[4:5], 0
                                        ; implicit-def: $sgpr10
	s_and_saveexec_b64 s[6:7], vcc
	s_xor_b64 s[6:7], exec, s[6:7]
	s_cbranch_execnz .LBB3_3733
; %bb.1685:
	s_or_saveexec_b64 s[6:7], s[6:7]
	v_mov_b32_e32 v14, s10
	s_xor_b64 exec, exec, s[6:7]
	s_cbranch_execnz .LBB3_3736
.LBB3_1686:
	s_or_b64 exec, exec, s[6:7]
	s_and_saveexec_b64 s[6:7], s[4:5]
	s_cbranch_execz .LBB3_1688
.LBB3_1687:
	v_bfe_u32 v13, v2, 16, 3
	v_ffbh_u32_e32 v16, v13
	v_min_u32_e32 v16, 32, v16
	v_lshrrev_b32_e32 v14, 19, v2
	v_subrev_u32_e32 v17, 28, v16
	v_and_b32_e32 v14, 15, v14
	v_lshlrev_b32_sdwa v17, v17, v2 dst_sel:DWORD dst_unused:UNUSED_PAD src0_sel:DWORD src1_sel:WORD_1
	v_bfe_u32 v15, v2, 19, 4
	v_sub_u32_e32 v16, 29, v16
	v_and_b32_e32 v17, 7, v17
	v_cmp_eq_u16_e32 vcc, 0, v14
	v_cndmask_b32_e32 v13, v13, v17, vcc
	v_cndmask_b32_e32 v14, v15, v16, vcc
	v_lshlrev_b32_e32 v15, 8, v2
	v_mov_b32_e32 v16, 0x3b800000
	v_lshlrev_b32_e32 v13, 20, v13
	v_and_b32_e32 v15, 0x80000000, v15
	v_lshl_add_u32 v14, v14, 23, v16
	v_or3_b32 v14, v15, v14, v13
.LBB3_1688:
	s_or_b64 exec, exec, s[6:7]
	s_nop 0
	v_mfma_f32_16x16x4f32 a[0:3], v12, v14, a[0:3]
	s_movk_i32 s4, 0x7f
	v_cmp_gt_i16_sdwa s[6:7], v6, s4 src0_sel:BYTE_3 src1_sel:DWORD
	s_mov_b64 s[4:5], 0
                                        ; implicit-def: $sgpr10
	s_and_saveexec_b64 s[8:9], s[6:7]
	s_xor_b64 s[6:7], exec, s[8:9]
	s_cbranch_execnz .LBB3_3737
; %bb.1689:
	s_or_saveexec_b64 s[6:7], s[6:7]
	v_mov_b32_e32 v12, s10
	s_xor_b64 exec, exec, s[6:7]
	s_cbranch_execnz .LBB3_3740
.LBB3_1690:
	s_or_b64 exec, exec, s[6:7]
	s_and_saveexec_b64 s[6:7], s[4:5]
	s_cbranch_execz .LBB3_1692
.LBB3_1691:
	v_bfe_u32 v12, v6, 24, 3
	v_ffbh_u32_e32 v16, v12
	v_min_u32_e32 v16, 32, v16
	v_lshrrev_b32_e32 v14, 27, v6
	v_subrev_u32_e32 v17, 28, v16
	v_and_b32_e32 v13, 0x80000000, v6
	v_and_b32_e32 v14, 15, v14
	v_bfe_u32 v15, v6, 27, 4
	v_lshlrev_b32_sdwa v6, v17, v6 dst_sel:DWORD dst_unused:UNUSED_PAD src0_sel:DWORD src1_sel:BYTE_3
	v_sub_u32_e32 v16, 29, v16
	v_and_b32_e32 v6, 7, v6
	v_cmp_eq_u16_e32 vcc, 0, v14
	v_cndmask_b32_e32 v6, v12, v6, vcc
	v_cndmask_b32_e32 v12, v15, v16, vcc
	v_mov_b32_e32 v14, 0x3b800000
	v_lshlrev_b32_e32 v6, 20, v6
	v_lshl_add_u32 v12, v12, 23, v14
	v_or3_b32 v12, v13, v12, v6
.LBB3_1692:
	s_or_b64 exec, exec, s[6:7]
	s_movk_i32 s4, 0x7f
	v_cmp_gt_i16_sdwa s[6:7], v2, s4 src0_sel:BYTE_3 src1_sel:DWORD
	s_mov_b64 s[4:5], 0
                                        ; implicit-def: $sgpr10
	s_and_saveexec_b64 s[8:9], s[6:7]
	s_xor_b64 s[6:7], exec, s[8:9]
	s_cbranch_execnz .LBB3_3741
; %bb.1693:
	s_or_saveexec_b64 s[6:7], s[6:7]
	v_mov_b32_e32 v6, s10
	s_xor_b64 exec, exec, s[6:7]
	s_cbranch_execnz .LBB3_3744
.LBB3_1694:
	s_or_b64 exec, exec, s[6:7]
	s_and_saveexec_b64 s[6:7], s[4:5]
	s_cbranch_execz .LBB3_1696
.LBB3_1695:
	v_bfe_u32 v6, v2, 24, 3
	v_ffbh_u32_e32 v16, v6
	v_min_u32_e32 v16, 32, v16
	v_lshrrev_b32_e32 v14, 27, v2
	v_subrev_u32_e32 v17, 28, v16
	v_and_b32_e32 v13, 0x80000000, v2
	v_and_b32_e32 v14, 15, v14
	v_bfe_u32 v15, v2, 27, 4
	v_lshlrev_b32_sdwa v2, v17, v2 dst_sel:DWORD dst_unused:UNUSED_PAD src0_sel:DWORD src1_sel:BYTE_3
	v_sub_u32_e32 v16, 29, v16
	v_and_b32_e32 v2, 7, v2
	v_cmp_eq_u16_e32 vcc, 0, v14
	v_cndmask_b32_e32 v2, v6, v2, vcc
	v_cndmask_b32_e32 v6, v15, v16, vcc
	v_mov_b32_e32 v14, 0x3b800000
	v_lshlrev_b32_e32 v2, 20, v2
	v_lshl_add_u32 v6, v6, 23, v14
	v_or3_b32 v6, v13, v6, v2
.LBB3_1696:
	s_or_b64 exec, exec, s[6:7]
	s_nop 0
	v_mfma_f32_16x16x4f32 a[0:3], v12, v6, a[0:3]
	s_movk_i32 s4, 0x7f
	v_cmp_gt_i16_sdwa s[6:7], v7, s4 src0_sel:BYTE_0 src1_sel:DWORD
	s_mov_b64 s[4:5], 0
                                        ; implicit-def: $sgpr10
	s_and_saveexec_b64 s[8:9], s[6:7]
	s_xor_b64 s[6:7], exec, s[8:9]
	s_cbranch_execnz .LBB3_3745
; %bb.1697:
	s_or_saveexec_b64 s[6:7], s[6:7]
	v_mov_b32_e32 v2, s10
	s_xor_b64 exec, exec, s[6:7]
	s_cbranch_execnz .LBB3_3748
.LBB3_1698:
	s_or_b64 exec, exec, s[6:7]
	s_and_saveexec_b64 s[6:7], s[4:5]
	s_cbranch_execz .LBB3_1700
.LBB3_1699:
	v_and_b32_e32 v2, 7, v7
	v_ffbh_u32_e32 v12, v2
	v_min_u32_e32 v12, 32, v12
	v_lshrrev_b16_e32 v6, 3, v7
	v_subrev_u32_e32 v13, 28, v12
	v_and_b32_e32 v6, 15, v6
	v_lshlrev_b32_e32 v13, v13, v7
	v_sub_u32_e32 v12, 29, v12
	v_and_b32_e32 v13, 7, v13
	v_cmp_eq_u16_e32 vcc, 0, v6
	v_cndmask_b32_e32 v2, v2, v13, vcc
	v_cndmask_b32_e32 v6, v6, v12, vcc
	v_lshlrev_b32_e32 v12, 24, v7
	v_mov_b32_e32 v13, 0x3b800000
	v_lshlrev_b32_e32 v2, 20, v2
	v_and_b32_e32 v12, 0x80000000, v12
	v_lshl_add_u32 v6, v6, 23, v13
	v_or3_b32 v2, v12, v6, v2
.LBB3_1700:
	s_or_b64 exec, exec, s[6:7]
	s_movk_i32 s4, 0x7f
	v_cmp_gt_i16_sdwa s[6:7], v3, s4 src0_sel:BYTE_0 src1_sel:DWORD
	s_mov_b64 s[4:5], 0
                                        ; implicit-def: $sgpr10
	s_and_saveexec_b64 s[8:9], s[6:7]
	s_xor_b64 s[6:7], exec, s[8:9]
	s_cbranch_execnz .LBB3_3749
; %bb.1701:
	s_or_saveexec_b64 s[6:7], s[6:7]
	v_mov_b32_e32 v6, s10
	s_xor_b64 exec, exec, s[6:7]
	s_cbranch_execnz .LBB3_3752
.LBB3_1702:
	s_or_b64 exec, exec, s[6:7]
	s_and_saveexec_b64 s[6:7], s[4:5]
	s_cbranch_execz .LBB3_1704
.LBB3_1703:
	v_and_b32_e32 v6, 7, v3
	v_ffbh_u32_e32 v13, v6
	v_min_u32_e32 v13, 32, v13
	v_lshrrev_b16_e32 v12, 3, v3
	v_subrev_u32_e32 v14, 28, v13
	v_and_b32_e32 v12, 15, v12
	v_lshlrev_b32_e32 v14, v14, v3
	v_sub_u32_e32 v13, 29, v13
	v_and_b32_e32 v14, 7, v14
	v_cmp_eq_u16_e32 vcc, 0, v12
	v_cndmask_b32_e32 v6, v6, v14, vcc
	v_cndmask_b32_e32 v12, v12, v13, vcc
	v_lshlrev_b32_e32 v13, 24, v3
	v_mov_b32_e32 v14, 0x3b800000
	v_lshlrev_b32_e32 v6, 20, v6
	v_and_b32_e32 v13, 0x80000000, v13
	v_lshl_add_u32 v12, v12, 23, v14
	v_or3_b32 v6, v13, v12, v6
.LBB3_1704:
	s_or_b64 exec, exec, s[6:7]
	s_nop 0
	v_mfma_f32_16x16x4f32 a[0:3], v2, v6, a[0:3]
	v_lshrrev_b32_e32 v6, 8, v7
	s_movk_i32 s4, 0x7f
	v_cmp_gt_i16_sdwa s[6:7], v6, s4 src0_sel:BYTE_0 src1_sel:DWORD
	s_mov_b64 s[4:5], 0
                                        ; implicit-def: $sgpr10
	s_and_saveexec_b64 s[8:9], s[6:7]
	s_xor_b64 s[6:7], exec, s[8:9]
	s_cbranch_execnz .LBB3_3753
; %bb.1705:
	s_or_saveexec_b64 s[6:7], s[6:7]
	v_mov_b32_e32 v2, s10
	s_xor_b64 exec, exec, s[6:7]
	s_cbranch_execnz .LBB3_3756
.LBB3_1706:
	s_or_b64 exec, exec, s[6:7]
	s_and_saveexec_b64 s[6:7], s[4:5]
	s_cbranch_execz .LBB3_1708
.LBB3_1707:
	v_bfe_u32 v2, v7, 8, 3
	v_ffbh_u32_e32 v13, v2
	v_min_u32_e32 v13, 32, v13
	v_lshrrev_b16_e32 v12, 3, v6
	v_subrev_u32_e32 v14, 28, v13
	v_and_b32_e32 v12, 15, v12
	v_lshlrev_b32_e32 v6, v14, v6
	v_sub_u32_e32 v13, 29, v13
	v_and_b32_e32 v6, 7, v6
	v_cmp_eq_u16_e32 vcc, 0, v12
	v_cndmask_b32_e32 v2, v2, v6, vcc
	v_cndmask_b32_e32 v6, v12, v13, vcc
	v_lshlrev_b32_e32 v12, 16, v7
	v_mov_b32_e32 v13, 0x3b800000
	v_lshlrev_b32_e32 v2, 20, v2
	v_and_b32_e32 v12, 0x80000000, v12
	v_lshl_add_u32 v6, v6, 23, v13
	v_or3_b32 v2, v12, v6, v2
.LBB3_1708:
	s_or_b64 exec, exec, s[6:7]
	v_lshrrev_b32_e32 v6, 8, v3
	s_movk_i32 s4, 0x7f
	v_cmp_gt_i16_sdwa s[6:7], v6, s4 src0_sel:BYTE_0 src1_sel:DWORD
	s_mov_b64 s[4:5], 0
                                        ; implicit-def: $sgpr10
	s_and_saveexec_b64 s[8:9], s[6:7]
	s_xor_b64 s[6:7], exec, s[8:9]
	s_cbranch_execnz .LBB3_3757
; %bb.1709:
	s_or_saveexec_b64 s[6:7], s[6:7]
	v_mov_b32_e32 v12, s10
	s_xor_b64 exec, exec, s[6:7]
	s_cbranch_execnz .LBB3_3760
.LBB3_1710:
	s_or_b64 exec, exec, s[6:7]
	s_and_saveexec_b64 s[6:7], s[4:5]
	s_cbranch_execz .LBB3_1712
.LBB3_1711:
	v_bfe_u32 v12, v3, 8, 3
	v_ffbh_u32_e32 v14, v12
	v_min_u32_e32 v14, 32, v14
	v_lshrrev_b16_e32 v13, 3, v6
	v_subrev_u32_e32 v15, 28, v14
	v_and_b32_e32 v13, 15, v13
	v_lshlrev_b32_e32 v6, v15, v6
	v_sub_u32_e32 v14, 29, v14
	v_and_b32_e32 v6, 7, v6
	v_cmp_eq_u16_e32 vcc, 0, v13
	v_cndmask_b32_e32 v6, v12, v6, vcc
	v_cndmask_b32_e32 v12, v13, v14, vcc
	v_lshlrev_b32_e32 v13, 16, v3
	v_mov_b32_e32 v14, 0x3b800000
	v_lshlrev_b32_e32 v6, 20, v6
	v_and_b32_e32 v13, 0x80000000, v13
	v_lshl_add_u32 v12, v12, 23, v14
	v_or3_b32 v12, v13, v12, v6
.LBB3_1712:
	s_or_b64 exec, exec, s[6:7]
	s_nop 0
	v_mfma_f32_16x16x4f32 a[0:3], v2, v12, a[0:3]
	s_movk_i32 s4, 0xff
	v_and_b32_sdwa v6, v7, s4 dst_sel:DWORD dst_unused:UNUSED_PAD src0_sel:WORD_1 src1_sel:DWORD
	s_movk_i32 s4, 0x7f
	v_cmp_lt_i16_e32 vcc, s4, v6
	s_mov_b64 s[4:5], 0
                                        ; implicit-def: $sgpr10
	s_and_saveexec_b64 s[6:7], vcc
	s_xor_b64 s[6:7], exec, s[6:7]
	s_cbranch_execnz .LBB3_3761
; %bb.1713:
	s_or_saveexec_b64 s[6:7], s[6:7]
	v_mov_b32_e32 v2, s10
	s_xor_b64 exec, exec, s[6:7]
	s_cbranch_execnz .LBB3_3764
.LBB3_1714:
	s_or_b64 exec, exec, s[6:7]
	s_and_saveexec_b64 s[6:7], s[4:5]
	s_cbranch_execz .LBB3_1716
.LBB3_1715:
	v_bfe_u32 v2, v7, 16, 3
	v_ffbh_u32_e32 v13, v2
	v_min_u32_e32 v13, 32, v13
	v_lshrrev_b32_e32 v6, 19, v7
	v_subrev_u32_e32 v14, 28, v13
	v_and_b32_e32 v6, 15, v6
	v_lshlrev_b32_sdwa v14, v14, v7 dst_sel:DWORD dst_unused:UNUSED_PAD src0_sel:DWORD src1_sel:WORD_1
	v_bfe_u32 v12, v7, 19, 4
	v_sub_u32_e32 v13, 29, v13
	v_and_b32_e32 v14, 7, v14
	v_cmp_eq_u16_e32 vcc, 0, v6
	v_cndmask_b32_e32 v2, v2, v14, vcc
	v_cndmask_b32_e32 v6, v12, v13, vcc
	v_lshlrev_b32_e32 v12, 8, v7
	v_mov_b32_e32 v13, 0x3b800000
	v_lshlrev_b32_e32 v2, 20, v2
	v_and_b32_e32 v12, 0x80000000, v12
	v_lshl_add_u32 v6, v6, 23, v13
	v_or3_b32 v2, v12, v6, v2
.LBB3_1716:
	s_or_b64 exec, exec, s[6:7]
	s_movk_i32 s4, 0xff
	v_and_b32_sdwa v6, v3, s4 dst_sel:DWORD dst_unused:UNUSED_PAD src0_sel:WORD_1 src1_sel:DWORD
	s_movk_i32 s4, 0x7f
	v_cmp_lt_i16_e32 vcc, s4, v6
	s_mov_b64 s[4:5], 0
                                        ; implicit-def: $sgpr10
	s_and_saveexec_b64 s[6:7], vcc
	s_xor_b64 s[6:7], exec, s[6:7]
	s_cbranch_execnz .LBB3_3765
; %bb.1717:
	s_or_saveexec_b64 s[6:7], s[6:7]
	v_mov_b32_e32 v12, s10
	s_xor_b64 exec, exec, s[6:7]
	s_cbranch_execnz .LBB3_3768
.LBB3_1718:
	s_or_b64 exec, exec, s[6:7]
	s_and_saveexec_b64 s[6:7], s[4:5]
	s_cbranch_execz .LBB3_1720
.LBB3_1719:
	v_bfe_u32 v6, v3, 16, 3
	v_ffbh_u32_e32 v14, v6
	v_min_u32_e32 v14, 32, v14
	v_lshrrev_b32_e32 v12, 19, v3
	v_subrev_u32_e32 v15, 28, v14
	v_and_b32_e32 v12, 15, v12
	v_lshlrev_b32_sdwa v15, v15, v3 dst_sel:DWORD dst_unused:UNUSED_PAD src0_sel:DWORD src1_sel:WORD_1
	v_bfe_u32 v13, v3, 19, 4
	v_sub_u32_e32 v14, 29, v14
	v_and_b32_e32 v15, 7, v15
	v_cmp_eq_u16_e32 vcc, 0, v12
	v_cndmask_b32_e32 v6, v6, v15, vcc
	v_cndmask_b32_e32 v12, v13, v14, vcc
	v_lshlrev_b32_e32 v13, 8, v3
	v_mov_b32_e32 v14, 0x3b800000
	v_lshlrev_b32_e32 v6, 20, v6
	v_and_b32_e32 v13, 0x80000000, v13
	v_lshl_add_u32 v12, v12, 23, v14
	v_or3_b32 v12, v13, v12, v6
.LBB3_1720:
	s_or_b64 exec, exec, s[6:7]
	s_nop 0
	v_mfma_f32_16x16x4f32 a[0:3], v2, v12, a[0:3]
	s_movk_i32 s4, 0x7f
	v_cmp_gt_i16_sdwa s[6:7], v7, s4 src0_sel:BYTE_3 src1_sel:DWORD
	s_mov_b64 s[4:5], 0
                                        ; implicit-def: $sgpr10
	s_and_saveexec_b64 s[8:9], s[6:7]
	s_xor_b64 s[6:7], exec, s[8:9]
	s_cbranch_execnz .LBB3_3769
; %bb.1721:
	s_or_saveexec_b64 s[6:7], s[6:7]
	v_mov_b32_e32 v2, s10
	s_xor_b64 exec, exec, s[6:7]
	s_cbranch_execnz .LBB3_3772
.LBB3_1722:
	s_or_b64 exec, exec, s[6:7]
	s_and_saveexec_b64 s[6:7], s[4:5]
	s_cbranch_execz .LBB3_1724
.LBB3_1723:
	v_bfe_u32 v2, v7, 24, 3
	v_ffbh_u32_e32 v14, v2
	v_min_u32_e32 v14, 32, v14
	v_lshrrev_b32_e32 v12, 27, v7
	v_subrev_u32_e32 v15, 28, v14
	v_and_b32_e32 v6, 0x80000000, v7
	v_and_b32_e32 v12, 15, v12
	v_bfe_u32 v13, v7, 27, 4
	v_lshlrev_b32_sdwa v7, v15, v7 dst_sel:DWORD dst_unused:UNUSED_PAD src0_sel:DWORD src1_sel:BYTE_3
	v_sub_u32_e32 v14, 29, v14
	v_and_b32_e32 v7, 7, v7
	v_cmp_eq_u16_e32 vcc, 0, v12
	v_cndmask_b32_e32 v2, v2, v7, vcc
	v_cndmask_b32_e32 v7, v13, v14, vcc
	v_mov_b32_e32 v12, 0x3b800000
	v_lshlrev_b32_e32 v2, 20, v2
	v_lshl_add_u32 v7, v7, 23, v12
	v_or3_b32 v2, v6, v7, v2
.LBB3_1724:
	s_or_b64 exec, exec, s[6:7]
	s_movk_i32 s4, 0x7f
	v_cmp_gt_i16_sdwa s[6:7], v3, s4 src0_sel:BYTE_3 src1_sel:DWORD
	s_mov_b64 s[4:5], 0
                                        ; implicit-def: $sgpr10
	s_and_saveexec_b64 s[8:9], s[6:7]
	s_xor_b64 s[6:7], exec, s[8:9]
	s_cbranch_execnz .LBB3_3773
; %bb.1725:
	s_or_saveexec_b64 s[6:7], s[6:7]
	v_mov_b32_e32 v6, s10
	s_xor_b64 exec, exec, s[6:7]
	s_cbranch_execnz .LBB3_3776
.LBB3_1726:
	s_or_b64 exec, exec, s[6:7]
	s_and_saveexec_b64 s[6:7], s[4:5]
	s_cbranch_execz .LBB3_1728
.LBB3_1727:
	v_bfe_u32 v6, v3, 24, 3
	v_ffbh_u32_e32 v14, v6
	v_min_u32_e32 v14, 32, v14
	v_lshrrev_b32_e32 v12, 27, v3
	v_subrev_u32_e32 v15, 28, v14
	v_and_b32_e32 v7, 0x80000000, v3
	v_and_b32_e32 v12, 15, v12
	v_bfe_u32 v13, v3, 27, 4
	v_lshlrev_b32_sdwa v3, v15, v3 dst_sel:DWORD dst_unused:UNUSED_PAD src0_sel:DWORD src1_sel:BYTE_3
	v_sub_u32_e32 v14, 29, v14
	v_and_b32_e32 v3, 7, v3
	v_cmp_eq_u16_e32 vcc, 0, v12
	v_cndmask_b32_e32 v3, v6, v3, vcc
	v_cndmask_b32_e32 v6, v13, v14, vcc
	v_mov_b32_e32 v12, 0x3b800000
	v_lshlrev_b32_e32 v3, 20, v3
	v_lshl_add_u32 v6, v6, 23, v12
	v_or3_b32 v6, v7, v6, v3
.LBB3_1728:
	s_or_b64 exec, exec, s[6:7]
	s_nop 0
	v_mfma_f32_16x16x4f32 a[0:3], v2, v6, a[0:3]
	s_movk_i32 s4, 0x7f
	v_cmp_gt_i16_sdwa s[6:7], v8, s4 src0_sel:BYTE_0 src1_sel:DWORD
	s_mov_b64 s[4:5], 0
                                        ; implicit-def: $sgpr10
	s_and_saveexec_b64 s[8:9], s[6:7]
	s_xor_b64 s[6:7], exec, s[8:9]
	s_cbranch_execnz .LBB3_3777
; %bb.1729:
	s_or_saveexec_b64 s[6:7], s[6:7]
	v_mov_b32_e32 v2, s10
	s_xor_b64 exec, exec, s[6:7]
	s_cbranch_execnz .LBB3_3780
.LBB3_1730:
	s_or_b64 exec, exec, s[6:7]
	s_and_saveexec_b64 s[6:7], s[4:5]
	s_cbranch_execz .LBB3_1732
.LBB3_1731:
	v_and_b32_e32 v2, 7, v8
	v_ffbh_u32_e32 v6, v2
	v_min_u32_e32 v6, 32, v6
	v_lshrrev_b16_e32 v3, 3, v8
	v_subrev_u32_e32 v7, 28, v6
	v_and_b32_e32 v3, 15, v3
	v_lshlrev_b32_e32 v7, v7, v8
	v_sub_u32_e32 v6, 29, v6
	v_and_b32_e32 v7, 7, v7
	v_cmp_eq_u16_e32 vcc, 0, v3
	v_cndmask_b32_e32 v2, v2, v7, vcc
	v_cndmask_b32_e32 v3, v3, v6, vcc
	v_lshlrev_b32_e32 v6, 24, v8
	v_mov_b32_e32 v7, 0x3b800000
	v_lshlrev_b32_e32 v2, 20, v2
	v_and_b32_e32 v6, 0x80000000, v6
	v_lshl_add_u32 v3, v3, 23, v7
	v_or3_b32 v2, v6, v3, v2
.LBB3_1732:
	s_or_b64 exec, exec, s[6:7]
	s_movk_i32 s4, 0x7f
	v_cmp_gt_i16_sdwa s[6:7], v4, s4 src0_sel:BYTE_0 src1_sel:DWORD
	s_mov_b64 s[4:5], 0
                                        ; implicit-def: $sgpr10
	s_and_saveexec_b64 s[8:9], s[6:7]
	s_xor_b64 s[6:7], exec, s[8:9]
	s_cbranch_execnz .LBB3_3781
; %bb.1733:
	s_or_saveexec_b64 s[6:7], s[6:7]
	v_mov_b32_e32 v3, s10
	s_xor_b64 exec, exec, s[6:7]
	s_cbranch_execnz .LBB3_3784
.LBB3_1734:
	s_or_b64 exec, exec, s[6:7]
	s_and_saveexec_b64 s[6:7], s[4:5]
	s_cbranch_execz .LBB3_1736
.LBB3_1735:
	v_and_b32_e32 v3, 7, v4
	v_ffbh_u32_e32 v7, v3
	v_min_u32_e32 v7, 32, v7
	v_lshrrev_b16_e32 v6, 3, v4
	v_subrev_u32_e32 v12, 28, v7
	v_and_b32_e32 v6, 15, v6
	v_lshlrev_b32_e32 v12, v12, v4
	v_sub_u32_e32 v7, 29, v7
	v_and_b32_e32 v12, 7, v12
	v_cmp_eq_u16_e32 vcc, 0, v6
	v_cndmask_b32_e32 v3, v3, v12, vcc
	v_cndmask_b32_e32 v6, v6, v7, vcc
	v_lshlrev_b32_e32 v7, 24, v4
	v_mov_b32_e32 v12, 0x3b800000
	v_lshlrev_b32_e32 v3, 20, v3
	v_and_b32_e32 v7, 0x80000000, v7
	v_lshl_add_u32 v6, v6, 23, v12
	v_or3_b32 v3, v7, v6, v3
.LBB3_1736:
	s_or_b64 exec, exec, s[6:7]
	s_nop 0
	v_mfma_f32_16x16x4f32 a[0:3], v2, v3, a[0:3]
	v_lshrrev_b32_e32 v3, 8, v8
	s_movk_i32 s4, 0x7f
	v_cmp_gt_i16_sdwa s[6:7], v3, s4 src0_sel:BYTE_0 src1_sel:DWORD
	s_mov_b64 s[4:5], 0
                                        ; implicit-def: $sgpr10
	s_and_saveexec_b64 s[8:9], s[6:7]
	s_xor_b64 s[6:7], exec, s[8:9]
	s_cbranch_execnz .LBB3_3785
; %bb.1737:
	s_or_saveexec_b64 s[6:7], s[6:7]
	v_mov_b32_e32 v2, s10
	s_xor_b64 exec, exec, s[6:7]
	s_cbranch_execnz .LBB3_3788
.LBB3_1738:
	s_or_b64 exec, exec, s[6:7]
	s_and_saveexec_b64 s[6:7], s[4:5]
	s_cbranch_execz .LBB3_1740
.LBB3_1739:
	v_bfe_u32 v2, v8, 8, 3
	v_ffbh_u32_e32 v7, v2
	v_min_u32_e32 v7, 32, v7
	v_lshrrev_b16_e32 v6, 3, v3
	v_subrev_u32_e32 v12, 28, v7
	v_and_b32_e32 v6, 15, v6
	v_lshlrev_b32_e32 v3, v12, v3
	v_sub_u32_e32 v7, 29, v7
	v_and_b32_e32 v3, 7, v3
	v_cmp_eq_u16_e32 vcc, 0, v6
	v_cndmask_b32_e32 v2, v2, v3, vcc
	v_cndmask_b32_e32 v3, v6, v7, vcc
	v_lshlrev_b32_e32 v6, 16, v8
	v_mov_b32_e32 v7, 0x3b800000
	v_lshlrev_b32_e32 v2, 20, v2
	v_and_b32_e32 v6, 0x80000000, v6
	v_lshl_add_u32 v3, v3, 23, v7
	v_or3_b32 v2, v6, v3, v2
.LBB3_1740:
	s_or_b64 exec, exec, s[6:7]
	v_lshrrev_b32_e32 v3, 8, v4
	s_movk_i32 s4, 0x7f
	v_cmp_gt_i16_sdwa s[6:7], v3, s4 src0_sel:BYTE_0 src1_sel:DWORD
	s_mov_b64 s[4:5], 0
                                        ; implicit-def: $sgpr10
	s_and_saveexec_b64 s[8:9], s[6:7]
	s_xor_b64 s[6:7], exec, s[8:9]
	s_cbranch_execnz .LBB3_3789
; %bb.1741:
	s_or_saveexec_b64 s[6:7], s[6:7]
	v_mov_b32_e32 v6, s10
	s_xor_b64 exec, exec, s[6:7]
	s_cbranch_execnz .LBB3_3792
.LBB3_1742:
	s_or_b64 exec, exec, s[6:7]
	s_and_saveexec_b64 s[6:7], s[4:5]
	s_cbranch_execz .LBB3_1744
.LBB3_1743:
	v_bfe_u32 v6, v4, 8, 3
	v_ffbh_u32_e32 v12, v6
	v_min_u32_e32 v12, 32, v12
	v_lshrrev_b16_e32 v7, 3, v3
	v_subrev_u32_e32 v13, 28, v12
	v_and_b32_e32 v7, 15, v7
	v_lshlrev_b32_e32 v3, v13, v3
	v_sub_u32_e32 v12, 29, v12
	v_and_b32_e32 v3, 7, v3
	v_cmp_eq_u16_e32 vcc, 0, v7
	v_cndmask_b32_e32 v3, v6, v3, vcc
	v_cndmask_b32_e32 v6, v7, v12, vcc
	v_lshlrev_b32_e32 v7, 16, v4
	v_mov_b32_e32 v12, 0x3b800000
	v_lshlrev_b32_e32 v3, 20, v3
	v_and_b32_e32 v7, 0x80000000, v7
	v_lshl_add_u32 v6, v6, 23, v12
	v_or3_b32 v6, v7, v6, v3
.LBB3_1744:
	s_or_b64 exec, exec, s[6:7]
	s_nop 0
	v_mfma_f32_16x16x4f32 a[0:3], v2, v6, a[0:3]
	s_movk_i32 s4, 0xff
	v_and_b32_sdwa v3, v8, s4 dst_sel:DWORD dst_unused:UNUSED_PAD src0_sel:WORD_1 src1_sel:DWORD
	s_movk_i32 s4, 0x7f
	v_cmp_lt_i16_e32 vcc, s4, v3
	s_mov_b64 s[4:5], 0
                                        ; implicit-def: $sgpr10
	s_and_saveexec_b64 s[6:7], vcc
	s_xor_b64 s[6:7], exec, s[6:7]
	s_cbranch_execnz .LBB3_3793
; %bb.1745:
	s_or_saveexec_b64 s[6:7], s[6:7]
	v_mov_b32_e32 v2, s10
	s_xor_b64 exec, exec, s[6:7]
	s_cbranch_execnz .LBB3_3796
.LBB3_1746:
	s_or_b64 exec, exec, s[6:7]
	s_and_saveexec_b64 s[6:7], s[4:5]
	s_cbranch_execz .LBB3_1748
.LBB3_1747:
	v_bfe_u32 v2, v8, 16, 3
	v_ffbh_u32_e32 v7, v2
	v_min_u32_e32 v7, 32, v7
	v_lshrrev_b32_e32 v3, 19, v8
	v_subrev_u32_e32 v12, 28, v7
	v_and_b32_e32 v3, 15, v3
	v_lshlrev_b32_sdwa v12, v12, v8 dst_sel:DWORD dst_unused:UNUSED_PAD src0_sel:DWORD src1_sel:WORD_1
	v_bfe_u32 v6, v8, 19, 4
	v_sub_u32_e32 v7, 29, v7
	v_and_b32_e32 v12, 7, v12
	v_cmp_eq_u16_e32 vcc, 0, v3
	v_cndmask_b32_e32 v2, v2, v12, vcc
	v_cndmask_b32_e32 v3, v6, v7, vcc
	v_lshlrev_b32_e32 v6, 8, v8
	v_mov_b32_e32 v7, 0x3b800000
	v_lshlrev_b32_e32 v2, 20, v2
	v_and_b32_e32 v6, 0x80000000, v6
	v_lshl_add_u32 v3, v3, 23, v7
	v_or3_b32 v2, v6, v3, v2
.LBB3_1748:
	s_or_b64 exec, exec, s[6:7]
	s_movk_i32 s4, 0xff
	v_and_b32_sdwa v3, v4, s4 dst_sel:DWORD dst_unused:UNUSED_PAD src0_sel:WORD_1 src1_sel:DWORD
	s_movk_i32 s4, 0x7f
	v_cmp_lt_i16_e32 vcc, s4, v3
	s_mov_b64 s[4:5], 0
                                        ; implicit-def: $sgpr10
	s_and_saveexec_b64 s[6:7], vcc
	s_xor_b64 s[6:7], exec, s[6:7]
	s_cbranch_execnz .LBB3_3797
; %bb.1749:
	s_or_saveexec_b64 s[6:7], s[6:7]
	v_mov_b32_e32 v6, s10
	s_xor_b64 exec, exec, s[6:7]
	s_cbranch_execnz .LBB3_3800
.LBB3_1750:
	s_or_b64 exec, exec, s[6:7]
	s_and_saveexec_b64 s[6:7], s[4:5]
	s_cbranch_execz .LBB3_1752
.LBB3_1751:
	v_bfe_u32 v3, v4, 16, 3
	v_ffbh_u32_e32 v12, v3
	v_min_u32_e32 v12, 32, v12
	v_lshrrev_b32_e32 v6, 19, v4
	v_subrev_u32_e32 v13, 28, v12
	v_and_b32_e32 v6, 15, v6
	v_lshlrev_b32_sdwa v13, v13, v4 dst_sel:DWORD dst_unused:UNUSED_PAD src0_sel:DWORD src1_sel:WORD_1
	v_bfe_u32 v7, v4, 19, 4
	v_sub_u32_e32 v12, 29, v12
	v_and_b32_e32 v13, 7, v13
	v_cmp_eq_u16_e32 vcc, 0, v6
	v_cndmask_b32_e32 v3, v3, v13, vcc
	v_cndmask_b32_e32 v6, v7, v12, vcc
	v_lshlrev_b32_e32 v7, 8, v4
	v_mov_b32_e32 v12, 0x3b800000
	v_lshlrev_b32_e32 v3, 20, v3
	v_and_b32_e32 v7, 0x80000000, v7
	v_lshl_add_u32 v6, v6, 23, v12
	v_or3_b32 v6, v7, v6, v3
.LBB3_1752:
	s_or_b64 exec, exec, s[6:7]
	s_nop 0
	v_mfma_f32_16x16x4f32 a[0:3], v2, v6, a[0:3]
	s_movk_i32 s4, 0x7f
	v_cmp_gt_i16_sdwa s[6:7], v8, s4 src0_sel:BYTE_3 src1_sel:DWORD
	s_mov_b64 s[4:5], 0
                                        ; implicit-def: $sgpr10
	s_and_saveexec_b64 s[8:9], s[6:7]
	s_xor_b64 s[6:7], exec, s[8:9]
	s_cbranch_execnz .LBB3_3801
; %bb.1753:
	s_or_saveexec_b64 s[6:7], s[6:7]
	v_mov_b32_e32 v2, s10
	s_xor_b64 exec, exec, s[6:7]
	s_cbranch_execnz .LBB3_3804
.LBB3_1754:
	s_or_b64 exec, exec, s[6:7]
	s_and_saveexec_b64 s[6:7], s[4:5]
	s_cbranch_execz .LBB3_1756
.LBB3_1755:
	v_bfe_u32 v2, v8, 24, 3
	v_ffbh_u32_e32 v12, v2
	v_min_u32_e32 v12, 32, v12
	v_lshrrev_b32_e32 v6, 27, v8
	v_subrev_u32_e32 v13, 28, v12
	v_and_b32_e32 v3, 0x80000000, v8
	v_and_b32_e32 v6, 15, v6
	v_bfe_u32 v7, v8, 27, 4
	v_lshlrev_b32_sdwa v8, v13, v8 dst_sel:DWORD dst_unused:UNUSED_PAD src0_sel:DWORD src1_sel:BYTE_3
	v_sub_u32_e32 v12, 29, v12
	v_and_b32_e32 v8, 7, v8
	v_cmp_eq_u16_e32 vcc, 0, v6
	v_cndmask_b32_e32 v2, v2, v8, vcc
	v_cndmask_b32_e32 v6, v7, v12, vcc
	v_mov_b32_e32 v7, 0x3b800000
	v_lshlrev_b32_e32 v2, 20, v2
	v_lshl_add_u32 v6, v6, 23, v7
	v_or3_b32 v2, v3, v6, v2
.LBB3_1756:
	s_or_b64 exec, exec, s[6:7]
	s_movk_i32 s4, 0x7f
	v_cmp_gt_i16_sdwa s[6:7], v4, s4 src0_sel:BYTE_3 src1_sel:DWORD
	s_mov_b64 s[4:5], 0
                                        ; implicit-def: $sgpr10
	s_and_saveexec_b64 s[8:9], s[6:7]
	s_xor_b64 s[6:7], exec, s[8:9]
	s_cbranch_execnz .LBB3_3805
; %bb.1757:
	s_or_saveexec_b64 s[6:7], s[6:7]
	v_mov_b32_e32 v3, s10
	s_xor_b64 exec, exec, s[6:7]
	s_cbranch_execnz .LBB3_3808
.LBB3_1758:
	s_or_b64 exec, exec, s[6:7]
	s_and_saveexec_b64 s[6:7], s[4:5]
	s_cbranch_execz .LBB3_1760
.LBB3_1759:
	v_bfe_u32 v3, v4, 24, 3
	v_ffbh_u32_e32 v12, v3
	v_min_u32_e32 v12, 32, v12
	v_lshrrev_b32_e32 v7, 27, v4
	v_subrev_u32_e32 v13, 28, v12
	v_and_b32_e32 v6, 0x80000000, v4
	v_and_b32_e32 v7, 15, v7
	v_bfe_u32 v8, v4, 27, 4
	v_lshlrev_b32_sdwa v4, v13, v4 dst_sel:DWORD dst_unused:UNUSED_PAD src0_sel:DWORD src1_sel:BYTE_3
	v_sub_u32_e32 v12, 29, v12
	v_and_b32_e32 v4, 7, v4
	v_cmp_eq_u16_e32 vcc, 0, v7
	v_cndmask_b32_e32 v3, v3, v4, vcc
	v_cndmask_b32_e32 v4, v8, v12, vcc
	v_mov_b32_e32 v7, 0x3b800000
	v_lshlrev_b32_e32 v3, 20, v3
	v_lshl_add_u32 v4, v4, 23, v7
	v_or3_b32 v3, v6, v4, v3
.LBB3_1760:
	s_or_b64 exec, exec, s[6:7]
	s_nop 0
	v_mfma_f32_16x16x4f32 a[0:3], v2, v3, a[0:3]
	s_movk_i32 s4, 0x7f
	v_cmp_gt_i16_sdwa s[6:7], v9, s4 src0_sel:BYTE_0 src1_sel:DWORD
	s_mov_b64 s[4:5], 0
                                        ; implicit-def: $sgpr10
	s_and_saveexec_b64 s[8:9], s[6:7]
	s_xor_b64 s[6:7], exec, s[8:9]
	s_cbranch_execnz .LBB3_3809
; %bb.1761:
	s_or_saveexec_b64 s[6:7], s[6:7]
	v_mov_b32_e32 v2, s10
	s_xor_b64 exec, exec, s[6:7]
	s_cbranch_execnz .LBB3_3812
.LBB3_1762:
	s_or_b64 exec, exec, s[6:7]
	s_and_saveexec_b64 s[6:7], s[4:5]
	s_cbranch_execz .LBB3_1764
.LBB3_1763:
	v_mov_b32_e32 v2, 8
	v_and_b32_e32 v3, 7, v9
	v_lshrrev_b32_sdwa v2, v2, v9 dst_sel:BYTE_1 dst_unused:UNUSED_PAD src0_sel:DWORD src1_sel:DWORD
	v_ffbh_u32_e32 v4, v3
	v_or_b32_sdwa v2, v9, v2 dst_sel:DWORD dst_unused:UNUSED_PAD src0_sel:BYTE_0 src1_sel:DWORD
	v_min_u32_e32 v4, 32, v4
	v_lshrrev_b16_e32 v2, 3, v2
	v_subrev_u32_e32 v6, 28, v4
	v_and_b32_e32 v2, 15, v2
	v_lshlrev_b32_e32 v6, v6, v9
	v_sub_u32_e32 v4, 29, v4
	v_and_b32_e32 v6, 7, v6
	v_cmp_eq_u16_e32 vcc, 0, v2
	v_cndmask_b32_e32 v3, v3, v6, vcc
	v_cndmask_b32_e32 v2, v2, v4, vcc
	v_lshlrev_b32_e32 v4, 24, v9
	v_mov_b32_e32 v6, 0x3b800000
	v_lshlrev_b32_e32 v3, 20, v3
	v_and_b32_e32 v4, 0x80000000, v4
	v_lshl_add_u32 v2, v2, 23, v6
	v_or3_b32 v2, v4, v2, v3
.LBB3_1764:
	s_or_b64 exec, exec, s[6:7]
	s_movk_i32 s4, 0x7f
	v_cmp_gt_i16_sdwa s[6:7], v5, s4 src0_sel:BYTE_0 src1_sel:DWORD
	s_mov_b64 s[4:5], 0
                                        ; implicit-def: $sgpr10
	s_and_saveexec_b64 s[8:9], s[6:7]
	s_xor_b64 s[6:7], exec, s[8:9]
	s_cbranch_execnz .LBB3_3813
; %bb.1765:
	s_or_saveexec_b64 s[6:7], s[6:7]
	v_mov_b32_e32 v3, s10
	s_xor_b64 exec, exec, s[6:7]
	s_cbranch_execnz .LBB3_3816
.LBB3_1766:
	s_or_b64 exec, exec, s[6:7]
	s_and_saveexec_b64 s[6:7], s[4:5]
	s_cbranch_execz .LBB3_1768
.LBB3_1767:
	v_mov_b32_e32 v3, 8
	v_and_b32_e32 v4, 7, v5
	v_lshrrev_b32_sdwa v3, v3, v5 dst_sel:BYTE_1 dst_unused:UNUSED_PAD src0_sel:DWORD src1_sel:DWORD
	v_ffbh_u32_e32 v6, v4
	v_or_b32_sdwa v3, v5, v3 dst_sel:DWORD dst_unused:UNUSED_PAD src0_sel:BYTE_0 src1_sel:DWORD
	v_min_u32_e32 v6, 32, v6
	v_lshrrev_b16_e32 v3, 3, v3
	v_subrev_u32_e32 v7, 28, v6
	v_and_b32_e32 v3, 15, v3
	v_lshlrev_b32_e32 v7, v7, v5
	v_sub_u32_e32 v6, 29, v6
	v_and_b32_e32 v7, 7, v7
	v_cmp_eq_u16_e32 vcc, 0, v3
	v_cndmask_b32_e32 v4, v4, v7, vcc
	v_cndmask_b32_e32 v3, v3, v6, vcc
	v_lshlrev_b32_e32 v6, 24, v5
	v_mov_b32_e32 v7, 0x3b800000
	v_lshlrev_b32_e32 v4, 20, v4
	v_and_b32_e32 v6, 0x80000000, v6
	v_lshl_add_u32 v3, v3, 23, v7
	v_or3_b32 v3, v6, v3, v4
.LBB3_1768:
	s_or_b64 exec, exec, s[6:7]
	s_nop 0
	v_mfma_f32_16x16x4f32 a[0:3], v2, v3, a[0:3]
	v_lshrrev_b32_e32 v3, 8, v9
	s_movk_i32 s4, 0x7f
	v_cmp_gt_i16_sdwa s[6:7], v3, s4 src0_sel:BYTE_0 src1_sel:DWORD
	s_mov_b64 s[4:5], 0
                                        ; implicit-def: $sgpr10
	s_and_saveexec_b64 s[8:9], s[6:7]
	s_xor_b64 s[6:7], exec, s[8:9]
	s_cbranch_execnz .LBB3_3817
; %bb.1769:
	s_or_saveexec_b64 s[6:7], s[6:7]
	v_mov_b32_e32 v2, s10
	s_xor_b64 exec, exec, s[6:7]
	s_cbranch_execnz .LBB3_3820
.LBB3_1770:
	s_or_b64 exec, exec, s[6:7]
	s_and_saveexec_b64 s[6:7], s[4:5]
	s_cbranch_execz .LBB3_1772
.LBB3_1771:
	v_bfe_u32 v2, v9, 8, 3
	v_ffbh_u32_e32 v6, v2
	v_min_u32_e32 v6, 32, v6
	v_lshrrev_b16_e32 v4, 3, v3
	v_subrev_u32_e32 v7, 28, v6
	v_and_b32_e32 v4, 15, v4
	v_lshlrev_b32_e32 v3, v7, v3
	v_sub_u32_e32 v6, 29, v6
	v_and_b32_e32 v3, 7, v3
	v_cmp_eq_u16_e32 vcc, 0, v4
	v_cndmask_b32_e32 v2, v2, v3, vcc
	v_cndmask_b32_e32 v3, v4, v6, vcc
	v_lshlrev_b32_e32 v4, 16, v9
	v_mov_b32_e32 v6, 0x3b800000
	v_lshlrev_b32_e32 v2, 20, v2
	v_and_b32_e32 v4, 0x80000000, v4
	v_lshl_add_u32 v3, v3, 23, v6
	v_or3_b32 v2, v4, v3, v2
.LBB3_1772:
	s_or_b64 exec, exec, s[6:7]
	v_lshrrev_b32_e32 v3, 8, v5
	s_movk_i32 s4, 0x7f
	v_cmp_gt_i16_sdwa s[6:7], v3, s4 src0_sel:BYTE_0 src1_sel:DWORD
	s_mov_b64 s[4:5], 0
                                        ; implicit-def: $sgpr10
	s_and_saveexec_b64 s[8:9], s[6:7]
	s_xor_b64 s[6:7], exec, s[8:9]
	s_cbranch_execnz .LBB3_3821
; %bb.1773:
	s_or_saveexec_b64 s[6:7], s[6:7]
	v_mov_b32_e32 v4, s10
	s_xor_b64 exec, exec, s[6:7]
	s_cbranch_execnz .LBB3_3824
.LBB3_1774:
	s_or_b64 exec, exec, s[6:7]
	s_and_saveexec_b64 s[6:7], s[4:5]
	s_cbranch_execz .LBB3_1776
.LBB3_1775:
	v_bfe_u32 v4, v5, 8, 3
	v_ffbh_u32_e32 v7, v4
	v_min_u32_e32 v7, 32, v7
	v_lshrrev_b16_e32 v6, 3, v3
	v_subrev_u32_e32 v8, 28, v7
	v_and_b32_e32 v6, 15, v6
	v_lshlrev_b32_e32 v3, v8, v3
	v_sub_u32_e32 v7, 29, v7
	v_and_b32_e32 v3, 7, v3
	v_cmp_eq_u16_e32 vcc, 0, v6
	v_cndmask_b32_e32 v3, v4, v3, vcc
	v_cndmask_b32_e32 v4, v6, v7, vcc
	v_lshlrev_b32_e32 v6, 16, v5
	v_mov_b32_e32 v7, 0x3b800000
	v_lshlrev_b32_e32 v3, 20, v3
	v_and_b32_e32 v6, 0x80000000, v6
	v_lshl_add_u32 v4, v4, 23, v7
	v_or3_b32 v4, v6, v4, v3
.LBB3_1776:
	s_or_b64 exec, exec, s[6:7]
	s_nop 0
	v_mfma_f32_16x16x4f32 a[0:3], v2, v4, a[0:3]
	s_movk_i32 s4, 0xff
	v_and_b32_sdwa v3, v9, s4 dst_sel:DWORD dst_unused:UNUSED_PAD src0_sel:WORD_1 src1_sel:DWORD
	s_movk_i32 s4, 0x7f
	v_cmp_lt_i16_e32 vcc, s4, v3
	s_mov_b64 s[4:5], 0
                                        ; implicit-def: $sgpr10
	s_and_saveexec_b64 s[6:7], vcc
	s_xor_b64 s[6:7], exec, s[6:7]
	s_cbranch_execnz .LBB3_3825
; %bb.1777:
	s_or_saveexec_b64 s[6:7], s[6:7]
	v_mov_b32_e32 v2, s10
	s_xor_b64 exec, exec, s[6:7]
	s_cbranch_execnz .LBB3_3828
.LBB3_1778:
	s_or_b64 exec, exec, s[6:7]
	s_and_saveexec_b64 s[6:7], s[4:5]
	s_cbranch_execz .LBB3_1780
.LBB3_1779:
	v_bfe_u32 v2, v9, 16, 3
	v_ffbh_u32_e32 v6, v2
	v_min_u32_e32 v6, 32, v6
	v_lshrrev_b32_e32 v3, 19, v9
	v_subrev_u32_e32 v7, 28, v6
	v_and_b32_e32 v3, 15, v3
	v_lshlrev_b32_sdwa v7, v7, v9 dst_sel:DWORD dst_unused:UNUSED_PAD src0_sel:DWORD src1_sel:WORD_1
	v_bfe_u32 v4, v9, 19, 4
	v_sub_u32_e32 v6, 29, v6
	v_and_b32_e32 v7, 7, v7
	v_cmp_eq_u16_e32 vcc, 0, v3
	v_cndmask_b32_e32 v2, v2, v7, vcc
	v_cndmask_b32_e32 v3, v4, v6, vcc
	v_lshlrev_b32_e32 v4, 8, v9
	v_mov_b32_e32 v6, 0x3b800000
	v_lshlrev_b32_e32 v2, 20, v2
	v_and_b32_e32 v4, 0x80000000, v4
	v_lshl_add_u32 v3, v3, 23, v6
	v_or3_b32 v2, v4, v3, v2
.LBB3_1780:
	s_or_b64 exec, exec, s[6:7]
	s_movk_i32 s4, 0xff
	v_and_b32_sdwa v3, v5, s4 dst_sel:DWORD dst_unused:UNUSED_PAD src0_sel:WORD_1 src1_sel:DWORD
	s_movk_i32 s4, 0x7f
	v_cmp_lt_i16_e32 vcc, s4, v3
	s_mov_b64 s[4:5], 0
                                        ; implicit-def: $sgpr10
	s_and_saveexec_b64 s[6:7], vcc
	s_xor_b64 s[6:7], exec, s[6:7]
	s_cbranch_execnz .LBB3_3829
; %bb.1781:
	s_or_saveexec_b64 s[6:7], s[6:7]
	v_mov_b32_e32 v4, s10
	s_xor_b64 exec, exec, s[6:7]
	s_cbranch_execnz .LBB3_3832
.LBB3_1782:
	s_or_b64 exec, exec, s[6:7]
	s_and_saveexec_b64 s[6:7], s[4:5]
	s_cbranch_execz .LBB3_1784
.LBB3_1783:
	v_bfe_u32 v3, v5, 16, 3
	v_ffbh_u32_e32 v7, v3
	v_min_u32_e32 v7, 32, v7
	v_lshrrev_b32_e32 v4, 19, v5
	v_subrev_u32_e32 v8, 28, v7
	v_and_b32_e32 v4, 15, v4
	v_lshlrev_b32_sdwa v8, v8, v5 dst_sel:DWORD dst_unused:UNUSED_PAD src0_sel:DWORD src1_sel:WORD_1
	v_bfe_u32 v6, v5, 19, 4
	v_sub_u32_e32 v7, 29, v7
	v_and_b32_e32 v8, 7, v8
	v_cmp_eq_u16_e32 vcc, 0, v4
	v_cndmask_b32_e32 v3, v3, v8, vcc
	v_cndmask_b32_e32 v4, v6, v7, vcc
	v_lshlrev_b32_e32 v6, 8, v5
	v_mov_b32_e32 v7, 0x3b800000
	v_lshlrev_b32_e32 v3, 20, v3
	v_and_b32_e32 v6, 0x80000000, v6
	v_lshl_add_u32 v4, v4, 23, v7
	v_or3_b32 v4, v6, v4, v3
.LBB3_1784:
	s_or_b64 exec, exec, s[6:7]
	s_nop 0
	v_mfma_f32_16x16x4f32 a[0:3], v2, v4, a[0:3]
	s_movk_i32 s4, 0x7f
	v_cmp_gt_i16_sdwa s[6:7], v9, s4 src0_sel:BYTE_3 src1_sel:DWORD
	s_mov_b64 s[4:5], 0
                                        ; implicit-def: $sgpr10
	s_and_saveexec_b64 s[8:9], s[6:7]
	s_xor_b64 s[6:7], exec, s[8:9]
	s_cbranch_execnz .LBB3_3833
; %bb.1785:
	s_or_saveexec_b64 s[6:7], s[6:7]
	v_mov_b32_e32 v2, s10
	s_xor_b64 exec, exec, s[6:7]
	s_cbranch_execnz .LBB3_3836
.LBB3_1786:
	s_or_b64 exec, exec, s[6:7]
	s_and_saveexec_b64 s[6:7], s[4:5]
	s_cbranch_execz .LBB3_1788
.LBB3_1787:
	v_bfe_u32 v2, v9, 24, 3
	v_ffbh_u32_e32 v7, v2
	v_min_u32_e32 v7, 32, v7
	v_lshrrev_b32_e32 v4, 27, v9
	v_subrev_u32_e32 v8, 28, v7
	v_and_b32_e32 v4, 15, v4
	v_lshlrev_b32_sdwa v8, v8, v9 dst_sel:DWORD dst_unused:UNUSED_PAD src0_sel:DWORD src1_sel:BYTE_3
	v_bfe_u32 v6, v9, 27, 4
	v_sub_u32_e32 v7, 29, v7
	v_and_b32_e32 v8, 7, v8
	v_cmp_eq_u16_e32 vcc, 0, v4
	v_cndmask_b32_e32 v2, v2, v8, vcc
	v_cndmask_b32_e32 v4, v6, v7, vcc
	v_mov_b32_e32 v6, 0x3b800000
	v_and_b32_e32 v3, 0x80000000, v9
	v_lshlrev_b32_e32 v2, 20, v2
	v_lshl_add_u32 v4, v4, 23, v6
	v_or3_b32 v2, v3, v4, v2
.LBB3_1788:
	s_or_b64 exec, exec, s[6:7]
	s_movk_i32 s4, 0x7f
	v_cmp_gt_i16_sdwa s[6:7], v5, s4 src0_sel:BYTE_3 src1_sel:DWORD
	s_mov_b64 s[4:5], 0
                                        ; implicit-def: $sgpr10
	s_and_saveexec_b64 s[8:9], s[6:7]
	s_xor_b64 s[6:7], exec, s[8:9]
	s_cbranch_execnz .LBB3_3837
; %bb.1789:
	s_or_saveexec_b64 s[6:7], s[6:7]
	v_mov_b32_e32 v3, s10
	s_xor_b64 exec, exec, s[6:7]
	s_cbranch_execnz .LBB3_3840
.LBB3_1790:
	s_or_b64 exec, exec, s[6:7]
	s_and_saveexec_b64 s[6:7], s[4:5]
	s_cbranch_execz .LBB3_1792
.LBB3_1791:
	v_bfe_u32 v3, v5, 24, 3
	v_ffbh_u32_e32 v8, v3
	v_min_u32_e32 v8, 32, v8
	v_lshrrev_b32_e32 v6, 27, v5
	v_subrev_u32_e32 v9, 28, v8
	v_and_b32_e32 v4, 0x80000000, v5
	v_and_b32_e32 v6, 15, v6
	v_bfe_u32 v7, v5, 27, 4
	v_lshlrev_b32_sdwa v5, v9, v5 dst_sel:DWORD dst_unused:UNUSED_PAD src0_sel:DWORD src1_sel:BYTE_3
	v_sub_u32_e32 v8, 29, v8
	v_and_b32_e32 v5, 7, v5
	v_cmp_eq_u16_e32 vcc, 0, v6
	v_cndmask_b32_e32 v3, v3, v5, vcc
	v_cndmask_b32_e32 v5, v7, v8, vcc
	v_mov_b32_e32 v6, 0x3b800000
	v_lshlrev_b32_e32 v3, 20, v3
	v_lshl_add_u32 v5, v5, 23, v6
	v_or3_b32 v3, v4, v5, v3
.LBB3_1792:
	s_or_b64 exec, exec, s[6:7]
	s_nop 0
	v_mfma_f32_16x16x4f32 a[0:3], v2, v3, a[0:3]
	s_movk_i32 s4, 0x7f
                                        ; implicit-def: $sgpr10
	s_nop 7
	s_nop 1
	flat_store_dwordx4 v[10:11], a[0:3] offset:208
	flat_load_dwordx4 v[12:15], v[0:1] offset:8
	s_nop 0
	flat_load_dwordx2 v[10:11], v[0:1] offset:32
	s_waitcnt vmcnt(0) lgkmcnt(0)
	flat_load_dwordx4 v[6:9], v[12:13] offset:96
	flat_load_dwordx4 v[2:5], v[14:15] offset:64
	s_waitcnt vmcnt(0) lgkmcnt(0)
	v_cmp_gt_i16_sdwa s[6:7], v6, s4 src0_sel:BYTE_0 src1_sel:DWORD
	s_mov_b64 s[4:5], 0
	s_and_saveexec_b64 s[8:9], s[6:7]
	s_xor_b64 s[6:7], exec, s[8:9]
	s_cbranch_execnz .LBB3_3841
; %bb.1793:
	s_or_saveexec_b64 s[6:7], s[6:7]
	v_mov_b32_e32 v12, s10
	s_xor_b64 exec, exec, s[6:7]
	s_cbranch_execnz .LBB3_3844
.LBB3_1794:
	s_or_b64 exec, exec, s[6:7]
	s_and_saveexec_b64 s[6:7], s[4:5]
	s_cbranch_execz .LBB3_1796
.LBB3_1795:
	v_and_b32_e32 v12, 7, v6
	v_ffbh_u32_e32 v14, v12
	v_min_u32_e32 v14, 32, v14
	v_lshrrev_b16_e32 v13, 3, v6
	v_subrev_u32_e32 v15, 28, v14
	v_and_b32_e32 v13, 15, v13
	v_lshlrev_b32_e32 v15, v15, v6
	v_sub_u32_e32 v14, 29, v14
	v_and_b32_e32 v15, 7, v15
	v_cmp_eq_u16_e32 vcc, 0, v13
	v_cndmask_b32_e32 v12, v12, v15, vcc
	v_cndmask_b32_e32 v13, v13, v14, vcc
	v_lshlrev_b32_e32 v14, 24, v6
	v_mov_b32_e32 v15, 0x3b800000
	v_lshlrev_b32_e32 v12, 20, v12
	v_and_b32_e32 v14, 0x80000000, v14
	v_lshl_add_u32 v13, v13, 23, v15
	v_or3_b32 v12, v14, v13, v12
.LBB3_1796:
	s_or_b64 exec, exec, s[6:7]
	s_movk_i32 s4, 0x7f
	v_cmp_gt_i16_sdwa s[6:7], v2, s4 src0_sel:BYTE_0 src1_sel:DWORD
	s_mov_b64 s[4:5], 0
                                        ; implicit-def: $sgpr10
	s_and_saveexec_b64 s[8:9], s[6:7]
	s_xor_b64 s[6:7], exec, s[8:9]
	s_cbranch_execnz .LBB3_3845
; %bb.1797:
	s_or_saveexec_b64 s[6:7], s[6:7]
	v_mov_b32_e32 v13, s10
	s_xor_b64 exec, exec, s[6:7]
	s_cbranch_execnz .LBB3_3848
.LBB3_1798:
	s_or_b64 exec, exec, s[6:7]
	s_and_saveexec_b64 s[6:7], s[4:5]
	s_cbranch_execz .LBB3_1800
.LBB3_1799:
	v_and_b32_e32 v13, 7, v2
	v_ffbh_u32_e32 v15, v13
	v_min_u32_e32 v15, 32, v15
	v_lshrrev_b16_e32 v14, 3, v2
	v_subrev_u32_e32 v16, 28, v15
	v_and_b32_e32 v14, 15, v14
	v_lshlrev_b32_e32 v16, v16, v2
	v_sub_u32_e32 v15, 29, v15
	v_and_b32_e32 v16, 7, v16
	v_cmp_eq_u16_e32 vcc, 0, v14
	v_cndmask_b32_e32 v13, v13, v16, vcc
	v_cndmask_b32_e32 v14, v14, v15, vcc
	v_lshlrev_b32_e32 v15, 24, v2
	v_mov_b32_e32 v16, 0x3b800000
	v_lshlrev_b32_e32 v13, 20, v13
	v_and_b32_e32 v15, 0x80000000, v15
	v_lshl_add_u32 v14, v14, 23, v16
	v_or3_b32 v13, v15, v14, v13
.LBB3_1800:
	s_or_b64 exec, exec, s[6:7]
	flat_load_dwordx4 a[0:3], v[10:11] offset:224
	s_movk_i32 s4, 0x7f
                                        ; implicit-def: $sgpr10
	s_waitcnt vmcnt(0) lgkmcnt(0)
	v_mfma_f32_16x16x4f32 a[0:3], v12, v13, a[0:3]
	v_lshrrev_b32_e32 v13, 8, v6
	v_cmp_gt_i16_sdwa s[6:7], v13, s4 src0_sel:BYTE_0 src1_sel:DWORD
	s_mov_b64 s[4:5], 0
	s_and_saveexec_b64 s[8:9], s[6:7]
	s_xor_b64 s[6:7], exec, s[8:9]
	s_cbranch_execnz .LBB3_3849
; %bb.1801:
	s_or_saveexec_b64 s[6:7], s[6:7]
	v_mov_b32_e32 v12, s10
	s_xor_b64 exec, exec, s[6:7]
	s_cbranch_execnz .LBB3_3852
.LBB3_1802:
	s_or_b64 exec, exec, s[6:7]
	s_and_saveexec_b64 s[6:7], s[4:5]
	s_cbranch_execz .LBB3_1804
.LBB3_1803:
	v_bfe_u32 v12, v6, 8, 3
	v_ffbh_u32_e32 v15, v12
	v_min_u32_e32 v15, 32, v15
	v_lshrrev_b16_e32 v14, 3, v13
	v_subrev_u32_e32 v16, 28, v15
	v_and_b32_e32 v14, 15, v14
	v_lshlrev_b32_e32 v13, v16, v13
	v_sub_u32_e32 v15, 29, v15
	v_and_b32_e32 v13, 7, v13
	v_cmp_eq_u16_e32 vcc, 0, v14
	v_cndmask_b32_e32 v12, v12, v13, vcc
	v_cndmask_b32_e32 v13, v14, v15, vcc
	v_lshlrev_b32_e32 v14, 16, v6
	v_mov_b32_e32 v15, 0x3b800000
	v_lshlrev_b32_e32 v12, 20, v12
	v_and_b32_e32 v14, 0x80000000, v14
	v_lshl_add_u32 v13, v13, 23, v15
	v_or3_b32 v12, v14, v13, v12
.LBB3_1804:
	s_or_b64 exec, exec, s[6:7]
	v_lshrrev_b32_e32 v13, 8, v2
	s_movk_i32 s4, 0x7f
	v_cmp_gt_i16_sdwa s[6:7], v13, s4 src0_sel:BYTE_0 src1_sel:DWORD
	s_mov_b64 s[4:5], 0
                                        ; implicit-def: $sgpr10
	s_and_saveexec_b64 s[8:9], s[6:7]
	s_xor_b64 s[6:7], exec, s[8:9]
	s_cbranch_execnz .LBB3_3853
; %bb.1805:
	s_or_saveexec_b64 s[6:7], s[6:7]
	v_mov_b32_e32 v14, s10
	s_xor_b64 exec, exec, s[6:7]
	s_cbranch_execnz .LBB3_3856
.LBB3_1806:
	s_or_b64 exec, exec, s[6:7]
	s_and_saveexec_b64 s[6:7], s[4:5]
	s_cbranch_execz .LBB3_1808
.LBB3_1807:
	v_bfe_u32 v14, v2, 8, 3
	v_ffbh_u32_e32 v16, v14
	v_min_u32_e32 v16, 32, v16
	v_lshrrev_b16_e32 v15, 3, v13
	v_subrev_u32_e32 v17, 28, v16
	v_and_b32_e32 v15, 15, v15
	v_lshlrev_b32_e32 v13, v17, v13
	v_sub_u32_e32 v16, 29, v16
	v_and_b32_e32 v13, 7, v13
	v_cmp_eq_u16_e32 vcc, 0, v15
	v_cndmask_b32_e32 v13, v14, v13, vcc
	v_cndmask_b32_e32 v14, v15, v16, vcc
	v_lshlrev_b32_e32 v15, 16, v2
	v_mov_b32_e32 v16, 0x3b800000
	v_lshlrev_b32_e32 v13, 20, v13
	v_and_b32_e32 v15, 0x80000000, v15
	v_lshl_add_u32 v14, v14, 23, v16
	v_or3_b32 v14, v15, v14, v13
.LBB3_1808:
	s_or_b64 exec, exec, s[6:7]
	s_nop 0
	v_mfma_f32_16x16x4f32 a[0:3], v12, v14, a[0:3]
	s_movk_i32 s4, 0xff
	v_and_b32_sdwa v13, v6, s4 dst_sel:DWORD dst_unused:UNUSED_PAD src0_sel:WORD_1 src1_sel:DWORD
	s_movk_i32 s4, 0x7f
	v_cmp_lt_i16_e32 vcc, s4, v13
	s_mov_b64 s[4:5], 0
                                        ; implicit-def: $sgpr10
	s_and_saveexec_b64 s[6:7], vcc
	s_xor_b64 s[6:7], exec, s[6:7]
	s_cbranch_execnz .LBB3_3857
; %bb.1809:
	s_or_saveexec_b64 s[6:7], s[6:7]
	v_mov_b32_e32 v12, s10
	s_xor_b64 exec, exec, s[6:7]
	s_cbranch_execnz .LBB3_3860
.LBB3_1810:
	s_or_b64 exec, exec, s[6:7]
	s_and_saveexec_b64 s[6:7], s[4:5]
	s_cbranch_execz .LBB3_1812
.LBB3_1811:
	v_bfe_u32 v12, v6, 16, 3
	v_ffbh_u32_e32 v15, v12
	v_min_u32_e32 v15, 32, v15
	v_lshrrev_b32_e32 v13, 19, v6
	v_subrev_u32_e32 v16, 28, v15
	v_and_b32_e32 v13, 15, v13
	v_lshlrev_b32_sdwa v16, v16, v6 dst_sel:DWORD dst_unused:UNUSED_PAD src0_sel:DWORD src1_sel:WORD_1
	v_bfe_u32 v14, v6, 19, 4
	v_sub_u32_e32 v15, 29, v15
	v_and_b32_e32 v16, 7, v16
	v_cmp_eq_u16_e32 vcc, 0, v13
	v_cndmask_b32_e32 v12, v12, v16, vcc
	v_cndmask_b32_e32 v13, v14, v15, vcc
	v_lshlrev_b32_e32 v14, 8, v6
	v_mov_b32_e32 v15, 0x3b800000
	v_lshlrev_b32_e32 v12, 20, v12
	v_and_b32_e32 v14, 0x80000000, v14
	v_lshl_add_u32 v13, v13, 23, v15
	v_or3_b32 v12, v14, v13, v12
.LBB3_1812:
	s_or_b64 exec, exec, s[6:7]
	s_movk_i32 s4, 0xff
	v_and_b32_sdwa v13, v2, s4 dst_sel:DWORD dst_unused:UNUSED_PAD src0_sel:WORD_1 src1_sel:DWORD
	s_movk_i32 s4, 0x7f
	v_cmp_lt_i16_e32 vcc, s4, v13
	s_mov_b64 s[4:5], 0
                                        ; implicit-def: $sgpr10
	s_and_saveexec_b64 s[6:7], vcc
	s_xor_b64 s[6:7], exec, s[6:7]
	s_cbranch_execnz .LBB3_3861
; %bb.1813:
	s_or_saveexec_b64 s[6:7], s[6:7]
	v_mov_b32_e32 v14, s10
	s_xor_b64 exec, exec, s[6:7]
	s_cbranch_execnz .LBB3_3864
.LBB3_1814:
	s_or_b64 exec, exec, s[6:7]
	s_and_saveexec_b64 s[6:7], s[4:5]
	s_cbranch_execz .LBB3_1816
.LBB3_1815:
	v_bfe_u32 v13, v2, 16, 3
	v_ffbh_u32_e32 v16, v13
	v_min_u32_e32 v16, 32, v16
	v_lshrrev_b32_e32 v14, 19, v2
	v_subrev_u32_e32 v17, 28, v16
	v_and_b32_e32 v14, 15, v14
	v_lshlrev_b32_sdwa v17, v17, v2 dst_sel:DWORD dst_unused:UNUSED_PAD src0_sel:DWORD src1_sel:WORD_1
	v_bfe_u32 v15, v2, 19, 4
	v_sub_u32_e32 v16, 29, v16
	v_and_b32_e32 v17, 7, v17
	v_cmp_eq_u16_e32 vcc, 0, v14
	v_cndmask_b32_e32 v13, v13, v17, vcc
	v_cndmask_b32_e32 v14, v15, v16, vcc
	v_lshlrev_b32_e32 v15, 8, v2
	v_mov_b32_e32 v16, 0x3b800000
	v_lshlrev_b32_e32 v13, 20, v13
	v_and_b32_e32 v15, 0x80000000, v15
	v_lshl_add_u32 v14, v14, 23, v16
	v_or3_b32 v14, v15, v14, v13
.LBB3_1816:
	s_or_b64 exec, exec, s[6:7]
	s_nop 0
	v_mfma_f32_16x16x4f32 a[0:3], v12, v14, a[0:3]
	s_movk_i32 s4, 0x7f
	v_cmp_gt_i16_sdwa s[6:7], v6, s4 src0_sel:BYTE_3 src1_sel:DWORD
	s_mov_b64 s[4:5], 0
                                        ; implicit-def: $sgpr10
	s_and_saveexec_b64 s[8:9], s[6:7]
	s_xor_b64 s[6:7], exec, s[8:9]
	s_cbranch_execnz .LBB3_3865
; %bb.1817:
	s_or_saveexec_b64 s[6:7], s[6:7]
	v_mov_b32_e32 v12, s10
	s_xor_b64 exec, exec, s[6:7]
	s_cbranch_execnz .LBB3_3868
.LBB3_1818:
	s_or_b64 exec, exec, s[6:7]
	s_and_saveexec_b64 s[6:7], s[4:5]
	s_cbranch_execz .LBB3_1820
.LBB3_1819:
	v_bfe_u32 v12, v6, 24, 3
	v_ffbh_u32_e32 v16, v12
	v_min_u32_e32 v16, 32, v16
	v_lshrrev_b32_e32 v14, 27, v6
	v_subrev_u32_e32 v17, 28, v16
	v_and_b32_e32 v13, 0x80000000, v6
	v_and_b32_e32 v14, 15, v14
	v_bfe_u32 v15, v6, 27, 4
	v_lshlrev_b32_sdwa v6, v17, v6 dst_sel:DWORD dst_unused:UNUSED_PAD src0_sel:DWORD src1_sel:BYTE_3
	v_sub_u32_e32 v16, 29, v16
	v_and_b32_e32 v6, 7, v6
	v_cmp_eq_u16_e32 vcc, 0, v14
	v_cndmask_b32_e32 v6, v12, v6, vcc
	v_cndmask_b32_e32 v12, v15, v16, vcc
	v_mov_b32_e32 v14, 0x3b800000
	v_lshlrev_b32_e32 v6, 20, v6
	v_lshl_add_u32 v12, v12, 23, v14
	v_or3_b32 v12, v13, v12, v6
.LBB3_1820:
	s_or_b64 exec, exec, s[6:7]
	s_movk_i32 s4, 0x7f
	v_cmp_gt_i16_sdwa s[6:7], v2, s4 src0_sel:BYTE_3 src1_sel:DWORD
	s_mov_b64 s[4:5], 0
                                        ; implicit-def: $sgpr10
	s_and_saveexec_b64 s[8:9], s[6:7]
	s_xor_b64 s[6:7], exec, s[8:9]
	s_cbranch_execnz .LBB3_3869
; %bb.1821:
	s_or_saveexec_b64 s[6:7], s[6:7]
	v_mov_b32_e32 v6, s10
	s_xor_b64 exec, exec, s[6:7]
	s_cbranch_execnz .LBB3_3872
.LBB3_1822:
	s_or_b64 exec, exec, s[6:7]
	s_and_saveexec_b64 s[6:7], s[4:5]
	s_cbranch_execz .LBB3_1824
.LBB3_1823:
	v_bfe_u32 v6, v2, 24, 3
	v_ffbh_u32_e32 v16, v6
	v_min_u32_e32 v16, 32, v16
	v_lshrrev_b32_e32 v14, 27, v2
	v_subrev_u32_e32 v17, 28, v16
	v_and_b32_e32 v13, 0x80000000, v2
	v_and_b32_e32 v14, 15, v14
	v_bfe_u32 v15, v2, 27, 4
	v_lshlrev_b32_sdwa v2, v17, v2 dst_sel:DWORD dst_unused:UNUSED_PAD src0_sel:DWORD src1_sel:BYTE_3
	v_sub_u32_e32 v16, 29, v16
	v_and_b32_e32 v2, 7, v2
	v_cmp_eq_u16_e32 vcc, 0, v14
	v_cndmask_b32_e32 v2, v6, v2, vcc
	v_cndmask_b32_e32 v6, v15, v16, vcc
	v_mov_b32_e32 v14, 0x3b800000
	v_lshlrev_b32_e32 v2, 20, v2
	v_lshl_add_u32 v6, v6, 23, v14
	v_or3_b32 v6, v13, v6, v2
.LBB3_1824:
	s_or_b64 exec, exec, s[6:7]
	s_nop 0
	v_mfma_f32_16x16x4f32 a[0:3], v12, v6, a[0:3]
	s_movk_i32 s4, 0x7f
	v_cmp_gt_i16_sdwa s[6:7], v7, s4 src0_sel:BYTE_0 src1_sel:DWORD
	s_mov_b64 s[4:5], 0
                                        ; implicit-def: $sgpr10
	s_and_saveexec_b64 s[8:9], s[6:7]
	s_xor_b64 s[6:7], exec, s[8:9]
	s_cbranch_execnz .LBB3_3873
; %bb.1825:
	s_or_saveexec_b64 s[6:7], s[6:7]
	v_mov_b32_e32 v2, s10
	s_xor_b64 exec, exec, s[6:7]
	s_cbranch_execnz .LBB3_3876
.LBB3_1826:
	s_or_b64 exec, exec, s[6:7]
	s_and_saveexec_b64 s[6:7], s[4:5]
	s_cbranch_execz .LBB3_1828
.LBB3_1827:
	v_and_b32_e32 v2, 7, v7
	v_ffbh_u32_e32 v12, v2
	v_min_u32_e32 v12, 32, v12
	v_lshrrev_b16_e32 v6, 3, v7
	v_subrev_u32_e32 v13, 28, v12
	v_and_b32_e32 v6, 15, v6
	v_lshlrev_b32_e32 v13, v13, v7
	v_sub_u32_e32 v12, 29, v12
	v_and_b32_e32 v13, 7, v13
	v_cmp_eq_u16_e32 vcc, 0, v6
	v_cndmask_b32_e32 v2, v2, v13, vcc
	v_cndmask_b32_e32 v6, v6, v12, vcc
	v_lshlrev_b32_e32 v12, 24, v7
	v_mov_b32_e32 v13, 0x3b800000
	v_lshlrev_b32_e32 v2, 20, v2
	v_and_b32_e32 v12, 0x80000000, v12
	v_lshl_add_u32 v6, v6, 23, v13
	v_or3_b32 v2, v12, v6, v2
.LBB3_1828:
	s_or_b64 exec, exec, s[6:7]
	s_movk_i32 s4, 0x7f
	v_cmp_gt_i16_sdwa s[6:7], v3, s4 src0_sel:BYTE_0 src1_sel:DWORD
	s_mov_b64 s[4:5], 0
                                        ; implicit-def: $sgpr10
	s_and_saveexec_b64 s[8:9], s[6:7]
	s_xor_b64 s[6:7], exec, s[8:9]
	s_cbranch_execnz .LBB3_3877
; %bb.1829:
	s_or_saveexec_b64 s[6:7], s[6:7]
	v_mov_b32_e32 v6, s10
	s_xor_b64 exec, exec, s[6:7]
	s_cbranch_execnz .LBB3_3880
.LBB3_1830:
	s_or_b64 exec, exec, s[6:7]
	s_and_saveexec_b64 s[6:7], s[4:5]
	s_cbranch_execz .LBB3_1832
.LBB3_1831:
	v_and_b32_e32 v6, 7, v3
	v_ffbh_u32_e32 v13, v6
	v_min_u32_e32 v13, 32, v13
	v_lshrrev_b16_e32 v12, 3, v3
	v_subrev_u32_e32 v14, 28, v13
	v_and_b32_e32 v12, 15, v12
	v_lshlrev_b32_e32 v14, v14, v3
	v_sub_u32_e32 v13, 29, v13
	v_and_b32_e32 v14, 7, v14
	v_cmp_eq_u16_e32 vcc, 0, v12
	v_cndmask_b32_e32 v6, v6, v14, vcc
	v_cndmask_b32_e32 v12, v12, v13, vcc
	v_lshlrev_b32_e32 v13, 24, v3
	v_mov_b32_e32 v14, 0x3b800000
	v_lshlrev_b32_e32 v6, 20, v6
	v_and_b32_e32 v13, 0x80000000, v13
	v_lshl_add_u32 v12, v12, 23, v14
	v_or3_b32 v6, v13, v12, v6
.LBB3_1832:
	s_or_b64 exec, exec, s[6:7]
	s_nop 0
	v_mfma_f32_16x16x4f32 a[0:3], v2, v6, a[0:3]
	v_lshrrev_b32_e32 v6, 8, v7
	s_movk_i32 s4, 0x7f
	v_cmp_gt_i16_sdwa s[6:7], v6, s4 src0_sel:BYTE_0 src1_sel:DWORD
	s_mov_b64 s[4:5], 0
                                        ; implicit-def: $sgpr10
	s_and_saveexec_b64 s[8:9], s[6:7]
	s_xor_b64 s[6:7], exec, s[8:9]
	s_cbranch_execnz .LBB3_3881
; %bb.1833:
	s_or_saveexec_b64 s[6:7], s[6:7]
	v_mov_b32_e32 v2, s10
	s_xor_b64 exec, exec, s[6:7]
	s_cbranch_execnz .LBB3_3884
.LBB3_1834:
	s_or_b64 exec, exec, s[6:7]
	s_and_saveexec_b64 s[6:7], s[4:5]
	s_cbranch_execz .LBB3_1836
.LBB3_1835:
	v_bfe_u32 v2, v7, 8, 3
	v_ffbh_u32_e32 v13, v2
	v_min_u32_e32 v13, 32, v13
	v_lshrrev_b16_e32 v12, 3, v6
	v_subrev_u32_e32 v14, 28, v13
	v_and_b32_e32 v12, 15, v12
	v_lshlrev_b32_e32 v6, v14, v6
	v_sub_u32_e32 v13, 29, v13
	v_and_b32_e32 v6, 7, v6
	v_cmp_eq_u16_e32 vcc, 0, v12
	v_cndmask_b32_e32 v2, v2, v6, vcc
	v_cndmask_b32_e32 v6, v12, v13, vcc
	v_lshlrev_b32_e32 v12, 16, v7
	v_mov_b32_e32 v13, 0x3b800000
	v_lshlrev_b32_e32 v2, 20, v2
	v_and_b32_e32 v12, 0x80000000, v12
	v_lshl_add_u32 v6, v6, 23, v13
	v_or3_b32 v2, v12, v6, v2
.LBB3_1836:
	s_or_b64 exec, exec, s[6:7]
	v_lshrrev_b32_e32 v6, 8, v3
	s_movk_i32 s4, 0x7f
	v_cmp_gt_i16_sdwa s[6:7], v6, s4 src0_sel:BYTE_0 src1_sel:DWORD
	s_mov_b64 s[4:5], 0
                                        ; implicit-def: $sgpr10
	s_and_saveexec_b64 s[8:9], s[6:7]
	s_xor_b64 s[6:7], exec, s[8:9]
	s_cbranch_execnz .LBB3_3885
; %bb.1837:
	s_or_saveexec_b64 s[6:7], s[6:7]
	v_mov_b32_e32 v12, s10
	s_xor_b64 exec, exec, s[6:7]
	s_cbranch_execnz .LBB3_3888
.LBB3_1838:
	s_or_b64 exec, exec, s[6:7]
	s_and_saveexec_b64 s[6:7], s[4:5]
	s_cbranch_execz .LBB3_1840
.LBB3_1839:
	v_bfe_u32 v12, v3, 8, 3
	v_ffbh_u32_e32 v14, v12
	v_min_u32_e32 v14, 32, v14
	v_lshrrev_b16_e32 v13, 3, v6
	v_subrev_u32_e32 v15, 28, v14
	v_and_b32_e32 v13, 15, v13
	v_lshlrev_b32_e32 v6, v15, v6
	v_sub_u32_e32 v14, 29, v14
	v_and_b32_e32 v6, 7, v6
	v_cmp_eq_u16_e32 vcc, 0, v13
	v_cndmask_b32_e32 v6, v12, v6, vcc
	v_cndmask_b32_e32 v12, v13, v14, vcc
	v_lshlrev_b32_e32 v13, 16, v3
	v_mov_b32_e32 v14, 0x3b800000
	v_lshlrev_b32_e32 v6, 20, v6
	v_and_b32_e32 v13, 0x80000000, v13
	v_lshl_add_u32 v12, v12, 23, v14
	v_or3_b32 v12, v13, v12, v6
.LBB3_1840:
	s_or_b64 exec, exec, s[6:7]
	s_nop 0
	v_mfma_f32_16x16x4f32 a[0:3], v2, v12, a[0:3]
	s_movk_i32 s4, 0xff
	v_and_b32_sdwa v6, v7, s4 dst_sel:DWORD dst_unused:UNUSED_PAD src0_sel:WORD_1 src1_sel:DWORD
	s_movk_i32 s4, 0x7f
	v_cmp_lt_i16_e32 vcc, s4, v6
	s_mov_b64 s[4:5], 0
                                        ; implicit-def: $sgpr10
	s_and_saveexec_b64 s[6:7], vcc
	s_xor_b64 s[6:7], exec, s[6:7]
	s_cbranch_execnz .LBB3_3889
; %bb.1841:
	s_or_saveexec_b64 s[6:7], s[6:7]
	v_mov_b32_e32 v2, s10
	s_xor_b64 exec, exec, s[6:7]
	s_cbranch_execnz .LBB3_3892
.LBB3_1842:
	s_or_b64 exec, exec, s[6:7]
	s_and_saveexec_b64 s[6:7], s[4:5]
	s_cbranch_execz .LBB3_1844
.LBB3_1843:
	v_bfe_u32 v2, v7, 16, 3
	v_ffbh_u32_e32 v13, v2
	v_min_u32_e32 v13, 32, v13
	v_lshrrev_b32_e32 v6, 19, v7
	v_subrev_u32_e32 v14, 28, v13
	v_and_b32_e32 v6, 15, v6
	v_lshlrev_b32_sdwa v14, v14, v7 dst_sel:DWORD dst_unused:UNUSED_PAD src0_sel:DWORD src1_sel:WORD_1
	v_bfe_u32 v12, v7, 19, 4
	v_sub_u32_e32 v13, 29, v13
	v_and_b32_e32 v14, 7, v14
	v_cmp_eq_u16_e32 vcc, 0, v6
	v_cndmask_b32_e32 v2, v2, v14, vcc
	v_cndmask_b32_e32 v6, v12, v13, vcc
	v_lshlrev_b32_e32 v12, 8, v7
	v_mov_b32_e32 v13, 0x3b800000
	v_lshlrev_b32_e32 v2, 20, v2
	v_and_b32_e32 v12, 0x80000000, v12
	v_lshl_add_u32 v6, v6, 23, v13
	v_or3_b32 v2, v12, v6, v2
.LBB3_1844:
	s_or_b64 exec, exec, s[6:7]
	s_movk_i32 s4, 0xff
	v_and_b32_sdwa v6, v3, s4 dst_sel:DWORD dst_unused:UNUSED_PAD src0_sel:WORD_1 src1_sel:DWORD
	s_movk_i32 s4, 0x7f
	v_cmp_lt_i16_e32 vcc, s4, v6
	s_mov_b64 s[4:5], 0
                                        ; implicit-def: $sgpr10
	s_and_saveexec_b64 s[6:7], vcc
	s_xor_b64 s[6:7], exec, s[6:7]
	s_cbranch_execnz .LBB3_3893
; %bb.1845:
	s_or_saveexec_b64 s[6:7], s[6:7]
	v_mov_b32_e32 v12, s10
	s_xor_b64 exec, exec, s[6:7]
	s_cbranch_execnz .LBB3_3896
.LBB3_1846:
	s_or_b64 exec, exec, s[6:7]
	s_and_saveexec_b64 s[6:7], s[4:5]
	s_cbranch_execz .LBB3_1848
.LBB3_1847:
	v_bfe_u32 v6, v3, 16, 3
	v_ffbh_u32_e32 v14, v6
	v_min_u32_e32 v14, 32, v14
	v_lshrrev_b32_e32 v12, 19, v3
	v_subrev_u32_e32 v15, 28, v14
	v_and_b32_e32 v12, 15, v12
	v_lshlrev_b32_sdwa v15, v15, v3 dst_sel:DWORD dst_unused:UNUSED_PAD src0_sel:DWORD src1_sel:WORD_1
	v_bfe_u32 v13, v3, 19, 4
	v_sub_u32_e32 v14, 29, v14
	v_and_b32_e32 v15, 7, v15
	v_cmp_eq_u16_e32 vcc, 0, v12
	v_cndmask_b32_e32 v6, v6, v15, vcc
	v_cndmask_b32_e32 v12, v13, v14, vcc
	v_lshlrev_b32_e32 v13, 8, v3
	v_mov_b32_e32 v14, 0x3b800000
	v_lshlrev_b32_e32 v6, 20, v6
	v_and_b32_e32 v13, 0x80000000, v13
	v_lshl_add_u32 v12, v12, 23, v14
	v_or3_b32 v12, v13, v12, v6
.LBB3_1848:
	s_or_b64 exec, exec, s[6:7]
	s_nop 0
	v_mfma_f32_16x16x4f32 a[0:3], v2, v12, a[0:3]
	s_movk_i32 s4, 0x7f
	v_cmp_gt_i16_sdwa s[6:7], v7, s4 src0_sel:BYTE_3 src1_sel:DWORD
	s_mov_b64 s[4:5], 0
                                        ; implicit-def: $sgpr10
	s_and_saveexec_b64 s[8:9], s[6:7]
	s_xor_b64 s[6:7], exec, s[8:9]
	s_cbranch_execnz .LBB3_3897
; %bb.1849:
	s_or_saveexec_b64 s[6:7], s[6:7]
	v_mov_b32_e32 v2, s10
	s_xor_b64 exec, exec, s[6:7]
	s_cbranch_execnz .LBB3_3900
.LBB3_1850:
	s_or_b64 exec, exec, s[6:7]
	s_and_saveexec_b64 s[6:7], s[4:5]
	s_cbranch_execz .LBB3_1852
.LBB3_1851:
	v_bfe_u32 v2, v7, 24, 3
	v_ffbh_u32_e32 v14, v2
	v_min_u32_e32 v14, 32, v14
	v_lshrrev_b32_e32 v12, 27, v7
	v_subrev_u32_e32 v15, 28, v14
	v_and_b32_e32 v6, 0x80000000, v7
	v_and_b32_e32 v12, 15, v12
	v_bfe_u32 v13, v7, 27, 4
	v_lshlrev_b32_sdwa v7, v15, v7 dst_sel:DWORD dst_unused:UNUSED_PAD src0_sel:DWORD src1_sel:BYTE_3
	v_sub_u32_e32 v14, 29, v14
	v_and_b32_e32 v7, 7, v7
	v_cmp_eq_u16_e32 vcc, 0, v12
	v_cndmask_b32_e32 v2, v2, v7, vcc
	v_cndmask_b32_e32 v7, v13, v14, vcc
	v_mov_b32_e32 v12, 0x3b800000
	v_lshlrev_b32_e32 v2, 20, v2
	v_lshl_add_u32 v7, v7, 23, v12
	v_or3_b32 v2, v6, v7, v2
.LBB3_1852:
	s_or_b64 exec, exec, s[6:7]
	s_movk_i32 s4, 0x7f
	v_cmp_gt_i16_sdwa s[6:7], v3, s4 src0_sel:BYTE_3 src1_sel:DWORD
	s_mov_b64 s[4:5], 0
                                        ; implicit-def: $sgpr10
	s_and_saveexec_b64 s[8:9], s[6:7]
	s_xor_b64 s[6:7], exec, s[8:9]
	s_cbranch_execnz .LBB3_3901
; %bb.1853:
	s_or_saveexec_b64 s[6:7], s[6:7]
	v_mov_b32_e32 v6, s10
	s_xor_b64 exec, exec, s[6:7]
	s_cbranch_execnz .LBB3_3904
.LBB3_1854:
	s_or_b64 exec, exec, s[6:7]
	s_and_saveexec_b64 s[6:7], s[4:5]
	s_cbranch_execz .LBB3_1856
.LBB3_1855:
	v_bfe_u32 v6, v3, 24, 3
	v_ffbh_u32_e32 v14, v6
	v_min_u32_e32 v14, 32, v14
	v_lshrrev_b32_e32 v12, 27, v3
	v_subrev_u32_e32 v15, 28, v14
	v_and_b32_e32 v7, 0x80000000, v3
	v_and_b32_e32 v12, 15, v12
	v_bfe_u32 v13, v3, 27, 4
	v_lshlrev_b32_sdwa v3, v15, v3 dst_sel:DWORD dst_unused:UNUSED_PAD src0_sel:DWORD src1_sel:BYTE_3
	v_sub_u32_e32 v14, 29, v14
	v_and_b32_e32 v3, 7, v3
	v_cmp_eq_u16_e32 vcc, 0, v12
	v_cndmask_b32_e32 v3, v6, v3, vcc
	v_cndmask_b32_e32 v6, v13, v14, vcc
	v_mov_b32_e32 v12, 0x3b800000
	v_lshlrev_b32_e32 v3, 20, v3
	v_lshl_add_u32 v6, v6, 23, v12
	v_or3_b32 v6, v7, v6, v3
.LBB3_1856:
	s_or_b64 exec, exec, s[6:7]
	s_nop 0
	v_mfma_f32_16x16x4f32 a[0:3], v2, v6, a[0:3]
	s_movk_i32 s4, 0x7f
	v_cmp_gt_i16_sdwa s[6:7], v8, s4 src0_sel:BYTE_0 src1_sel:DWORD
	s_mov_b64 s[4:5], 0
                                        ; implicit-def: $sgpr10
	s_and_saveexec_b64 s[8:9], s[6:7]
	s_xor_b64 s[6:7], exec, s[8:9]
	s_cbranch_execnz .LBB3_3905
; %bb.1857:
	s_or_saveexec_b64 s[6:7], s[6:7]
	v_mov_b32_e32 v2, s10
	s_xor_b64 exec, exec, s[6:7]
	s_cbranch_execnz .LBB3_3908
.LBB3_1858:
	s_or_b64 exec, exec, s[6:7]
	s_and_saveexec_b64 s[6:7], s[4:5]
	s_cbranch_execz .LBB3_1860
.LBB3_1859:
	v_and_b32_e32 v2, 7, v8
	v_ffbh_u32_e32 v6, v2
	v_min_u32_e32 v6, 32, v6
	v_lshrrev_b16_e32 v3, 3, v8
	v_subrev_u32_e32 v7, 28, v6
	v_and_b32_e32 v3, 15, v3
	v_lshlrev_b32_e32 v7, v7, v8
	v_sub_u32_e32 v6, 29, v6
	v_and_b32_e32 v7, 7, v7
	v_cmp_eq_u16_e32 vcc, 0, v3
	v_cndmask_b32_e32 v2, v2, v7, vcc
	v_cndmask_b32_e32 v3, v3, v6, vcc
	v_lshlrev_b32_e32 v6, 24, v8
	v_mov_b32_e32 v7, 0x3b800000
	v_lshlrev_b32_e32 v2, 20, v2
	v_and_b32_e32 v6, 0x80000000, v6
	v_lshl_add_u32 v3, v3, 23, v7
	v_or3_b32 v2, v6, v3, v2
.LBB3_1860:
	s_or_b64 exec, exec, s[6:7]
	s_movk_i32 s4, 0x7f
	v_cmp_gt_i16_sdwa s[6:7], v4, s4 src0_sel:BYTE_0 src1_sel:DWORD
	s_mov_b64 s[4:5], 0
                                        ; implicit-def: $sgpr10
	s_and_saveexec_b64 s[8:9], s[6:7]
	s_xor_b64 s[6:7], exec, s[8:9]
	s_cbranch_execnz .LBB3_3909
; %bb.1861:
	s_or_saveexec_b64 s[6:7], s[6:7]
	v_mov_b32_e32 v3, s10
	s_xor_b64 exec, exec, s[6:7]
	s_cbranch_execnz .LBB3_3912
.LBB3_1862:
	s_or_b64 exec, exec, s[6:7]
	s_and_saveexec_b64 s[6:7], s[4:5]
	s_cbranch_execz .LBB3_1864
.LBB3_1863:
	v_and_b32_e32 v3, 7, v4
	v_ffbh_u32_e32 v7, v3
	v_min_u32_e32 v7, 32, v7
	v_lshrrev_b16_e32 v6, 3, v4
	v_subrev_u32_e32 v12, 28, v7
	v_and_b32_e32 v6, 15, v6
	v_lshlrev_b32_e32 v12, v12, v4
	v_sub_u32_e32 v7, 29, v7
	v_and_b32_e32 v12, 7, v12
	v_cmp_eq_u16_e32 vcc, 0, v6
	v_cndmask_b32_e32 v3, v3, v12, vcc
	v_cndmask_b32_e32 v6, v6, v7, vcc
	v_lshlrev_b32_e32 v7, 24, v4
	v_mov_b32_e32 v12, 0x3b800000
	v_lshlrev_b32_e32 v3, 20, v3
	v_and_b32_e32 v7, 0x80000000, v7
	v_lshl_add_u32 v6, v6, 23, v12
	v_or3_b32 v3, v7, v6, v3
.LBB3_1864:
	s_or_b64 exec, exec, s[6:7]
	s_nop 0
	v_mfma_f32_16x16x4f32 a[0:3], v2, v3, a[0:3]
	v_lshrrev_b32_e32 v3, 8, v8
	s_movk_i32 s4, 0x7f
	v_cmp_gt_i16_sdwa s[6:7], v3, s4 src0_sel:BYTE_0 src1_sel:DWORD
	s_mov_b64 s[4:5], 0
                                        ; implicit-def: $sgpr10
	s_and_saveexec_b64 s[8:9], s[6:7]
	s_xor_b64 s[6:7], exec, s[8:9]
	s_cbranch_execnz .LBB3_3913
; %bb.1865:
	s_or_saveexec_b64 s[6:7], s[6:7]
	v_mov_b32_e32 v2, s10
	s_xor_b64 exec, exec, s[6:7]
	s_cbranch_execnz .LBB3_3916
.LBB3_1866:
	s_or_b64 exec, exec, s[6:7]
	s_and_saveexec_b64 s[6:7], s[4:5]
	s_cbranch_execz .LBB3_1868
.LBB3_1867:
	v_bfe_u32 v2, v8, 8, 3
	v_ffbh_u32_e32 v7, v2
	v_min_u32_e32 v7, 32, v7
	v_lshrrev_b16_e32 v6, 3, v3
	v_subrev_u32_e32 v12, 28, v7
	v_and_b32_e32 v6, 15, v6
	v_lshlrev_b32_e32 v3, v12, v3
	v_sub_u32_e32 v7, 29, v7
	v_and_b32_e32 v3, 7, v3
	v_cmp_eq_u16_e32 vcc, 0, v6
	v_cndmask_b32_e32 v2, v2, v3, vcc
	v_cndmask_b32_e32 v3, v6, v7, vcc
	v_lshlrev_b32_e32 v6, 16, v8
	v_mov_b32_e32 v7, 0x3b800000
	v_lshlrev_b32_e32 v2, 20, v2
	v_and_b32_e32 v6, 0x80000000, v6
	v_lshl_add_u32 v3, v3, 23, v7
	v_or3_b32 v2, v6, v3, v2
.LBB3_1868:
	s_or_b64 exec, exec, s[6:7]
	v_lshrrev_b32_e32 v3, 8, v4
	s_movk_i32 s4, 0x7f
	v_cmp_gt_i16_sdwa s[6:7], v3, s4 src0_sel:BYTE_0 src1_sel:DWORD
	s_mov_b64 s[4:5], 0
                                        ; implicit-def: $sgpr10
	s_and_saveexec_b64 s[8:9], s[6:7]
	s_xor_b64 s[6:7], exec, s[8:9]
	s_cbranch_execnz .LBB3_3917
; %bb.1869:
	s_or_saveexec_b64 s[6:7], s[6:7]
	v_mov_b32_e32 v6, s10
	s_xor_b64 exec, exec, s[6:7]
	s_cbranch_execnz .LBB3_3920
.LBB3_1870:
	s_or_b64 exec, exec, s[6:7]
	s_and_saveexec_b64 s[6:7], s[4:5]
	s_cbranch_execz .LBB3_1872
.LBB3_1871:
	v_bfe_u32 v6, v4, 8, 3
	v_ffbh_u32_e32 v12, v6
	v_min_u32_e32 v12, 32, v12
	v_lshrrev_b16_e32 v7, 3, v3
	v_subrev_u32_e32 v13, 28, v12
	v_and_b32_e32 v7, 15, v7
	v_lshlrev_b32_e32 v3, v13, v3
	v_sub_u32_e32 v12, 29, v12
	v_and_b32_e32 v3, 7, v3
	v_cmp_eq_u16_e32 vcc, 0, v7
	v_cndmask_b32_e32 v3, v6, v3, vcc
	v_cndmask_b32_e32 v6, v7, v12, vcc
	v_lshlrev_b32_e32 v7, 16, v4
	v_mov_b32_e32 v12, 0x3b800000
	v_lshlrev_b32_e32 v3, 20, v3
	v_and_b32_e32 v7, 0x80000000, v7
	v_lshl_add_u32 v6, v6, 23, v12
	v_or3_b32 v6, v7, v6, v3
.LBB3_1872:
	s_or_b64 exec, exec, s[6:7]
	s_nop 0
	v_mfma_f32_16x16x4f32 a[0:3], v2, v6, a[0:3]
	s_movk_i32 s4, 0xff
	v_and_b32_sdwa v3, v8, s4 dst_sel:DWORD dst_unused:UNUSED_PAD src0_sel:WORD_1 src1_sel:DWORD
	s_movk_i32 s4, 0x7f
	v_cmp_lt_i16_e32 vcc, s4, v3
	s_mov_b64 s[4:5], 0
                                        ; implicit-def: $sgpr10
	s_and_saveexec_b64 s[6:7], vcc
	s_xor_b64 s[6:7], exec, s[6:7]
	s_cbranch_execnz .LBB3_3921
; %bb.1873:
	s_or_saveexec_b64 s[6:7], s[6:7]
	v_mov_b32_e32 v2, s10
	s_xor_b64 exec, exec, s[6:7]
	s_cbranch_execnz .LBB3_3924
.LBB3_1874:
	s_or_b64 exec, exec, s[6:7]
	s_and_saveexec_b64 s[6:7], s[4:5]
	s_cbranch_execz .LBB3_1876
.LBB3_1875:
	v_bfe_u32 v2, v8, 16, 3
	v_ffbh_u32_e32 v7, v2
	v_min_u32_e32 v7, 32, v7
	v_lshrrev_b32_e32 v3, 19, v8
	v_subrev_u32_e32 v12, 28, v7
	v_and_b32_e32 v3, 15, v3
	v_lshlrev_b32_sdwa v12, v12, v8 dst_sel:DWORD dst_unused:UNUSED_PAD src0_sel:DWORD src1_sel:WORD_1
	v_bfe_u32 v6, v8, 19, 4
	v_sub_u32_e32 v7, 29, v7
	v_and_b32_e32 v12, 7, v12
	v_cmp_eq_u16_e32 vcc, 0, v3
	v_cndmask_b32_e32 v2, v2, v12, vcc
	v_cndmask_b32_e32 v3, v6, v7, vcc
	v_lshlrev_b32_e32 v6, 8, v8
	v_mov_b32_e32 v7, 0x3b800000
	v_lshlrev_b32_e32 v2, 20, v2
	v_and_b32_e32 v6, 0x80000000, v6
	v_lshl_add_u32 v3, v3, 23, v7
	v_or3_b32 v2, v6, v3, v2
.LBB3_1876:
	s_or_b64 exec, exec, s[6:7]
	s_movk_i32 s4, 0xff
	v_and_b32_sdwa v3, v4, s4 dst_sel:DWORD dst_unused:UNUSED_PAD src0_sel:WORD_1 src1_sel:DWORD
	s_movk_i32 s4, 0x7f
	v_cmp_lt_i16_e32 vcc, s4, v3
	s_mov_b64 s[4:5], 0
                                        ; implicit-def: $sgpr10
	s_and_saveexec_b64 s[6:7], vcc
	s_xor_b64 s[6:7], exec, s[6:7]
	s_cbranch_execnz .LBB3_3925
; %bb.1877:
	s_or_saveexec_b64 s[6:7], s[6:7]
	v_mov_b32_e32 v6, s10
	s_xor_b64 exec, exec, s[6:7]
	s_cbranch_execnz .LBB3_3928
.LBB3_1878:
	s_or_b64 exec, exec, s[6:7]
	s_and_saveexec_b64 s[6:7], s[4:5]
	s_cbranch_execz .LBB3_1880
.LBB3_1879:
	v_bfe_u32 v3, v4, 16, 3
	v_ffbh_u32_e32 v12, v3
	v_min_u32_e32 v12, 32, v12
	v_lshrrev_b32_e32 v6, 19, v4
	v_subrev_u32_e32 v13, 28, v12
	v_and_b32_e32 v6, 15, v6
	v_lshlrev_b32_sdwa v13, v13, v4 dst_sel:DWORD dst_unused:UNUSED_PAD src0_sel:DWORD src1_sel:WORD_1
	v_bfe_u32 v7, v4, 19, 4
	v_sub_u32_e32 v12, 29, v12
	v_and_b32_e32 v13, 7, v13
	v_cmp_eq_u16_e32 vcc, 0, v6
	v_cndmask_b32_e32 v3, v3, v13, vcc
	v_cndmask_b32_e32 v6, v7, v12, vcc
	v_lshlrev_b32_e32 v7, 8, v4
	v_mov_b32_e32 v12, 0x3b800000
	v_lshlrev_b32_e32 v3, 20, v3
	v_and_b32_e32 v7, 0x80000000, v7
	v_lshl_add_u32 v6, v6, 23, v12
	v_or3_b32 v6, v7, v6, v3
.LBB3_1880:
	s_or_b64 exec, exec, s[6:7]
	s_nop 0
	v_mfma_f32_16x16x4f32 a[0:3], v2, v6, a[0:3]
	s_movk_i32 s4, 0x7f
	v_cmp_gt_i16_sdwa s[6:7], v8, s4 src0_sel:BYTE_3 src1_sel:DWORD
	s_mov_b64 s[4:5], 0
                                        ; implicit-def: $sgpr10
	s_and_saveexec_b64 s[8:9], s[6:7]
	s_xor_b64 s[6:7], exec, s[8:9]
	s_cbranch_execnz .LBB3_3929
; %bb.1881:
	s_or_saveexec_b64 s[6:7], s[6:7]
	v_mov_b32_e32 v2, s10
	s_xor_b64 exec, exec, s[6:7]
	s_cbranch_execnz .LBB3_3932
.LBB3_1882:
	s_or_b64 exec, exec, s[6:7]
	s_and_saveexec_b64 s[6:7], s[4:5]
	s_cbranch_execz .LBB3_1884
.LBB3_1883:
	v_bfe_u32 v2, v8, 24, 3
	v_ffbh_u32_e32 v12, v2
	v_min_u32_e32 v12, 32, v12
	v_lshrrev_b32_e32 v6, 27, v8
	v_subrev_u32_e32 v13, 28, v12
	v_and_b32_e32 v3, 0x80000000, v8
	v_and_b32_e32 v6, 15, v6
	v_bfe_u32 v7, v8, 27, 4
	v_lshlrev_b32_sdwa v8, v13, v8 dst_sel:DWORD dst_unused:UNUSED_PAD src0_sel:DWORD src1_sel:BYTE_3
	v_sub_u32_e32 v12, 29, v12
	v_and_b32_e32 v8, 7, v8
	v_cmp_eq_u16_e32 vcc, 0, v6
	v_cndmask_b32_e32 v2, v2, v8, vcc
	v_cndmask_b32_e32 v6, v7, v12, vcc
	v_mov_b32_e32 v7, 0x3b800000
	v_lshlrev_b32_e32 v2, 20, v2
	v_lshl_add_u32 v6, v6, 23, v7
	v_or3_b32 v2, v3, v6, v2
.LBB3_1884:
	s_or_b64 exec, exec, s[6:7]
	s_movk_i32 s4, 0x7f
	v_cmp_gt_i16_sdwa s[6:7], v4, s4 src0_sel:BYTE_3 src1_sel:DWORD
	s_mov_b64 s[4:5], 0
                                        ; implicit-def: $sgpr10
	s_and_saveexec_b64 s[8:9], s[6:7]
	s_xor_b64 s[6:7], exec, s[8:9]
	s_cbranch_execnz .LBB3_3933
; %bb.1885:
	s_or_saveexec_b64 s[6:7], s[6:7]
	v_mov_b32_e32 v3, s10
	s_xor_b64 exec, exec, s[6:7]
	s_cbranch_execnz .LBB3_3936
.LBB3_1886:
	s_or_b64 exec, exec, s[6:7]
	s_and_saveexec_b64 s[6:7], s[4:5]
	s_cbranch_execz .LBB3_1888
.LBB3_1887:
	v_bfe_u32 v3, v4, 24, 3
	v_ffbh_u32_e32 v12, v3
	v_min_u32_e32 v12, 32, v12
	v_lshrrev_b32_e32 v7, 27, v4
	v_subrev_u32_e32 v13, 28, v12
	v_and_b32_e32 v6, 0x80000000, v4
	v_and_b32_e32 v7, 15, v7
	v_bfe_u32 v8, v4, 27, 4
	v_lshlrev_b32_sdwa v4, v13, v4 dst_sel:DWORD dst_unused:UNUSED_PAD src0_sel:DWORD src1_sel:BYTE_3
	v_sub_u32_e32 v12, 29, v12
	v_and_b32_e32 v4, 7, v4
	v_cmp_eq_u16_e32 vcc, 0, v7
	v_cndmask_b32_e32 v3, v3, v4, vcc
	v_cndmask_b32_e32 v4, v8, v12, vcc
	v_mov_b32_e32 v7, 0x3b800000
	v_lshlrev_b32_e32 v3, 20, v3
	v_lshl_add_u32 v4, v4, 23, v7
	v_or3_b32 v3, v6, v4, v3
.LBB3_1888:
	s_or_b64 exec, exec, s[6:7]
	s_nop 0
	v_mfma_f32_16x16x4f32 a[0:3], v2, v3, a[0:3]
	s_movk_i32 s4, 0x7f
	v_cmp_gt_i16_sdwa s[6:7], v9, s4 src0_sel:BYTE_0 src1_sel:DWORD
	s_mov_b64 s[4:5], 0
                                        ; implicit-def: $sgpr10
	s_and_saveexec_b64 s[8:9], s[6:7]
	s_xor_b64 s[6:7], exec, s[8:9]
	s_cbranch_execnz .LBB3_3937
; %bb.1889:
	s_or_saveexec_b64 s[6:7], s[6:7]
	v_mov_b32_e32 v2, s10
	s_xor_b64 exec, exec, s[6:7]
	s_cbranch_execnz .LBB3_3940
.LBB3_1890:
	s_or_b64 exec, exec, s[6:7]
	s_and_saveexec_b64 s[6:7], s[4:5]
	s_cbranch_execz .LBB3_1892
.LBB3_1891:
	v_mov_b32_e32 v2, 8
	v_and_b32_e32 v3, 7, v9
	v_lshrrev_b32_sdwa v2, v2, v9 dst_sel:BYTE_1 dst_unused:UNUSED_PAD src0_sel:DWORD src1_sel:DWORD
	v_ffbh_u32_e32 v4, v3
	v_or_b32_sdwa v2, v9, v2 dst_sel:DWORD dst_unused:UNUSED_PAD src0_sel:BYTE_0 src1_sel:DWORD
	v_min_u32_e32 v4, 32, v4
	v_lshrrev_b16_e32 v2, 3, v2
	v_subrev_u32_e32 v6, 28, v4
	v_and_b32_e32 v2, 15, v2
	v_lshlrev_b32_e32 v6, v6, v9
	v_sub_u32_e32 v4, 29, v4
	v_and_b32_e32 v6, 7, v6
	v_cmp_eq_u16_e32 vcc, 0, v2
	v_cndmask_b32_e32 v3, v3, v6, vcc
	v_cndmask_b32_e32 v2, v2, v4, vcc
	v_lshlrev_b32_e32 v4, 24, v9
	v_mov_b32_e32 v6, 0x3b800000
	v_lshlrev_b32_e32 v3, 20, v3
	v_and_b32_e32 v4, 0x80000000, v4
	v_lshl_add_u32 v2, v2, 23, v6
	v_or3_b32 v2, v4, v2, v3
.LBB3_1892:
	s_or_b64 exec, exec, s[6:7]
	s_movk_i32 s4, 0x7f
	v_cmp_gt_i16_sdwa s[6:7], v5, s4 src0_sel:BYTE_0 src1_sel:DWORD
	s_mov_b64 s[4:5], 0
                                        ; implicit-def: $sgpr10
	s_and_saveexec_b64 s[8:9], s[6:7]
	s_xor_b64 s[6:7], exec, s[8:9]
	s_cbranch_execnz .LBB3_3941
; %bb.1893:
	s_or_saveexec_b64 s[6:7], s[6:7]
	v_mov_b32_e32 v3, s10
	s_xor_b64 exec, exec, s[6:7]
	s_cbranch_execnz .LBB3_3944
.LBB3_1894:
	s_or_b64 exec, exec, s[6:7]
	s_and_saveexec_b64 s[6:7], s[4:5]
	s_cbranch_execz .LBB3_1896
.LBB3_1895:
	v_mov_b32_e32 v3, 8
	v_and_b32_e32 v4, 7, v5
	v_lshrrev_b32_sdwa v3, v3, v5 dst_sel:BYTE_1 dst_unused:UNUSED_PAD src0_sel:DWORD src1_sel:DWORD
	v_ffbh_u32_e32 v6, v4
	v_or_b32_sdwa v3, v5, v3 dst_sel:DWORD dst_unused:UNUSED_PAD src0_sel:BYTE_0 src1_sel:DWORD
	v_min_u32_e32 v6, 32, v6
	v_lshrrev_b16_e32 v3, 3, v3
	v_subrev_u32_e32 v7, 28, v6
	v_and_b32_e32 v3, 15, v3
	v_lshlrev_b32_e32 v7, v7, v5
	v_sub_u32_e32 v6, 29, v6
	v_and_b32_e32 v7, 7, v7
	v_cmp_eq_u16_e32 vcc, 0, v3
	v_cndmask_b32_e32 v4, v4, v7, vcc
	v_cndmask_b32_e32 v3, v3, v6, vcc
	v_lshlrev_b32_e32 v6, 24, v5
	v_mov_b32_e32 v7, 0x3b800000
	v_lshlrev_b32_e32 v4, 20, v4
	v_and_b32_e32 v6, 0x80000000, v6
	v_lshl_add_u32 v3, v3, 23, v7
	v_or3_b32 v3, v6, v3, v4
.LBB3_1896:
	s_or_b64 exec, exec, s[6:7]
	s_nop 0
	v_mfma_f32_16x16x4f32 a[0:3], v2, v3, a[0:3]
	v_lshrrev_b32_e32 v3, 8, v9
	s_movk_i32 s4, 0x7f
	v_cmp_gt_i16_sdwa s[6:7], v3, s4 src0_sel:BYTE_0 src1_sel:DWORD
	s_mov_b64 s[4:5], 0
                                        ; implicit-def: $sgpr10
	s_and_saveexec_b64 s[8:9], s[6:7]
	s_xor_b64 s[6:7], exec, s[8:9]
	s_cbranch_execnz .LBB3_3945
; %bb.1897:
	s_or_saveexec_b64 s[6:7], s[6:7]
	v_mov_b32_e32 v2, s10
	s_xor_b64 exec, exec, s[6:7]
	s_cbranch_execnz .LBB3_3948
.LBB3_1898:
	s_or_b64 exec, exec, s[6:7]
	s_and_saveexec_b64 s[6:7], s[4:5]
	s_cbranch_execz .LBB3_1900
.LBB3_1899:
	v_bfe_u32 v2, v9, 8, 3
	v_ffbh_u32_e32 v6, v2
	v_min_u32_e32 v6, 32, v6
	v_lshrrev_b16_e32 v4, 3, v3
	v_subrev_u32_e32 v7, 28, v6
	v_and_b32_e32 v4, 15, v4
	v_lshlrev_b32_e32 v3, v7, v3
	v_sub_u32_e32 v6, 29, v6
	v_and_b32_e32 v3, 7, v3
	v_cmp_eq_u16_e32 vcc, 0, v4
	v_cndmask_b32_e32 v2, v2, v3, vcc
	v_cndmask_b32_e32 v3, v4, v6, vcc
	v_lshlrev_b32_e32 v4, 16, v9
	v_mov_b32_e32 v6, 0x3b800000
	v_lshlrev_b32_e32 v2, 20, v2
	v_and_b32_e32 v4, 0x80000000, v4
	v_lshl_add_u32 v3, v3, 23, v6
	v_or3_b32 v2, v4, v3, v2
.LBB3_1900:
	s_or_b64 exec, exec, s[6:7]
	v_lshrrev_b32_e32 v3, 8, v5
	s_movk_i32 s4, 0x7f
	v_cmp_gt_i16_sdwa s[6:7], v3, s4 src0_sel:BYTE_0 src1_sel:DWORD
	s_mov_b64 s[4:5], 0
                                        ; implicit-def: $sgpr10
	s_and_saveexec_b64 s[8:9], s[6:7]
	s_xor_b64 s[6:7], exec, s[8:9]
	s_cbranch_execnz .LBB3_3949
; %bb.1901:
	s_or_saveexec_b64 s[6:7], s[6:7]
	v_mov_b32_e32 v4, s10
	s_xor_b64 exec, exec, s[6:7]
	s_cbranch_execnz .LBB3_3952
.LBB3_1902:
	s_or_b64 exec, exec, s[6:7]
	s_and_saveexec_b64 s[6:7], s[4:5]
	s_cbranch_execz .LBB3_1904
.LBB3_1903:
	v_bfe_u32 v4, v5, 8, 3
	v_ffbh_u32_e32 v7, v4
	v_min_u32_e32 v7, 32, v7
	v_lshrrev_b16_e32 v6, 3, v3
	v_subrev_u32_e32 v8, 28, v7
	v_and_b32_e32 v6, 15, v6
	v_lshlrev_b32_e32 v3, v8, v3
	v_sub_u32_e32 v7, 29, v7
	v_and_b32_e32 v3, 7, v3
	v_cmp_eq_u16_e32 vcc, 0, v6
	v_cndmask_b32_e32 v3, v4, v3, vcc
	v_cndmask_b32_e32 v4, v6, v7, vcc
	v_lshlrev_b32_e32 v6, 16, v5
	v_mov_b32_e32 v7, 0x3b800000
	v_lshlrev_b32_e32 v3, 20, v3
	v_and_b32_e32 v6, 0x80000000, v6
	v_lshl_add_u32 v4, v4, 23, v7
	v_or3_b32 v4, v6, v4, v3
.LBB3_1904:
	s_or_b64 exec, exec, s[6:7]
	s_nop 0
	v_mfma_f32_16x16x4f32 a[0:3], v2, v4, a[0:3]
	s_movk_i32 s4, 0xff
	v_and_b32_sdwa v3, v9, s4 dst_sel:DWORD dst_unused:UNUSED_PAD src0_sel:WORD_1 src1_sel:DWORD
	s_movk_i32 s4, 0x7f
	v_cmp_lt_i16_e32 vcc, s4, v3
	s_mov_b64 s[4:5], 0
                                        ; implicit-def: $sgpr10
	s_and_saveexec_b64 s[6:7], vcc
	s_xor_b64 s[6:7], exec, s[6:7]
	s_cbranch_execnz .LBB3_3953
; %bb.1905:
	s_or_saveexec_b64 s[6:7], s[6:7]
	v_mov_b32_e32 v2, s10
	s_xor_b64 exec, exec, s[6:7]
	s_cbranch_execnz .LBB3_3956
.LBB3_1906:
	s_or_b64 exec, exec, s[6:7]
	s_and_saveexec_b64 s[6:7], s[4:5]
	s_cbranch_execz .LBB3_1908
.LBB3_1907:
	v_bfe_u32 v2, v9, 16, 3
	v_ffbh_u32_e32 v6, v2
	v_min_u32_e32 v6, 32, v6
	v_lshrrev_b32_e32 v3, 19, v9
	v_subrev_u32_e32 v7, 28, v6
	v_and_b32_e32 v3, 15, v3
	v_lshlrev_b32_sdwa v7, v7, v9 dst_sel:DWORD dst_unused:UNUSED_PAD src0_sel:DWORD src1_sel:WORD_1
	v_bfe_u32 v4, v9, 19, 4
	v_sub_u32_e32 v6, 29, v6
	v_and_b32_e32 v7, 7, v7
	v_cmp_eq_u16_e32 vcc, 0, v3
	v_cndmask_b32_e32 v2, v2, v7, vcc
	v_cndmask_b32_e32 v3, v4, v6, vcc
	v_lshlrev_b32_e32 v4, 8, v9
	v_mov_b32_e32 v6, 0x3b800000
	v_lshlrev_b32_e32 v2, 20, v2
	v_and_b32_e32 v4, 0x80000000, v4
	v_lshl_add_u32 v3, v3, 23, v6
	v_or3_b32 v2, v4, v3, v2
.LBB3_1908:
	s_or_b64 exec, exec, s[6:7]
	s_movk_i32 s4, 0xff
	v_and_b32_sdwa v3, v5, s4 dst_sel:DWORD dst_unused:UNUSED_PAD src0_sel:WORD_1 src1_sel:DWORD
	s_movk_i32 s4, 0x7f
	v_cmp_lt_i16_e32 vcc, s4, v3
	s_mov_b64 s[4:5], 0
                                        ; implicit-def: $sgpr10
	s_and_saveexec_b64 s[6:7], vcc
	s_xor_b64 s[6:7], exec, s[6:7]
	s_cbranch_execnz .LBB3_3957
; %bb.1909:
	s_or_saveexec_b64 s[6:7], s[6:7]
	v_mov_b32_e32 v4, s10
	s_xor_b64 exec, exec, s[6:7]
	s_cbranch_execnz .LBB3_3960
.LBB3_1910:
	s_or_b64 exec, exec, s[6:7]
	s_and_saveexec_b64 s[6:7], s[4:5]
	s_cbranch_execz .LBB3_1912
.LBB3_1911:
	v_bfe_u32 v3, v5, 16, 3
	v_ffbh_u32_e32 v7, v3
	v_min_u32_e32 v7, 32, v7
	v_lshrrev_b32_e32 v4, 19, v5
	v_subrev_u32_e32 v8, 28, v7
	v_and_b32_e32 v4, 15, v4
	v_lshlrev_b32_sdwa v8, v8, v5 dst_sel:DWORD dst_unused:UNUSED_PAD src0_sel:DWORD src1_sel:WORD_1
	v_bfe_u32 v6, v5, 19, 4
	v_sub_u32_e32 v7, 29, v7
	v_and_b32_e32 v8, 7, v8
	v_cmp_eq_u16_e32 vcc, 0, v4
	v_cndmask_b32_e32 v3, v3, v8, vcc
	v_cndmask_b32_e32 v4, v6, v7, vcc
	v_lshlrev_b32_e32 v6, 8, v5
	v_mov_b32_e32 v7, 0x3b800000
	v_lshlrev_b32_e32 v3, 20, v3
	v_and_b32_e32 v6, 0x80000000, v6
	v_lshl_add_u32 v4, v4, 23, v7
	v_or3_b32 v4, v6, v4, v3
.LBB3_1912:
	s_or_b64 exec, exec, s[6:7]
	s_nop 0
	v_mfma_f32_16x16x4f32 a[0:3], v2, v4, a[0:3]
	s_movk_i32 s4, 0x7f
	v_cmp_gt_i16_sdwa s[6:7], v9, s4 src0_sel:BYTE_3 src1_sel:DWORD
	s_mov_b64 s[4:5], 0
                                        ; implicit-def: $sgpr10
	s_and_saveexec_b64 s[8:9], s[6:7]
	s_xor_b64 s[6:7], exec, s[8:9]
	s_cbranch_execnz .LBB3_3961
; %bb.1913:
	s_or_saveexec_b64 s[6:7], s[6:7]
	v_mov_b32_e32 v2, s10
	s_xor_b64 exec, exec, s[6:7]
	s_cbranch_execnz .LBB3_3964
.LBB3_1914:
	s_or_b64 exec, exec, s[6:7]
	s_and_saveexec_b64 s[6:7], s[4:5]
	s_cbranch_execz .LBB3_1916
.LBB3_1915:
	v_bfe_u32 v2, v9, 24, 3
	v_ffbh_u32_e32 v7, v2
	v_min_u32_e32 v7, 32, v7
	v_lshrrev_b32_e32 v4, 27, v9
	v_subrev_u32_e32 v8, 28, v7
	v_and_b32_e32 v4, 15, v4
	v_lshlrev_b32_sdwa v8, v8, v9 dst_sel:DWORD dst_unused:UNUSED_PAD src0_sel:DWORD src1_sel:BYTE_3
	v_bfe_u32 v6, v9, 27, 4
	v_sub_u32_e32 v7, 29, v7
	v_and_b32_e32 v8, 7, v8
	v_cmp_eq_u16_e32 vcc, 0, v4
	v_cndmask_b32_e32 v2, v2, v8, vcc
	v_cndmask_b32_e32 v4, v6, v7, vcc
	v_mov_b32_e32 v6, 0x3b800000
	v_and_b32_e32 v3, 0x80000000, v9
	v_lshlrev_b32_e32 v2, 20, v2
	v_lshl_add_u32 v4, v4, 23, v6
	v_or3_b32 v2, v3, v4, v2
.LBB3_1916:
	s_or_b64 exec, exec, s[6:7]
	s_movk_i32 s4, 0x7f
	v_cmp_gt_i16_sdwa s[6:7], v5, s4 src0_sel:BYTE_3 src1_sel:DWORD
	s_mov_b64 s[4:5], 0
                                        ; implicit-def: $sgpr10
	s_and_saveexec_b64 s[8:9], s[6:7]
	s_xor_b64 s[6:7], exec, s[8:9]
	s_cbranch_execnz .LBB3_3965
; %bb.1917:
	s_or_saveexec_b64 s[6:7], s[6:7]
	v_mov_b32_e32 v3, s10
	s_xor_b64 exec, exec, s[6:7]
	s_cbranch_execnz .LBB3_3968
.LBB3_1918:
	s_or_b64 exec, exec, s[6:7]
	s_and_saveexec_b64 s[6:7], s[4:5]
	s_cbranch_execz .LBB3_1920
.LBB3_1919:
	v_bfe_u32 v3, v5, 24, 3
	v_ffbh_u32_e32 v8, v3
	v_min_u32_e32 v8, 32, v8
	v_lshrrev_b32_e32 v6, 27, v5
	v_subrev_u32_e32 v9, 28, v8
	v_and_b32_e32 v4, 0x80000000, v5
	v_and_b32_e32 v6, 15, v6
	v_bfe_u32 v7, v5, 27, 4
	v_lshlrev_b32_sdwa v5, v9, v5 dst_sel:DWORD dst_unused:UNUSED_PAD src0_sel:DWORD src1_sel:BYTE_3
	v_sub_u32_e32 v8, 29, v8
	v_and_b32_e32 v5, 7, v5
	v_cmp_eq_u16_e32 vcc, 0, v6
	v_cndmask_b32_e32 v3, v3, v5, vcc
	v_cndmask_b32_e32 v5, v7, v8, vcc
	v_mov_b32_e32 v6, 0x3b800000
	v_lshlrev_b32_e32 v3, 20, v3
	v_lshl_add_u32 v5, v5, 23, v6
	v_or3_b32 v3, v4, v5, v3
.LBB3_1920:
	s_or_b64 exec, exec, s[6:7]
	s_nop 0
	v_mfma_f32_16x16x4f32 a[0:3], v2, v3, a[0:3]
	s_movk_i32 s4, 0x7f
                                        ; implicit-def: $sgpr10
	s_nop 7
	s_nop 1
	flat_store_dwordx4 v[10:11], a[0:3] offset:224
	flat_load_dwordx4 v[10:13], v[0:1] offset:8
	s_nop 0
	flat_load_dwordx2 v[8:9], v[0:1] offset:32
	s_waitcnt vmcnt(0) lgkmcnt(0)
	flat_load_dwordx4 v[4:7], v[10:11] offset:96
	flat_load_dwordx4 v[0:3], v[12:13] offset:96
	s_waitcnt vmcnt(0) lgkmcnt(0)
	v_cmp_gt_i16_sdwa s[6:7], v4, s4 src0_sel:BYTE_0 src1_sel:DWORD
	s_mov_b64 s[4:5], 0
	s_and_saveexec_b64 s[8:9], s[6:7]
	s_xor_b64 s[6:7], exec, s[8:9]
	s_cbranch_execnz .LBB3_3969
; %bb.1921:
	s_or_saveexec_b64 s[6:7], s[6:7]
	v_mov_b32_e32 v10, s10
	s_xor_b64 exec, exec, s[6:7]
	s_cbranch_execnz .LBB3_3972
.LBB3_1922:
	s_or_b64 exec, exec, s[6:7]
	s_and_saveexec_b64 s[6:7], s[4:5]
	s_cbranch_execz .LBB3_1924
.LBB3_1923:
	v_and_b32_e32 v10, 7, v4
	v_ffbh_u32_e32 v12, v10
	v_min_u32_e32 v12, 32, v12
	v_lshrrev_b16_e32 v11, 3, v4
	v_subrev_u32_e32 v13, 28, v12
	v_and_b32_e32 v11, 15, v11
	v_lshlrev_b32_e32 v13, v13, v4
	v_sub_u32_e32 v12, 29, v12
	v_and_b32_e32 v13, 7, v13
	v_cmp_eq_u16_e32 vcc, 0, v11
	v_cndmask_b32_e32 v10, v10, v13, vcc
	v_cndmask_b32_e32 v11, v11, v12, vcc
	v_lshlrev_b32_e32 v12, 24, v4
	v_mov_b32_e32 v13, 0x3b800000
	v_lshlrev_b32_e32 v10, 20, v10
	v_and_b32_e32 v12, 0x80000000, v12
	v_lshl_add_u32 v11, v11, 23, v13
	v_or3_b32 v10, v12, v11, v10
.LBB3_1924:
	s_or_b64 exec, exec, s[6:7]
	s_movk_i32 s4, 0x7f
	v_cmp_gt_i16_sdwa s[6:7], v0, s4 src0_sel:BYTE_0 src1_sel:DWORD
	s_mov_b64 s[4:5], 0
                                        ; implicit-def: $sgpr10
	s_and_saveexec_b64 s[8:9], s[6:7]
	s_xor_b64 s[6:7], exec, s[8:9]
	s_cbranch_execnz .LBB3_3973
; %bb.1925:
	s_or_saveexec_b64 s[6:7], s[6:7]
	v_mov_b32_e32 v11, s10
	s_xor_b64 exec, exec, s[6:7]
	s_cbranch_execnz .LBB3_3976
.LBB3_1926:
	s_or_b64 exec, exec, s[6:7]
	s_and_saveexec_b64 s[6:7], s[4:5]
	s_cbranch_execz .LBB3_1928
.LBB3_1927:
	v_and_b32_e32 v11, 7, v0
	v_ffbh_u32_e32 v13, v11
	v_min_u32_e32 v13, 32, v13
	v_lshrrev_b16_e32 v12, 3, v0
	v_subrev_u32_e32 v14, 28, v13
	v_and_b32_e32 v12, 15, v12
	v_lshlrev_b32_e32 v14, v14, v0
	v_sub_u32_e32 v13, 29, v13
	v_and_b32_e32 v14, 7, v14
	v_cmp_eq_u16_e32 vcc, 0, v12
	v_cndmask_b32_e32 v11, v11, v14, vcc
	v_cndmask_b32_e32 v12, v12, v13, vcc
	v_lshlrev_b32_e32 v13, 24, v0
	v_mov_b32_e32 v14, 0x3b800000
	v_lshlrev_b32_e32 v11, 20, v11
	v_and_b32_e32 v13, 0x80000000, v13
	v_lshl_add_u32 v12, v12, 23, v14
	v_or3_b32 v11, v13, v12, v11
.LBB3_1928:
	s_or_b64 exec, exec, s[6:7]
	flat_load_dwordx4 a[0:3], v[8:9] offset:240
	s_movk_i32 s4, 0x7f
                                        ; implicit-def: $sgpr10
	s_waitcnt vmcnt(0) lgkmcnt(0)
	v_mfma_f32_16x16x4f32 a[0:3], v10, v11, a[0:3]
	v_lshrrev_b32_e32 v11, 8, v4
	v_cmp_gt_i16_sdwa s[6:7], v11, s4 src0_sel:BYTE_0 src1_sel:DWORD
	s_mov_b64 s[4:5], 0
	s_and_saveexec_b64 s[8:9], s[6:7]
	s_xor_b64 s[6:7], exec, s[8:9]
	s_cbranch_execnz .LBB3_3977
; %bb.1929:
	s_or_saveexec_b64 s[6:7], s[6:7]
	v_mov_b32_e32 v10, s10
	s_xor_b64 exec, exec, s[6:7]
	s_cbranch_execnz .LBB3_3980
.LBB3_1930:
	s_or_b64 exec, exec, s[6:7]
	s_and_saveexec_b64 s[6:7], s[4:5]
	s_cbranch_execz .LBB3_1932
.LBB3_1931:
	v_bfe_u32 v10, v4, 8, 3
	v_ffbh_u32_e32 v13, v10
	v_min_u32_e32 v13, 32, v13
	v_lshrrev_b16_e32 v12, 3, v11
	v_subrev_u32_e32 v14, 28, v13
	v_and_b32_e32 v12, 15, v12
	v_lshlrev_b32_e32 v11, v14, v11
	v_sub_u32_e32 v13, 29, v13
	v_and_b32_e32 v11, 7, v11
	v_cmp_eq_u16_e32 vcc, 0, v12
	v_cndmask_b32_e32 v10, v10, v11, vcc
	v_cndmask_b32_e32 v11, v12, v13, vcc
	v_lshlrev_b32_e32 v12, 16, v4
	v_mov_b32_e32 v13, 0x3b800000
	v_lshlrev_b32_e32 v10, 20, v10
	v_and_b32_e32 v12, 0x80000000, v12
	v_lshl_add_u32 v11, v11, 23, v13
	v_or3_b32 v10, v12, v11, v10
.LBB3_1932:
	s_or_b64 exec, exec, s[6:7]
	v_lshrrev_b32_e32 v11, 8, v0
	s_movk_i32 s4, 0x7f
	v_cmp_gt_i16_sdwa s[6:7], v11, s4 src0_sel:BYTE_0 src1_sel:DWORD
	s_mov_b64 s[4:5], 0
                                        ; implicit-def: $sgpr10
	s_and_saveexec_b64 s[8:9], s[6:7]
	s_xor_b64 s[6:7], exec, s[8:9]
	s_cbranch_execnz .LBB3_3981
; %bb.1933:
	s_or_saveexec_b64 s[6:7], s[6:7]
	v_mov_b32_e32 v12, s10
	s_xor_b64 exec, exec, s[6:7]
	s_cbranch_execnz .LBB3_3984
.LBB3_1934:
	s_or_b64 exec, exec, s[6:7]
	s_and_saveexec_b64 s[6:7], s[4:5]
	s_cbranch_execz .LBB3_1936
.LBB3_1935:
	v_bfe_u32 v12, v0, 8, 3
	v_ffbh_u32_e32 v14, v12
	v_min_u32_e32 v14, 32, v14
	v_lshrrev_b16_e32 v13, 3, v11
	v_subrev_u32_e32 v15, 28, v14
	v_and_b32_e32 v13, 15, v13
	v_lshlrev_b32_e32 v11, v15, v11
	v_sub_u32_e32 v14, 29, v14
	v_and_b32_e32 v11, 7, v11
	v_cmp_eq_u16_e32 vcc, 0, v13
	v_cndmask_b32_e32 v11, v12, v11, vcc
	v_cndmask_b32_e32 v12, v13, v14, vcc
	v_lshlrev_b32_e32 v13, 16, v0
	v_mov_b32_e32 v14, 0x3b800000
	v_lshlrev_b32_e32 v11, 20, v11
	v_and_b32_e32 v13, 0x80000000, v13
	v_lshl_add_u32 v12, v12, 23, v14
	v_or3_b32 v12, v13, v12, v11
.LBB3_1936:
	s_or_b64 exec, exec, s[6:7]
	s_nop 0
	v_mfma_f32_16x16x4f32 a[0:3], v10, v12, a[0:3]
	s_movk_i32 s4, 0xff
	v_and_b32_sdwa v11, v4, s4 dst_sel:DWORD dst_unused:UNUSED_PAD src0_sel:WORD_1 src1_sel:DWORD
	s_movk_i32 s4, 0x7f
	v_cmp_lt_i16_e32 vcc, s4, v11
	s_mov_b64 s[4:5], 0
                                        ; implicit-def: $sgpr10
	s_and_saveexec_b64 s[6:7], vcc
	s_xor_b64 s[6:7], exec, s[6:7]
	s_cbranch_execnz .LBB3_3985
; %bb.1937:
	s_or_saveexec_b64 s[6:7], s[6:7]
	v_mov_b32_e32 v10, s10
	s_xor_b64 exec, exec, s[6:7]
	s_cbranch_execnz .LBB3_3988
.LBB3_1938:
	s_or_b64 exec, exec, s[6:7]
	s_and_saveexec_b64 s[6:7], s[4:5]
	s_cbranch_execz .LBB3_1940
.LBB3_1939:
	v_bfe_u32 v10, v4, 16, 3
	v_ffbh_u32_e32 v13, v10
	v_min_u32_e32 v13, 32, v13
	v_lshrrev_b32_e32 v11, 19, v4
	v_subrev_u32_e32 v14, 28, v13
	v_and_b32_e32 v11, 15, v11
	v_lshlrev_b32_sdwa v14, v14, v4 dst_sel:DWORD dst_unused:UNUSED_PAD src0_sel:DWORD src1_sel:WORD_1
	v_bfe_u32 v12, v4, 19, 4
	v_sub_u32_e32 v13, 29, v13
	v_and_b32_e32 v14, 7, v14
	v_cmp_eq_u16_e32 vcc, 0, v11
	v_cndmask_b32_e32 v10, v10, v14, vcc
	v_cndmask_b32_e32 v11, v12, v13, vcc
	v_lshlrev_b32_e32 v12, 8, v4
	v_mov_b32_e32 v13, 0x3b800000
	v_lshlrev_b32_e32 v10, 20, v10
	v_and_b32_e32 v12, 0x80000000, v12
	v_lshl_add_u32 v11, v11, 23, v13
	v_or3_b32 v10, v12, v11, v10
.LBB3_1940:
	s_or_b64 exec, exec, s[6:7]
	s_movk_i32 s4, 0xff
	v_and_b32_sdwa v11, v0, s4 dst_sel:DWORD dst_unused:UNUSED_PAD src0_sel:WORD_1 src1_sel:DWORD
	s_movk_i32 s4, 0x7f
	v_cmp_lt_i16_e32 vcc, s4, v11
	s_mov_b64 s[4:5], 0
                                        ; implicit-def: $sgpr10
	s_and_saveexec_b64 s[6:7], vcc
	s_xor_b64 s[6:7], exec, s[6:7]
	s_cbranch_execnz .LBB3_3989
; %bb.1941:
	s_or_saveexec_b64 s[6:7], s[6:7]
	v_mov_b32_e32 v12, s10
	s_xor_b64 exec, exec, s[6:7]
	s_cbranch_execnz .LBB3_3992
.LBB3_1942:
	s_or_b64 exec, exec, s[6:7]
	s_and_saveexec_b64 s[6:7], s[4:5]
	s_cbranch_execz .LBB3_1944
.LBB3_1943:
	v_bfe_u32 v11, v0, 16, 3
	v_ffbh_u32_e32 v14, v11
	v_min_u32_e32 v14, 32, v14
	v_lshrrev_b32_e32 v12, 19, v0
	v_subrev_u32_e32 v15, 28, v14
	v_and_b32_e32 v12, 15, v12
	v_lshlrev_b32_sdwa v15, v15, v0 dst_sel:DWORD dst_unused:UNUSED_PAD src0_sel:DWORD src1_sel:WORD_1
	v_bfe_u32 v13, v0, 19, 4
	v_sub_u32_e32 v14, 29, v14
	v_and_b32_e32 v15, 7, v15
	v_cmp_eq_u16_e32 vcc, 0, v12
	v_cndmask_b32_e32 v11, v11, v15, vcc
	v_cndmask_b32_e32 v12, v13, v14, vcc
	v_lshlrev_b32_e32 v13, 8, v0
	v_mov_b32_e32 v14, 0x3b800000
	v_lshlrev_b32_e32 v11, 20, v11
	v_and_b32_e32 v13, 0x80000000, v13
	v_lshl_add_u32 v12, v12, 23, v14
	v_or3_b32 v12, v13, v12, v11
.LBB3_1944:
	s_or_b64 exec, exec, s[6:7]
	s_nop 0
	v_mfma_f32_16x16x4f32 a[0:3], v10, v12, a[0:3]
	s_movk_i32 s4, 0x7f
	v_cmp_gt_i16_sdwa s[6:7], v4, s4 src0_sel:BYTE_3 src1_sel:DWORD
	s_mov_b64 s[4:5], 0
                                        ; implicit-def: $sgpr10
	s_and_saveexec_b64 s[8:9], s[6:7]
	s_xor_b64 s[6:7], exec, s[8:9]
	s_cbranch_execnz .LBB3_3993
; %bb.1945:
	s_or_saveexec_b64 s[6:7], s[6:7]
	v_mov_b32_e32 v10, s10
	s_xor_b64 exec, exec, s[6:7]
	s_cbranch_execnz .LBB3_3996
.LBB3_1946:
	s_or_b64 exec, exec, s[6:7]
	s_and_saveexec_b64 s[6:7], s[4:5]
	s_cbranch_execz .LBB3_1948
.LBB3_1947:
	v_bfe_u32 v10, v4, 24, 3
	v_ffbh_u32_e32 v14, v10
	v_min_u32_e32 v14, 32, v14
	v_lshrrev_b32_e32 v12, 27, v4
	v_subrev_u32_e32 v15, 28, v14
	v_and_b32_e32 v11, 0x80000000, v4
	v_and_b32_e32 v12, 15, v12
	v_bfe_u32 v13, v4, 27, 4
	v_lshlrev_b32_sdwa v4, v15, v4 dst_sel:DWORD dst_unused:UNUSED_PAD src0_sel:DWORD src1_sel:BYTE_3
	v_sub_u32_e32 v14, 29, v14
	v_and_b32_e32 v4, 7, v4
	v_cmp_eq_u16_e32 vcc, 0, v12
	v_cndmask_b32_e32 v4, v10, v4, vcc
	v_cndmask_b32_e32 v10, v13, v14, vcc
	v_mov_b32_e32 v12, 0x3b800000
	v_lshlrev_b32_e32 v4, 20, v4
	v_lshl_add_u32 v10, v10, 23, v12
	v_or3_b32 v10, v11, v10, v4
.LBB3_1948:
	s_or_b64 exec, exec, s[6:7]
	s_movk_i32 s4, 0x7f
	v_cmp_gt_i16_sdwa s[6:7], v0, s4 src0_sel:BYTE_3 src1_sel:DWORD
	s_mov_b64 s[4:5], 0
                                        ; implicit-def: $sgpr10
	s_and_saveexec_b64 s[8:9], s[6:7]
	s_xor_b64 s[6:7], exec, s[8:9]
	s_cbranch_execnz .LBB3_3997
; %bb.1949:
	s_or_saveexec_b64 s[6:7], s[6:7]
	v_mov_b32_e32 v4, s10
	s_xor_b64 exec, exec, s[6:7]
	s_cbranch_execnz .LBB3_4000
.LBB3_1950:
	s_or_b64 exec, exec, s[6:7]
	s_and_saveexec_b64 s[6:7], s[4:5]
	s_cbranch_execz .LBB3_1952
.LBB3_1951:
	v_bfe_u32 v4, v0, 24, 3
	v_ffbh_u32_e32 v14, v4
	v_min_u32_e32 v14, 32, v14
	v_lshrrev_b32_e32 v12, 27, v0
	v_subrev_u32_e32 v15, 28, v14
	v_and_b32_e32 v11, 0x80000000, v0
	v_and_b32_e32 v12, 15, v12
	v_bfe_u32 v13, v0, 27, 4
	v_lshlrev_b32_sdwa v0, v15, v0 dst_sel:DWORD dst_unused:UNUSED_PAD src0_sel:DWORD src1_sel:BYTE_3
	v_sub_u32_e32 v14, 29, v14
	v_and_b32_e32 v0, 7, v0
	v_cmp_eq_u16_e32 vcc, 0, v12
	v_cndmask_b32_e32 v0, v4, v0, vcc
	v_cndmask_b32_e32 v4, v13, v14, vcc
	v_mov_b32_e32 v12, 0x3b800000
	v_lshlrev_b32_e32 v0, 20, v0
	v_lshl_add_u32 v4, v4, 23, v12
	v_or3_b32 v4, v11, v4, v0
.LBB3_1952:
	s_or_b64 exec, exec, s[6:7]
	s_nop 0
	v_mfma_f32_16x16x4f32 a[0:3], v10, v4, a[0:3]
	s_movk_i32 s4, 0x7f
	v_cmp_gt_i16_sdwa s[6:7], v5, s4 src0_sel:BYTE_0 src1_sel:DWORD
	s_mov_b64 s[4:5], 0
                                        ; implicit-def: $sgpr10
	s_and_saveexec_b64 s[8:9], s[6:7]
	s_xor_b64 s[6:7], exec, s[8:9]
	s_cbranch_execnz .LBB3_4001
; %bb.1953:
	s_or_saveexec_b64 s[6:7], s[6:7]
	v_mov_b32_e32 v0, s10
	s_xor_b64 exec, exec, s[6:7]
	s_cbranch_execnz .LBB3_4004
.LBB3_1954:
	s_or_b64 exec, exec, s[6:7]
	s_and_saveexec_b64 s[6:7], s[4:5]
	s_cbranch_execz .LBB3_1956
.LBB3_1955:
	v_and_b32_e32 v0, 7, v5
	v_ffbh_u32_e32 v10, v0
	v_min_u32_e32 v10, 32, v10
	v_lshrrev_b16_e32 v4, 3, v5
	v_subrev_u32_e32 v11, 28, v10
	v_and_b32_e32 v4, 15, v4
	v_lshlrev_b32_e32 v11, v11, v5
	v_sub_u32_e32 v10, 29, v10
	v_and_b32_e32 v11, 7, v11
	v_cmp_eq_u16_e32 vcc, 0, v4
	v_cndmask_b32_e32 v0, v0, v11, vcc
	v_cndmask_b32_e32 v4, v4, v10, vcc
	v_lshlrev_b32_e32 v10, 24, v5
	v_mov_b32_e32 v11, 0x3b800000
	v_lshlrev_b32_e32 v0, 20, v0
	v_and_b32_e32 v10, 0x80000000, v10
	v_lshl_add_u32 v4, v4, 23, v11
	v_or3_b32 v0, v10, v4, v0
.LBB3_1956:
	s_or_b64 exec, exec, s[6:7]
	s_movk_i32 s4, 0x7f
	v_cmp_gt_i16_sdwa s[6:7], v1, s4 src0_sel:BYTE_0 src1_sel:DWORD
	s_mov_b64 s[4:5], 0
                                        ; implicit-def: $sgpr10
	s_and_saveexec_b64 s[8:9], s[6:7]
	s_xor_b64 s[6:7], exec, s[8:9]
	s_cbranch_execnz .LBB3_4005
; %bb.1957:
	s_or_saveexec_b64 s[6:7], s[6:7]
	v_mov_b32_e32 v4, s10
	s_xor_b64 exec, exec, s[6:7]
	s_cbranch_execnz .LBB3_4008
.LBB3_1958:
	s_or_b64 exec, exec, s[6:7]
	s_and_saveexec_b64 s[6:7], s[4:5]
	s_cbranch_execz .LBB3_1960
.LBB3_1959:
	v_and_b32_e32 v4, 7, v1
	v_ffbh_u32_e32 v11, v4
	v_min_u32_e32 v11, 32, v11
	v_lshrrev_b16_e32 v10, 3, v1
	v_subrev_u32_e32 v12, 28, v11
	v_and_b32_e32 v10, 15, v10
	v_lshlrev_b32_e32 v12, v12, v1
	v_sub_u32_e32 v11, 29, v11
	v_and_b32_e32 v12, 7, v12
	v_cmp_eq_u16_e32 vcc, 0, v10
	v_cndmask_b32_e32 v4, v4, v12, vcc
	v_cndmask_b32_e32 v10, v10, v11, vcc
	v_lshlrev_b32_e32 v11, 24, v1
	v_mov_b32_e32 v12, 0x3b800000
	v_lshlrev_b32_e32 v4, 20, v4
	v_and_b32_e32 v11, 0x80000000, v11
	v_lshl_add_u32 v10, v10, 23, v12
	v_or3_b32 v4, v11, v10, v4
.LBB3_1960:
	s_or_b64 exec, exec, s[6:7]
	s_nop 0
	v_mfma_f32_16x16x4f32 a[0:3], v0, v4, a[0:3]
	v_lshrrev_b32_e32 v4, 8, v5
	s_movk_i32 s4, 0x7f
	v_cmp_gt_i16_sdwa s[6:7], v4, s4 src0_sel:BYTE_0 src1_sel:DWORD
	s_mov_b64 s[4:5], 0
                                        ; implicit-def: $sgpr10
	s_and_saveexec_b64 s[8:9], s[6:7]
	s_xor_b64 s[6:7], exec, s[8:9]
	s_cbranch_execnz .LBB3_4009
; %bb.1961:
	s_or_saveexec_b64 s[6:7], s[6:7]
	v_mov_b32_e32 v0, s10
	s_xor_b64 exec, exec, s[6:7]
	s_cbranch_execnz .LBB3_4012
.LBB3_1962:
	s_or_b64 exec, exec, s[6:7]
	s_and_saveexec_b64 s[6:7], s[4:5]
	s_cbranch_execz .LBB3_1964
.LBB3_1963:
	v_bfe_u32 v0, v5, 8, 3
	v_ffbh_u32_e32 v11, v0
	v_min_u32_e32 v11, 32, v11
	v_lshrrev_b16_e32 v10, 3, v4
	v_subrev_u32_e32 v12, 28, v11
	v_and_b32_e32 v10, 15, v10
	v_lshlrev_b32_e32 v4, v12, v4
	v_sub_u32_e32 v11, 29, v11
	v_and_b32_e32 v4, 7, v4
	v_cmp_eq_u16_e32 vcc, 0, v10
	v_cndmask_b32_e32 v0, v0, v4, vcc
	v_cndmask_b32_e32 v4, v10, v11, vcc
	v_lshlrev_b32_e32 v10, 16, v5
	v_mov_b32_e32 v11, 0x3b800000
	v_lshlrev_b32_e32 v0, 20, v0
	v_and_b32_e32 v10, 0x80000000, v10
	v_lshl_add_u32 v4, v4, 23, v11
	v_or3_b32 v0, v10, v4, v0
.LBB3_1964:
	s_or_b64 exec, exec, s[6:7]
	v_lshrrev_b32_e32 v4, 8, v1
	s_movk_i32 s4, 0x7f
	v_cmp_gt_i16_sdwa s[6:7], v4, s4 src0_sel:BYTE_0 src1_sel:DWORD
	s_mov_b64 s[4:5], 0
                                        ; implicit-def: $sgpr10
	s_and_saveexec_b64 s[8:9], s[6:7]
	s_xor_b64 s[6:7], exec, s[8:9]
	s_cbranch_execnz .LBB3_4013
; %bb.1965:
	s_or_saveexec_b64 s[6:7], s[6:7]
	v_mov_b32_e32 v10, s10
	s_xor_b64 exec, exec, s[6:7]
	s_cbranch_execnz .LBB3_4016
.LBB3_1966:
	s_or_b64 exec, exec, s[6:7]
	s_and_saveexec_b64 s[6:7], s[4:5]
	s_cbranch_execz .LBB3_1968
.LBB3_1967:
	v_bfe_u32 v10, v1, 8, 3
	v_ffbh_u32_e32 v12, v10
	v_min_u32_e32 v12, 32, v12
	v_lshrrev_b16_e32 v11, 3, v4
	v_subrev_u32_e32 v13, 28, v12
	v_and_b32_e32 v11, 15, v11
	v_lshlrev_b32_e32 v4, v13, v4
	v_sub_u32_e32 v12, 29, v12
	v_and_b32_e32 v4, 7, v4
	v_cmp_eq_u16_e32 vcc, 0, v11
	v_cndmask_b32_e32 v4, v10, v4, vcc
	v_cndmask_b32_e32 v10, v11, v12, vcc
	v_lshlrev_b32_e32 v11, 16, v1
	v_mov_b32_e32 v12, 0x3b800000
	v_lshlrev_b32_e32 v4, 20, v4
	v_and_b32_e32 v11, 0x80000000, v11
	v_lshl_add_u32 v10, v10, 23, v12
	v_or3_b32 v10, v11, v10, v4
.LBB3_1968:
	s_or_b64 exec, exec, s[6:7]
	s_nop 0
	v_mfma_f32_16x16x4f32 a[0:3], v0, v10, a[0:3]
	s_movk_i32 s4, 0xff
	v_and_b32_sdwa v4, v5, s4 dst_sel:DWORD dst_unused:UNUSED_PAD src0_sel:WORD_1 src1_sel:DWORD
	s_movk_i32 s4, 0x7f
	v_cmp_lt_i16_e32 vcc, s4, v4
	s_mov_b64 s[4:5], 0
                                        ; implicit-def: $sgpr10
	s_and_saveexec_b64 s[6:7], vcc
	s_xor_b64 s[6:7], exec, s[6:7]
	s_cbranch_execnz .LBB3_4017
; %bb.1969:
	s_or_saveexec_b64 s[6:7], s[6:7]
	v_mov_b32_e32 v0, s10
	s_xor_b64 exec, exec, s[6:7]
	s_cbranch_execnz .LBB3_4020
.LBB3_1970:
	s_or_b64 exec, exec, s[6:7]
	s_and_saveexec_b64 s[6:7], s[4:5]
	s_cbranch_execz .LBB3_1972
.LBB3_1971:
	v_bfe_u32 v0, v5, 16, 3
	v_ffbh_u32_e32 v11, v0
	v_min_u32_e32 v11, 32, v11
	v_lshrrev_b32_e32 v4, 19, v5
	v_subrev_u32_e32 v12, 28, v11
	v_and_b32_e32 v4, 15, v4
	v_lshlrev_b32_sdwa v12, v12, v5 dst_sel:DWORD dst_unused:UNUSED_PAD src0_sel:DWORD src1_sel:WORD_1
	v_bfe_u32 v10, v5, 19, 4
	v_sub_u32_e32 v11, 29, v11
	v_and_b32_e32 v12, 7, v12
	v_cmp_eq_u16_e32 vcc, 0, v4
	v_cndmask_b32_e32 v0, v0, v12, vcc
	v_cndmask_b32_e32 v4, v10, v11, vcc
	v_lshlrev_b32_e32 v10, 8, v5
	v_mov_b32_e32 v11, 0x3b800000
	v_lshlrev_b32_e32 v0, 20, v0
	v_and_b32_e32 v10, 0x80000000, v10
	v_lshl_add_u32 v4, v4, 23, v11
	v_or3_b32 v0, v10, v4, v0
.LBB3_1972:
	s_or_b64 exec, exec, s[6:7]
	s_movk_i32 s4, 0xff
	v_and_b32_sdwa v4, v1, s4 dst_sel:DWORD dst_unused:UNUSED_PAD src0_sel:WORD_1 src1_sel:DWORD
	s_movk_i32 s4, 0x7f
	v_cmp_lt_i16_e32 vcc, s4, v4
	s_mov_b64 s[4:5], 0
                                        ; implicit-def: $sgpr10
	s_and_saveexec_b64 s[6:7], vcc
	s_xor_b64 s[6:7], exec, s[6:7]
	s_cbranch_execnz .LBB3_4021
; %bb.1973:
	s_or_saveexec_b64 s[6:7], s[6:7]
	v_mov_b32_e32 v10, s10
	s_xor_b64 exec, exec, s[6:7]
	s_cbranch_execnz .LBB3_4024
.LBB3_1974:
	s_or_b64 exec, exec, s[6:7]
	s_and_saveexec_b64 s[6:7], s[4:5]
	s_cbranch_execz .LBB3_1976
.LBB3_1975:
	v_bfe_u32 v4, v1, 16, 3
	v_ffbh_u32_e32 v12, v4
	v_min_u32_e32 v12, 32, v12
	v_lshrrev_b32_e32 v10, 19, v1
	v_subrev_u32_e32 v13, 28, v12
	v_and_b32_e32 v10, 15, v10
	v_lshlrev_b32_sdwa v13, v13, v1 dst_sel:DWORD dst_unused:UNUSED_PAD src0_sel:DWORD src1_sel:WORD_1
	v_bfe_u32 v11, v1, 19, 4
	v_sub_u32_e32 v12, 29, v12
	v_and_b32_e32 v13, 7, v13
	v_cmp_eq_u16_e32 vcc, 0, v10
	v_cndmask_b32_e32 v4, v4, v13, vcc
	v_cndmask_b32_e32 v10, v11, v12, vcc
	v_lshlrev_b32_e32 v11, 8, v1
	v_mov_b32_e32 v12, 0x3b800000
	v_lshlrev_b32_e32 v4, 20, v4
	v_and_b32_e32 v11, 0x80000000, v11
	v_lshl_add_u32 v10, v10, 23, v12
	v_or3_b32 v10, v11, v10, v4
.LBB3_1976:
	s_or_b64 exec, exec, s[6:7]
	s_nop 0
	v_mfma_f32_16x16x4f32 a[0:3], v0, v10, a[0:3]
	s_movk_i32 s4, 0x7f
	v_cmp_gt_i16_sdwa s[6:7], v5, s4 src0_sel:BYTE_3 src1_sel:DWORD
	s_mov_b64 s[4:5], 0
                                        ; implicit-def: $sgpr10
	s_and_saveexec_b64 s[8:9], s[6:7]
	s_xor_b64 s[6:7], exec, s[8:9]
	s_cbranch_execnz .LBB3_4025
; %bb.1977:
	s_or_saveexec_b64 s[6:7], s[6:7]
	v_mov_b32_e32 v0, s10
	s_xor_b64 exec, exec, s[6:7]
	s_cbranch_execnz .LBB3_4028
.LBB3_1978:
	s_or_b64 exec, exec, s[6:7]
	s_and_saveexec_b64 s[6:7], s[4:5]
	s_cbranch_execz .LBB3_1980
.LBB3_1979:
	v_bfe_u32 v0, v5, 24, 3
	v_ffbh_u32_e32 v12, v0
	v_min_u32_e32 v12, 32, v12
	v_lshrrev_b32_e32 v10, 27, v5
	v_subrev_u32_e32 v13, 28, v12
	v_and_b32_e32 v4, 0x80000000, v5
	v_and_b32_e32 v10, 15, v10
	v_bfe_u32 v11, v5, 27, 4
	v_lshlrev_b32_sdwa v5, v13, v5 dst_sel:DWORD dst_unused:UNUSED_PAD src0_sel:DWORD src1_sel:BYTE_3
	v_sub_u32_e32 v12, 29, v12
	v_and_b32_e32 v5, 7, v5
	v_cmp_eq_u16_e32 vcc, 0, v10
	v_cndmask_b32_e32 v0, v0, v5, vcc
	v_cndmask_b32_e32 v5, v11, v12, vcc
	v_mov_b32_e32 v10, 0x3b800000
	v_lshlrev_b32_e32 v0, 20, v0
	v_lshl_add_u32 v5, v5, 23, v10
	v_or3_b32 v0, v4, v5, v0
.LBB3_1980:
	s_or_b64 exec, exec, s[6:7]
	s_movk_i32 s4, 0x7f
	v_cmp_gt_i16_sdwa s[6:7], v1, s4 src0_sel:BYTE_3 src1_sel:DWORD
	s_mov_b64 s[4:5], 0
                                        ; implicit-def: $sgpr10
	s_and_saveexec_b64 s[8:9], s[6:7]
	s_xor_b64 s[6:7], exec, s[8:9]
	s_cbranch_execnz .LBB3_4029
; %bb.1981:
	s_or_saveexec_b64 s[6:7], s[6:7]
	v_mov_b32_e32 v4, s10
	s_xor_b64 exec, exec, s[6:7]
	s_cbranch_execnz .LBB3_4032
.LBB3_1982:
	s_or_b64 exec, exec, s[6:7]
	s_and_saveexec_b64 s[6:7], s[4:5]
	s_cbranch_execz .LBB3_1984
.LBB3_1983:
	v_bfe_u32 v4, v1, 24, 3
	v_ffbh_u32_e32 v12, v4
	v_min_u32_e32 v12, 32, v12
	v_lshrrev_b32_e32 v10, 27, v1
	v_subrev_u32_e32 v13, 28, v12
	v_and_b32_e32 v5, 0x80000000, v1
	v_and_b32_e32 v10, 15, v10
	v_bfe_u32 v11, v1, 27, 4
	v_lshlrev_b32_sdwa v1, v13, v1 dst_sel:DWORD dst_unused:UNUSED_PAD src0_sel:DWORD src1_sel:BYTE_3
	v_sub_u32_e32 v12, 29, v12
	v_and_b32_e32 v1, 7, v1
	v_cmp_eq_u16_e32 vcc, 0, v10
	v_cndmask_b32_e32 v1, v4, v1, vcc
	v_cndmask_b32_e32 v4, v11, v12, vcc
	v_mov_b32_e32 v10, 0x3b800000
	v_lshlrev_b32_e32 v1, 20, v1
	v_lshl_add_u32 v4, v4, 23, v10
	v_or3_b32 v4, v5, v4, v1
.LBB3_1984:
	s_or_b64 exec, exec, s[6:7]
	s_nop 0
	v_mfma_f32_16x16x4f32 a[0:3], v0, v4, a[0:3]
	s_movk_i32 s4, 0x7f
	v_cmp_gt_i16_sdwa s[6:7], v6, s4 src0_sel:BYTE_0 src1_sel:DWORD
	s_mov_b64 s[4:5], 0
                                        ; implicit-def: $sgpr10
	s_and_saveexec_b64 s[8:9], s[6:7]
	s_xor_b64 s[6:7], exec, s[8:9]
	s_cbranch_execnz .LBB3_4033
; %bb.1985:
	s_or_saveexec_b64 s[6:7], s[6:7]
	v_mov_b32_e32 v0, s10
	s_xor_b64 exec, exec, s[6:7]
	s_cbranch_execnz .LBB3_4036
.LBB3_1986:
	s_or_b64 exec, exec, s[6:7]
	s_and_saveexec_b64 s[6:7], s[4:5]
	s_cbranch_execz .LBB3_1988
.LBB3_1987:
	v_and_b32_e32 v0, 7, v6
	v_ffbh_u32_e32 v4, v0
	v_min_u32_e32 v4, 32, v4
	v_lshrrev_b16_e32 v1, 3, v6
	v_subrev_u32_e32 v5, 28, v4
	v_and_b32_e32 v1, 15, v1
	v_lshlrev_b32_e32 v5, v5, v6
	v_sub_u32_e32 v4, 29, v4
	v_and_b32_e32 v5, 7, v5
	v_cmp_eq_u16_e32 vcc, 0, v1
	v_cndmask_b32_e32 v0, v0, v5, vcc
	v_cndmask_b32_e32 v1, v1, v4, vcc
	v_lshlrev_b32_e32 v4, 24, v6
	v_mov_b32_e32 v5, 0x3b800000
	v_lshlrev_b32_e32 v0, 20, v0
	v_and_b32_e32 v4, 0x80000000, v4
	v_lshl_add_u32 v1, v1, 23, v5
	v_or3_b32 v0, v4, v1, v0
.LBB3_1988:
	s_or_b64 exec, exec, s[6:7]
	s_movk_i32 s4, 0x7f
	v_cmp_gt_i16_sdwa s[6:7], v2, s4 src0_sel:BYTE_0 src1_sel:DWORD
	s_mov_b64 s[4:5], 0
                                        ; implicit-def: $sgpr10
	s_and_saveexec_b64 s[8:9], s[6:7]
	s_xor_b64 s[6:7], exec, s[8:9]
	s_cbranch_execnz .LBB3_4037
; %bb.1989:
	s_or_saveexec_b64 s[6:7], s[6:7]
	v_mov_b32_e32 v1, s10
	s_xor_b64 exec, exec, s[6:7]
	s_cbranch_execnz .LBB3_4040
.LBB3_1990:
	s_or_b64 exec, exec, s[6:7]
	s_and_saveexec_b64 s[6:7], s[4:5]
	s_cbranch_execz .LBB3_1992
.LBB3_1991:
	v_and_b32_e32 v1, 7, v2
	v_ffbh_u32_e32 v5, v1
	v_min_u32_e32 v5, 32, v5
	v_lshrrev_b16_e32 v4, 3, v2
	v_subrev_u32_e32 v10, 28, v5
	v_and_b32_e32 v4, 15, v4
	v_lshlrev_b32_e32 v10, v10, v2
	v_sub_u32_e32 v5, 29, v5
	v_and_b32_e32 v10, 7, v10
	v_cmp_eq_u16_e32 vcc, 0, v4
	v_cndmask_b32_e32 v1, v1, v10, vcc
	v_cndmask_b32_e32 v4, v4, v5, vcc
	v_lshlrev_b32_e32 v5, 24, v2
	v_mov_b32_e32 v10, 0x3b800000
	v_lshlrev_b32_e32 v1, 20, v1
	v_and_b32_e32 v5, 0x80000000, v5
	v_lshl_add_u32 v4, v4, 23, v10
	v_or3_b32 v1, v5, v4, v1
.LBB3_1992:
	s_or_b64 exec, exec, s[6:7]
	s_nop 0
	v_mfma_f32_16x16x4f32 a[0:3], v0, v1, a[0:3]
	v_lshrrev_b32_e32 v1, 8, v6
	s_movk_i32 s4, 0x7f
	v_cmp_gt_i16_sdwa s[6:7], v1, s4 src0_sel:BYTE_0 src1_sel:DWORD
	s_mov_b64 s[4:5], 0
                                        ; implicit-def: $sgpr10
	s_and_saveexec_b64 s[8:9], s[6:7]
	s_xor_b64 s[6:7], exec, s[8:9]
	s_cbranch_execnz .LBB3_4041
; %bb.1993:
	s_or_saveexec_b64 s[6:7], s[6:7]
	v_mov_b32_e32 v0, s10
	s_xor_b64 exec, exec, s[6:7]
	s_cbranch_execnz .LBB3_4044
.LBB3_1994:
	s_or_b64 exec, exec, s[6:7]
	s_and_saveexec_b64 s[6:7], s[4:5]
	s_cbranch_execz .LBB3_1996
.LBB3_1995:
	v_bfe_u32 v0, v6, 8, 3
	v_ffbh_u32_e32 v5, v0
	v_min_u32_e32 v5, 32, v5
	v_lshrrev_b16_e32 v4, 3, v1
	v_subrev_u32_e32 v10, 28, v5
	v_and_b32_e32 v4, 15, v4
	v_lshlrev_b32_e32 v1, v10, v1
	v_sub_u32_e32 v5, 29, v5
	v_and_b32_e32 v1, 7, v1
	v_cmp_eq_u16_e32 vcc, 0, v4
	v_cndmask_b32_e32 v0, v0, v1, vcc
	v_cndmask_b32_e32 v1, v4, v5, vcc
	v_lshlrev_b32_e32 v4, 16, v6
	v_mov_b32_e32 v5, 0x3b800000
	v_lshlrev_b32_e32 v0, 20, v0
	v_and_b32_e32 v4, 0x80000000, v4
	v_lshl_add_u32 v1, v1, 23, v5
	v_or3_b32 v0, v4, v1, v0
.LBB3_1996:
	s_or_b64 exec, exec, s[6:7]
	v_lshrrev_b32_e32 v1, 8, v2
	s_movk_i32 s4, 0x7f
	v_cmp_gt_i16_sdwa s[6:7], v1, s4 src0_sel:BYTE_0 src1_sel:DWORD
	s_mov_b64 s[4:5], 0
                                        ; implicit-def: $sgpr10
	s_and_saveexec_b64 s[8:9], s[6:7]
	s_xor_b64 s[6:7], exec, s[8:9]
	s_cbranch_execnz .LBB3_4045
; %bb.1997:
	s_or_saveexec_b64 s[6:7], s[6:7]
	v_mov_b32_e32 v4, s10
	s_xor_b64 exec, exec, s[6:7]
	s_cbranch_execnz .LBB3_4048
.LBB3_1998:
	s_or_b64 exec, exec, s[6:7]
	s_and_saveexec_b64 s[6:7], s[4:5]
	s_cbranch_execz .LBB3_2000
.LBB3_1999:
	v_bfe_u32 v4, v2, 8, 3
	v_ffbh_u32_e32 v10, v4
	v_min_u32_e32 v10, 32, v10
	v_lshrrev_b16_e32 v5, 3, v1
	v_subrev_u32_e32 v11, 28, v10
	v_and_b32_e32 v5, 15, v5
	v_lshlrev_b32_e32 v1, v11, v1
	v_sub_u32_e32 v10, 29, v10
	v_and_b32_e32 v1, 7, v1
	v_cmp_eq_u16_e32 vcc, 0, v5
	v_cndmask_b32_e32 v1, v4, v1, vcc
	v_cndmask_b32_e32 v4, v5, v10, vcc
	v_lshlrev_b32_e32 v5, 16, v2
	v_mov_b32_e32 v10, 0x3b800000
	v_lshlrev_b32_e32 v1, 20, v1
	v_and_b32_e32 v5, 0x80000000, v5
	v_lshl_add_u32 v4, v4, 23, v10
	v_or3_b32 v4, v5, v4, v1
.LBB3_2000:
	s_or_b64 exec, exec, s[6:7]
	s_nop 0
	v_mfma_f32_16x16x4f32 a[0:3], v0, v4, a[0:3]
	s_movk_i32 s4, 0xff
	v_and_b32_sdwa v1, v6, s4 dst_sel:DWORD dst_unused:UNUSED_PAD src0_sel:WORD_1 src1_sel:DWORD
	s_movk_i32 s4, 0x7f
	v_cmp_lt_i16_e32 vcc, s4, v1
	s_mov_b64 s[4:5], 0
                                        ; implicit-def: $sgpr10
	s_and_saveexec_b64 s[6:7], vcc
	s_xor_b64 s[6:7], exec, s[6:7]
	s_cbranch_execnz .LBB3_4049
; %bb.2001:
	s_or_saveexec_b64 s[6:7], s[6:7]
	v_mov_b32_e32 v0, s10
	s_xor_b64 exec, exec, s[6:7]
	s_cbranch_execnz .LBB3_4052
.LBB3_2002:
	s_or_b64 exec, exec, s[6:7]
	s_and_saveexec_b64 s[6:7], s[4:5]
	s_cbranch_execz .LBB3_2004
.LBB3_2003:
	v_bfe_u32 v0, v6, 16, 3
	v_ffbh_u32_e32 v5, v0
	v_min_u32_e32 v5, 32, v5
	v_lshrrev_b32_e32 v1, 19, v6
	v_subrev_u32_e32 v10, 28, v5
	v_and_b32_e32 v1, 15, v1
	v_lshlrev_b32_sdwa v10, v10, v6 dst_sel:DWORD dst_unused:UNUSED_PAD src0_sel:DWORD src1_sel:WORD_1
	v_bfe_u32 v4, v6, 19, 4
	v_sub_u32_e32 v5, 29, v5
	v_and_b32_e32 v10, 7, v10
	v_cmp_eq_u16_e32 vcc, 0, v1
	v_cndmask_b32_e32 v0, v0, v10, vcc
	v_cndmask_b32_e32 v1, v4, v5, vcc
	v_lshlrev_b32_e32 v4, 8, v6
	v_mov_b32_e32 v5, 0x3b800000
	v_lshlrev_b32_e32 v0, 20, v0
	v_and_b32_e32 v4, 0x80000000, v4
	v_lshl_add_u32 v1, v1, 23, v5
	v_or3_b32 v0, v4, v1, v0
.LBB3_2004:
	s_or_b64 exec, exec, s[6:7]
	s_movk_i32 s4, 0xff
	v_and_b32_sdwa v1, v2, s4 dst_sel:DWORD dst_unused:UNUSED_PAD src0_sel:WORD_1 src1_sel:DWORD
	s_movk_i32 s4, 0x7f
	v_cmp_lt_i16_e32 vcc, s4, v1
	s_mov_b64 s[4:5], 0
                                        ; implicit-def: $sgpr10
	s_and_saveexec_b64 s[6:7], vcc
	s_xor_b64 s[6:7], exec, s[6:7]
	s_cbranch_execnz .LBB3_4053
; %bb.2005:
	s_or_saveexec_b64 s[6:7], s[6:7]
	v_mov_b32_e32 v4, s10
	s_xor_b64 exec, exec, s[6:7]
	s_cbranch_execnz .LBB3_4056
.LBB3_2006:
	s_or_b64 exec, exec, s[6:7]
	s_and_saveexec_b64 s[6:7], s[4:5]
	s_cbranch_execz .LBB3_2008
.LBB3_2007:
	v_bfe_u32 v1, v2, 16, 3
	v_ffbh_u32_e32 v10, v1
	v_min_u32_e32 v10, 32, v10
	v_lshrrev_b32_e32 v4, 19, v2
	v_subrev_u32_e32 v11, 28, v10
	v_and_b32_e32 v4, 15, v4
	v_lshlrev_b32_sdwa v11, v11, v2 dst_sel:DWORD dst_unused:UNUSED_PAD src0_sel:DWORD src1_sel:WORD_1
	v_bfe_u32 v5, v2, 19, 4
	v_sub_u32_e32 v10, 29, v10
	v_and_b32_e32 v11, 7, v11
	v_cmp_eq_u16_e32 vcc, 0, v4
	v_cndmask_b32_e32 v1, v1, v11, vcc
	v_cndmask_b32_e32 v4, v5, v10, vcc
	v_lshlrev_b32_e32 v5, 8, v2
	v_mov_b32_e32 v10, 0x3b800000
	v_lshlrev_b32_e32 v1, 20, v1
	v_and_b32_e32 v5, 0x80000000, v5
	v_lshl_add_u32 v4, v4, 23, v10
	v_or3_b32 v4, v5, v4, v1
.LBB3_2008:
	s_or_b64 exec, exec, s[6:7]
	s_nop 0
	v_mfma_f32_16x16x4f32 a[0:3], v0, v4, a[0:3]
	s_movk_i32 s4, 0x7f
	v_cmp_gt_i16_sdwa s[6:7], v6, s4 src0_sel:BYTE_3 src1_sel:DWORD
	s_mov_b64 s[4:5], 0
                                        ; implicit-def: $sgpr10
	s_and_saveexec_b64 s[8:9], s[6:7]
	s_xor_b64 s[6:7], exec, s[8:9]
	s_cbranch_execnz .LBB3_4057
; %bb.2009:
	s_or_saveexec_b64 s[6:7], s[6:7]
	v_mov_b32_e32 v0, s10
	s_xor_b64 exec, exec, s[6:7]
	s_cbranch_execnz .LBB3_4060
.LBB3_2010:
	s_or_b64 exec, exec, s[6:7]
	s_and_saveexec_b64 s[6:7], s[4:5]
	s_cbranch_execz .LBB3_2012
.LBB3_2011:
	v_bfe_u32 v0, v6, 24, 3
	v_ffbh_u32_e32 v10, v0
	v_min_u32_e32 v10, 32, v10
	v_lshrrev_b32_e32 v4, 27, v6
	v_subrev_u32_e32 v11, 28, v10
	v_and_b32_e32 v1, 0x80000000, v6
	v_and_b32_e32 v4, 15, v4
	v_bfe_u32 v5, v6, 27, 4
	v_lshlrev_b32_sdwa v6, v11, v6 dst_sel:DWORD dst_unused:UNUSED_PAD src0_sel:DWORD src1_sel:BYTE_3
	v_sub_u32_e32 v10, 29, v10
	v_and_b32_e32 v6, 7, v6
	v_cmp_eq_u16_e32 vcc, 0, v4
	v_cndmask_b32_e32 v0, v0, v6, vcc
	v_cndmask_b32_e32 v4, v5, v10, vcc
	v_mov_b32_e32 v5, 0x3b800000
	v_lshlrev_b32_e32 v0, 20, v0
	v_lshl_add_u32 v4, v4, 23, v5
	v_or3_b32 v0, v1, v4, v0
.LBB3_2012:
	s_or_b64 exec, exec, s[6:7]
	s_movk_i32 s4, 0x7f
	v_cmp_gt_i16_sdwa s[6:7], v2, s4 src0_sel:BYTE_3 src1_sel:DWORD
	s_mov_b64 s[4:5], 0
                                        ; implicit-def: $sgpr10
	s_and_saveexec_b64 s[8:9], s[6:7]
	s_xor_b64 s[6:7], exec, s[8:9]
	s_cbranch_execnz .LBB3_4061
; %bb.2013:
	s_or_saveexec_b64 s[6:7], s[6:7]
	v_mov_b32_e32 v1, s10
	s_xor_b64 exec, exec, s[6:7]
	s_cbranch_execnz .LBB3_4064
.LBB3_2014:
	s_or_b64 exec, exec, s[6:7]
	s_and_saveexec_b64 s[6:7], s[4:5]
	s_cbranch_execz .LBB3_2016
.LBB3_2015:
	v_bfe_u32 v1, v2, 24, 3
	v_ffbh_u32_e32 v10, v1
	v_min_u32_e32 v10, 32, v10
	v_lshrrev_b32_e32 v5, 27, v2
	v_subrev_u32_e32 v11, 28, v10
	v_and_b32_e32 v4, 0x80000000, v2
	v_and_b32_e32 v5, 15, v5
	v_bfe_u32 v6, v2, 27, 4
	v_lshlrev_b32_sdwa v2, v11, v2 dst_sel:DWORD dst_unused:UNUSED_PAD src0_sel:DWORD src1_sel:BYTE_3
	v_sub_u32_e32 v10, 29, v10
	v_and_b32_e32 v2, 7, v2
	v_cmp_eq_u16_e32 vcc, 0, v5
	v_cndmask_b32_e32 v1, v1, v2, vcc
	v_cndmask_b32_e32 v2, v6, v10, vcc
	v_mov_b32_e32 v5, 0x3b800000
	v_lshlrev_b32_e32 v1, 20, v1
	v_lshl_add_u32 v2, v2, 23, v5
	v_or3_b32 v1, v4, v2, v1
.LBB3_2016:
	s_or_b64 exec, exec, s[6:7]
	s_nop 0
	v_mfma_f32_16x16x4f32 a[0:3], v0, v1, a[0:3]
	s_movk_i32 s4, 0x7f
	v_cmp_gt_i16_sdwa s[6:7], v7, s4 src0_sel:BYTE_0 src1_sel:DWORD
	s_mov_b64 s[4:5], 0
                                        ; implicit-def: $sgpr10
	s_and_saveexec_b64 s[8:9], s[6:7]
	s_xor_b64 s[6:7], exec, s[8:9]
	s_cbranch_execnz .LBB3_4065
; %bb.2017:
	s_or_saveexec_b64 s[6:7], s[6:7]
	v_mov_b32_e32 v0, s10
	s_xor_b64 exec, exec, s[6:7]
	s_cbranch_execnz .LBB3_4068
.LBB3_2018:
	s_or_b64 exec, exec, s[6:7]
	s_and_saveexec_b64 s[6:7], s[4:5]
	s_cbranch_execz .LBB3_2020
.LBB3_2019:
	v_mov_b32_e32 v0, 8
	v_and_b32_e32 v1, 7, v7
	v_lshrrev_b32_sdwa v0, v0, v7 dst_sel:BYTE_1 dst_unused:UNUSED_PAD src0_sel:DWORD src1_sel:DWORD
	v_ffbh_u32_e32 v2, v1
	v_or_b32_sdwa v0, v7, v0 dst_sel:DWORD dst_unused:UNUSED_PAD src0_sel:BYTE_0 src1_sel:DWORD
	v_min_u32_e32 v2, 32, v2
	v_lshrrev_b16_e32 v0, 3, v0
	v_subrev_u32_e32 v4, 28, v2
	v_and_b32_e32 v0, 15, v0
	v_lshlrev_b32_e32 v4, v4, v7
	v_sub_u32_e32 v2, 29, v2
	v_and_b32_e32 v4, 7, v4
	v_cmp_eq_u16_e32 vcc, 0, v0
	v_cndmask_b32_e32 v1, v1, v4, vcc
	v_cndmask_b32_e32 v0, v0, v2, vcc
	v_lshlrev_b32_e32 v2, 24, v7
	v_mov_b32_e32 v4, 0x3b800000
	v_lshlrev_b32_e32 v1, 20, v1
	v_and_b32_e32 v2, 0x80000000, v2
	v_lshl_add_u32 v0, v0, 23, v4
	v_or3_b32 v0, v2, v0, v1
.LBB3_2020:
	s_or_b64 exec, exec, s[6:7]
	s_movk_i32 s4, 0x7f
	v_cmp_gt_i16_sdwa s[6:7], v3, s4 src0_sel:BYTE_0 src1_sel:DWORD
	s_mov_b64 s[4:5], 0
                                        ; implicit-def: $sgpr10
	s_and_saveexec_b64 s[8:9], s[6:7]
	s_xor_b64 s[6:7], exec, s[8:9]
	s_cbranch_execnz .LBB3_4069
; %bb.2021:
	s_or_saveexec_b64 s[6:7], s[6:7]
	v_mov_b32_e32 v1, s10
	s_xor_b64 exec, exec, s[6:7]
	s_cbranch_execnz .LBB3_4072
.LBB3_2022:
	s_or_b64 exec, exec, s[6:7]
	s_and_saveexec_b64 s[6:7], s[4:5]
	s_cbranch_execz .LBB3_2024
.LBB3_2023:
	v_mov_b32_e32 v1, 8
	v_and_b32_e32 v2, 7, v3
	v_lshrrev_b32_sdwa v1, v1, v3 dst_sel:BYTE_1 dst_unused:UNUSED_PAD src0_sel:DWORD src1_sel:DWORD
	v_ffbh_u32_e32 v4, v2
	v_or_b32_sdwa v1, v3, v1 dst_sel:DWORD dst_unused:UNUSED_PAD src0_sel:BYTE_0 src1_sel:DWORD
	v_min_u32_e32 v4, 32, v4
	v_lshrrev_b16_e32 v1, 3, v1
	v_subrev_u32_e32 v5, 28, v4
	v_and_b32_e32 v1, 15, v1
	v_lshlrev_b32_e32 v5, v5, v3
	v_sub_u32_e32 v4, 29, v4
	v_and_b32_e32 v5, 7, v5
	v_cmp_eq_u16_e32 vcc, 0, v1
	v_cndmask_b32_e32 v2, v2, v5, vcc
	v_cndmask_b32_e32 v1, v1, v4, vcc
	v_lshlrev_b32_e32 v4, 24, v3
	v_mov_b32_e32 v5, 0x3b800000
	v_lshlrev_b32_e32 v2, 20, v2
	v_and_b32_e32 v4, 0x80000000, v4
	v_lshl_add_u32 v1, v1, 23, v5
	v_or3_b32 v1, v4, v1, v2
.LBB3_2024:
	s_or_b64 exec, exec, s[6:7]
	s_nop 0
	v_mfma_f32_16x16x4f32 a[0:3], v0, v1, a[0:3]
	v_lshrrev_b32_e32 v1, 8, v7
	s_movk_i32 s4, 0x7f
	v_cmp_gt_i16_sdwa s[6:7], v1, s4 src0_sel:BYTE_0 src1_sel:DWORD
	s_mov_b64 s[4:5], 0
                                        ; implicit-def: $sgpr10
	s_and_saveexec_b64 s[8:9], s[6:7]
	s_xor_b64 s[6:7], exec, s[8:9]
	s_cbranch_execnz .LBB3_4073
; %bb.2025:
	s_or_saveexec_b64 s[6:7], s[6:7]
	v_mov_b32_e32 v0, s10
	s_xor_b64 exec, exec, s[6:7]
	s_cbranch_execnz .LBB3_4076
.LBB3_2026:
	s_or_b64 exec, exec, s[6:7]
	s_and_saveexec_b64 s[6:7], s[4:5]
	s_cbranch_execz .LBB3_2028
.LBB3_2027:
	v_bfe_u32 v0, v7, 8, 3
	v_ffbh_u32_e32 v4, v0
	v_min_u32_e32 v4, 32, v4
	v_lshrrev_b16_e32 v2, 3, v1
	v_subrev_u32_e32 v5, 28, v4
	v_and_b32_e32 v2, 15, v2
	v_lshlrev_b32_e32 v1, v5, v1
	v_sub_u32_e32 v4, 29, v4
	v_and_b32_e32 v1, 7, v1
	v_cmp_eq_u16_e32 vcc, 0, v2
	v_cndmask_b32_e32 v0, v0, v1, vcc
	v_cndmask_b32_e32 v1, v2, v4, vcc
	v_lshlrev_b32_e32 v2, 16, v7
	v_mov_b32_e32 v4, 0x3b800000
	v_lshlrev_b32_e32 v0, 20, v0
	v_and_b32_e32 v2, 0x80000000, v2
	v_lshl_add_u32 v1, v1, 23, v4
	v_or3_b32 v0, v2, v1, v0
.LBB3_2028:
	s_or_b64 exec, exec, s[6:7]
	v_lshrrev_b32_e32 v1, 8, v3
	s_movk_i32 s4, 0x7f
	v_cmp_gt_i16_sdwa s[6:7], v1, s4 src0_sel:BYTE_0 src1_sel:DWORD
	s_mov_b64 s[4:5], 0
                                        ; implicit-def: $sgpr10
	s_and_saveexec_b64 s[8:9], s[6:7]
	s_xor_b64 s[6:7], exec, s[8:9]
	s_cbranch_execnz .LBB3_4077
; %bb.2029:
	s_or_saveexec_b64 s[6:7], s[6:7]
	v_mov_b32_e32 v2, s10
	s_xor_b64 exec, exec, s[6:7]
	s_cbranch_execnz .LBB3_4080
.LBB3_2030:
	s_or_b64 exec, exec, s[6:7]
	s_and_saveexec_b64 s[6:7], s[4:5]
	s_cbranch_execz .LBB3_2032
.LBB3_2031:
	v_bfe_u32 v2, v3, 8, 3
	v_ffbh_u32_e32 v5, v2
	v_min_u32_e32 v5, 32, v5
	v_lshrrev_b16_e32 v4, 3, v1
	v_subrev_u32_e32 v6, 28, v5
	v_and_b32_e32 v4, 15, v4
	v_lshlrev_b32_e32 v1, v6, v1
	v_sub_u32_e32 v5, 29, v5
	v_and_b32_e32 v1, 7, v1
	v_cmp_eq_u16_e32 vcc, 0, v4
	v_cndmask_b32_e32 v1, v2, v1, vcc
	v_cndmask_b32_e32 v2, v4, v5, vcc
	v_lshlrev_b32_e32 v4, 16, v3
	v_mov_b32_e32 v5, 0x3b800000
	v_lshlrev_b32_e32 v1, 20, v1
	v_and_b32_e32 v4, 0x80000000, v4
	v_lshl_add_u32 v2, v2, 23, v5
	v_or3_b32 v2, v4, v2, v1
.LBB3_2032:
	s_or_b64 exec, exec, s[6:7]
	s_nop 0
	v_mfma_f32_16x16x4f32 a[0:3], v0, v2, a[0:3]
	s_movk_i32 s4, 0xff
	v_and_b32_sdwa v1, v7, s4 dst_sel:DWORD dst_unused:UNUSED_PAD src0_sel:WORD_1 src1_sel:DWORD
	s_movk_i32 s4, 0x7f
	v_cmp_lt_i16_e32 vcc, s4, v1
	s_mov_b64 s[4:5], 0
                                        ; implicit-def: $sgpr10
	s_and_saveexec_b64 s[6:7], vcc
	s_xor_b64 s[6:7], exec, s[6:7]
	s_cbranch_execnz .LBB3_4081
; %bb.2033:
	s_or_saveexec_b64 s[6:7], s[6:7]
	v_mov_b32_e32 v0, s10
	s_xor_b64 exec, exec, s[6:7]
	s_cbranch_execnz .LBB3_4084
.LBB3_2034:
	s_or_b64 exec, exec, s[6:7]
	s_and_saveexec_b64 s[6:7], s[4:5]
	s_cbranch_execz .LBB3_2036
.LBB3_2035:
	v_bfe_u32 v0, v7, 16, 3
	v_ffbh_u32_e32 v4, v0
	v_min_u32_e32 v4, 32, v4
	v_lshrrev_b32_e32 v1, 19, v7
	v_subrev_u32_e32 v5, 28, v4
	v_and_b32_e32 v1, 15, v1
	v_lshlrev_b32_sdwa v5, v5, v7 dst_sel:DWORD dst_unused:UNUSED_PAD src0_sel:DWORD src1_sel:WORD_1
	v_bfe_u32 v2, v7, 19, 4
	v_sub_u32_e32 v4, 29, v4
	v_and_b32_e32 v5, 7, v5
	v_cmp_eq_u16_e32 vcc, 0, v1
	v_cndmask_b32_e32 v0, v0, v5, vcc
	v_cndmask_b32_e32 v1, v2, v4, vcc
	v_lshlrev_b32_e32 v2, 8, v7
	v_mov_b32_e32 v4, 0x3b800000
	v_lshlrev_b32_e32 v0, 20, v0
	v_and_b32_e32 v2, 0x80000000, v2
	v_lshl_add_u32 v1, v1, 23, v4
	v_or3_b32 v0, v2, v1, v0
.LBB3_2036:
	s_or_b64 exec, exec, s[6:7]
	s_movk_i32 s4, 0xff
	v_and_b32_sdwa v1, v3, s4 dst_sel:DWORD dst_unused:UNUSED_PAD src0_sel:WORD_1 src1_sel:DWORD
	s_movk_i32 s4, 0x7f
	v_cmp_lt_i16_e32 vcc, s4, v1
	s_mov_b64 s[4:5], 0
                                        ; implicit-def: $sgpr10
	s_and_saveexec_b64 s[6:7], vcc
	s_xor_b64 s[6:7], exec, s[6:7]
	s_cbranch_execnz .LBB3_4085
; %bb.2037:
	s_or_saveexec_b64 s[6:7], s[6:7]
	v_mov_b32_e32 v2, s10
	s_xor_b64 exec, exec, s[6:7]
	s_cbranch_execnz .LBB3_4088
.LBB3_2038:
	s_or_b64 exec, exec, s[6:7]
	s_and_saveexec_b64 s[6:7], s[4:5]
	s_cbranch_execz .LBB3_2040
.LBB3_2039:
	v_bfe_u32 v1, v3, 16, 3
	v_ffbh_u32_e32 v5, v1
	v_min_u32_e32 v5, 32, v5
	v_lshrrev_b32_e32 v2, 19, v3
	v_subrev_u32_e32 v6, 28, v5
	v_and_b32_e32 v2, 15, v2
	v_lshlrev_b32_sdwa v6, v6, v3 dst_sel:DWORD dst_unused:UNUSED_PAD src0_sel:DWORD src1_sel:WORD_1
	v_bfe_u32 v4, v3, 19, 4
	v_sub_u32_e32 v5, 29, v5
	v_and_b32_e32 v6, 7, v6
	v_cmp_eq_u16_e32 vcc, 0, v2
	v_cndmask_b32_e32 v1, v1, v6, vcc
	v_cndmask_b32_e32 v2, v4, v5, vcc
	v_lshlrev_b32_e32 v4, 8, v3
	v_mov_b32_e32 v5, 0x3b800000
	v_lshlrev_b32_e32 v1, 20, v1
	v_and_b32_e32 v4, 0x80000000, v4
	v_lshl_add_u32 v2, v2, 23, v5
	v_or3_b32 v2, v4, v2, v1
.LBB3_2040:
	s_or_b64 exec, exec, s[6:7]
	s_nop 0
	v_mfma_f32_16x16x4f32 a[0:3], v0, v2, a[0:3]
	s_movk_i32 s4, 0x7f
	v_cmp_gt_i16_sdwa s[6:7], v7, s4 src0_sel:BYTE_3 src1_sel:DWORD
	s_mov_b64 s[4:5], 0
                                        ; implicit-def: $sgpr10
	s_and_saveexec_b64 s[8:9], s[6:7]
	s_xor_b64 s[6:7], exec, s[8:9]
	s_cbranch_execnz .LBB3_4089
; %bb.2041:
	s_or_saveexec_b64 s[6:7], s[6:7]
	v_mov_b32_e32 v0, s10
	s_xor_b64 exec, exec, s[6:7]
	s_cbranch_execnz .LBB3_4092
.LBB3_2042:
	s_or_b64 exec, exec, s[6:7]
	s_and_saveexec_b64 s[6:7], s[4:5]
	s_cbranch_execz .LBB3_2044
.LBB3_2043:
	v_bfe_u32 v0, v7, 24, 3
	v_ffbh_u32_e32 v5, v0
	v_min_u32_e32 v5, 32, v5
	v_lshrrev_b32_e32 v2, 27, v7
	v_subrev_u32_e32 v6, 28, v5
	v_and_b32_e32 v2, 15, v2
	v_lshlrev_b32_sdwa v6, v6, v7 dst_sel:DWORD dst_unused:UNUSED_PAD src0_sel:DWORD src1_sel:BYTE_3
	v_bfe_u32 v4, v7, 27, 4
	v_sub_u32_e32 v5, 29, v5
	v_and_b32_e32 v6, 7, v6
	v_cmp_eq_u16_e32 vcc, 0, v2
	v_cndmask_b32_e32 v0, v0, v6, vcc
	v_cndmask_b32_e32 v2, v4, v5, vcc
	v_mov_b32_e32 v4, 0x3b800000
	v_and_b32_e32 v1, 0x80000000, v7
	v_lshlrev_b32_e32 v0, 20, v0
	v_lshl_add_u32 v2, v2, 23, v4
	v_or3_b32 v0, v1, v2, v0
.LBB3_2044:
	s_or_b64 exec, exec, s[6:7]
	s_movk_i32 s4, 0x7f
	v_cmp_gt_i16_sdwa s[6:7], v3, s4 src0_sel:BYTE_3 src1_sel:DWORD
	s_mov_b64 s[4:5], 0
                                        ; implicit-def: $sgpr10
	s_and_saveexec_b64 s[8:9], s[6:7]
	s_xor_b64 s[6:7], exec, s[8:9]
	s_cbranch_execnz .LBB3_4093
; %bb.2045:
	s_or_saveexec_b64 s[6:7], s[6:7]
	v_mov_b32_e32 v1, s10
	s_xor_b64 exec, exec, s[6:7]
	s_cbranch_execnz .LBB3_4096
.LBB3_2046:
	s_or_b64 exec, exec, s[6:7]
	s_and_saveexec_b64 s[6:7], s[4:5]
	s_cbranch_execz .LBB3_2048
.LBB3_2047:
	v_bfe_u32 v1, v3, 24, 3
	v_ffbh_u32_e32 v6, v1
	v_min_u32_e32 v6, 32, v6
	v_lshrrev_b32_e32 v4, 27, v3
	v_subrev_u32_e32 v7, 28, v6
	v_and_b32_e32 v2, 0x80000000, v3
	v_and_b32_e32 v4, 15, v4
	v_bfe_u32 v5, v3, 27, 4
	v_lshlrev_b32_sdwa v3, v7, v3 dst_sel:DWORD dst_unused:UNUSED_PAD src0_sel:DWORD src1_sel:BYTE_3
	v_sub_u32_e32 v6, 29, v6
	v_and_b32_e32 v3, 7, v3
	v_cmp_eq_u16_e32 vcc, 0, v4
	v_cndmask_b32_e32 v1, v1, v3, vcc
	v_cndmask_b32_e32 v3, v5, v6, vcc
	v_mov_b32_e32 v4, 0x3b800000
	v_lshlrev_b32_e32 v1, 20, v1
	v_lshl_add_u32 v3, v3, 23, v4
	v_or3_b32 v1, v2, v3, v1
.LBB3_2048:
	s_or_b64 exec, exec, s[6:7]
	s_nop 0
	v_mfma_f32_16x16x4f32 a[0:3], v0, v1, a[0:3]
	s_nop 7
	s_nop 2
	flat_store_dwordx4 v[8:9], a[0:3] offset:240
	s_waitcnt vmcnt(0) lgkmcnt(0)
	s_setpc_b64 s[30:31]
.LBB3_2049:
	s_movk_i32 s4, 0x80
	v_cmp_eq_u16_sdwa s[12:13], v6, s4 src0_sel:BYTE_0 src1_sel:DWORD
	s_mov_b64 s[4:5], -1
                                        ; implicit-def: $sgpr10
	s_and_saveexec_b64 s[8:9], s[12:13]
; %bb.2050:
	s_mov_b32 s10, 0x7f800001
	s_xor_b64 s[4:5], exec, -1
; %bb.2051:
	s_or_b64 exec, exec, s[8:9]
	s_and_b64 s[4:5], s[4:5], exec
	s_or_saveexec_b64 s[6:7], s[6:7]
	v_mov_b32_e32 v12, s10
	s_xor_b64 exec, exec, s[6:7]
	s_cbranch_execz .LBB3_2
.LBB3_2052:
	v_mov_b32_e32 v12, 0
	v_cmp_ne_u16_sdwa s[8:9], v6, v12 src0_sel:BYTE_0 src1_sel:DWORD
	s_andn2_b64 s[4:5], s[4:5], exec
	s_and_b64 s[8:9], s[8:9], exec
	s_or_b64 s[4:5], s[4:5], s[8:9]
	s_or_b64 exec, exec, s[6:7]
	s_and_saveexec_b64 s[6:7], s[4:5]
	s_cbranch_execnz .LBB3_3
	s_branch .LBB3_4
.LBB3_2053:
	s_movk_i32 s4, 0x80
	v_cmp_eq_u16_sdwa s[12:13], v2, s4 src0_sel:BYTE_0 src1_sel:DWORD
	s_mov_b64 s[4:5], -1
                                        ; implicit-def: $sgpr10
	s_and_saveexec_b64 s[8:9], s[12:13]
; %bb.2054:
	s_mov_b32 s10, 0x7f800001
	s_xor_b64 s[4:5], exec, -1
; %bb.2055:
	s_or_b64 exec, exec, s[8:9]
	s_and_b64 s[4:5], s[4:5], exec
	s_or_saveexec_b64 s[6:7], s[6:7]
	v_mov_b32_e32 v13, s10
	s_xor_b64 exec, exec, s[6:7]
	s_cbranch_execz .LBB3_6
.LBB3_2056:
	v_mov_b32_e32 v13, 0
	v_cmp_ne_u16_sdwa s[8:9], v2, v13 src0_sel:BYTE_0 src1_sel:DWORD
	s_andn2_b64 s[4:5], s[4:5], exec
	s_and_b64 s[8:9], s[8:9], exec
	s_or_b64 s[4:5], s[4:5], s[8:9]
	s_or_b64 exec, exec, s[6:7]
	s_and_saveexec_b64 s[6:7], s[4:5]
	s_cbranch_execnz .LBB3_7
	s_branch .LBB3_8
.LBB3_2057:
	s_movk_i32 s4, 0x80
	v_cmp_eq_u16_sdwa s[12:13], v13, s4 src0_sel:BYTE_0 src1_sel:DWORD
	s_mov_b64 s[4:5], -1
                                        ; implicit-def: $sgpr10
	s_and_saveexec_b64 s[8:9], s[12:13]
; %bb.2058:
	s_mov_b32 s10, 0x7f800001
	s_xor_b64 s[4:5], exec, -1
; %bb.2059:
	s_or_b64 exec, exec, s[8:9]
	s_and_b64 s[4:5], s[4:5], exec
	s_or_saveexec_b64 s[6:7], s[6:7]
	v_mov_b32_e32 v12, s10
	s_xor_b64 exec, exec, s[6:7]
	s_cbranch_execz .LBB3_10
.LBB3_2060:
	v_mov_b32_e32 v12, 0
	v_cmp_ne_u16_sdwa s[8:9], v13, v12 src0_sel:BYTE_0 src1_sel:DWORD
	s_andn2_b64 s[4:5], s[4:5], exec
	s_and_b64 s[8:9], s[8:9], exec
	s_or_b64 s[4:5], s[4:5], s[8:9]
	s_or_b64 exec, exec, s[6:7]
	s_and_saveexec_b64 s[6:7], s[4:5]
	s_cbranch_execnz .LBB3_11
	s_branch .LBB3_12
.LBB3_2061:
	s_movk_i32 s4, 0x80
	v_cmp_eq_u16_sdwa s[12:13], v13, s4 src0_sel:BYTE_0 src1_sel:DWORD
	s_mov_b64 s[4:5], -1
                                        ; implicit-def: $sgpr10
	s_and_saveexec_b64 s[8:9], s[12:13]
; %bb.2062:
	s_mov_b32 s10, 0x7f800001
	s_xor_b64 s[4:5], exec, -1
; %bb.2063:
	s_or_b64 exec, exec, s[8:9]
	s_and_b64 s[4:5], s[4:5], exec
	s_or_saveexec_b64 s[6:7], s[6:7]
	v_mov_b32_e32 v14, s10
	s_xor_b64 exec, exec, s[6:7]
	s_cbranch_execz .LBB3_14
.LBB3_2064:
	v_mov_b32_e32 v14, 0
	v_cmp_ne_u16_sdwa s[8:9], v13, v14 src0_sel:BYTE_0 src1_sel:DWORD
	s_andn2_b64 s[4:5], s[4:5], exec
	s_and_b64 s[8:9], s[8:9], exec
	s_or_b64 s[4:5], s[4:5], s[8:9]
	s_or_b64 exec, exec, s[6:7]
	s_and_saveexec_b64 s[6:7], s[4:5]
	s_cbranch_execnz .LBB3_15
	s_branch .LBB3_16
.LBB3_2065:
	s_movk_i32 s4, 0x80
	v_cmp_eq_u16_e32 vcc, s4, v13
	s_mov_b64 s[4:5], -1
                                        ; implicit-def: $sgpr10
	s_and_saveexec_b64 s[8:9], vcc
; %bb.2066:
	s_mov_b32 s10, 0x7f800001
	s_xor_b64 s[4:5], exec, -1
; %bb.2067:
	s_or_b64 exec, exec, s[8:9]
	s_and_b64 s[4:5], s[4:5], exec
                                        ; implicit-def: $vgpr13
	s_or_saveexec_b64 s[6:7], s[6:7]
	v_mov_b32_e32 v12, s10
	s_xor_b64 exec, exec, s[6:7]
	s_cbranch_execz .LBB3_18
.LBB3_2068:
	v_cmp_ne_u16_e32 vcc, 0, v13
	s_andn2_b64 s[4:5], s[4:5], exec
	s_and_b64 s[8:9], vcc, exec
	v_mov_b32_e32 v12, 0
	s_or_b64 s[4:5], s[4:5], s[8:9]
	s_or_b64 exec, exec, s[6:7]
	s_and_saveexec_b64 s[6:7], s[4:5]
	s_cbranch_execnz .LBB3_19
	s_branch .LBB3_20
.LBB3_2069:
	s_movk_i32 s4, 0x80
	v_cmp_eq_u16_e32 vcc, s4, v13
	s_mov_b64 s[4:5], -1
                                        ; implicit-def: $sgpr10
	s_and_saveexec_b64 s[8:9], vcc
; %bb.2070:
	s_mov_b32 s10, 0x7f800001
	s_xor_b64 s[4:5], exec, -1
; %bb.2071:
	s_or_b64 exec, exec, s[8:9]
	s_and_b64 s[4:5], s[4:5], exec
                                        ; implicit-def: $vgpr13
	s_or_saveexec_b64 s[6:7], s[6:7]
	v_mov_b32_e32 v14, s10
	s_xor_b64 exec, exec, s[6:7]
	s_cbranch_execz .LBB3_22
.LBB3_2072:
	v_cmp_ne_u16_e32 vcc, 0, v13
	s_andn2_b64 s[4:5], s[4:5], exec
	s_and_b64 s[8:9], vcc, exec
	v_mov_b32_e32 v14, 0
	s_or_b64 s[4:5], s[4:5], s[8:9]
	s_or_b64 exec, exec, s[6:7]
	s_and_saveexec_b64 s[6:7], s[4:5]
	s_cbranch_execnz .LBB3_23
	s_branch .LBB3_24
.LBB3_2073:
	s_movk_i32 s4, 0x80
	v_cmp_eq_u16_sdwa s[12:13], v6, s4 src0_sel:BYTE_3 src1_sel:DWORD
	s_mov_b64 s[4:5], -1
                                        ; implicit-def: $sgpr10
	s_and_saveexec_b64 s[8:9], s[12:13]
; %bb.2074:
	s_mov_b32 s10, 0x7f800001
	s_xor_b64 s[4:5], exec, -1
; %bb.2075:
	s_or_b64 exec, exec, s[8:9]
	s_and_b64 s[4:5], s[4:5], exec
	s_or_saveexec_b64 s[6:7], s[6:7]
	v_mov_b32_e32 v12, s10
	s_xor_b64 exec, exec, s[6:7]
	s_cbranch_execz .LBB3_26
.LBB3_2076:
	v_mov_b32_e32 v12, 0
	v_cmp_ne_u16_sdwa s[8:9], v6, v12 src0_sel:BYTE_3 src1_sel:DWORD
	s_andn2_b64 s[4:5], s[4:5], exec
	s_and_b64 s[8:9], s[8:9], exec
	s_or_b64 s[4:5], s[4:5], s[8:9]
	s_or_b64 exec, exec, s[6:7]
	s_and_saveexec_b64 s[6:7], s[4:5]
	s_cbranch_execnz .LBB3_27
	s_branch .LBB3_28
.LBB3_2077:
	s_movk_i32 s4, 0x80
	v_cmp_eq_u16_sdwa s[12:13], v2, s4 src0_sel:BYTE_3 src1_sel:DWORD
	s_mov_b64 s[4:5], -1
                                        ; implicit-def: $sgpr10
	s_and_saveexec_b64 s[8:9], s[12:13]
; %bb.2078:
	s_mov_b32 s10, 0x7f800001
	s_xor_b64 s[4:5], exec, -1
; %bb.2079:
	s_or_b64 exec, exec, s[8:9]
	s_and_b64 s[4:5], s[4:5], exec
	s_or_saveexec_b64 s[6:7], s[6:7]
	v_mov_b32_e32 v6, s10
	s_xor_b64 exec, exec, s[6:7]
	s_cbranch_execz .LBB3_30
.LBB3_2080:
	v_mov_b32_e32 v6, 0
	v_cmp_ne_u16_sdwa s[8:9], v2, v6 src0_sel:BYTE_3 src1_sel:DWORD
	s_andn2_b64 s[4:5], s[4:5], exec
	s_and_b64 s[8:9], s[8:9], exec
	s_or_b64 s[4:5], s[4:5], s[8:9]
	s_or_b64 exec, exec, s[6:7]
	s_and_saveexec_b64 s[6:7], s[4:5]
	s_cbranch_execnz .LBB3_31
	s_branch .LBB3_32
.LBB3_2081:
	s_movk_i32 s4, 0x80
	v_cmp_eq_u16_sdwa s[12:13], v7, s4 src0_sel:BYTE_0 src1_sel:DWORD
	s_mov_b64 s[4:5], -1
                                        ; implicit-def: $sgpr10
	s_and_saveexec_b64 s[8:9], s[12:13]
; %bb.2082:
	s_mov_b32 s10, 0x7f800001
	s_xor_b64 s[4:5], exec, -1
; %bb.2083:
	s_or_b64 exec, exec, s[8:9]
	s_and_b64 s[4:5], s[4:5], exec
	s_or_saveexec_b64 s[6:7], s[6:7]
	v_mov_b32_e32 v2, s10
	s_xor_b64 exec, exec, s[6:7]
	s_cbranch_execz .LBB3_34
.LBB3_2084:
	v_mov_b32_e32 v2, 0
	v_cmp_ne_u16_sdwa s[8:9], v7, v2 src0_sel:BYTE_0 src1_sel:DWORD
	s_andn2_b64 s[4:5], s[4:5], exec
	s_and_b64 s[8:9], s[8:9], exec
	s_or_b64 s[4:5], s[4:5], s[8:9]
	s_or_b64 exec, exec, s[6:7]
	s_and_saveexec_b64 s[6:7], s[4:5]
	s_cbranch_execnz .LBB3_35
	s_branch .LBB3_36
.LBB3_2085:
	s_movk_i32 s4, 0x80
	v_cmp_eq_u16_sdwa s[12:13], v3, s4 src0_sel:BYTE_0 src1_sel:DWORD
	s_mov_b64 s[4:5], -1
                                        ; implicit-def: $sgpr10
	s_and_saveexec_b64 s[8:9], s[12:13]
; %bb.2086:
	s_mov_b32 s10, 0x7f800001
	s_xor_b64 s[4:5], exec, -1
; %bb.2087:
	s_or_b64 exec, exec, s[8:9]
	s_and_b64 s[4:5], s[4:5], exec
	s_or_saveexec_b64 s[6:7], s[6:7]
	v_mov_b32_e32 v6, s10
	s_xor_b64 exec, exec, s[6:7]
	s_cbranch_execz .LBB3_38
.LBB3_2088:
	v_mov_b32_e32 v6, 0
	v_cmp_ne_u16_sdwa s[8:9], v3, v6 src0_sel:BYTE_0 src1_sel:DWORD
	s_andn2_b64 s[4:5], s[4:5], exec
	s_and_b64 s[8:9], s[8:9], exec
	s_or_b64 s[4:5], s[4:5], s[8:9]
	s_or_b64 exec, exec, s[6:7]
	s_and_saveexec_b64 s[6:7], s[4:5]
	s_cbranch_execnz .LBB3_39
	s_branch .LBB3_40
.LBB3_2089:
	s_movk_i32 s4, 0x80
	v_cmp_eq_u16_sdwa s[12:13], v6, s4 src0_sel:BYTE_0 src1_sel:DWORD
	s_mov_b64 s[4:5], -1
                                        ; implicit-def: $sgpr10
	s_and_saveexec_b64 s[8:9], s[12:13]
; %bb.2090:
	s_mov_b32 s10, 0x7f800001
	s_xor_b64 s[4:5], exec, -1
; %bb.2091:
	s_or_b64 exec, exec, s[8:9]
	s_and_b64 s[4:5], s[4:5], exec
	s_or_saveexec_b64 s[6:7], s[6:7]
	v_mov_b32_e32 v2, s10
	s_xor_b64 exec, exec, s[6:7]
	s_cbranch_execz .LBB3_42
.LBB3_2092:
	v_mov_b32_e32 v2, 0
	v_cmp_ne_u16_sdwa s[8:9], v6, v2 src0_sel:BYTE_0 src1_sel:DWORD
	s_andn2_b64 s[4:5], s[4:5], exec
	s_and_b64 s[8:9], s[8:9], exec
	s_or_b64 s[4:5], s[4:5], s[8:9]
	s_or_b64 exec, exec, s[6:7]
	s_and_saveexec_b64 s[6:7], s[4:5]
	s_cbranch_execnz .LBB3_43
	s_branch .LBB3_44
.LBB3_2093:
	s_movk_i32 s4, 0x80
	v_cmp_eq_u16_sdwa s[12:13], v6, s4 src0_sel:BYTE_0 src1_sel:DWORD
	s_mov_b64 s[4:5], -1
                                        ; implicit-def: $sgpr10
	s_and_saveexec_b64 s[8:9], s[12:13]
; %bb.2094:
	s_mov_b32 s10, 0x7f800001
	s_xor_b64 s[4:5], exec, -1
; %bb.2095:
	s_or_b64 exec, exec, s[8:9]
	s_and_b64 s[4:5], s[4:5], exec
	s_or_saveexec_b64 s[6:7], s[6:7]
	v_mov_b32_e32 v12, s10
	s_xor_b64 exec, exec, s[6:7]
	s_cbranch_execz .LBB3_46
.LBB3_2096:
	v_mov_b32_e32 v12, 0
	v_cmp_ne_u16_sdwa s[8:9], v6, v12 src0_sel:BYTE_0 src1_sel:DWORD
	s_andn2_b64 s[4:5], s[4:5], exec
	s_and_b64 s[8:9], s[8:9], exec
	s_or_b64 s[4:5], s[4:5], s[8:9]
	s_or_b64 exec, exec, s[6:7]
	s_and_saveexec_b64 s[6:7], s[4:5]
	s_cbranch_execnz .LBB3_47
	s_branch .LBB3_48
.LBB3_2097:
	s_movk_i32 s4, 0x80
	v_cmp_eq_u16_e32 vcc, s4, v6
	s_mov_b64 s[4:5], -1
                                        ; implicit-def: $sgpr10
	s_and_saveexec_b64 s[8:9], vcc
; %bb.2098:
	s_mov_b32 s10, 0x7f800001
	s_xor_b64 s[4:5], exec, -1
; %bb.2099:
	s_or_b64 exec, exec, s[8:9]
	s_and_b64 s[4:5], s[4:5], exec
                                        ; implicit-def: $vgpr6
	s_or_saveexec_b64 s[6:7], s[6:7]
	v_mov_b32_e32 v2, s10
	s_xor_b64 exec, exec, s[6:7]
	s_cbranch_execz .LBB3_50
.LBB3_2100:
	v_cmp_ne_u16_e32 vcc, 0, v6
	s_andn2_b64 s[4:5], s[4:5], exec
	s_and_b64 s[8:9], vcc, exec
	v_mov_b32_e32 v2, 0
	s_or_b64 s[4:5], s[4:5], s[8:9]
	s_or_b64 exec, exec, s[6:7]
	s_and_saveexec_b64 s[6:7], s[4:5]
	s_cbranch_execnz .LBB3_51
	s_branch .LBB3_52
.LBB3_2101:
	s_movk_i32 s4, 0x80
	v_cmp_eq_u16_e32 vcc, s4, v6
	s_mov_b64 s[4:5], -1
                                        ; implicit-def: $sgpr10
	s_and_saveexec_b64 s[8:9], vcc
; %bb.2102:
	s_mov_b32 s10, 0x7f800001
	s_xor_b64 s[4:5], exec, -1
; %bb.2103:
	s_or_b64 exec, exec, s[8:9]
	s_and_b64 s[4:5], s[4:5], exec
                                        ; implicit-def: $vgpr6
	s_or_saveexec_b64 s[6:7], s[6:7]
	v_mov_b32_e32 v12, s10
	s_xor_b64 exec, exec, s[6:7]
	s_cbranch_execz .LBB3_54
.LBB3_2104:
	v_cmp_ne_u16_e32 vcc, 0, v6
	s_andn2_b64 s[4:5], s[4:5], exec
	s_and_b64 s[8:9], vcc, exec
	v_mov_b32_e32 v12, 0
	s_or_b64 s[4:5], s[4:5], s[8:9]
	s_or_b64 exec, exec, s[6:7]
	s_and_saveexec_b64 s[6:7], s[4:5]
	s_cbranch_execnz .LBB3_55
	s_branch .LBB3_56
.LBB3_2105:
	s_movk_i32 s4, 0x80
	v_cmp_eq_u16_sdwa s[12:13], v7, s4 src0_sel:BYTE_3 src1_sel:DWORD
	s_mov_b64 s[4:5], -1
                                        ; implicit-def: $sgpr10
	s_and_saveexec_b64 s[8:9], s[12:13]
; %bb.2106:
	s_mov_b32 s10, 0x7f800001
	s_xor_b64 s[4:5], exec, -1
; %bb.2107:
	s_or_b64 exec, exec, s[8:9]
	s_and_b64 s[4:5], s[4:5], exec
	s_or_saveexec_b64 s[6:7], s[6:7]
	v_mov_b32_e32 v2, s10
	s_xor_b64 exec, exec, s[6:7]
	s_cbranch_execz .LBB3_58
.LBB3_2108:
	v_mov_b32_e32 v2, 0
	v_cmp_ne_u16_sdwa s[8:9], v7, v2 src0_sel:BYTE_3 src1_sel:DWORD
	s_andn2_b64 s[4:5], s[4:5], exec
	s_and_b64 s[8:9], s[8:9], exec
	s_or_b64 s[4:5], s[4:5], s[8:9]
	s_or_b64 exec, exec, s[6:7]
	s_and_saveexec_b64 s[6:7], s[4:5]
	s_cbranch_execnz .LBB3_59
	s_branch .LBB3_60
.LBB3_2109:
	s_movk_i32 s4, 0x80
	v_cmp_eq_u16_sdwa s[12:13], v3, s4 src0_sel:BYTE_3 src1_sel:DWORD
	s_mov_b64 s[4:5], -1
                                        ; implicit-def: $sgpr10
	s_and_saveexec_b64 s[8:9], s[12:13]
; %bb.2110:
	s_mov_b32 s10, 0x7f800001
	s_xor_b64 s[4:5], exec, -1
; %bb.2111:
	s_or_b64 exec, exec, s[8:9]
	s_and_b64 s[4:5], s[4:5], exec
	s_or_saveexec_b64 s[6:7], s[6:7]
	v_mov_b32_e32 v6, s10
	s_xor_b64 exec, exec, s[6:7]
	s_cbranch_execz .LBB3_62
.LBB3_2112:
	v_mov_b32_e32 v6, 0
	v_cmp_ne_u16_sdwa s[8:9], v3, v6 src0_sel:BYTE_3 src1_sel:DWORD
	s_andn2_b64 s[4:5], s[4:5], exec
	s_and_b64 s[8:9], s[8:9], exec
	s_or_b64 s[4:5], s[4:5], s[8:9]
	s_or_b64 exec, exec, s[6:7]
	s_and_saveexec_b64 s[6:7], s[4:5]
	s_cbranch_execnz .LBB3_63
	s_branch .LBB3_64
.LBB3_2113:
	s_movk_i32 s4, 0x80
	v_cmp_eq_u16_sdwa s[12:13], v8, s4 src0_sel:BYTE_0 src1_sel:DWORD
	s_mov_b64 s[4:5], -1
                                        ; implicit-def: $sgpr10
	s_and_saveexec_b64 s[8:9], s[12:13]
; %bb.2114:
	s_mov_b32 s10, 0x7f800001
	s_xor_b64 s[4:5], exec, -1
; %bb.2115:
	s_or_b64 exec, exec, s[8:9]
	s_and_b64 s[4:5], s[4:5], exec
	s_or_saveexec_b64 s[6:7], s[6:7]
	v_mov_b32_e32 v2, s10
	s_xor_b64 exec, exec, s[6:7]
	s_cbranch_execz .LBB3_66
.LBB3_2116:
	v_mov_b32_e32 v2, 0
	v_cmp_ne_u16_sdwa s[8:9], v8, v2 src0_sel:BYTE_0 src1_sel:DWORD
	s_andn2_b64 s[4:5], s[4:5], exec
	s_and_b64 s[8:9], s[8:9], exec
	s_or_b64 s[4:5], s[4:5], s[8:9]
	s_or_b64 exec, exec, s[6:7]
	s_and_saveexec_b64 s[6:7], s[4:5]
	s_cbranch_execnz .LBB3_67
	s_branch .LBB3_68
.LBB3_2117:
	s_movk_i32 s4, 0x80
	v_cmp_eq_u16_sdwa s[12:13], v4, s4 src0_sel:BYTE_0 src1_sel:DWORD
	s_mov_b64 s[4:5], -1
                                        ; implicit-def: $sgpr10
	s_and_saveexec_b64 s[8:9], s[12:13]
; %bb.2118:
	s_mov_b32 s10, 0x7f800001
	s_xor_b64 s[4:5], exec, -1
; %bb.2119:
	s_or_b64 exec, exec, s[8:9]
	s_and_b64 s[4:5], s[4:5], exec
	s_or_saveexec_b64 s[6:7], s[6:7]
	v_mov_b32_e32 v3, s10
	s_xor_b64 exec, exec, s[6:7]
	s_cbranch_execz .LBB3_70
.LBB3_2120:
	v_mov_b32_e32 v3, 0
	v_cmp_ne_u16_sdwa s[8:9], v4, v3 src0_sel:BYTE_0 src1_sel:DWORD
	s_andn2_b64 s[4:5], s[4:5], exec
	s_and_b64 s[8:9], s[8:9], exec
	s_or_b64 s[4:5], s[4:5], s[8:9]
	s_or_b64 exec, exec, s[6:7]
	s_and_saveexec_b64 s[6:7], s[4:5]
	s_cbranch_execnz .LBB3_71
	s_branch .LBB3_72
.LBB3_2121:
	s_movk_i32 s4, 0x80
	v_cmp_eq_u16_sdwa s[12:13], v3, s4 src0_sel:BYTE_0 src1_sel:DWORD
	s_mov_b64 s[4:5], -1
                                        ; implicit-def: $sgpr10
	s_and_saveexec_b64 s[8:9], s[12:13]
; %bb.2122:
	s_mov_b32 s10, 0x7f800001
	s_xor_b64 s[4:5], exec, -1
; %bb.2123:
	s_or_b64 exec, exec, s[8:9]
	s_and_b64 s[4:5], s[4:5], exec
	s_or_saveexec_b64 s[6:7], s[6:7]
	v_mov_b32_e32 v2, s10
	s_xor_b64 exec, exec, s[6:7]
	s_cbranch_execz .LBB3_74
.LBB3_2124:
	v_mov_b32_e32 v2, 0
	v_cmp_ne_u16_sdwa s[8:9], v3, v2 src0_sel:BYTE_0 src1_sel:DWORD
	s_andn2_b64 s[4:5], s[4:5], exec
	s_and_b64 s[8:9], s[8:9], exec
	s_or_b64 s[4:5], s[4:5], s[8:9]
	s_or_b64 exec, exec, s[6:7]
	s_and_saveexec_b64 s[6:7], s[4:5]
	s_cbranch_execnz .LBB3_75
	s_branch .LBB3_76
.LBB3_2125:
	s_movk_i32 s4, 0x80
	v_cmp_eq_u16_sdwa s[12:13], v3, s4 src0_sel:BYTE_0 src1_sel:DWORD
	s_mov_b64 s[4:5], -1
                                        ; implicit-def: $sgpr10
	s_and_saveexec_b64 s[8:9], s[12:13]
; %bb.2126:
	s_mov_b32 s10, 0x7f800001
	s_xor_b64 s[4:5], exec, -1
; %bb.2127:
	s_or_b64 exec, exec, s[8:9]
	s_and_b64 s[4:5], s[4:5], exec
	s_or_saveexec_b64 s[6:7], s[6:7]
	v_mov_b32_e32 v6, s10
	s_xor_b64 exec, exec, s[6:7]
	s_cbranch_execz .LBB3_78
.LBB3_2128:
	v_mov_b32_e32 v6, 0
	v_cmp_ne_u16_sdwa s[8:9], v3, v6 src0_sel:BYTE_0 src1_sel:DWORD
	s_andn2_b64 s[4:5], s[4:5], exec
	s_and_b64 s[8:9], s[8:9], exec
	s_or_b64 s[4:5], s[4:5], s[8:9]
	s_or_b64 exec, exec, s[6:7]
	s_and_saveexec_b64 s[6:7], s[4:5]
	s_cbranch_execnz .LBB3_79
	s_branch .LBB3_80
.LBB3_2129:
	s_movk_i32 s4, 0x80
	v_cmp_eq_u16_e32 vcc, s4, v3
	s_mov_b64 s[4:5], -1
                                        ; implicit-def: $sgpr10
	s_and_saveexec_b64 s[8:9], vcc
; %bb.2130:
	s_mov_b32 s10, 0x7f800001
	s_xor_b64 s[4:5], exec, -1
; %bb.2131:
	s_or_b64 exec, exec, s[8:9]
	s_and_b64 s[4:5], s[4:5], exec
                                        ; implicit-def: $vgpr3
	s_or_saveexec_b64 s[6:7], s[6:7]
	v_mov_b32_e32 v2, s10
	s_xor_b64 exec, exec, s[6:7]
	s_cbranch_execz .LBB3_82
.LBB3_2132:
	v_cmp_ne_u16_e32 vcc, 0, v3
	s_andn2_b64 s[4:5], s[4:5], exec
	s_and_b64 s[8:9], vcc, exec
	v_mov_b32_e32 v2, 0
	s_or_b64 s[4:5], s[4:5], s[8:9]
	s_or_b64 exec, exec, s[6:7]
	s_and_saveexec_b64 s[6:7], s[4:5]
	s_cbranch_execnz .LBB3_83
	s_branch .LBB3_84
.LBB3_2133:
	s_movk_i32 s4, 0x80
	v_cmp_eq_u16_e32 vcc, s4, v3
	s_mov_b64 s[4:5], -1
                                        ; implicit-def: $sgpr10
	s_and_saveexec_b64 s[8:9], vcc
; %bb.2134:
	s_mov_b32 s10, 0x7f800001
	s_xor_b64 s[4:5], exec, -1
; %bb.2135:
	s_or_b64 exec, exec, s[8:9]
	s_and_b64 s[4:5], s[4:5], exec
                                        ; implicit-def: $vgpr3
	s_or_saveexec_b64 s[6:7], s[6:7]
	v_mov_b32_e32 v6, s10
	s_xor_b64 exec, exec, s[6:7]
	s_cbranch_execz .LBB3_86
.LBB3_2136:
	v_cmp_ne_u16_e32 vcc, 0, v3
	s_andn2_b64 s[4:5], s[4:5], exec
	s_and_b64 s[8:9], vcc, exec
	v_mov_b32_e32 v6, 0
	s_or_b64 s[4:5], s[4:5], s[8:9]
	s_or_b64 exec, exec, s[6:7]
	s_and_saveexec_b64 s[6:7], s[4:5]
	s_cbranch_execnz .LBB3_87
	s_branch .LBB3_88
.LBB3_2137:
	s_movk_i32 s4, 0x80
	v_cmp_eq_u16_sdwa s[12:13], v8, s4 src0_sel:BYTE_3 src1_sel:DWORD
	s_mov_b64 s[4:5], -1
                                        ; implicit-def: $sgpr10
	s_and_saveexec_b64 s[8:9], s[12:13]
; %bb.2138:
	s_mov_b32 s10, 0x7f800001
	s_xor_b64 s[4:5], exec, -1
; %bb.2139:
	s_or_b64 exec, exec, s[8:9]
	s_and_b64 s[4:5], s[4:5], exec
	s_or_saveexec_b64 s[6:7], s[6:7]
	v_mov_b32_e32 v2, s10
	s_xor_b64 exec, exec, s[6:7]
	s_cbranch_execz .LBB3_90
.LBB3_2140:
	v_mov_b32_e32 v2, 0
	v_cmp_ne_u16_sdwa s[8:9], v8, v2 src0_sel:BYTE_3 src1_sel:DWORD
	s_andn2_b64 s[4:5], s[4:5], exec
	s_and_b64 s[8:9], s[8:9], exec
	s_or_b64 s[4:5], s[4:5], s[8:9]
	s_or_b64 exec, exec, s[6:7]
	s_and_saveexec_b64 s[6:7], s[4:5]
	s_cbranch_execnz .LBB3_91
	s_branch .LBB3_92
.LBB3_2141:
	s_movk_i32 s4, 0x80
	v_cmp_eq_u16_sdwa s[12:13], v4, s4 src0_sel:BYTE_3 src1_sel:DWORD
	s_mov_b64 s[4:5], -1
                                        ; implicit-def: $sgpr10
	s_and_saveexec_b64 s[8:9], s[12:13]
; %bb.2142:
	s_mov_b32 s10, 0x7f800001
	s_xor_b64 s[4:5], exec, -1
; %bb.2143:
	s_or_b64 exec, exec, s[8:9]
	s_and_b64 s[4:5], s[4:5], exec
	s_or_saveexec_b64 s[6:7], s[6:7]
	v_mov_b32_e32 v3, s10
	s_xor_b64 exec, exec, s[6:7]
	s_cbranch_execz .LBB3_94
.LBB3_2144:
	v_mov_b32_e32 v3, 0
	v_cmp_ne_u16_sdwa s[8:9], v4, v3 src0_sel:BYTE_3 src1_sel:DWORD
	s_andn2_b64 s[4:5], s[4:5], exec
	s_and_b64 s[8:9], s[8:9], exec
	s_or_b64 s[4:5], s[4:5], s[8:9]
	s_or_b64 exec, exec, s[6:7]
	s_and_saveexec_b64 s[6:7], s[4:5]
	s_cbranch_execnz .LBB3_95
	s_branch .LBB3_96
.LBB3_2145:
	s_movk_i32 s4, 0x80
	v_cmp_eq_u16_sdwa s[12:13], v9, s4 src0_sel:BYTE_0 src1_sel:DWORD
	s_mov_b64 s[4:5], -1
                                        ; implicit-def: $sgpr10
	s_and_saveexec_b64 s[8:9], s[12:13]
; %bb.2146:
	s_mov_b32 s10, 0x7f800001
	s_xor_b64 s[4:5], exec, -1
; %bb.2147:
	s_or_b64 exec, exec, s[8:9]
	s_and_b64 s[4:5], s[4:5], exec
	s_or_saveexec_b64 s[6:7], s[6:7]
	v_mov_b32_e32 v2, s10
	s_xor_b64 exec, exec, s[6:7]
	s_cbranch_execz .LBB3_98
.LBB3_2148:
	v_mov_b32_e32 v2, 0
	v_cmp_ne_u16_sdwa s[8:9], v9, v2 src0_sel:BYTE_0 src1_sel:DWORD
	s_andn2_b64 s[4:5], s[4:5], exec
	s_and_b64 s[8:9], s[8:9], exec
	s_or_b64 s[4:5], s[4:5], s[8:9]
	s_or_b64 exec, exec, s[6:7]
	s_and_saveexec_b64 s[6:7], s[4:5]
	s_cbranch_execnz .LBB3_99
	s_branch .LBB3_100
.LBB3_2149:
	s_movk_i32 s4, 0x80
	v_cmp_eq_u16_sdwa s[12:13], v5, s4 src0_sel:BYTE_0 src1_sel:DWORD
	s_mov_b64 s[4:5], -1
                                        ; implicit-def: $sgpr10
	s_and_saveexec_b64 s[8:9], s[12:13]
; %bb.2150:
	s_mov_b32 s10, 0x7f800001
	s_xor_b64 s[4:5], exec, -1
; %bb.2151:
	s_or_b64 exec, exec, s[8:9]
	s_and_b64 s[4:5], s[4:5], exec
	s_or_saveexec_b64 s[6:7], s[6:7]
	v_mov_b32_e32 v3, s10
	s_xor_b64 exec, exec, s[6:7]
	s_cbranch_execz .LBB3_102
.LBB3_2152:
	v_mov_b32_e32 v3, 0
	v_cmp_ne_u16_sdwa s[8:9], v5, v3 src0_sel:BYTE_0 src1_sel:DWORD
	s_andn2_b64 s[4:5], s[4:5], exec
	s_and_b64 s[8:9], s[8:9], exec
	s_or_b64 s[4:5], s[4:5], s[8:9]
	s_or_b64 exec, exec, s[6:7]
	s_and_saveexec_b64 s[6:7], s[4:5]
	s_cbranch_execnz .LBB3_103
	s_branch .LBB3_104
.LBB3_2153:
	s_movk_i32 s4, 0x80
	v_cmp_eq_u16_sdwa s[12:13], v3, s4 src0_sel:BYTE_0 src1_sel:DWORD
	s_mov_b64 s[4:5], -1
                                        ; implicit-def: $sgpr10
	s_and_saveexec_b64 s[8:9], s[12:13]
; %bb.2154:
	s_mov_b32 s10, 0x7f800001
	s_xor_b64 s[4:5], exec, -1
; %bb.2155:
	s_or_b64 exec, exec, s[8:9]
	s_and_b64 s[4:5], s[4:5], exec
	s_or_saveexec_b64 s[6:7], s[6:7]
	v_mov_b32_e32 v2, s10
	s_xor_b64 exec, exec, s[6:7]
	s_cbranch_execz .LBB3_106
.LBB3_2156:
	v_mov_b32_e32 v2, 0
	v_cmp_ne_u16_sdwa s[8:9], v3, v2 src0_sel:BYTE_0 src1_sel:DWORD
	s_andn2_b64 s[4:5], s[4:5], exec
	s_and_b64 s[8:9], s[8:9], exec
	s_or_b64 s[4:5], s[4:5], s[8:9]
	s_or_b64 exec, exec, s[6:7]
	s_and_saveexec_b64 s[6:7], s[4:5]
	s_cbranch_execnz .LBB3_107
	s_branch .LBB3_108
.LBB3_2157:
	s_movk_i32 s4, 0x80
	v_cmp_eq_u16_sdwa s[12:13], v3, s4 src0_sel:BYTE_0 src1_sel:DWORD
	s_mov_b64 s[4:5], -1
                                        ; implicit-def: $sgpr10
	s_and_saveexec_b64 s[8:9], s[12:13]
; %bb.2158:
	s_mov_b32 s10, 0x7f800001
	s_xor_b64 s[4:5], exec, -1
; %bb.2159:
	s_or_b64 exec, exec, s[8:9]
	s_and_b64 s[4:5], s[4:5], exec
	s_or_saveexec_b64 s[6:7], s[6:7]
	v_mov_b32_e32 v4, s10
	s_xor_b64 exec, exec, s[6:7]
	s_cbranch_execz .LBB3_110
.LBB3_2160:
	v_mov_b32_e32 v4, 0
	v_cmp_ne_u16_sdwa s[8:9], v3, v4 src0_sel:BYTE_0 src1_sel:DWORD
	s_andn2_b64 s[4:5], s[4:5], exec
	s_and_b64 s[8:9], s[8:9], exec
	s_or_b64 s[4:5], s[4:5], s[8:9]
	s_or_b64 exec, exec, s[6:7]
	s_and_saveexec_b64 s[6:7], s[4:5]
	s_cbranch_execnz .LBB3_111
	s_branch .LBB3_112
.LBB3_2161:
	s_movk_i32 s4, 0x80
	v_cmp_eq_u16_e32 vcc, s4, v3
	s_mov_b64 s[4:5], -1
                                        ; implicit-def: $sgpr10
	s_and_saveexec_b64 s[8:9], vcc
; %bb.2162:
	s_mov_b32 s10, 0x7f800001
	s_xor_b64 s[4:5], exec, -1
; %bb.2163:
	s_or_b64 exec, exec, s[8:9]
	s_and_b64 s[4:5], s[4:5], exec
                                        ; implicit-def: $vgpr3
	s_or_saveexec_b64 s[6:7], s[6:7]
	v_mov_b32_e32 v2, s10
	s_xor_b64 exec, exec, s[6:7]
	s_cbranch_execz .LBB3_114
.LBB3_2164:
	v_cmp_ne_u16_e32 vcc, 0, v3
	s_andn2_b64 s[4:5], s[4:5], exec
	s_and_b64 s[8:9], vcc, exec
	v_mov_b32_e32 v2, 0
	s_or_b64 s[4:5], s[4:5], s[8:9]
	s_or_b64 exec, exec, s[6:7]
	s_and_saveexec_b64 s[6:7], s[4:5]
	s_cbranch_execnz .LBB3_115
	s_branch .LBB3_116
.LBB3_2165:
	s_movk_i32 s4, 0x80
	v_cmp_eq_u16_e32 vcc, s4, v3
	s_mov_b64 s[4:5], -1
                                        ; implicit-def: $sgpr10
	s_and_saveexec_b64 s[8:9], vcc
; %bb.2166:
	s_mov_b32 s10, 0x7f800001
	s_xor_b64 s[4:5], exec, -1
; %bb.2167:
	s_or_b64 exec, exec, s[8:9]
	s_and_b64 s[4:5], s[4:5], exec
                                        ; implicit-def: $vgpr3
	s_or_saveexec_b64 s[6:7], s[6:7]
	v_mov_b32_e32 v4, s10
	s_xor_b64 exec, exec, s[6:7]
	s_cbranch_execz .LBB3_118
.LBB3_2168:
	v_cmp_ne_u16_e32 vcc, 0, v3
	s_andn2_b64 s[4:5], s[4:5], exec
	s_and_b64 s[8:9], vcc, exec
	v_mov_b32_e32 v4, 0
	s_or_b64 s[4:5], s[4:5], s[8:9]
	s_or_b64 exec, exec, s[6:7]
	s_and_saveexec_b64 s[6:7], s[4:5]
	s_cbranch_execnz .LBB3_119
	s_branch .LBB3_120
.LBB3_2169:
	s_movk_i32 s4, 0x80
	v_cmp_eq_u16_sdwa s[12:13], v9, s4 src0_sel:BYTE_3 src1_sel:DWORD
	s_mov_b64 s[4:5], -1
                                        ; implicit-def: $sgpr10
	s_and_saveexec_b64 s[8:9], s[12:13]
; %bb.2170:
	s_mov_b32 s10, 0x7f800001
	s_xor_b64 s[4:5], exec, -1
; %bb.2171:
	s_or_b64 exec, exec, s[8:9]
	s_and_b64 s[4:5], s[4:5], exec
	s_or_saveexec_b64 s[6:7], s[6:7]
	v_mov_b32_e32 v2, s10
	s_xor_b64 exec, exec, s[6:7]
	s_cbranch_execz .LBB3_122
.LBB3_2172:
	v_mov_b32_e32 v2, 0
	v_cmp_ne_u16_sdwa s[8:9], v9, v2 src0_sel:BYTE_3 src1_sel:DWORD
	s_andn2_b64 s[4:5], s[4:5], exec
	s_and_b64 s[8:9], s[8:9], exec
	s_or_b64 s[4:5], s[4:5], s[8:9]
	s_or_b64 exec, exec, s[6:7]
	s_and_saveexec_b64 s[6:7], s[4:5]
	s_cbranch_execnz .LBB3_123
	s_branch .LBB3_124
.LBB3_2173:
	s_movk_i32 s4, 0x80
	v_cmp_eq_u16_sdwa s[12:13], v5, s4 src0_sel:BYTE_3 src1_sel:DWORD
	s_mov_b64 s[4:5], -1
                                        ; implicit-def: $sgpr10
	s_and_saveexec_b64 s[8:9], s[12:13]
; %bb.2174:
	s_mov_b32 s10, 0x7f800001
	s_xor_b64 s[4:5], exec, -1
; %bb.2175:
	s_or_b64 exec, exec, s[8:9]
	s_and_b64 s[4:5], s[4:5], exec
	s_or_saveexec_b64 s[6:7], s[6:7]
	v_mov_b32_e32 v3, s10
	s_xor_b64 exec, exec, s[6:7]
	s_cbranch_execz .LBB3_126
.LBB3_2176:
	v_mov_b32_e32 v3, 0
	v_cmp_ne_u16_sdwa s[8:9], v5, v3 src0_sel:BYTE_3 src1_sel:DWORD
	s_andn2_b64 s[4:5], s[4:5], exec
	s_and_b64 s[8:9], s[8:9], exec
	s_or_b64 s[4:5], s[4:5], s[8:9]
	s_or_b64 exec, exec, s[6:7]
	s_and_saveexec_b64 s[6:7], s[4:5]
	s_cbranch_execnz .LBB3_127
	s_branch .LBB3_128
.LBB3_2177:
	s_movk_i32 s4, 0x80
	v_cmp_eq_u16_sdwa s[12:13], v6, s4 src0_sel:BYTE_0 src1_sel:DWORD
	s_mov_b64 s[4:5], -1
                                        ; implicit-def: $sgpr10
	s_and_saveexec_b64 s[8:9], s[12:13]
; %bb.2178:
	s_mov_b32 s10, 0x7f800001
	s_xor_b64 s[4:5], exec, -1
; %bb.2179:
	s_or_b64 exec, exec, s[8:9]
	s_and_b64 s[4:5], s[4:5], exec
	s_or_saveexec_b64 s[6:7], s[6:7]
	v_mov_b32_e32 v12, s10
	s_xor_b64 exec, exec, s[6:7]
	s_cbranch_execz .LBB3_130
.LBB3_2180:
	v_mov_b32_e32 v12, 0
	v_cmp_ne_u16_sdwa s[8:9], v6, v12 src0_sel:BYTE_0 src1_sel:DWORD
	s_andn2_b64 s[4:5], s[4:5], exec
	s_and_b64 s[8:9], s[8:9], exec
	s_or_b64 s[4:5], s[4:5], s[8:9]
	s_or_b64 exec, exec, s[6:7]
	s_and_saveexec_b64 s[6:7], s[4:5]
	s_cbranch_execnz .LBB3_131
	s_branch .LBB3_132
.LBB3_2181:
	s_movk_i32 s4, 0x80
	v_cmp_eq_u16_sdwa s[12:13], v2, s4 src0_sel:BYTE_0 src1_sel:DWORD
	s_mov_b64 s[4:5], -1
                                        ; implicit-def: $sgpr10
	s_and_saveexec_b64 s[8:9], s[12:13]
; %bb.2182:
	s_mov_b32 s10, 0x7f800001
	s_xor_b64 s[4:5], exec, -1
; %bb.2183:
	s_or_b64 exec, exec, s[8:9]
	s_and_b64 s[4:5], s[4:5], exec
	s_or_saveexec_b64 s[6:7], s[6:7]
	v_mov_b32_e32 v13, s10
	s_xor_b64 exec, exec, s[6:7]
	s_cbranch_execz .LBB3_134
.LBB3_2184:
	v_mov_b32_e32 v13, 0
	v_cmp_ne_u16_sdwa s[8:9], v2, v13 src0_sel:BYTE_0 src1_sel:DWORD
	s_andn2_b64 s[4:5], s[4:5], exec
	s_and_b64 s[8:9], s[8:9], exec
	s_or_b64 s[4:5], s[4:5], s[8:9]
	s_or_b64 exec, exec, s[6:7]
	s_and_saveexec_b64 s[6:7], s[4:5]
	s_cbranch_execnz .LBB3_135
	s_branch .LBB3_136
.LBB3_2185:
	s_movk_i32 s4, 0x80
	v_cmp_eq_u16_sdwa s[12:13], v13, s4 src0_sel:BYTE_0 src1_sel:DWORD
	s_mov_b64 s[4:5], -1
                                        ; implicit-def: $sgpr10
	s_and_saveexec_b64 s[8:9], s[12:13]
; %bb.2186:
	s_mov_b32 s10, 0x7f800001
	s_xor_b64 s[4:5], exec, -1
; %bb.2187:
	s_or_b64 exec, exec, s[8:9]
	s_and_b64 s[4:5], s[4:5], exec
	s_or_saveexec_b64 s[6:7], s[6:7]
	v_mov_b32_e32 v12, s10
	s_xor_b64 exec, exec, s[6:7]
	s_cbranch_execz .LBB3_138
.LBB3_2188:
	v_mov_b32_e32 v12, 0
	v_cmp_ne_u16_sdwa s[8:9], v13, v12 src0_sel:BYTE_0 src1_sel:DWORD
	s_andn2_b64 s[4:5], s[4:5], exec
	s_and_b64 s[8:9], s[8:9], exec
	s_or_b64 s[4:5], s[4:5], s[8:9]
	s_or_b64 exec, exec, s[6:7]
	s_and_saveexec_b64 s[6:7], s[4:5]
	s_cbranch_execnz .LBB3_139
	s_branch .LBB3_140
.LBB3_2189:
	s_movk_i32 s4, 0x80
	v_cmp_eq_u16_sdwa s[12:13], v13, s4 src0_sel:BYTE_0 src1_sel:DWORD
	s_mov_b64 s[4:5], -1
                                        ; implicit-def: $sgpr10
	s_and_saveexec_b64 s[8:9], s[12:13]
; %bb.2190:
	s_mov_b32 s10, 0x7f800001
	s_xor_b64 s[4:5], exec, -1
; %bb.2191:
	s_or_b64 exec, exec, s[8:9]
	s_and_b64 s[4:5], s[4:5], exec
	s_or_saveexec_b64 s[6:7], s[6:7]
	v_mov_b32_e32 v14, s10
	s_xor_b64 exec, exec, s[6:7]
	s_cbranch_execz .LBB3_142
.LBB3_2192:
	v_mov_b32_e32 v14, 0
	v_cmp_ne_u16_sdwa s[8:9], v13, v14 src0_sel:BYTE_0 src1_sel:DWORD
	s_andn2_b64 s[4:5], s[4:5], exec
	s_and_b64 s[8:9], s[8:9], exec
	s_or_b64 s[4:5], s[4:5], s[8:9]
	s_or_b64 exec, exec, s[6:7]
	s_and_saveexec_b64 s[6:7], s[4:5]
	s_cbranch_execnz .LBB3_143
	s_branch .LBB3_144
.LBB3_2193:
	s_movk_i32 s4, 0x80
	v_cmp_eq_u16_e32 vcc, s4, v13
	s_mov_b64 s[4:5], -1
                                        ; implicit-def: $sgpr10
	s_and_saveexec_b64 s[8:9], vcc
; %bb.2194:
	s_mov_b32 s10, 0x7f800001
	s_xor_b64 s[4:5], exec, -1
; %bb.2195:
	s_or_b64 exec, exec, s[8:9]
	s_and_b64 s[4:5], s[4:5], exec
                                        ; implicit-def: $vgpr13
	s_or_saveexec_b64 s[6:7], s[6:7]
	v_mov_b32_e32 v12, s10
	s_xor_b64 exec, exec, s[6:7]
	s_cbranch_execz .LBB3_146
.LBB3_2196:
	v_cmp_ne_u16_e32 vcc, 0, v13
	s_andn2_b64 s[4:5], s[4:5], exec
	s_and_b64 s[8:9], vcc, exec
	v_mov_b32_e32 v12, 0
	s_or_b64 s[4:5], s[4:5], s[8:9]
	s_or_b64 exec, exec, s[6:7]
	s_and_saveexec_b64 s[6:7], s[4:5]
	s_cbranch_execnz .LBB3_147
	s_branch .LBB3_148
.LBB3_2197:
	s_movk_i32 s4, 0x80
	v_cmp_eq_u16_e32 vcc, s4, v13
	s_mov_b64 s[4:5], -1
                                        ; implicit-def: $sgpr10
	s_and_saveexec_b64 s[8:9], vcc
; %bb.2198:
	s_mov_b32 s10, 0x7f800001
	s_xor_b64 s[4:5], exec, -1
; %bb.2199:
	s_or_b64 exec, exec, s[8:9]
	s_and_b64 s[4:5], s[4:5], exec
                                        ; implicit-def: $vgpr13
	s_or_saveexec_b64 s[6:7], s[6:7]
	v_mov_b32_e32 v14, s10
	s_xor_b64 exec, exec, s[6:7]
	s_cbranch_execz .LBB3_150
.LBB3_2200:
	v_cmp_ne_u16_e32 vcc, 0, v13
	s_andn2_b64 s[4:5], s[4:5], exec
	s_and_b64 s[8:9], vcc, exec
	v_mov_b32_e32 v14, 0
	s_or_b64 s[4:5], s[4:5], s[8:9]
	s_or_b64 exec, exec, s[6:7]
	s_and_saveexec_b64 s[6:7], s[4:5]
	s_cbranch_execnz .LBB3_151
	s_branch .LBB3_152
.LBB3_2201:
	s_movk_i32 s4, 0x80
	v_cmp_eq_u16_sdwa s[12:13], v6, s4 src0_sel:BYTE_3 src1_sel:DWORD
	s_mov_b64 s[4:5], -1
                                        ; implicit-def: $sgpr10
	s_and_saveexec_b64 s[8:9], s[12:13]
; %bb.2202:
	s_mov_b32 s10, 0x7f800001
	s_xor_b64 s[4:5], exec, -1
; %bb.2203:
	s_or_b64 exec, exec, s[8:9]
	s_and_b64 s[4:5], s[4:5], exec
	s_or_saveexec_b64 s[6:7], s[6:7]
	v_mov_b32_e32 v12, s10
	s_xor_b64 exec, exec, s[6:7]
	s_cbranch_execz .LBB3_154
.LBB3_2204:
	v_mov_b32_e32 v12, 0
	v_cmp_ne_u16_sdwa s[8:9], v6, v12 src0_sel:BYTE_3 src1_sel:DWORD
	s_andn2_b64 s[4:5], s[4:5], exec
	s_and_b64 s[8:9], s[8:9], exec
	s_or_b64 s[4:5], s[4:5], s[8:9]
	s_or_b64 exec, exec, s[6:7]
	s_and_saveexec_b64 s[6:7], s[4:5]
	s_cbranch_execnz .LBB3_155
	s_branch .LBB3_156
.LBB3_2205:
	s_movk_i32 s4, 0x80
	v_cmp_eq_u16_sdwa s[12:13], v2, s4 src0_sel:BYTE_3 src1_sel:DWORD
	s_mov_b64 s[4:5], -1
                                        ; implicit-def: $sgpr10
	s_and_saveexec_b64 s[8:9], s[12:13]
; %bb.2206:
	s_mov_b32 s10, 0x7f800001
	s_xor_b64 s[4:5], exec, -1
; %bb.2207:
	s_or_b64 exec, exec, s[8:9]
	s_and_b64 s[4:5], s[4:5], exec
	s_or_saveexec_b64 s[6:7], s[6:7]
	v_mov_b32_e32 v6, s10
	s_xor_b64 exec, exec, s[6:7]
	s_cbranch_execz .LBB3_158
.LBB3_2208:
	v_mov_b32_e32 v6, 0
	v_cmp_ne_u16_sdwa s[8:9], v2, v6 src0_sel:BYTE_3 src1_sel:DWORD
	s_andn2_b64 s[4:5], s[4:5], exec
	s_and_b64 s[8:9], s[8:9], exec
	s_or_b64 s[4:5], s[4:5], s[8:9]
	s_or_b64 exec, exec, s[6:7]
	s_and_saveexec_b64 s[6:7], s[4:5]
	s_cbranch_execnz .LBB3_159
	s_branch .LBB3_160
.LBB3_2209:
	s_movk_i32 s4, 0x80
	v_cmp_eq_u16_sdwa s[12:13], v7, s4 src0_sel:BYTE_0 src1_sel:DWORD
	s_mov_b64 s[4:5], -1
                                        ; implicit-def: $sgpr10
	s_and_saveexec_b64 s[8:9], s[12:13]
; %bb.2210:
	s_mov_b32 s10, 0x7f800001
	s_xor_b64 s[4:5], exec, -1
; %bb.2211:
	s_or_b64 exec, exec, s[8:9]
	s_and_b64 s[4:5], s[4:5], exec
	s_or_saveexec_b64 s[6:7], s[6:7]
	v_mov_b32_e32 v2, s10
	s_xor_b64 exec, exec, s[6:7]
	s_cbranch_execz .LBB3_162
.LBB3_2212:
	v_mov_b32_e32 v2, 0
	v_cmp_ne_u16_sdwa s[8:9], v7, v2 src0_sel:BYTE_0 src1_sel:DWORD
	s_andn2_b64 s[4:5], s[4:5], exec
	s_and_b64 s[8:9], s[8:9], exec
	s_or_b64 s[4:5], s[4:5], s[8:9]
	s_or_b64 exec, exec, s[6:7]
	s_and_saveexec_b64 s[6:7], s[4:5]
	s_cbranch_execnz .LBB3_163
	s_branch .LBB3_164
.LBB3_2213:
	s_movk_i32 s4, 0x80
	v_cmp_eq_u16_sdwa s[12:13], v3, s4 src0_sel:BYTE_0 src1_sel:DWORD
	s_mov_b64 s[4:5], -1
                                        ; implicit-def: $sgpr10
	s_and_saveexec_b64 s[8:9], s[12:13]
; %bb.2214:
	s_mov_b32 s10, 0x7f800001
	s_xor_b64 s[4:5], exec, -1
; %bb.2215:
	s_or_b64 exec, exec, s[8:9]
	s_and_b64 s[4:5], s[4:5], exec
	s_or_saveexec_b64 s[6:7], s[6:7]
	v_mov_b32_e32 v6, s10
	s_xor_b64 exec, exec, s[6:7]
	s_cbranch_execz .LBB3_166
.LBB3_2216:
	v_mov_b32_e32 v6, 0
	v_cmp_ne_u16_sdwa s[8:9], v3, v6 src0_sel:BYTE_0 src1_sel:DWORD
	s_andn2_b64 s[4:5], s[4:5], exec
	s_and_b64 s[8:9], s[8:9], exec
	s_or_b64 s[4:5], s[4:5], s[8:9]
	s_or_b64 exec, exec, s[6:7]
	s_and_saveexec_b64 s[6:7], s[4:5]
	s_cbranch_execnz .LBB3_167
	s_branch .LBB3_168
.LBB3_2217:
	s_movk_i32 s4, 0x80
	v_cmp_eq_u16_sdwa s[12:13], v6, s4 src0_sel:BYTE_0 src1_sel:DWORD
	s_mov_b64 s[4:5], -1
                                        ; implicit-def: $sgpr10
	s_and_saveexec_b64 s[8:9], s[12:13]
; %bb.2218:
	s_mov_b32 s10, 0x7f800001
	s_xor_b64 s[4:5], exec, -1
; %bb.2219:
	s_or_b64 exec, exec, s[8:9]
	s_and_b64 s[4:5], s[4:5], exec
	s_or_saveexec_b64 s[6:7], s[6:7]
	v_mov_b32_e32 v2, s10
	s_xor_b64 exec, exec, s[6:7]
	s_cbranch_execz .LBB3_170
.LBB3_2220:
	v_mov_b32_e32 v2, 0
	v_cmp_ne_u16_sdwa s[8:9], v6, v2 src0_sel:BYTE_0 src1_sel:DWORD
	s_andn2_b64 s[4:5], s[4:5], exec
	s_and_b64 s[8:9], s[8:9], exec
	s_or_b64 s[4:5], s[4:5], s[8:9]
	s_or_b64 exec, exec, s[6:7]
	s_and_saveexec_b64 s[6:7], s[4:5]
	s_cbranch_execnz .LBB3_171
	s_branch .LBB3_172
.LBB3_2221:
	s_movk_i32 s4, 0x80
	v_cmp_eq_u16_sdwa s[12:13], v6, s4 src0_sel:BYTE_0 src1_sel:DWORD
	s_mov_b64 s[4:5], -1
                                        ; implicit-def: $sgpr10
	s_and_saveexec_b64 s[8:9], s[12:13]
; %bb.2222:
	s_mov_b32 s10, 0x7f800001
	s_xor_b64 s[4:5], exec, -1
; %bb.2223:
	s_or_b64 exec, exec, s[8:9]
	s_and_b64 s[4:5], s[4:5], exec
	s_or_saveexec_b64 s[6:7], s[6:7]
	v_mov_b32_e32 v12, s10
	s_xor_b64 exec, exec, s[6:7]
	s_cbranch_execz .LBB3_174
.LBB3_2224:
	v_mov_b32_e32 v12, 0
	v_cmp_ne_u16_sdwa s[8:9], v6, v12 src0_sel:BYTE_0 src1_sel:DWORD
	s_andn2_b64 s[4:5], s[4:5], exec
	s_and_b64 s[8:9], s[8:9], exec
	s_or_b64 s[4:5], s[4:5], s[8:9]
	s_or_b64 exec, exec, s[6:7]
	s_and_saveexec_b64 s[6:7], s[4:5]
	s_cbranch_execnz .LBB3_175
	s_branch .LBB3_176
.LBB3_2225:
	s_movk_i32 s4, 0x80
	v_cmp_eq_u16_e32 vcc, s4, v6
	s_mov_b64 s[4:5], -1
                                        ; implicit-def: $sgpr10
	s_and_saveexec_b64 s[8:9], vcc
; %bb.2226:
	s_mov_b32 s10, 0x7f800001
	s_xor_b64 s[4:5], exec, -1
; %bb.2227:
	s_or_b64 exec, exec, s[8:9]
	s_and_b64 s[4:5], s[4:5], exec
                                        ; implicit-def: $vgpr6
	s_or_saveexec_b64 s[6:7], s[6:7]
	v_mov_b32_e32 v2, s10
	s_xor_b64 exec, exec, s[6:7]
	s_cbranch_execz .LBB3_178
.LBB3_2228:
	v_cmp_ne_u16_e32 vcc, 0, v6
	s_andn2_b64 s[4:5], s[4:5], exec
	s_and_b64 s[8:9], vcc, exec
	v_mov_b32_e32 v2, 0
	s_or_b64 s[4:5], s[4:5], s[8:9]
	s_or_b64 exec, exec, s[6:7]
	s_and_saveexec_b64 s[6:7], s[4:5]
	s_cbranch_execnz .LBB3_179
	s_branch .LBB3_180
.LBB3_2229:
	s_movk_i32 s4, 0x80
	v_cmp_eq_u16_e32 vcc, s4, v6
	s_mov_b64 s[4:5], -1
                                        ; implicit-def: $sgpr10
	s_and_saveexec_b64 s[8:9], vcc
; %bb.2230:
	s_mov_b32 s10, 0x7f800001
	s_xor_b64 s[4:5], exec, -1
; %bb.2231:
	s_or_b64 exec, exec, s[8:9]
	s_and_b64 s[4:5], s[4:5], exec
                                        ; implicit-def: $vgpr6
	s_or_saveexec_b64 s[6:7], s[6:7]
	v_mov_b32_e32 v12, s10
	s_xor_b64 exec, exec, s[6:7]
	s_cbranch_execz .LBB3_182
.LBB3_2232:
	v_cmp_ne_u16_e32 vcc, 0, v6
	s_andn2_b64 s[4:5], s[4:5], exec
	s_and_b64 s[8:9], vcc, exec
	v_mov_b32_e32 v12, 0
	s_or_b64 s[4:5], s[4:5], s[8:9]
	s_or_b64 exec, exec, s[6:7]
	s_and_saveexec_b64 s[6:7], s[4:5]
	s_cbranch_execnz .LBB3_183
	s_branch .LBB3_184
.LBB3_2233:
	s_movk_i32 s4, 0x80
	v_cmp_eq_u16_sdwa s[12:13], v7, s4 src0_sel:BYTE_3 src1_sel:DWORD
	s_mov_b64 s[4:5], -1
                                        ; implicit-def: $sgpr10
	s_and_saveexec_b64 s[8:9], s[12:13]
; %bb.2234:
	s_mov_b32 s10, 0x7f800001
	s_xor_b64 s[4:5], exec, -1
; %bb.2235:
	s_or_b64 exec, exec, s[8:9]
	s_and_b64 s[4:5], s[4:5], exec
	s_or_saveexec_b64 s[6:7], s[6:7]
	v_mov_b32_e32 v2, s10
	s_xor_b64 exec, exec, s[6:7]
	s_cbranch_execz .LBB3_186
.LBB3_2236:
	v_mov_b32_e32 v2, 0
	v_cmp_ne_u16_sdwa s[8:9], v7, v2 src0_sel:BYTE_3 src1_sel:DWORD
	s_andn2_b64 s[4:5], s[4:5], exec
	s_and_b64 s[8:9], s[8:9], exec
	s_or_b64 s[4:5], s[4:5], s[8:9]
	s_or_b64 exec, exec, s[6:7]
	s_and_saveexec_b64 s[6:7], s[4:5]
	s_cbranch_execnz .LBB3_187
	s_branch .LBB3_188
.LBB3_2237:
	s_movk_i32 s4, 0x80
	v_cmp_eq_u16_sdwa s[12:13], v3, s4 src0_sel:BYTE_3 src1_sel:DWORD
	s_mov_b64 s[4:5], -1
                                        ; implicit-def: $sgpr10
	s_and_saveexec_b64 s[8:9], s[12:13]
; %bb.2238:
	s_mov_b32 s10, 0x7f800001
	s_xor_b64 s[4:5], exec, -1
; %bb.2239:
	s_or_b64 exec, exec, s[8:9]
	s_and_b64 s[4:5], s[4:5], exec
	s_or_saveexec_b64 s[6:7], s[6:7]
	v_mov_b32_e32 v6, s10
	s_xor_b64 exec, exec, s[6:7]
	s_cbranch_execz .LBB3_190
.LBB3_2240:
	v_mov_b32_e32 v6, 0
	v_cmp_ne_u16_sdwa s[8:9], v3, v6 src0_sel:BYTE_3 src1_sel:DWORD
	s_andn2_b64 s[4:5], s[4:5], exec
	s_and_b64 s[8:9], s[8:9], exec
	s_or_b64 s[4:5], s[4:5], s[8:9]
	s_or_b64 exec, exec, s[6:7]
	s_and_saveexec_b64 s[6:7], s[4:5]
	s_cbranch_execnz .LBB3_191
	s_branch .LBB3_192
.LBB3_2241:
	s_movk_i32 s4, 0x80
	v_cmp_eq_u16_sdwa s[12:13], v8, s4 src0_sel:BYTE_0 src1_sel:DWORD
	s_mov_b64 s[4:5], -1
                                        ; implicit-def: $sgpr10
	s_and_saveexec_b64 s[8:9], s[12:13]
; %bb.2242:
	s_mov_b32 s10, 0x7f800001
	s_xor_b64 s[4:5], exec, -1
; %bb.2243:
	s_or_b64 exec, exec, s[8:9]
	s_and_b64 s[4:5], s[4:5], exec
	s_or_saveexec_b64 s[6:7], s[6:7]
	v_mov_b32_e32 v2, s10
	s_xor_b64 exec, exec, s[6:7]
	s_cbranch_execz .LBB3_194
.LBB3_2244:
	v_mov_b32_e32 v2, 0
	v_cmp_ne_u16_sdwa s[8:9], v8, v2 src0_sel:BYTE_0 src1_sel:DWORD
	s_andn2_b64 s[4:5], s[4:5], exec
	s_and_b64 s[8:9], s[8:9], exec
	s_or_b64 s[4:5], s[4:5], s[8:9]
	s_or_b64 exec, exec, s[6:7]
	s_and_saveexec_b64 s[6:7], s[4:5]
	s_cbranch_execnz .LBB3_195
	s_branch .LBB3_196
.LBB3_2245:
	s_movk_i32 s4, 0x80
	v_cmp_eq_u16_sdwa s[12:13], v4, s4 src0_sel:BYTE_0 src1_sel:DWORD
	s_mov_b64 s[4:5], -1
                                        ; implicit-def: $sgpr10
	s_and_saveexec_b64 s[8:9], s[12:13]
; %bb.2246:
	s_mov_b32 s10, 0x7f800001
	s_xor_b64 s[4:5], exec, -1
; %bb.2247:
	s_or_b64 exec, exec, s[8:9]
	s_and_b64 s[4:5], s[4:5], exec
	s_or_saveexec_b64 s[6:7], s[6:7]
	v_mov_b32_e32 v3, s10
	s_xor_b64 exec, exec, s[6:7]
	s_cbranch_execz .LBB3_198
.LBB3_2248:
	v_mov_b32_e32 v3, 0
	v_cmp_ne_u16_sdwa s[8:9], v4, v3 src0_sel:BYTE_0 src1_sel:DWORD
	s_andn2_b64 s[4:5], s[4:5], exec
	s_and_b64 s[8:9], s[8:9], exec
	s_or_b64 s[4:5], s[4:5], s[8:9]
	s_or_b64 exec, exec, s[6:7]
	s_and_saveexec_b64 s[6:7], s[4:5]
	s_cbranch_execnz .LBB3_199
	s_branch .LBB3_200
.LBB3_2249:
	s_movk_i32 s4, 0x80
	v_cmp_eq_u16_sdwa s[12:13], v3, s4 src0_sel:BYTE_0 src1_sel:DWORD
	s_mov_b64 s[4:5], -1
                                        ; implicit-def: $sgpr10
	s_and_saveexec_b64 s[8:9], s[12:13]
; %bb.2250:
	s_mov_b32 s10, 0x7f800001
	s_xor_b64 s[4:5], exec, -1
; %bb.2251:
	s_or_b64 exec, exec, s[8:9]
	s_and_b64 s[4:5], s[4:5], exec
	s_or_saveexec_b64 s[6:7], s[6:7]
	v_mov_b32_e32 v2, s10
	s_xor_b64 exec, exec, s[6:7]
	s_cbranch_execz .LBB3_202
.LBB3_2252:
	v_mov_b32_e32 v2, 0
	v_cmp_ne_u16_sdwa s[8:9], v3, v2 src0_sel:BYTE_0 src1_sel:DWORD
	s_andn2_b64 s[4:5], s[4:5], exec
	s_and_b64 s[8:9], s[8:9], exec
	s_or_b64 s[4:5], s[4:5], s[8:9]
	s_or_b64 exec, exec, s[6:7]
	s_and_saveexec_b64 s[6:7], s[4:5]
	s_cbranch_execnz .LBB3_203
	s_branch .LBB3_204
.LBB3_2253:
	s_movk_i32 s4, 0x80
	v_cmp_eq_u16_sdwa s[12:13], v3, s4 src0_sel:BYTE_0 src1_sel:DWORD
	s_mov_b64 s[4:5], -1
                                        ; implicit-def: $sgpr10
	s_and_saveexec_b64 s[8:9], s[12:13]
; %bb.2254:
	s_mov_b32 s10, 0x7f800001
	s_xor_b64 s[4:5], exec, -1
; %bb.2255:
	s_or_b64 exec, exec, s[8:9]
	s_and_b64 s[4:5], s[4:5], exec
	s_or_saveexec_b64 s[6:7], s[6:7]
	v_mov_b32_e32 v6, s10
	s_xor_b64 exec, exec, s[6:7]
	s_cbranch_execz .LBB3_206
.LBB3_2256:
	v_mov_b32_e32 v6, 0
	v_cmp_ne_u16_sdwa s[8:9], v3, v6 src0_sel:BYTE_0 src1_sel:DWORD
	s_andn2_b64 s[4:5], s[4:5], exec
	s_and_b64 s[8:9], s[8:9], exec
	s_or_b64 s[4:5], s[4:5], s[8:9]
	s_or_b64 exec, exec, s[6:7]
	s_and_saveexec_b64 s[6:7], s[4:5]
	s_cbranch_execnz .LBB3_207
	s_branch .LBB3_208
.LBB3_2257:
	s_movk_i32 s4, 0x80
	v_cmp_eq_u16_e32 vcc, s4, v3
	s_mov_b64 s[4:5], -1
                                        ; implicit-def: $sgpr10
	s_and_saveexec_b64 s[8:9], vcc
; %bb.2258:
	s_mov_b32 s10, 0x7f800001
	s_xor_b64 s[4:5], exec, -1
; %bb.2259:
	s_or_b64 exec, exec, s[8:9]
	s_and_b64 s[4:5], s[4:5], exec
                                        ; implicit-def: $vgpr3
	s_or_saveexec_b64 s[6:7], s[6:7]
	v_mov_b32_e32 v2, s10
	s_xor_b64 exec, exec, s[6:7]
	s_cbranch_execz .LBB3_210
.LBB3_2260:
	v_cmp_ne_u16_e32 vcc, 0, v3
	s_andn2_b64 s[4:5], s[4:5], exec
	s_and_b64 s[8:9], vcc, exec
	v_mov_b32_e32 v2, 0
	s_or_b64 s[4:5], s[4:5], s[8:9]
	s_or_b64 exec, exec, s[6:7]
	s_and_saveexec_b64 s[6:7], s[4:5]
	s_cbranch_execnz .LBB3_211
	s_branch .LBB3_212
.LBB3_2261:
	s_movk_i32 s4, 0x80
	v_cmp_eq_u16_e32 vcc, s4, v3
	s_mov_b64 s[4:5], -1
                                        ; implicit-def: $sgpr10
	s_and_saveexec_b64 s[8:9], vcc
; %bb.2262:
	s_mov_b32 s10, 0x7f800001
	s_xor_b64 s[4:5], exec, -1
; %bb.2263:
	s_or_b64 exec, exec, s[8:9]
	s_and_b64 s[4:5], s[4:5], exec
                                        ; implicit-def: $vgpr3
	s_or_saveexec_b64 s[6:7], s[6:7]
	v_mov_b32_e32 v6, s10
	s_xor_b64 exec, exec, s[6:7]
	s_cbranch_execz .LBB3_214
.LBB3_2264:
	v_cmp_ne_u16_e32 vcc, 0, v3
	s_andn2_b64 s[4:5], s[4:5], exec
	s_and_b64 s[8:9], vcc, exec
	v_mov_b32_e32 v6, 0
	s_or_b64 s[4:5], s[4:5], s[8:9]
	s_or_b64 exec, exec, s[6:7]
	s_and_saveexec_b64 s[6:7], s[4:5]
	s_cbranch_execnz .LBB3_215
	s_branch .LBB3_216
.LBB3_2265:
	s_movk_i32 s4, 0x80
	v_cmp_eq_u16_sdwa s[12:13], v8, s4 src0_sel:BYTE_3 src1_sel:DWORD
	s_mov_b64 s[4:5], -1
                                        ; implicit-def: $sgpr10
	s_and_saveexec_b64 s[8:9], s[12:13]
; %bb.2266:
	s_mov_b32 s10, 0x7f800001
	s_xor_b64 s[4:5], exec, -1
; %bb.2267:
	s_or_b64 exec, exec, s[8:9]
	s_and_b64 s[4:5], s[4:5], exec
	s_or_saveexec_b64 s[6:7], s[6:7]
	v_mov_b32_e32 v2, s10
	s_xor_b64 exec, exec, s[6:7]
	s_cbranch_execz .LBB3_218
.LBB3_2268:
	v_mov_b32_e32 v2, 0
	v_cmp_ne_u16_sdwa s[8:9], v8, v2 src0_sel:BYTE_3 src1_sel:DWORD
	s_andn2_b64 s[4:5], s[4:5], exec
	s_and_b64 s[8:9], s[8:9], exec
	s_or_b64 s[4:5], s[4:5], s[8:9]
	s_or_b64 exec, exec, s[6:7]
	s_and_saveexec_b64 s[6:7], s[4:5]
	s_cbranch_execnz .LBB3_219
	s_branch .LBB3_220
.LBB3_2269:
	s_movk_i32 s4, 0x80
	v_cmp_eq_u16_sdwa s[12:13], v4, s4 src0_sel:BYTE_3 src1_sel:DWORD
	s_mov_b64 s[4:5], -1
                                        ; implicit-def: $sgpr10
	s_and_saveexec_b64 s[8:9], s[12:13]
; %bb.2270:
	s_mov_b32 s10, 0x7f800001
	s_xor_b64 s[4:5], exec, -1
; %bb.2271:
	s_or_b64 exec, exec, s[8:9]
	s_and_b64 s[4:5], s[4:5], exec
	s_or_saveexec_b64 s[6:7], s[6:7]
	v_mov_b32_e32 v3, s10
	s_xor_b64 exec, exec, s[6:7]
	s_cbranch_execz .LBB3_222
.LBB3_2272:
	v_mov_b32_e32 v3, 0
	v_cmp_ne_u16_sdwa s[8:9], v4, v3 src0_sel:BYTE_3 src1_sel:DWORD
	s_andn2_b64 s[4:5], s[4:5], exec
	s_and_b64 s[8:9], s[8:9], exec
	s_or_b64 s[4:5], s[4:5], s[8:9]
	s_or_b64 exec, exec, s[6:7]
	s_and_saveexec_b64 s[6:7], s[4:5]
	s_cbranch_execnz .LBB3_223
	s_branch .LBB3_224
.LBB3_2273:
	s_movk_i32 s4, 0x80
	v_cmp_eq_u16_sdwa s[12:13], v9, s4 src0_sel:BYTE_0 src1_sel:DWORD
	s_mov_b64 s[4:5], -1
                                        ; implicit-def: $sgpr10
	s_and_saveexec_b64 s[8:9], s[12:13]
; %bb.2274:
	s_mov_b32 s10, 0x7f800001
	s_xor_b64 s[4:5], exec, -1
; %bb.2275:
	s_or_b64 exec, exec, s[8:9]
	s_and_b64 s[4:5], s[4:5], exec
	s_or_saveexec_b64 s[6:7], s[6:7]
	v_mov_b32_e32 v2, s10
	s_xor_b64 exec, exec, s[6:7]
	s_cbranch_execz .LBB3_226
.LBB3_2276:
	v_mov_b32_e32 v2, 0
	v_cmp_ne_u16_sdwa s[8:9], v9, v2 src0_sel:BYTE_0 src1_sel:DWORD
	s_andn2_b64 s[4:5], s[4:5], exec
	s_and_b64 s[8:9], s[8:9], exec
	s_or_b64 s[4:5], s[4:5], s[8:9]
	s_or_b64 exec, exec, s[6:7]
	s_and_saveexec_b64 s[6:7], s[4:5]
	s_cbranch_execnz .LBB3_227
	s_branch .LBB3_228
.LBB3_2277:
	s_movk_i32 s4, 0x80
	v_cmp_eq_u16_sdwa s[12:13], v5, s4 src0_sel:BYTE_0 src1_sel:DWORD
	s_mov_b64 s[4:5], -1
                                        ; implicit-def: $sgpr10
	s_and_saveexec_b64 s[8:9], s[12:13]
; %bb.2278:
	s_mov_b32 s10, 0x7f800001
	s_xor_b64 s[4:5], exec, -1
; %bb.2279:
	s_or_b64 exec, exec, s[8:9]
	s_and_b64 s[4:5], s[4:5], exec
	s_or_saveexec_b64 s[6:7], s[6:7]
	v_mov_b32_e32 v3, s10
	s_xor_b64 exec, exec, s[6:7]
	s_cbranch_execz .LBB3_230
.LBB3_2280:
	v_mov_b32_e32 v3, 0
	v_cmp_ne_u16_sdwa s[8:9], v5, v3 src0_sel:BYTE_0 src1_sel:DWORD
	s_andn2_b64 s[4:5], s[4:5], exec
	s_and_b64 s[8:9], s[8:9], exec
	s_or_b64 s[4:5], s[4:5], s[8:9]
	s_or_b64 exec, exec, s[6:7]
	s_and_saveexec_b64 s[6:7], s[4:5]
	s_cbranch_execnz .LBB3_231
	s_branch .LBB3_232
.LBB3_2281:
	s_movk_i32 s4, 0x80
	v_cmp_eq_u16_sdwa s[12:13], v3, s4 src0_sel:BYTE_0 src1_sel:DWORD
	s_mov_b64 s[4:5], -1
                                        ; implicit-def: $sgpr10
	s_and_saveexec_b64 s[8:9], s[12:13]
; %bb.2282:
	s_mov_b32 s10, 0x7f800001
	s_xor_b64 s[4:5], exec, -1
; %bb.2283:
	s_or_b64 exec, exec, s[8:9]
	s_and_b64 s[4:5], s[4:5], exec
	s_or_saveexec_b64 s[6:7], s[6:7]
	v_mov_b32_e32 v2, s10
	s_xor_b64 exec, exec, s[6:7]
	s_cbranch_execz .LBB3_234
.LBB3_2284:
	v_mov_b32_e32 v2, 0
	v_cmp_ne_u16_sdwa s[8:9], v3, v2 src0_sel:BYTE_0 src1_sel:DWORD
	s_andn2_b64 s[4:5], s[4:5], exec
	s_and_b64 s[8:9], s[8:9], exec
	s_or_b64 s[4:5], s[4:5], s[8:9]
	s_or_b64 exec, exec, s[6:7]
	s_and_saveexec_b64 s[6:7], s[4:5]
	s_cbranch_execnz .LBB3_235
	s_branch .LBB3_236
.LBB3_2285:
	s_movk_i32 s4, 0x80
	v_cmp_eq_u16_sdwa s[12:13], v3, s4 src0_sel:BYTE_0 src1_sel:DWORD
	s_mov_b64 s[4:5], -1
                                        ; implicit-def: $sgpr10
	s_and_saveexec_b64 s[8:9], s[12:13]
; %bb.2286:
	s_mov_b32 s10, 0x7f800001
	s_xor_b64 s[4:5], exec, -1
; %bb.2287:
	s_or_b64 exec, exec, s[8:9]
	s_and_b64 s[4:5], s[4:5], exec
	s_or_saveexec_b64 s[6:7], s[6:7]
	v_mov_b32_e32 v4, s10
	s_xor_b64 exec, exec, s[6:7]
	s_cbranch_execz .LBB3_238
.LBB3_2288:
	v_mov_b32_e32 v4, 0
	v_cmp_ne_u16_sdwa s[8:9], v3, v4 src0_sel:BYTE_0 src1_sel:DWORD
	s_andn2_b64 s[4:5], s[4:5], exec
	s_and_b64 s[8:9], s[8:9], exec
	s_or_b64 s[4:5], s[4:5], s[8:9]
	s_or_b64 exec, exec, s[6:7]
	s_and_saveexec_b64 s[6:7], s[4:5]
	s_cbranch_execnz .LBB3_239
	s_branch .LBB3_240
.LBB3_2289:
	s_movk_i32 s4, 0x80
	v_cmp_eq_u16_e32 vcc, s4, v3
	s_mov_b64 s[4:5], -1
                                        ; implicit-def: $sgpr10
	s_and_saveexec_b64 s[8:9], vcc
; %bb.2290:
	s_mov_b32 s10, 0x7f800001
	s_xor_b64 s[4:5], exec, -1
; %bb.2291:
	s_or_b64 exec, exec, s[8:9]
	s_and_b64 s[4:5], s[4:5], exec
                                        ; implicit-def: $vgpr3
	s_or_saveexec_b64 s[6:7], s[6:7]
	v_mov_b32_e32 v2, s10
	s_xor_b64 exec, exec, s[6:7]
	s_cbranch_execz .LBB3_242
.LBB3_2292:
	v_cmp_ne_u16_e32 vcc, 0, v3
	s_andn2_b64 s[4:5], s[4:5], exec
	s_and_b64 s[8:9], vcc, exec
	v_mov_b32_e32 v2, 0
	s_or_b64 s[4:5], s[4:5], s[8:9]
	s_or_b64 exec, exec, s[6:7]
	s_and_saveexec_b64 s[6:7], s[4:5]
	s_cbranch_execnz .LBB3_243
	s_branch .LBB3_244
.LBB3_2293:
	s_movk_i32 s4, 0x80
	v_cmp_eq_u16_e32 vcc, s4, v3
	s_mov_b64 s[4:5], -1
                                        ; implicit-def: $sgpr10
	s_and_saveexec_b64 s[8:9], vcc
; %bb.2294:
	s_mov_b32 s10, 0x7f800001
	s_xor_b64 s[4:5], exec, -1
; %bb.2295:
	s_or_b64 exec, exec, s[8:9]
	s_and_b64 s[4:5], s[4:5], exec
                                        ; implicit-def: $vgpr3
	s_or_saveexec_b64 s[6:7], s[6:7]
	v_mov_b32_e32 v4, s10
	s_xor_b64 exec, exec, s[6:7]
	s_cbranch_execz .LBB3_246
.LBB3_2296:
	v_cmp_ne_u16_e32 vcc, 0, v3
	s_andn2_b64 s[4:5], s[4:5], exec
	s_and_b64 s[8:9], vcc, exec
	v_mov_b32_e32 v4, 0
	s_or_b64 s[4:5], s[4:5], s[8:9]
	s_or_b64 exec, exec, s[6:7]
	s_and_saveexec_b64 s[6:7], s[4:5]
	s_cbranch_execnz .LBB3_247
	s_branch .LBB3_248
.LBB3_2297:
	s_movk_i32 s4, 0x80
	v_cmp_eq_u16_sdwa s[12:13], v9, s4 src0_sel:BYTE_3 src1_sel:DWORD
	s_mov_b64 s[4:5], -1
                                        ; implicit-def: $sgpr10
	s_and_saveexec_b64 s[8:9], s[12:13]
; %bb.2298:
	s_mov_b32 s10, 0x7f800001
	s_xor_b64 s[4:5], exec, -1
; %bb.2299:
	s_or_b64 exec, exec, s[8:9]
	s_and_b64 s[4:5], s[4:5], exec
	s_or_saveexec_b64 s[6:7], s[6:7]
	v_mov_b32_e32 v2, s10
	s_xor_b64 exec, exec, s[6:7]
	s_cbranch_execz .LBB3_250
.LBB3_2300:
	v_mov_b32_e32 v2, 0
	v_cmp_ne_u16_sdwa s[8:9], v9, v2 src0_sel:BYTE_3 src1_sel:DWORD
	s_andn2_b64 s[4:5], s[4:5], exec
	s_and_b64 s[8:9], s[8:9], exec
	s_or_b64 s[4:5], s[4:5], s[8:9]
	s_or_b64 exec, exec, s[6:7]
	s_and_saveexec_b64 s[6:7], s[4:5]
	s_cbranch_execnz .LBB3_251
	s_branch .LBB3_252
.LBB3_2301:
	s_movk_i32 s4, 0x80
	v_cmp_eq_u16_sdwa s[12:13], v5, s4 src0_sel:BYTE_3 src1_sel:DWORD
	s_mov_b64 s[4:5], -1
                                        ; implicit-def: $sgpr10
	s_and_saveexec_b64 s[8:9], s[12:13]
; %bb.2302:
	s_mov_b32 s10, 0x7f800001
	s_xor_b64 s[4:5], exec, -1
; %bb.2303:
	s_or_b64 exec, exec, s[8:9]
	s_and_b64 s[4:5], s[4:5], exec
	s_or_saveexec_b64 s[6:7], s[6:7]
	v_mov_b32_e32 v3, s10
	s_xor_b64 exec, exec, s[6:7]
	s_cbranch_execz .LBB3_254
.LBB3_2304:
	v_mov_b32_e32 v3, 0
	v_cmp_ne_u16_sdwa s[8:9], v5, v3 src0_sel:BYTE_3 src1_sel:DWORD
	s_andn2_b64 s[4:5], s[4:5], exec
	s_and_b64 s[8:9], s[8:9], exec
	s_or_b64 s[4:5], s[4:5], s[8:9]
	s_or_b64 exec, exec, s[6:7]
	s_and_saveexec_b64 s[6:7], s[4:5]
	s_cbranch_execnz .LBB3_255
	s_branch .LBB3_256
.LBB3_2305:
	s_movk_i32 s4, 0x80
	v_cmp_eq_u16_sdwa s[12:13], v6, s4 src0_sel:BYTE_0 src1_sel:DWORD
	s_mov_b64 s[4:5], -1
                                        ; implicit-def: $sgpr10
	s_and_saveexec_b64 s[8:9], s[12:13]
; %bb.2306:
	s_mov_b32 s10, 0x7f800001
	s_xor_b64 s[4:5], exec, -1
; %bb.2307:
	s_or_b64 exec, exec, s[8:9]
	s_and_b64 s[4:5], s[4:5], exec
	s_or_saveexec_b64 s[6:7], s[6:7]
	v_mov_b32_e32 v12, s10
	s_xor_b64 exec, exec, s[6:7]
	s_cbranch_execz .LBB3_258
.LBB3_2308:
	v_mov_b32_e32 v12, 0
	v_cmp_ne_u16_sdwa s[8:9], v6, v12 src0_sel:BYTE_0 src1_sel:DWORD
	s_andn2_b64 s[4:5], s[4:5], exec
	s_and_b64 s[8:9], s[8:9], exec
	s_or_b64 s[4:5], s[4:5], s[8:9]
	s_or_b64 exec, exec, s[6:7]
	s_and_saveexec_b64 s[6:7], s[4:5]
	s_cbranch_execnz .LBB3_259
	s_branch .LBB3_260
.LBB3_2309:
	s_movk_i32 s4, 0x80
	v_cmp_eq_u16_sdwa s[12:13], v2, s4 src0_sel:BYTE_0 src1_sel:DWORD
	s_mov_b64 s[4:5], -1
                                        ; implicit-def: $sgpr10
	s_and_saveexec_b64 s[8:9], s[12:13]
; %bb.2310:
	s_mov_b32 s10, 0x7f800001
	s_xor_b64 s[4:5], exec, -1
; %bb.2311:
	s_or_b64 exec, exec, s[8:9]
	s_and_b64 s[4:5], s[4:5], exec
	s_or_saveexec_b64 s[6:7], s[6:7]
	v_mov_b32_e32 v13, s10
	s_xor_b64 exec, exec, s[6:7]
	s_cbranch_execz .LBB3_262
.LBB3_2312:
	v_mov_b32_e32 v13, 0
	v_cmp_ne_u16_sdwa s[8:9], v2, v13 src0_sel:BYTE_0 src1_sel:DWORD
	s_andn2_b64 s[4:5], s[4:5], exec
	s_and_b64 s[8:9], s[8:9], exec
	s_or_b64 s[4:5], s[4:5], s[8:9]
	s_or_b64 exec, exec, s[6:7]
	s_and_saveexec_b64 s[6:7], s[4:5]
	s_cbranch_execnz .LBB3_263
	s_branch .LBB3_264
.LBB3_2313:
	s_movk_i32 s4, 0x80
	v_cmp_eq_u16_sdwa s[12:13], v13, s4 src0_sel:BYTE_0 src1_sel:DWORD
	s_mov_b64 s[4:5], -1
                                        ; implicit-def: $sgpr10
	s_and_saveexec_b64 s[8:9], s[12:13]
; %bb.2314:
	s_mov_b32 s10, 0x7f800001
	s_xor_b64 s[4:5], exec, -1
; %bb.2315:
	s_or_b64 exec, exec, s[8:9]
	s_and_b64 s[4:5], s[4:5], exec
	s_or_saveexec_b64 s[6:7], s[6:7]
	v_mov_b32_e32 v12, s10
	s_xor_b64 exec, exec, s[6:7]
	s_cbranch_execz .LBB3_266
.LBB3_2316:
	v_mov_b32_e32 v12, 0
	v_cmp_ne_u16_sdwa s[8:9], v13, v12 src0_sel:BYTE_0 src1_sel:DWORD
	s_andn2_b64 s[4:5], s[4:5], exec
	s_and_b64 s[8:9], s[8:9], exec
	s_or_b64 s[4:5], s[4:5], s[8:9]
	s_or_b64 exec, exec, s[6:7]
	s_and_saveexec_b64 s[6:7], s[4:5]
	s_cbranch_execnz .LBB3_267
	s_branch .LBB3_268
.LBB3_2317:
	s_movk_i32 s4, 0x80
	v_cmp_eq_u16_sdwa s[12:13], v13, s4 src0_sel:BYTE_0 src1_sel:DWORD
	s_mov_b64 s[4:5], -1
                                        ; implicit-def: $sgpr10
	s_and_saveexec_b64 s[8:9], s[12:13]
; %bb.2318:
	s_mov_b32 s10, 0x7f800001
	s_xor_b64 s[4:5], exec, -1
; %bb.2319:
	s_or_b64 exec, exec, s[8:9]
	s_and_b64 s[4:5], s[4:5], exec
	s_or_saveexec_b64 s[6:7], s[6:7]
	v_mov_b32_e32 v14, s10
	s_xor_b64 exec, exec, s[6:7]
	s_cbranch_execz .LBB3_270
.LBB3_2320:
	v_mov_b32_e32 v14, 0
	v_cmp_ne_u16_sdwa s[8:9], v13, v14 src0_sel:BYTE_0 src1_sel:DWORD
	s_andn2_b64 s[4:5], s[4:5], exec
	s_and_b64 s[8:9], s[8:9], exec
	s_or_b64 s[4:5], s[4:5], s[8:9]
	s_or_b64 exec, exec, s[6:7]
	s_and_saveexec_b64 s[6:7], s[4:5]
	s_cbranch_execnz .LBB3_271
	s_branch .LBB3_272
.LBB3_2321:
	s_movk_i32 s4, 0x80
	v_cmp_eq_u16_e32 vcc, s4, v13
	s_mov_b64 s[4:5], -1
                                        ; implicit-def: $sgpr10
	s_and_saveexec_b64 s[8:9], vcc
; %bb.2322:
	s_mov_b32 s10, 0x7f800001
	s_xor_b64 s[4:5], exec, -1
; %bb.2323:
	s_or_b64 exec, exec, s[8:9]
	s_and_b64 s[4:5], s[4:5], exec
                                        ; implicit-def: $vgpr13
	s_or_saveexec_b64 s[6:7], s[6:7]
	v_mov_b32_e32 v12, s10
	s_xor_b64 exec, exec, s[6:7]
	s_cbranch_execz .LBB3_274
.LBB3_2324:
	v_cmp_ne_u16_e32 vcc, 0, v13
	s_andn2_b64 s[4:5], s[4:5], exec
	s_and_b64 s[8:9], vcc, exec
	v_mov_b32_e32 v12, 0
	s_or_b64 s[4:5], s[4:5], s[8:9]
	s_or_b64 exec, exec, s[6:7]
	s_and_saveexec_b64 s[6:7], s[4:5]
	s_cbranch_execnz .LBB3_275
	s_branch .LBB3_276
.LBB3_2325:
	s_movk_i32 s4, 0x80
	v_cmp_eq_u16_e32 vcc, s4, v13
	s_mov_b64 s[4:5], -1
                                        ; implicit-def: $sgpr10
	s_and_saveexec_b64 s[8:9], vcc
; %bb.2326:
	s_mov_b32 s10, 0x7f800001
	s_xor_b64 s[4:5], exec, -1
; %bb.2327:
	s_or_b64 exec, exec, s[8:9]
	s_and_b64 s[4:5], s[4:5], exec
                                        ; implicit-def: $vgpr13
	s_or_saveexec_b64 s[6:7], s[6:7]
	v_mov_b32_e32 v14, s10
	s_xor_b64 exec, exec, s[6:7]
	s_cbranch_execz .LBB3_278
.LBB3_2328:
	v_cmp_ne_u16_e32 vcc, 0, v13
	s_andn2_b64 s[4:5], s[4:5], exec
	s_and_b64 s[8:9], vcc, exec
	v_mov_b32_e32 v14, 0
	s_or_b64 s[4:5], s[4:5], s[8:9]
	s_or_b64 exec, exec, s[6:7]
	s_and_saveexec_b64 s[6:7], s[4:5]
	s_cbranch_execnz .LBB3_279
	s_branch .LBB3_280
.LBB3_2329:
	s_movk_i32 s4, 0x80
	v_cmp_eq_u16_sdwa s[12:13], v6, s4 src0_sel:BYTE_3 src1_sel:DWORD
	s_mov_b64 s[4:5], -1
                                        ; implicit-def: $sgpr10
	s_and_saveexec_b64 s[8:9], s[12:13]
; %bb.2330:
	s_mov_b32 s10, 0x7f800001
	s_xor_b64 s[4:5], exec, -1
; %bb.2331:
	s_or_b64 exec, exec, s[8:9]
	s_and_b64 s[4:5], s[4:5], exec
	s_or_saveexec_b64 s[6:7], s[6:7]
	v_mov_b32_e32 v12, s10
	s_xor_b64 exec, exec, s[6:7]
	s_cbranch_execz .LBB3_282
.LBB3_2332:
	v_mov_b32_e32 v12, 0
	v_cmp_ne_u16_sdwa s[8:9], v6, v12 src0_sel:BYTE_3 src1_sel:DWORD
	s_andn2_b64 s[4:5], s[4:5], exec
	s_and_b64 s[8:9], s[8:9], exec
	s_or_b64 s[4:5], s[4:5], s[8:9]
	s_or_b64 exec, exec, s[6:7]
	s_and_saveexec_b64 s[6:7], s[4:5]
	s_cbranch_execnz .LBB3_283
	s_branch .LBB3_284
.LBB3_2333:
	s_movk_i32 s4, 0x80
	v_cmp_eq_u16_sdwa s[12:13], v2, s4 src0_sel:BYTE_3 src1_sel:DWORD
	s_mov_b64 s[4:5], -1
                                        ; implicit-def: $sgpr10
	s_and_saveexec_b64 s[8:9], s[12:13]
; %bb.2334:
	s_mov_b32 s10, 0x7f800001
	s_xor_b64 s[4:5], exec, -1
; %bb.2335:
	s_or_b64 exec, exec, s[8:9]
	s_and_b64 s[4:5], s[4:5], exec
	s_or_saveexec_b64 s[6:7], s[6:7]
	v_mov_b32_e32 v6, s10
	s_xor_b64 exec, exec, s[6:7]
	s_cbranch_execz .LBB3_286
.LBB3_2336:
	v_mov_b32_e32 v6, 0
	v_cmp_ne_u16_sdwa s[8:9], v2, v6 src0_sel:BYTE_3 src1_sel:DWORD
	s_andn2_b64 s[4:5], s[4:5], exec
	s_and_b64 s[8:9], s[8:9], exec
	s_or_b64 s[4:5], s[4:5], s[8:9]
	s_or_b64 exec, exec, s[6:7]
	s_and_saveexec_b64 s[6:7], s[4:5]
	s_cbranch_execnz .LBB3_287
	s_branch .LBB3_288
.LBB3_2337:
	s_movk_i32 s4, 0x80
	v_cmp_eq_u16_sdwa s[12:13], v7, s4 src0_sel:BYTE_0 src1_sel:DWORD
	s_mov_b64 s[4:5], -1
                                        ; implicit-def: $sgpr10
	s_and_saveexec_b64 s[8:9], s[12:13]
; %bb.2338:
	s_mov_b32 s10, 0x7f800001
	s_xor_b64 s[4:5], exec, -1
; %bb.2339:
	s_or_b64 exec, exec, s[8:9]
	s_and_b64 s[4:5], s[4:5], exec
	s_or_saveexec_b64 s[6:7], s[6:7]
	v_mov_b32_e32 v2, s10
	s_xor_b64 exec, exec, s[6:7]
	s_cbranch_execz .LBB3_290
.LBB3_2340:
	v_mov_b32_e32 v2, 0
	v_cmp_ne_u16_sdwa s[8:9], v7, v2 src0_sel:BYTE_0 src1_sel:DWORD
	s_andn2_b64 s[4:5], s[4:5], exec
	s_and_b64 s[8:9], s[8:9], exec
	s_or_b64 s[4:5], s[4:5], s[8:9]
	s_or_b64 exec, exec, s[6:7]
	s_and_saveexec_b64 s[6:7], s[4:5]
	s_cbranch_execnz .LBB3_291
	s_branch .LBB3_292
.LBB3_2341:
	s_movk_i32 s4, 0x80
	v_cmp_eq_u16_sdwa s[12:13], v3, s4 src0_sel:BYTE_0 src1_sel:DWORD
	s_mov_b64 s[4:5], -1
                                        ; implicit-def: $sgpr10
	s_and_saveexec_b64 s[8:9], s[12:13]
; %bb.2342:
	s_mov_b32 s10, 0x7f800001
	s_xor_b64 s[4:5], exec, -1
; %bb.2343:
	s_or_b64 exec, exec, s[8:9]
	s_and_b64 s[4:5], s[4:5], exec
	s_or_saveexec_b64 s[6:7], s[6:7]
	v_mov_b32_e32 v6, s10
	s_xor_b64 exec, exec, s[6:7]
	s_cbranch_execz .LBB3_294
.LBB3_2344:
	v_mov_b32_e32 v6, 0
	v_cmp_ne_u16_sdwa s[8:9], v3, v6 src0_sel:BYTE_0 src1_sel:DWORD
	s_andn2_b64 s[4:5], s[4:5], exec
	s_and_b64 s[8:9], s[8:9], exec
	s_or_b64 s[4:5], s[4:5], s[8:9]
	s_or_b64 exec, exec, s[6:7]
	s_and_saveexec_b64 s[6:7], s[4:5]
	s_cbranch_execnz .LBB3_295
	s_branch .LBB3_296
.LBB3_2345:
	s_movk_i32 s4, 0x80
	v_cmp_eq_u16_sdwa s[12:13], v6, s4 src0_sel:BYTE_0 src1_sel:DWORD
	s_mov_b64 s[4:5], -1
                                        ; implicit-def: $sgpr10
	s_and_saveexec_b64 s[8:9], s[12:13]
; %bb.2346:
	s_mov_b32 s10, 0x7f800001
	s_xor_b64 s[4:5], exec, -1
; %bb.2347:
	s_or_b64 exec, exec, s[8:9]
	s_and_b64 s[4:5], s[4:5], exec
	s_or_saveexec_b64 s[6:7], s[6:7]
	v_mov_b32_e32 v2, s10
	s_xor_b64 exec, exec, s[6:7]
	s_cbranch_execz .LBB3_298
.LBB3_2348:
	v_mov_b32_e32 v2, 0
	v_cmp_ne_u16_sdwa s[8:9], v6, v2 src0_sel:BYTE_0 src1_sel:DWORD
	s_andn2_b64 s[4:5], s[4:5], exec
	s_and_b64 s[8:9], s[8:9], exec
	s_or_b64 s[4:5], s[4:5], s[8:9]
	s_or_b64 exec, exec, s[6:7]
	s_and_saveexec_b64 s[6:7], s[4:5]
	s_cbranch_execnz .LBB3_299
	s_branch .LBB3_300
.LBB3_2349:
	s_movk_i32 s4, 0x80
	v_cmp_eq_u16_sdwa s[12:13], v6, s4 src0_sel:BYTE_0 src1_sel:DWORD
	s_mov_b64 s[4:5], -1
                                        ; implicit-def: $sgpr10
	s_and_saveexec_b64 s[8:9], s[12:13]
; %bb.2350:
	s_mov_b32 s10, 0x7f800001
	s_xor_b64 s[4:5], exec, -1
; %bb.2351:
	s_or_b64 exec, exec, s[8:9]
	s_and_b64 s[4:5], s[4:5], exec
	s_or_saveexec_b64 s[6:7], s[6:7]
	v_mov_b32_e32 v12, s10
	s_xor_b64 exec, exec, s[6:7]
	s_cbranch_execz .LBB3_302
.LBB3_2352:
	v_mov_b32_e32 v12, 0
	v_cmp_ne_u16_sdwa s[8:9], v6, v12 src0_sel:BYTE_0 src1_sel:DWORD
	s_andn2_b64 s[4:5], s[4:5], exec
	s_and_b64 s[8:9], s[8:9], exec
	s_or_b64 s[4:5], s[4:5], s[8:9]
	s_or_b64 exec, exec, s[6:7]
	s_and_saveexec_b64 s[6:7], s[4:5]
	s_cbranch_execnz .LBB3_303
	s_branch .LBB3_304
.LBB3_2353:
	s_movk_i32 s4, 0x80
	v_cmp_eq_u16_e32 vcc, s4, v6
	s_mov_b64 s[4:5], -1
                                        ; implicit-def: $sgpr10
	s_and_saveexec_b64 s[8:9], vcc
; %bb.2354:
	s_mov_b32 s10, 0x7f800001
	s_xor_b64 s[4:5], exec, -1
; %bb.2355:
	s_or_b64 exec, exec, s[8:9]
	s_and_b64 s[4:5], s[4:5], exec
                                        ; implicit-def: $vgpr6
	s_or_saveexec_b64 s[6:7], s[6:7]
	v_mov_b32_e32 v2, s10
	s_xor_b64 exec, exec, s[6:7]
	s_cbranch_execz .LBB3_306
.LBB3_2356:
	v_cmp_ne_u16_e32 vcc, 0, v6
	s_andn2_b64 s[4:5], s[4:5], exec
	s_and_b64 s[8:9], vcc, exec
	v_mov_b32_e32 v2, 0
	s_or_b64 s[4:5], s[4:5], s[8:9]
	s_or_b64 exec, exec, s[6:7]
	s_and_saveexec_b64 s[6:7], s[4:5]
	s_cbranch_execnz .LBB3_307
	s_branch .LBB3_308
.LBB3_2357:
	s_movk_i32 s4, 0x80
	v_cmp_eq_u16_e32 vcc, s4, v6
	s_mov_b64 s[4:5], -1
                                        ; implicit-def: $sgpr10
	s_and_saveexec_b64 s[8:9], vcc
; %bb.2358:
	s_mov_b32 s10, 0x7f800001
	s_xor_b64 s[4:5], exec, -1
; %bb.2359:
	s_or_b64 exec, exec, s[8:9]
	s_and_b64 s[4:5], s[4:5], exec
                                        ; implicit-def: $vgpr6
	s_or_saveexec_b64 s[6:7], s[6:7]
	v_mov_b32_e32 v12, s10
	s_xor_b64 exec, exec, s[6:7]
	s_cbranch_execz .LBB3_310
.LBB3_2360:
	v_cmp_ne_u16_e32 vcc, 0, v6
	s_andn2_b64 s[4:5], s[4:5], exec
	s_and_b64 s[8:9], vcc, exec
	v_mov_b32_e32 v12, 0
	s_or_b64 s[4:5], s[4:5], s[8:9]
	s_or_b64 exec, exec, s[6:7]
	s_and_saveexec_b64 s[6:7], s[4:5]
	s_cbranch_execnz .LBB3_311
	s_branch .LBB3_312
.LBB3_2361:
	s_movk_i32 s4, 0x80
	v_cmp_eq_u16_sdwa s[12:13], v7, s4 src0_sel:BYTE_3 src1_sel:DWORD
	s_mov_b64 s[4:5], -1
                                        ; implicit-def: $sgpr10
	s_and_saveexec_b64 s[8:9], s[12:13]
; %bb.2362:
	s_mov_b32 s10, 0x7f800001
	s_xor_b64 s[4:5], exec, -1
; %bb.2363:
	s_or_b64 exec, exec, s[8:9]
	s_and_b64 s[4:5], s[4:5], exec
	s_or_saveexec_b64 s[6:7], s[6:7]
	v_mov_b32_e32 v2, s10
	s_xor_b64 exec, exec, s[6:7]
	s_cbranch_execz .LBB3_314
.LBB3_2364:
	v_mov_b32_e32 v2, 0
	v_cmp_ne_u16_sdwa s[8:9], v7, v2 src0_sel:BYTE_3 src1_sel:DWORD
	s_andn2_b64 s[4:5], s[4:5], exec
	s_and_b64 s[8:9], s[8:9], exec
	s_or_b64 s[4:5], s[4:5], s[8:9]
	s_or_b64 exec, exec, s[6:7]
	s_and_saveexec_b64 s[6:7], s[4:5]
	s_cbranch_execnz .LBB3_315
	s_branch .LBB3_316
.LBB3_2365:
	s_movk_i32 s4, 0x80
	v_cmp_eq_u16_sdwa s[12:13], v3, s4 src0_sel:BYTE_3 src1_sel:DWORD
	s_mov_b64 s[4:5], -1
                                        ; implicit-def: $sgpr10
	s_and_saveexec_b64 s[8:9], s[12:13]
; %bb.2366:
	s_mov_b32 s10, 0x7f800001
	s_xor_b64 s[4:5], exec, -1
; %bb.2367:
	s_or_b64 exec, exec, s[8:9]
	s_and_b64 s[4:5], s[4:5], exec
	s_or_saveexec_b64 s[6:7], s[6:7]
	v_mov_b32_e32 v6, s10
	s_xor_b64 exec, exec, s[6:7]
	s_cbranch_execz .LBB3_318
.LBB3_2368:
	v_mov_b32_e32 v6, 0
	v_cmp_ne_u16_sdwa s[8:9], v3, v6 src0_sel:BYTE_3 src1_sel:DWORD
	s_andn2_b64 s[4:5], s[4:5], exec
	s_and_b64 s[8:9], s[8:9], exec
	s_or_b64 s[4:5], s[4:5], s[8:9]
	s_or_b64 exec, exec, s[6:7]
	s_and_saveexec_b64 s[6:7], s[4:5]
	s_cbranch_execnz .LBB3_319
	s_branch .LBB3_320
.LBB3_2369:
	s_movk_i32 s4, 0x80
	v_cmp_eq_u16_sdwa s[12:13], v8, s4 src0_sel:BYTE_0 src1_sel:DWORD
	s_mov_b64 s[4:5], -1
                                        ; implicit-def: $sgpr10
	s_and_saveexec_b64 s[8:9], s[12:13]
; %bb.2370:
	s_mov_b32 s10, 0x7f800001
	s_xor_b64 s[4:5], exec, -1
; %bb.2371:
	s_or_b64 exec, exec, s[8:9]
	s_and_b64 s[4:5], s[4:5], exec
	s_or_saveexec_b64 s[6:7], s[6:7]
	v_mov_b32_e32 v2, s10
	s_xor_b64 exec, exec, s[6:7]
	s_cbranch_execz .LBB3_322
.LBB3_2372:
	v_mov_b32_e32 v2, 0
	v_cmp_ne_u16_sdwa s[8:9], v8, v2 src0_sel:BYTE_0 src1_sel:DWORD
	s_andn2_b64 s[4:5], s[4:5], exec
	s_and_b64 s[8:9], s[8:9], exec
	s_or_b64 s[4:5], s[4:5], s[8:9]
	s_or_b64 exec, exec, s[6:7]
	s_and_saveexec_b64 s[6:7], s[4:5]
	s_cbranch_execnz .LBB3_323
	s_branch .LBB3_324
.LBB3_2373:
	s_movk_i32 s4, 0x80
	v_cmp_eq_u16_sdwa s[12:13], v4, s4 src0_sel:BYTE_0 src1_sel:DWORD
	s_mov_b64 s[4:5], -1
                                        ; implicit-def: $sgpr10
	s_and_saveexec_b64 s[8:9], s[12:13]
; %bb.2374:
	s_mov_b32 s10, 0x7f800001
	s_xor_b64 s[4:5], exec, -1
; %bb.2375:
	s_or_b64 exec, exec, s[8:9]
	s_and_b64 s[4:5], s[4:5], exec
	s_or_saveexec_b64 s[6:7], s[6:7]
	v_mov_b32_e32 v3, s10
	s_xor_b64 exec, exec, s[6:7]
	s_cbranch_execz .LBB3_326
.LBB3_2376:
	v_mov_b32_e32 v3, 0
	v_cmp_ne_u16_sdwa s[8:9], v4, v3 src0_sel:BYTE_0 src1_sel:DWORD
	s_andn2_b64 s[4:5], s[4:5], exec
	s_and_b64 s[8:9], s[8:9], exec
	s_or_b64 s[4:5], s[4:5], s[8:9]
	s_or_b64 exec, exec, s[6:7]
	s_and_saveexec_b64 s[6:7], s[4:5]
	s_cbranch_execnz .LBB3_327
	s_branch .LBB3_328
.LBB3_2377:
	s_movk_i32 s4, 0x80
	v_cmp_eq_u16_sdwa s[12:13], v3, s4 src0_sel:BYTE_0 src1_sel:DWORD
	s_mov_b64 s[4:5], -1
                                        ; implicit-def: $sgpr10
	s_and_saveexec_b64 s[8:9], s[12:13]
; %bb.2378:
	s_mov_b32 s10, 0x7f800001
	s_xor_b64 s[4:5], exec, -1
; %bb.2379:
	s_or_b64 exec, exec, s[8:9]
	s_and_b64 s[4:5], s[4:5], exec
	s_or_saveexec_b64 s[6:7], s[6:7]
	v_mov_b32_e32 v2, s10
	s_xor_b64 exec, exec, s[6:7]
	s_cbranch_execz .LBB3_330
.LBB3_2380:
	v_mov_b32_e32 v2, 0
	v_cmp_ne_u16_sdwa s[8:9], v3, v2 src0_sel:BYTE_0 src1_sel:DWORD
	s_andn2_b64 s[4:5], s[4:5], exec
	s_and_b64 s[8:9], s[8:9], exec
	s_or_b64 s[4:5], s[4:5], s[8:9]
	s_or_b64 exec, exec, s[6:7]
	s_and_saveexec_b64 s[6:7], s[4:5]
	s_cbranch_execnz .LBB3_331
	s_branch .LBB3_332
.LBB3_2381:
	s_movk_i32 s4, 0x80
	v_cmp_eq_u16_sdwa s[12:13], v3, s4 src0_sel:BYTE_0 src1_sel:DWORD
	s_mov_b64 s[4:5], -1
                                        ; implicit-def: $sgpr10
	s_and_saveexec_b64 s[8:9], s[12:13]
; %bb.2382:
	s_mov_b32 s10, 0x7f800001
	s_xor_b64 s[4:5], exec, -1
; %bb.2383:
	s_or_b64 exec, exec, s[8:9]
	s_and_b64 s[4:5], s[4:5], exec
	s_or_saveexec_b64 s[6:7], s[6:7]
	v_mov_b32_e32 v6, s10
	s_xor_b64 exec, exec, s[6:7]
	s_cbranch_execz .LBB3_334
.LBB3_2384:
	v_mov_b32_e32 v6, 0
	v_cmp_ne_u16_sdwa s[8:9], v3, v6 src0_sel:BYTE_0 src1_sel:DWORD
	s_andn2_b64 s[4:5], s[4:5], exec
	s_and_b64 s[8:9], s[8:9], exec
	s_or_b64 s[4:5], s[4:5], s[8:9]
	s_or_b64 exec, exec, s[6:7]
	s_and_saveexec_b64 s[6:7], s[4:5]
	s_cbranch_execnz .LBB3_335
	s_branch .LBB3_336
.LBB3_2385:
	s_movk_i32 s4, 0x80
	v_cmp_eq_u16_e32 vcc, s4, v3
	s_mov_b64 s[4:5], -1
                                        ; implicit-def: $sgpr10
	s_and_saveexec_b64 s[8:9], vcc
; %bb.2386:
	s_mov_b32 s10, 0x7f800001
	s_xor_b64 s[4:5], exec, -1
; %bb.2387:
	s_or_b64 exec, exec, s[8:9]
	s_and_b64 s[4:5], s[4:5], exec
                                        ; implicit-def: $vgpr3
	s_or_saveexec_b64 s[6:7], s[6:7]
	v_mov_b32_e32 v2, s10
	s_xor_b64 exec, exec, s[6:7]
	s_cbranch_execz .LBB3_338
.LBB3_2388:
	v_cmp_ne_u16_e32 vcc, 0, v3
	s_andn2_b64 s[4:5], s[4:5], exec
	s_and_b64 s[8:9], vcc, exec
	v_mov_b32_e32 v2, 0
	s_or_b64 s[4:5], s[4:5], s[8:9]
	s_or_b64 exec, exec, s[6:7]
	s_and_saveexec_b64 s[6:7], s[4:5]
	s_cbranch_execnz .LBB3_339
	s_branch .LBB3_340
.LBB3_2389:
	s_movk_i32 s4, 0x80
	v_cmp_eq_u16_e32 vcc, s4, v3
	s_mov_b64 s[4:5], -1
                                        ; implicit-def: $sgpr10
	s_and_saveexec_b64 s[8:9], vcc
; %bb.2390:
	s_mov_b32 s10, 0x7f800001
	s_xor_b64 s[4:5], exec, -1
; %bb.2391:
	s_or_b64 exec, exec, s[8:9]
	s_and_b64 s[4:5], s[4:5], exec
                                        ; implicit-def: $vgpr3
	s_or_saveexec_b64 s[6:7], s[6:7]
	v_mov_b32_e32 v6, s10
	s_xor_b64 exec, exec, s[6:7]
	s_cbranch_execz .LBB3_342
.LBB3_2392:
	v_cmp_ne_u16_e32 vcc, 0, v3
	s_andn2_b64 s[4:5], s[4:5], exec
	s_and_b64 s[8:9], vcc, exec
	v_mov_b32_e32 v6, 0
	s_or_b64 s[4:5], s[4:5], s[8:9]
	s_or_b64 exec, exec, s[6:7]
	s_and_saveexec_b64 s[6:7], s[4:5]
	s_cbranch_execnz .LBB3_343
	s_branch .LBB3_344
.LBB3_2393:
	s_movk_i32 s4, 0x80
	v_cmp_eq_u16_sdwa s[12:13], v8, s4 src0_sel:BYTE_3 src1_sel:DWORD
	s_mov_b64 s[4:5], -1
                                        ; implicit-def: $sgpr10
	s_and_saveexec_b64 s[8:9], s[12:13]
; %bb.2394:
	s_mov_b32 s10, 0x7f800001
	s_xor_b64 s[4:5], exec, -1
; %bb.2395:
	s_or_b64 exec, exec, s[8:9]
	s_and_b64 s[4:5], s[4:5], exec
	s_or_saveexec_b64 s[6:7], s[6:7]
	v_mov_b32_e32 v2, s10
	s_xor_b64 exec, exec, s[6:7]
	s_cbranch_execz .LBB3_346
.LBB3_2396:
	v_mov_b32_e32 v2, 0
	v_cmp_ne_u16_sdwa s[8:9], v8, v2 src0_sel:BYTE_3 src1_sel:DWORD
	s_andn2_b64 s[4:5], s[4:5], exec
	s_and_b64 s[8:9], s[8:9], exec
	s_or_b64 s[4:5], s[4:5], s[8:9]
	s_or_b64 exec, exec, s[6:7]
	s_and_saveexec_b64 s[6:7], s[4:5]
	s_cbranch_execnz .LBB3_347
	s_branch .LBB3_348
.LBB3_2397:
	s_movk_i32 s4, 0x80
	v_cmp_eq_u16_sdwa s[12:13], v4, s4 src0_sel:BYTE_3 src1_sel:DWORD
	s_mov_b64 s[4:5], -1
                                        ; implicit-def: $sgpr10
	s_and_saveexec_b64 s[8:9], s[12:13]
; %bb.2398:
	s_mov_b32 s10, 0x7f800001
	s_xor_b64 s[4:5], exec, -1
; %bb.2399:
	s_or_b64 exec, exec, s[8:9]
	s_and_b64 s[4:5], s[4:5], exec
	s_or_saveexec_b64 s[6:7], s[6:7]
	v_mov_b32_e32 v3, s10
	s_xor_b64 exec, exec, s[6:7]
	s_cbranch_execz .LBB3_350
.LBB3_2400:
	v_mov_b32_e32 v3, 0
	v_cmp_ne_u16_sdwa s[8:9], v4, v3 src0_sel:BYTE_3 src1_sel:DWORD
	s_andn2_b64 s[4:5], s[4:5], exec
	s_and_b64 s[8:9], s[8:9], exec
	s_or_b64 s[4:5], s[4:5], s[8:9]
	s_or_b64 exec, exec, s[6:7]
	s_and_saveexec_b64 s[6:7], s[4:5]
	s_cbranch_execnz .LBB3_351
	s_branch .LBB3_352
.LBB3_2401:
	s_movk_i32 s4, 0x80
	v_cmp_eq_u16_sdwa s[12:13], v9, s4 src0_sel:BYTE_0 src1_sel:DWORD
	s_mov_b64 s[4:5], -1
                                        ; implicit-def: $sgpr10
	s_and_saveexec_b64 s[8:9], s[12:13]
; %bb.2402:
	s_mov_b32 s10, 0x7f800001
	s_xor_b64 s[4:5], exec, -1
; %bb.2403:
	s_or_b64 exec, exec, s[8:9]
	s_and_b64 s[4:5], s[4:5], exec
	s_or_saveexec_b64 s[6:7], s[6:7]
	v_mov_b32_e32 v2, s10
	s_xor_b64 exec, exec, s[6:7]
	s_cbranch_execz .LBB3_354
.LBB3_2404:
	v_mov_b32_e32 v2, 0
	v_cmp_ne_u16_sdwa s[8:9], v9, v2 src0_sel:BYTE_0 src1_sel:DWORD
	s_andn2_b64 s[4:5], s[4:5], exec
	s_and_b64 s[8:9], s[8:9], exec
	s_or_b64 s[4:5], s[4:5], s[8:9]
	s_or_b64 exec, exec, s[6:7]
	s_and_saveexec_b64 s[6:7], s[4:5]
	s_cbranch_execnz .LBB3_355
	s_branch .LBB3_356
.LBB3_2405:
	s_movk_i32 s4, 0x80
	v_cmp_eq_u16_sdwa s[12:13], v5, s4 src0_sel:BYTE_0 src1_sel:DWORD
	s_mov_b64 s[4:5], -1
                                        ; implicit-def: $sgpr10
	s_and_saveexec_b64 s[8:9], s[12:13]
; %bb.2406:
	s_mov_b32 s10, 0x7f800001
	s_xor_b64 s[4:5], exec, -1
; %bb.2407:
	s_or_b64 exec, exec, s[8:9]
	s_and_b64 s[4:5], s[4:5], exec
	s_or_saveexec_b64 s[6:7], s[6:7]
	v_mov_b32_e32 v3, s10
	s_xor_b64 exec, exec, s[6:7]
	s_cbranch_execz .LBB3_358
.LBB3_2408:
	v_mov_b32_e32 v3, 0
	v_cmp_ne_u16_sdwa s[8:9], v5, v3 src0_sel:BYTE_0 src1_sel:DWORD
	s_andn2_b64 s[4:5], s[4:5], exec
	s_and_b64 s[8:9], s[8:9], exec
	s_or_b64 s[4:5], s[4:5], s[8:9]
	s_or_b64 exec, exec, s[6:7]
	s_and_saveexec_b64 s[6:7], s[4:5]
	s_cbranch_execnz .LBB3_359
	s_branch .LBB3_360
.LBB3_2409:
	s_movk_i32 s4, 0x80
	v_cmp_eq_u16_sdwa s[12:13], v3, s4 src0_sel:BYTE_0 src1_sel:DWORD
	s_mov_b64 s[4:5], -1
                                        ; implicit-def: $sgpr10
	s_and_saveexec_b64 s[8:9], s[12:13]
; %bb.2410:
	s_mov_b32 s10, 0x7f800001
	s_xor_b64 s[4:5], exec, -1
; %bb.2411:
	s_or_b64 exec, exec, s[8:9]
	s_and_b64 s[4:5], s[4:5], exec
	s_or_saveexec_b64 s[6:7], s[6:7]
	v_mov_b32_e32 v2, s10
	s_xor_b64 exec, exec, s[6:7]
	s_cbranch_execz .LBB3_362
.LBB3_2412:
	v_mov_b32_e32 v2, 0
	v_cmp_ne_u16_sdwa s[8:9], v3, v2 src0_sel:BYTE_0 src1_sel:DWORD
	s_andn2_b64 s[4:5], s[4:5], exec
	s_and_b64 s[8:9], s[8:9], exec
	s_or_b64 s[4:5], s[4:5], s[8:9]
	s_or_b64 exec, exec, s[6:7]
	s_and_saveexec_b64 s[6:7], s[4:5]
	s_cbranch_execnz .LBB3_363
	s_branch .LBB3_364
.LBB3_2413:
	s_movk_i32 s4, 0x80
	v_cmp_eq_u16_sdwa s[12:13], v3, s4 src0_sel:BYTE_0 src1_sel:DWORD
	s_mov_b64 s[4:5], -1
                                        ; implicit-def: $sgpr10
	s_and_saveexec_b64 s[8:9], s[12:13]
; %bb.2414:
	s_mov_b32 s10, 0x7f800001
	s_xor_b64 s[4:5], exec, -1
; %bb.2415:
	s_or_b64 exec, exec, s[8:9]
	s_and_b64 s[4:5], s[4:5], exec
	s_or_saveexec_b64 s[6:7], s[6:7]
	v_mov_b32_e32 v4, s10
	s_xor_b64 exec, exec, s[6:7]
	s_cbranch_execz .LBB3_366
.LBB3_2416:
	v_mov_b32_e32 v4, 0
	v_cmp_ne_u16_sdwa s[8:9], v3, v4 src0_sel:BYTE_0 src1_sel:DWORD
	s_andn2_b64 s[4:5], s[4:5], exec
	s_and_b64 s[8:9], s[8:9], exec
	s_or_b64 s[4:5], s[4:5], s[8:9]
	s_or_b64 exec, exec, s[6:7]
	s_and_saveexec_b64 s[6:7], s[4:5]
	s_cbranch_execnz .LBB3_367
	s_branch .LBB3_368
.LBB3_2417:
	s_movk_i32 s4, 0x80
	v_cmp_eq_u16_e32 vcc, s4, v3
	s_mov_b64 s[4:5], -1
                                        ; implicit-def: $sgpr10
	s_and_saveexec_b64 s[8:9], vcc
; %bb.2418:
	s_mov_b32 s10, 0x7f800001
	s_xor_b64 s[4:5], exec, -1
; %bb.2419:
	s_or_b64 exec, exec, s[8:9]
	s_and_b64 s[4:5], s[4:5], exec
                                        ; implicit-def: $vgpr3
	s_or_saveexec_b64 s[6:7], s[6:7]
	v_mov_b32_e32 v2, s10
	s_xor_b64 exec, exec, s[6:7]
	s_cbranch_execz .LBB3_370
.LBB3_2420:
	v_cmp_ne_u16_e32 vcc, 0, v3
	s_andn2_b64 s[4:5], s[4:5], exec
	s_and_b64 s[8:9], vcc, exec
	v_mov_b32_e32 v2, 0
	s_or_b64 s[4:5], s[4:5], s[8:9]
	s_or_b64 exec, exec, s[6:7]
	s_and_saveexec_b64 s[6:7], s[4:5]
	s_cbranch_execnz .LBB3_371
	s_branch .LBB3_372
.LBB3_2421:
	s_movk_i32 s4, 0x80
	v_cmp_eq_u16_e32 vcc, s4, v3
	s_mov_b64 s[4:5], -1
                                        ; implicit-def: $sgpr10
	s_and_saveexec_b64 s[8:9], vcc
; %bb.2422:
	s_mov_b32 s10, 0x7f800001
	s_xor_b64 s[4:5], exec, -1
; %bb.2423:
	s_or_b64 exec, exec, s[8:9]
	s_and_b64 s[4:5], s[4:5], exec
                                        ; implicit-def: $vgpr3
	s_or_saveexec_b64 s[6:7], s[6:7]
	v_mov_b32_e32 v4, s10
	s_xor_b64 exec, exec, s[6:7]
	s_cbranch_execz .LBB3_374
.LBB3_2424:
	v_cmp_ne_u16_e32 vcc, 0, v3
	s_andn2_b64 s[4:5], s[4:5], exec
	s_and_b64 s[8:9], vcc, exec
	v_mov_b32_e32 v4, 0
	s_or_b64 s[4:5], s[4:5], s[8:9]
	s_or_b64 exec, exec, s[6:7]
	s_and_saveexec_b64 s[6:7], s[4:5]
	s_cbranch_execnz .LBB3_375
	s_branch .LBB3_376
.LBB3_2425:
	s_movk_i32 s4, 0x80
	v_cmp_eq_u16_sdwa s[12:13], v9, s4 src0_sel:BYTE_3 src1_sel:DWORD
	s_mov_b64 s[4:5], -1
                                        ; implicit-def: $sgpr10
	s_and_saveexec_b64 s[8:9], s[12:13]
; %bb.2426:
	s_mov_b32 s10, 0x7f800001
	s_xor_b64 s[4:5], exec, -1
; %bb.2427:
	s_or_b64 exec, exec, s[8:9]
	s_and_b64 s[4:5], s[4:5], exec
	s_or_saveexec_b64 s[6:7], s[6:7]
	v_mov_b32_e32 v2, s10
	s_xor_b64 exec, exec, s[6:7]
	s_cbranch_execz .LBB3_378
.LBB3_2428:
	v_mov_b32_e32 v2, 0
	v_cmp_ne_u16_sdwa s[8:9], v9, v2 src0_sel:BYTE_3 src1_sel:DWORD
	s_andn2_b64 s[4:5], s[4:5], exec
	s_and_b64 s[8:9], s[8:9], exec
	s_or_b64 s[4:5], s[4:5], s[8:9]
	s_or_b64 exec, exec, s[6:7]
	s_and_saveexec_b64 s[6:7], s[4:5]
	s_cbranch_execnz .LBB3_379
	s_branch .LBB3_380
.LBB3_2429:
	s_movk_i32 s4, 0x80
	v_cmp_eq_u16_sdwa s[12:13], v5, s4 src0_sel:BYTE_3 src1_sel:DWORD
	s_mov_b64 s[4:5], -1
                                        ; implicit-def: $sgpr10
	s_and_saveexec_b64 s[8:9], s[12:13]
; %bb.2430:
	s_mov_b32 s10, 0x7f800001
	s_xor_b64 s[4:5], exec, -1
; %bb.2431:
	s_or_b64 exec, exec, s[8:9]
	s_and_b64 s[4:5], s[4:5], exec
	s_or_saveexec_b64 s[6:7], s[6:7]
	v_mov_b32_e32 v3, s10
	s_xor_b64 exec, exec, s[6:7]
	s_cbranch_execz .LBB3_382
.LBB3_2432:
	v_mov_b32_e32 v3, 0
	v_cmp_ne_u16_sdwa s[8:9], v5, v3 src0_sel:BYTE_3 src1_sel:DWORD
	s_andn2_b64 s[4:5], s[4:5], exec
	s_and_b64 s[8:9], s[8:9], exec
	s_or_b64 s[4:5], s[4:5], s[8:9]
	s_or_b64 exec, exec, s[6:7]
	s_and_saveexec_b64 s[6:7], s[4:5]
	s_cbranch_execnz .LBB3_383
	s_branch .LBB3_384
.LBB3_2433:
	s_movk_i32 s4, 0x80
	v_cmp_eq_u16_sdwa s[12:13], v6, s4 src0_sel:BYTE_0 src1_sel:DWORD
	s_mov_b64 s[4:5], -1
                                        ; implicit-def: $sgpr10
	s_and_saveexec_b64 s[8:9], s[12:13]
; %bb.2434:
	s_mov_b32 s10, 0x7f800001
	s_xor_b64 s[4:5], exec, -1
; %bb.2435:
	s_or_b64 exec, exec, s[8:9]
	s_and_b64 s[4:5], s[4:5], exec
	s_or_saveexec_b64 s[6:7], s[6:7]
	v_mov_b32_e32 v12, s10
	s_xor_b64 exec, exec, s[6:7]
	s_cbranch_execz .LBB3_386
.LBB3_2436:
	v_mov_b32_e32 v12, 0
	v_cmp_ne_u16_sdwa s[8:9], v6, v12 src0_sel:BYTE_0 src1_sel:DWORD
	s_andn2_b64 s[4:5], s[4:5], exec
	s_and_b64 s[8:9], s[8:9], exec
	s_or_b64 s[4:5], s[4:5], s[8:9]
	s_or_b64 exec, exec, s[6:7]
	s_and_saveexec_b64 s[6:7], s[4:5]
	s_cbranch_execnz .LBB3_387
	s_branch .LBB3_388
.LBB3_2437:
	s_movk_i32 s4, 0x80
	v_cmp_eq_u16_sdwa s[12:13], v2, s4 src0_sel:BYTE_0 src1_sel:DWORD
	s_mov_b64 s[4:5], -1
                                        ; implicit-def: $sgpr10
	s_and_saveexec_b64 s[8:9], s[12:13]
; %bb.2438:
	s_mov_b32 s10, 0x7f800001
	s_xor_b64 s[4:5], exec, -1
; %bb.2439:
	s_or_b64 exec, exec, s[8:9]
	s_and_b64 s[4:5], s[4:5], exec
	s_or_saveexec_b64 s[6:7], s[6:7]
	v_mov_b32_e32 v13, s10
	s_xor_b64 exec, exec, s[6:7]
	s_cbranch_execz .LBB3_390
.LBB3_2440:
	v_mov_b32_e32 v13, 0
	v_cmp_ne_u16_sdwa s[8:9], v2, v13 src0_sel:BYTE_0 src1_sel:DWORD
	s_andn2_b64 s[4:5], s[4:5], exec
	s_and_b64 s[8:9], s[8:9], exec
	s_or_b64 s[4:5], s[4:5], s[8:9]
	s_or_b64 exec, exec, s[6:7]
	s_and_saveexec_b64 s[6:7], s[4:5]
	s_cbranch_execnz .LBB3_391
	s_branch .LBB3_392
.LBB3_2441:
	s_movk_i32 s4, 0x80
	v_cmp_eq_u16_sdwa s[12:13], v13, s4 src0_sel:BYTE_0 src1_sel:DWORD
	s_mov_b64 s[4:5], -1
                                        ; implicit-def: $sgpr10
	s_and_saveexec_b64 s[8:9], s[12:13]
; %bb.2442:
	s_mov_b32 s10, 0x7f800001
	s_xor_b64 s[4:5], exec, -1
; %bb.2443:
	s_or_b64 exec, exec, s[8:9]
	s_and_b64 s[4:5], s[4:5], exec
	s_or_saveexec_b64 s[6:7], s[6:7]
	v_mov_b32_e32 v12, s10
	s_xor_b64 exec, exec, s[6:7]
	s_cbranch_execz .LBB3_394
.LBB3_2444:
	v_mov_b32_e32 v12, 0
	v_cmp_ne_u16_sdwa s[8:9], v13, v12 src0_sel:BYTE_0 src1_sel:DWORD
	s_andn2_b64 s[4:5], s[4:5], exec
	s_and_b64 s[8:9], s[8:9], exec
	s_or_b64 s[4:5], s[4:5], s[8:9]
	s_or_b64 exec, exec, s[6:7]
	s_and_saveexec_b64 s[6:7], s[4:5]
	s_cbranch_execnz .LBB3_395
	s_branch .LBB3_396
.LBB3_2445:
	s_movk_i32 s4, 0x80
	v_cmp_eq_u16_sdwa s[12:13], v13, s4 src0_sel:BYTE_0 src1_sel:DWORD
	s_mov_b64 s[4:5], -1
                                        ; implicit-def: $sgpr10
	s_and_saveexec_b64 s[8:9], s[12:13]
; %bb.2446:
	s_mov_b32 s10, 0x7f800001
	s_xor_b64 s[4:5], exec, -1
; %bb.2447:
	s_or_b64 exec, exec, s[8:9]
	s_and_b64 s[4:5], s[4:5], exec
	s_or_saveexec_b64 s[6:7], s[6:7]
	v_mov_b32_e32 v14, s10
	s_xor_b64 exec, exec, s[6:7]
	s_cbranch_execz .LBB3_398
.LBB3_2448:
	v_mov_b32_e32 v14, 0
	v_cmp_ne_u16_sdwa s[8:9], v13, v14 src0_sel:BYTE_0 src1_sel:DWORD
	s_andn2_b64 s[4:5], s[4:5], exec
	s_and_b64 s[8:9], s[8:9], exec
	s_or_b64 s[4:5], s[4:5], s[8:9]
	s_or_b64 exec, exec, s[6:7]
	s_and_saveexec_b64 s[6:7], s[4:5]
	s_cbranch_execnz .LBB3_399
	s_branch .LBB3_400
.LBB3_2449:
	s_movk_i32 s4, 0x80
	v_cmp_eq_u16_e32 vcc, s4, v13
	s_mov_b64 s[4:5], -1
                                        ; implicit-def: $sgpr10
	s_and_saveexec_b64 s[8:9], vcc
; %bb.2450:
	s_mov_b32 s10, 0x7f800001
	s_xor_b64 s[4:5], exec, -1
; %bb.2451:
	s_or_b64 exec, exec, s[8:9]
	s_and_b64 s[4:5], s[4:5], exec
                                        ; implicit-def: $vgpr13
	s_or_saveexec_b64 s[6:7], s[6:7]
	v_mov_b32_e32 v12, s10
	s_xor_b64 exec, exec, s[6:7]
	s_cbranch_execz .LBB3_402
.LBB3_2452:
	v_cmp_ne_u16_e32 vcc, 0, v13
	s_andn2_b64 s[4:5], s[4:5], exec
	s_and_b64 s[8:9], vcc, exec
	v_mov_b32_e32 v12, 0
	s_or_b64 s[4:5], s[4:5], s[8:9]
	s_or_b64 exec, exec, s[6:7]
	s_and_saveexec_b64 s[6:7], s[4:5]
	s_cbranch_execnz .LBB3_403
	s_branch .LBB3_404
.LBB3_2453:
	s_movk_i32 s4, 0x80
	v_cmp_eq_u16_e32 vcc, s4, v13
	s_mov_b64 s[4:5], -1
                                        ; implicit-def: $sgpr10
	s_and_saveexec_b64 s[8:9], vcc
; %bb.2454:
	s_mov_b32 s10, 0x7f800001
	s_xor_b64 s[4:5], exec, -1
; %bb.2455:
	s_or_b64 exec, exec, s[8:9]
	s_and_b64 s[4:5], s[4:5], exec
                                        ; implicit-def: $vgpr13
	s_or_saveexec_b64 s[6:7], s[6:7]
	v_mov_b32_e32 v14, s10
	s_xor_b64 exec, exec, s[6:7]
	s_cbranch_execz .LBB3_406
.LBB3_2456:
	v_cmp_ne_u16_e32 vcc, 0, v13
	s_andn2_b64 s[4:5], s[4:5], exec
	s_and_b64 s[8:9], vcc, exec
	v_mov_b32_e32 v14, 0
	s_or_b64 s[4:5], s[4:5], s[8:9]
	s_or_b64 exec, exec, s[6:7]
	s_and_saveexec_b64 s[6:7], s[4:5]
	s_cbranch_execnz .LBB3_407
	s_branch .LBB3_408
.LBB3_2457:
	s_movk_i32 s4, 0x80
	v_cmp_eq_u16_sdwa s[12:13], v6, s4 src0_sel:BYTE_3 src1_sel:DWORD
	s_mov_b64 s[4:5], -1
                                        ; implicit-def: $sgpr10
	s_and_saveexec_b64 s[8:9], s[12:13]
; %bb.2458:
	s_mov_b32 s10, 0x7f800001
	s_xor_b64 s[4:5], exec, -1
; %bb.2459:
	s_or_b64 exec, exec, s[8:9]
	s_and_b64 s[4:5], s[4:5], exec
	s_or_saveexec_b64 s[6:7], s[6:7]
	v_mov_b32_e32 v12, s10
	s_xor_b64 exec, exec, s[6:7]
	s_cbranch_execz .LBB3_410
.LBB3_2460:
	v_mov_b32_e32 v12, 0
	v_cmp_ne_u16_sdwa s[8:9], v6, v12 src0_sel:BYTE_3 src1_sel:DWORD
	s_andn2_b64 s[4:5], s[4:5], exec
	s_and_b64 s[8:9], s[8:9], exec
	s_or_b64 s[4:5], s[4:5], s[8:9]
	s_or_b64 exec, exec, s[6:7]
	s_and_saveexec_b64 s[6:7], s[4:5]
	s_cbranch_execnz .LBB3_411
	s_branch .LBB3_412
.LBB3_2461:
	s_movk_i32 s4, 0x80
	v_cmp_eq_u16_sdwa s[12:13], v2, s4 src0_sel:BYTE_3 src1_sel:DWORD
	s_mov_b64 s[4:5], -1
                                        ; implicit-def: $sgpr10
	s_and_saveexec_b64 s[8:9], s[12:13]
; %bb.2462:
	s_mov_b32 s10, 0x7f800001
	s_xor_b64 s[4:5], exec, -1
; %bb.2463:
	s_or_b64 exec, exec, s[8:9]
	s_and_b64 s[4:5], s[4:5], exec
	s_or_saveexec_b64 s[6:7], s[6:7]
	v_mov_b32_e32 v6, s10
	s_xor_b64 exec, exec, s[6:7]
	s_cbranch_execz .LBB3_414
.LBB3_2464:
	v_mov_b32_e32 v6, 0
	v_cmp_ne_u16_sdwa s[8:9], v2, v6 src0_sel:BYTE_3 src1_sel:DWORD
	s_andn2_b64 s[4:5], s[4:5], exec
	s_and_b64 s[8:9], s[8:9], exec
	s_or_b64 s[4:5], s[4:5], s[8:9]
	s_or_b64 exec, exec, s[6:7]
	s_and_saveexec_b64 s[6:7], s[4:5]
	s_cbranch_execnz .LBB3_415
	s_branch .LBB3_416
.LBB3_2465:
	s_movk_i32 s4, 0x80
	v_cmp_eq_u16_sdwa s[12:13], v7, s4 src0_sel:BYTE_0 src1_sel:DWORD
	s_mov_b64 s[4:5], -1
                                        ; implicit-def: $sgpr10
	s_and_saveexec_b64 s[8:9], s[12:13]
; %bb.2466:
	s_mov_b32 s10, 0x7f800001
	s_xor_b64 s[4:5], exec, -1
; %bb.2467:
	s_or_b64 exec, exec, s[8:9]
	s_and_b64 s[4:5], s[4:5], exec
	s_or_saveexec_b64 s[6:7], s[6:7]
	v_mov_b32_e32 v2, s10
	s_xor_b64 exec, exec, s[6:7]
	s_cbranch_execz .LBB3_418
.LBB3_2468:
	v_mov_b32_e32 v2, 0
	v_cmp_ne_u16_sdwa s[8:9], v7, v2 src0_sel:BYTE_0 src1_sel:DWORD
	s_andn2_b64 s[4:5], s[4:5], exec
	s_and_b64 s[8:9], s[8:9], exec
	s_or_b64 s[4:5], s[4:5], s[8:9]
	s_or_b64 exec, exec, s[6:7]
	s_and_saveexec_b64 s[6:7], s[4:5]
	s_cbranch_execnz .LBB3_419
	s_branch .LBB3_420
.LBB3_2469:
	s_movk_i32 s4, 0x80
	v_cmp_eq_u16_sdwa s[12:13], v3, s4 src0_sel:BYTE_0 src1_sel:DWORD
	s_mov_b64 s[4:5], -1
                                        ; implicit-def: $sgpr10
	s_and_saveexec_b64 s[8:9], s[12:13]
; %bb.2470:
	s_mov_b32 s10, 0x7f800001
	s_xor_b64 s[4:5], exec, -1
; %bb.2471:
	s_or_b64 exec, exec, s[8:9]
	s_and_b64 s[4:5], s[4:5], exec
	s_or_saveexec_b64 s[6:7], s[6:7]
	v_mov_b32_e32 v6, s10
	s_xor_b64 exec, exec, s[6:7]
	s_cbranch_execz .LBB3_422
.LBB3_2472:
	v_mov_b32_e32 v6, 0
	v_cmp_ne_u16_sdwa s[8:9], v3, v6 src0_sel:BYTE_0 src1_sel:DWORD
	s_andn2_b64 s[4:5], s[4:5], exec
	s_and_b64 s[8:9], s[8:9], exec
	s_or_b64 s[4:5], s[4:5], s[8:9]
	s_or_b64 exec, exec, s[6:7]
	s_and_saveexec_b64 s[6:7], s[4:5]
	s_cbranch_execnz .LBB3_423
	s_branch .LBB3_424
.LBB3_2473:
	s_movk_i32 s4, 0x80
	v_cmp_eq_u16_sdwa s[12:13], v6, s4 src0_sel:BYTE_0 src1_sel:DWORD
	s_mov_b64 s[4:5], -1
                                        ; implicit-def: $sgpr10
	s_and_saveexec_b64 s[8:9], s[12:13]
; %bb.2474:
	s_mov_b32 s10, 0x7f800001
	s_xor_b64 s[4:5], exec, -1
; %bb.2475:
	s_or_b64 exec, exec, s[8:9]
	s_and_b64 s[4:5], s[4:5], exec
	s_or_saveexec_b64 s[6:7], s[6:7]
	v_mov_b32_e32 v2, s10
	s_xor_b64 exec, exec, s[6:7]
	s_cbranch_execz .LBB3_426
.LBB3_2476:
	v_mov_b32_e32 v2, 0
	v_cmp_ne_u16_sdwa s[8:9], v6, v2 src0_sel:BYTE_0 src1_sel:DWORD
	s_andn2_b64 s[4:5], s[4:5], exec
	s_and_b64 s[8:9], s[8:9], exec
	s_or_b64 s[4:5], s[4:5], s[8:9]
	s_or_b64 exec, exec, s[6:7]
	s_and_saveexec_b64 s[6:7], s[4:5]
	s_cbranch_execnz .LBB3_427
	s_branch .LBB3_428
.LBB3_2477:
	s_movk_i32 s4, 0x80
	v_cmp_eq_u16_sdwa s[12:13], v6, s4 src0_sel:BYTE_0 src1_sel:DWORD
	s_mov_b64 s[4:5], -1
                                        ; implicit-def: $sgpr10
	s_and_saveexec_b64 s[8:9], s[12:13]
; %bb.2478:
	s_mov_b32 s10, 0x7f800001
	s_xor_b64 s[4:5], exec, -1
; %bb.2479:
	s_or_b64 exec, exec, s[8:9]
	s_and_b64 s[4:5], s[4:5], exec
	s_or_saveexec_b64 s[6:7], s[6:7]
	v_mov_b32_e32 v12, s10
	s_xor_b64 exec, exec, s[6:7]
	s_cbranch_execz .LBB3_430
.LBB3_2480:
	v_mov_b32_e32 v12, 0
	v_cmp_ne_u16_sdwa s[8:9], v6, v12 src0_sel:BYTE_0 src1_sel:DWORD
	s_andn2_b64 s[4:5], s[4:5], exec
	s_and_b64 s[8:9], s[8:9], exec
	s_or_b64 s[4:5], s[4:5], s[8:9]
	s_or_b64 exec, exec, s[6:7]
	s_and_saveexec_b64 s[6:7], s[4:5]
	s_cbranch_execnz .LBB3_431
	s_branch .LBB3_432
.LBB3_2481:
	s_movk_i32 s4, 0x80
	v_cmp_eq_u16_e32 vcc, s4, v6
	s_mov_b64 s[4:5], -1
                                        ; implicit-def: $sgpr10
	s_and_saveexec_b64 s[8:9], vcc
; %bb.2482:
	s_mov_b32 s10, 0x7f800001
	s_xor_b64 s[4:5], exec, -1
; %bb.2483:
	s_or_b64 exec, exec, s[8:9]
	s_and_b64 s[4:5], s[4:5], exec
                                        ; implicit-def: $vgpr6
	s_or_saveexec_b64 s[6:7], s[6:7]
	v_mov_b32_e32 v2, s10
	s_xor_b64 exec, exec, s[6:7]
	s_cbranch_execz .LBB3_434
.LBB3_2484:
	v_cmp_ne_u16_e32 vcc, 0, v6
	s_andn2_b64 s[4:5], s[4:5], exec
	s_and_b64 s[8:9], vcc, exec
	v_mov_b32_e32 v2, 0
	s_or_b64 s[4:5], s[4:5], s[8:9]
	s_or_b64 exec, exec, s[6:7]
	s_and_saveexec_b64 s[6:7], s[4:5]
	s_cbranch_execnz .LBB3_435
	s_branch .LBB3_436
.LBB3_2485:
	s_movk_i32 s4, 0x80
	v_cmp_eq_u16_e32 vcc, s4, v6
	s_mov_b64 s[4:5], -1
                                        ; implicit-def: $sgpr10
	s_and_saveexec_b64 s[8:9], vcc
; %bb.2486:
	s_mov_b32 s10, 0x7f800001
	s_xor_b64 s[4:5], exec, -1
; %bb.2487:
	s_or_b64 exec, exec, s[8:9]
	s_and_b64 s[4:5], s[4:5], exec
                                        ; implicit-def: $vgpr6
	s_or_saveexec_b64 s[6:7], s[6:7]
	v_mov_b32_e32 v12, s10
	s_xor_b64 exec, exec, s[6:7]
	s_cbranch_execz .LBB3_438
.LBB3_2488:
	v_cmp_ne_u16_e32 vcc, 0, v6
	s_andn2_b64 s[4:5], s[4:5], exec
	s_and_b64 s[8:9], vcc, exec
	v_mov_b32_e32 v12, 0
	s_or_b64 s[4:5], s[4:5], s[8:9]
	s_or_b64 exec, exec, s[6:7]
	s_and_saveexec_b64 s[6:7], s[4:5]
	s_cbranch_execnz .LBB3_439
	s_branch .LBB3_440
.LBB3_2489:
	s_movk_i32 s4, 0x80
	v_cmp_eq_u16_sdwa s[12:13], v7, s4 src0_sel:BYTE_3 src1_sel:DWORD
	s_mov_b64 s[4:5], -1
                                        ; implicit-def: $sgpr10
	s_and_saveexec_b64 s[8:9], s[12:13]
; %bb.2490:
	s_mov_b32 s10, 0x7f800001
	s_xor_b64 s[4:5], exec, -1
; %bb.2491:
	s_or_b64 exec, exec, s[8:9]
	s_and_b64 s[4:5], s[4:5], exec
	s_or_saveexec_b64 s[6:7], s[6:7]
	v_mov_b32_e32 v2, s10
	s_xor_b64 exec, exec, s[6:7]
	s_cbranch_execz .LBB3_442
.LBB3_2492:
	v_mov_b32_e32 v2, 0
	v_cmp_ne_u16_sdwa s[8:9], v7, v2 src0_sel:BYTE_3 src1_sel:DWORD
	s_andn2_b64 s[4:5], s[4:5], exec
	s_and_b64 s[8:9], s[8:9], exec
	s_or_b64 s[4:5], s[4:5], s[8:9]
	s_or_b64 exec, exec, s[6:7]
	s_and_saveexec_b64 s[6:7], s[4:5]
	s_cbranch_execnz .LBB3_443
	s_branch .LBB3_444
.LBB3_2493:
	s_movk_i32 s4, 0x80
	v_cmp_eq_u16_sdwa s[12:13], v3, s4 src0_sel:BYTE_3 src1_sel:DWORD
	s_mov_b64 s[4:5], -1
                                        ; implicit-def: $sgpr10
	s_and_saveexec_b64 s[8:9], s[12:13]
; %bb.2494:
	s_mov_b32 s10, 0x7f800001
	s_xor_b64 s[4:5], exec, -1
; %bb.2495:
	s_or_b64 exec, exec, s[8:9]
	s_and_b64 s[4:5], s[4:5], exec
	s_or_saveexec_b64 s[6:7], s[6:7]
	v_mov_b32_e32 v6, s10
	s_xor_b64 exec, exec, s[6:7]
	s_cbranch_execz .LBB3_446
.LBB3_2496:
	v_mov_b32_e32 v6, 0
	v_cmp_ne_u16_sdwa s[8:9], v3, v6 src0_sel:BYTE_3 src1_sel:DWORD
	s_andn2_b64 s[4:5], s[4:5], exec
	s_and_b64 s[8:9], s[8:9], exec
	s_or_b64 s[4:5], s[4:5], s[8:9]
	s_or_b64 exec, exec, s[6:7]
	s_and_saveexec_b64 s[6:7], s[4:5]
	s_cbranch_execnz .LBB3_447
	s_branch .LBB3_448
.LBB3_2497:
	s_movk_i32 s4, 0x80
	v_cmp_eq_u16_sdwa s[12:13], v8, s4 src0_sel:BYTE_0 src1_sel:DWORD
	s_mov_b64 s[4:5], -1
                                        ; implicit-def: $sgpr10
	s_and_saveexec_b64 s[8:9], s[12:13]
; %bb.2498:
	s_mov_b32 s10, 0x7f800001
	s_xor_b64 s[4:5], exec, -1
; %bb.2499:
	s_or_b64 exec, exec, s[8:9]
	s_and_b64 s[4:5], s[4:5], exec
	s_or_saveexec_b64 s[6:7], s[6:7]
	v_mov_b32_e32 v2, s10
	s_xor_b64 exec, exec, s[6:7]
	s_cbranch_execz .LBB3_450
.LBB3_2500:
	v_mov_b32_e32 v2, 0
	v_cmp_ne_u16_sdwa s[8:9], v8, v2 src0_sel:BYTE_0 src1_sel:DWORD
	s_andn2_b64 s[4:5], s[4:5], exec
	s_and_b64 s[8:9], s[8:9], exec
	s_or_b64 s[4:5], s[4:5], s[8:9]
	s_or_b64 exec, exec, s[6:7]
	s_and_saveexec_b64 s[6:7], s[4:5]
	s_cbranch_execnz .LBB3_451
	s_branch .LBB3_452
.LBB3_2501:
	s_movk_i32 s4, 0x80
	v_cmp_eq_u16_sdwa s[12:13], v4, s4 src0_sel:BYTE_0 src1_sel:DWORD
	s_mov_b64 s[4:5], -1
                                        ; implicit-def: $sgpr10
	s_and_saveexec_b64 s[8:9], s[12:13]
; %bb.2502:
	s_mov_b32 s10, 0x7f800001
	s_xor_b64 s[4:5], exec, -1
; %bb.2503:
	s_or_b64 exec, exec, s[8:9]
	s_and_b64 s[4:5], s[4:5], exec
	s_or_saveexec_b64 s[6:7], s[6:7]
	v_mov_b32_e32 v3, s10
	s_xor_b64 exec, exec, s[6:7]
	s_cbranch_execz .LBB3_454
.LBB3_2504:
	v_mov_b32_e32 v3, 0
	v_cmp_ne_u16_sdwa s[8:9], v4, v3 src0_sel:BYTE_0 src1_sel:DWORD
	s_andn2_b64 s[4:5], s[4:5], exec
	s_and_b64 s[8:9], s[8:9], exec
	s_or_b64 s[4:5], s[4:5], s[8:9]
	s_or_b64 exec, exec, s[6:7]
	s_and_saveexec_b64 s[6:7], s[4:5]
	s_cbranch_execnz .LBB3_455
	s_branch .LBB3_456
.LBB3_2505:
	s_movk_i32 s4, 0x80
	v_cmp_eq_u16_sdwa s[12:13], v3, s4 src0_sel:BYTE_0 src1_sel:DWORD
	s_mov_b64 s[4:5], -1
                                        ; implicit-def: $sgpr10
	s_and_saveexec_b64 s[8:9], s[12:13]
; %bb.2506:
	s_mov_b32 s10, 0x7f800001
	s_xor_b64 s[4:5], exec, -1
; %bb.2507:
	s_or_b64 exec, exec, s[8:9]
	s_and_b64 s[4:5], s[4:5], exec
	s_or_saveexec_b64 s[6:7], s[6:7]
	v_mov_b32_e32 v2, s10
	s_xor_b64 exec, exec, s[6:7]
	s_cbranch_execz .LBB3_458
.LBB3_2508:
	v_mov_b32_e32 v2, 0
	v_cmp_ne_u16_sdwa s[8:9], v3, v2 src0_sel:BYTE_0 src1_sel:DWORD
	s_andn2_b64 s[4:5], s[4:5], exec
	s_and_b64 s[8:9], s[8:9], exec
	s_or_b64 s[4:5], s[4:5], s[8:9]
	s_or_b64 exec, exec, s[6:7]
	s_and_saveexec_b64 s[6:7], s[4:5]
	s_cbranch_execnz .LBB3_459
	s_branch .LBB3_460
.LBB3_2509:
	s_movk_i32 s4, 0x80
	v_cmp_eq_u16_sdwa s[12:13], v3, s4 src0_sel:BYTE_0 src1_sel:DWORD
	s_mov_b64 s[4:5], -1
                                        ; implicit-def: $sgpr10
	s_and_saveexec_b64 s[8:9], s[12:13]
; %bb.2510:
	s_mov_b32 s10, 0x7f800001
	s_xor_b64 s[4:5], exec, -1
; %bb.2511:
	s_or_b64 exec, exec, s[8:9]
	s_and_b64 s[4:5], s[4:5], exec
	s_or_saveexec_b64 s[6:7], s[6:7]
	v_mov_b32_e32 v6, s10
	s_xor_b64 exec, exec, s[6:7]
	s_cbranch_execz .LBB3_462
.LBB3_2512:
	v_mov_b32_e32 v6, 0
	v_cmp_ne_u16_sdwa s[8:9], v3, v6 src0_sel:BYTE_0 src1_sel:DWORD
	s_andn2_b64 s[4:5], s[4:5], exec
	s_and_b64 s[8:9], s[8:9], exec
	s_or_b64 s[4:5], s[4:5], s[8:9]
	s_or_b64 exec, exec, s[6:7]
	s_and_saveexec_b64 s[6:7], s[4:5]
	s_cbranch_execnz .LBB3_463
	s_branch .LBB3_464
.LBB3_2513:
	s_movk_i32 s4, 0x80
	v_cmp_eq_u16_e32 vcc, s4, v3
	s_mov_b64 s[4:5], -1
                                        ; implicit-def: $sgpr10
	s_and_saveexec_b64 s[8:9], vcc
; %bb.2514:
	s_mov_b32 s10, 0x7f800001
	s_xor_b64 s[4:5], exec, -1
; %bb.2515:
	s_or_b64 exec, exec, s[8:9]
	s_and_b64 s[4:5], s[4:5], exec
                                        ; implicit-def: $vgpr3
	s_or_saveexec_b64 s[6:7], s[6:7]
	v_mov_b32_e32 v2, s10
	s_xor_b64 exec, exec, s[6:7]
	s_cbranch_execz .LBB3_466
.LBB3_2516:
	v_cmp_ne_u16_e32 vcc, 0, v3
	s_andn2_b64 s[4:5], s[4:5], exec
	s_and_b64 s[8:9], vcc, exec
	v_mov_b32_e32 v2, 0
	s_or_b64 s[4:5], s[4:5], s[8:9]
	s_or_b64 exec, exec, s[6:7]
	s_and_saveexec_b64 s[6:7], s[4:5]
	s_cbranch_execnz .LBB3_467
	s_branch .LBB3_468
.LBB3_2517:
	s_movk_i32 s4, 0x80
	v_cmp_eq_u16_e32 vcc, s4, v3
	s_mov_b64 s[4:5], -1
                                        ; implicit-def: $sgpr10
	s_and_saveexec_b64 s[8:9], vcc
; %bb.2518:
	s_mov_b32 s10, 0x7f800001
	s_xor_b64 s[4:5], exec, -1
; %bb.2519:
	s_or_b64 exec, exec, s[8:9]
	s_and_b64 s[4:5], s[4:5], exec
                                        ; implicit-def: $vgpr3
	s_or_saveexec_b64 s[6:7], s[6:7]
	v_mov_b32_e32 v6, s10
	s_xor_b64 exec, exec, s[6:7]
	s_cbranch_execz .LBB3_470
.LBB3_2520:
	v_cmp_ne_u16_e32 vcc, 0, v3
	s_andn2_b64 s[4:5], s[4:5], exec
	s_and_b64 s[8:9], vcc, exec
	v_mov_b32_e32 v6, 0
	s_or_b64 s[4:5], s[4:5], s[8:9]
	s_or_b64 exec, exec, s[6:7]
	s_and_saveexec_b64 s[6:7], s[4:5]
	s_cbranch_execnz .LBB3_471
	s_branch .LBB3_472
.LBB3_2521:
	s_movk_i32 s4, 0x80
	v_cmp_eq_u16_sdwa s[12:13], v8, s4 src0_sel:BYTE_3 src1_sel:DWORD
	s_mov_b64 s[4:5], -1
                                        ; implicit-def: $sgpr10
	s_and_saveexec_b64 s[8:9], s[12:13]
; %bb.2522:
	s_mov_b32 s10, 0x7f800001
	s_xor_b64 s[4:5], exec, -1
; %bb.2523:
	s_or_b64 exec, exec, s[8:9]
	s_and_b64 s[4:5], s[4:5], exec
	s_or_saveexec_b64 s[6:7], s[6:7]
	v_mov_b32_e32 v2, s10
	s_xor_b64 exec, exec, s[6:7]
	s_cbranch_execz .LBB3_474
.LBB3_2524:
	v_mov_b32_e32 v2, 0
	v_cmp_ne_u16_sdwa s[8:9], v8, v2 src0_sel:BYTE_3 src1_sel:DWORD
	s_andn2_b64 s[4:5], s[4:5], exec
	s_and_b64 s[8:9], s[8:9], exec
	s_or_b64 s[4:5], s[4:5], s[8:9]
	s_or_b64 exec, exec, s[6:7]
	s_and_saveexec_b64 s[6:7], s[4:5]
	s_cbranch_execnz .LBB3_475
	s_branch .LBB3_476
.LBB3_2525:
	s_movk_i32 s4, 0x80
	v_cmp_eq_u16_sdwa s[12:13], v4, s4 src0_sel:BYTE_3 src1_sel:DWORD
	s_mov_b64 s[4:5], -1
                                        ; implicit-def: $sgpr10
	s_and_saveexec_b64 s[8:9], s[12:13]
; %bb.2526:
	s_mov_b32 s10, 0x7f800001
	s_xor_b64 s[4:5], exec, -1
; %bb.2527:
	s_or_b64 exec, exec, s[8:9]
	s_and_b64 s[4:5], s[4:5], exec
	s_or_saveexec_b64 s[6:7], s[6:7]
	v_mov_b32_e32 v3, s10
	s_xor_b64 exec, exec, s[6:7]
	s_cbranch_execz .LBB3_478
.LBB3_2528:
	v_mov_b32_e32 v3, 0
	v_cmp_ne_u16_sdwa s[8:9], v4, v3 src0_sel:BYTE_3 src1_sel:DWORD
	s_andn2_b64 s[4:5], s[4:5], exec
	s_and_b64 s[8:9], s[8:9], exec
	s_or_b64 s[4:5], s[4:5], s[8:9]
	s_or_b64 exec, exec, s[6:7]
	s_and_saveexec_b64 s[6:7], s[4:5]
	s_cbranch_execnz .LBB3_479
	s_branch .LBB3_480
.LBB3_2529:
	s_movk_i32 s4, 0x80
	v_cmp_eq_u16_sdwa s[12:13], v9, s4 src0_sel:BYTE_0 src1_sel:DWORD
	s_mov_b64 s[4:5], -1
                                        ; implicit-def: $sgpr10
	s_and_saveexec_b64 s[8:9], s[12:13]
; %bb.2530:
	s_mov_b32 s10, 0x7f800001
	s_xor_b64 s[4:5], exec, -1
; %bb.2531:
	s_or_b64 exec, exec, s[8:9]
	s_and_b64 s[4:5], s[4:5], exec
	s_or_saveexec_b64 s[6:7], s[6:7]
	v_mov_b32_e32 v2, s10
	s_xor_b64 exec, exec, s[6:7]
	s_cbranch_execz .LBB3_482
.LBB3_2532:
	v_mov_b32_e32 v2, 0
	v_cmp_ne_u16_sdwa s[8:9], v9, v2 src0_sel:BYTE_0 src1_sel:DWORD
	s_andn2_b64 s[4:5], s[4:5], exec
	s_and_b64 s[8:9], s[8:9], exec
	s_or_b64 s[4:5], s[4:5], s[8:9]
	s_or_b64 exec, exec, s[6:7]
	s_and_saveexec_b64 s[6:7], s[4:5]
	s_cbranch_execnz .LBB3_483
	s_branch .LBB3_484
.LBB3_2533:
	s_movk_i32 s4, 0x80
	v_cmp_eq_u16_sdwa s[12:13], v5, s4 src0_sel:BYTE_0 src1_sel:DWORD
	s_mov_b64 s[4:5], -1
                                        ; implicit-def: $sgpr10
	s_and_saveexec_b64 s[8:9], s[12:13]
; %bb.2534:
	s_mov_b32 s10, 0x7f800001
	s_xor_b64 s[4:5], exec, -1
; %bb.2535:
	s_or_b64 exec, exec, s[8:9]
	s_and_b64 s[4:5], s[4:5], exec
	s_or_saveexec_b64 s[6:7], s[6:7]
	v_mov_b32_e32 v3, s10
	s_xor_b64 exec, exec, s[6:7]
	s_cbranch_execz .LBB3_486
.LBB3_2536:
	v_mov_b32_e32 v3, 0
	v_cmp_ne_u16_sdwa s[8:9], v5, v3 src0_sel:BYTE_0 src1_sel:DWORD
	s_andn2_b64 s[4:5], s[4:5], exec
	s_and_b64 s[8:9], s[8:9], exec
	s_or_b64 s[4:5], s[4:5], s[8:9]
	s_or_b64 exec, exec, s[6:7]
	s_and_saveexec_b64 s[6:7], s[4:5]
	s_cbranch_execnz .LBB3_487
	s_branch .LBB3_488
.LBB3_2537:
	s_movk_i32 s4, 0x80
	v_cmp_eq_u16_sdwa s[12:13], v3, s4 src0_sel:BYTE_0 src1_sel:DWORD
	s_mov_b64 s[4:5], -1
                                        ; implicit-def: $sgpr10
	s_and_saveexec_b64 s[8:9], s[12:13]
; %bb.2538:
	s_mov_b32 s10, 0x7f800001
	s_xor_b64 s[4:5], exec, -1
; %bb.2539:
	s_or_b64 exec, exec, s[8:9]
	s_and_b64 s[4:5], s[4:5], exec
	s_or_saveexec_b64 s[6:7], s[6:7]
	v_mov_b32_e32 v2, s10
	s_xor_b64 exec, exec, s[6:7]
	s_cbranch_execz .LBB3_490
.LBB3_2540:
	v_mov_b32_e32 v2, 0
	v_cmp_ne_u16_sdwa s[8:9], v3, v2 src0_sel:BYTE_0 src1_sel:DWORD
	s_andn2_b64 s[4:5], s[4:5], exec
	s_and_b64 s[8:9], s[8:9], exec
	s_or_b64 s[4:5], s[4:5], s[8:9]
	s_or_b64 exec, exec, s[6:7]
	s_and_saveexec_b64 s[6:7], s[4:5]
	s_cbranch_execnz .LBB3_491
	s_branch .LBB3_492
.LBB3_2541:
	s_movk_i32 s4, 0x80
	v_cmp_eq_u16_sdwa s[12:13], v3, s4 src0_sel:BYTE_0 src1_sel:DWORD
	s_mov_b64 s[4:5], -1
                                        ; implicit-def: $sgpr10
	s_and_saveexec_b64 s[8:9], s[12:13]
; %bb.2542:
	s_mov_b32 s10, 0x7f800001
	s_xor_b64 s[4:5], exec, -1
; %bb.2543:
	s_or_b64 exec, exec, s[8:9]
	s_and_b64 s[4:5], s[4:5], exec
	s_or_saveexec_b64 s[6:7], s[6:7]
	v_mov_b32_e32 v4, s10
	s_xor_b64 exec, exec, s[6:7]
	s_cbranch_execz .LBB3_494
.LBB3_2544:
	v_mov_b32_e32 v4, 0
	v_cmp_ne_u16_sdwa s[8:9], v3, v4 src0_sel:BYTE_0 src1_sel:DWORD
	s_andn2_b64 s[4:5], s[4:5], exec
	s_and_b64 s[8:9], s[8:9], exec
	s_or_b64 s[4:5], s[4:5], s[8:9]
	s_or_b64 exec, exec, s[6:7]
	s_and_saveexec_b64 s[6:7], s[4:5]
	s_cbranch_execnz .LBB3_495
	s_branch .LBB3_496
.LBB3_2545:
	s_movk_i32 s4, 0x80
	v_cmp_eq_u16_e32 vcc, s4, v3
	s_mov_b64 s[4:5], -1
                                        ; implicit-def: $sgpr10
	s_and_saveexec_b64 s[8:9], vcc
; %bb.2546:
	s_mov_b32 s10, 0x7f800001
	s_xor_b64 s[4:5], exec, -1
; %bb.2547:
	s_or_b64 exec, exec, s[8:9]
	s_and_b64 s[4:5], s[4:5], exec
                                        ; implicit-def: $vgpr3
	s_or_saveexec_b64 s[6:7], s[6:7]
	v_mov_b32_e32 v2, s10
	s_xor_b64 exec, exec, s[6:7]
	s_cbranch_execz .LBB3_498
.LBB3_2548:
	v_cmp_ne_u16_e32 vcc, 0, v3
	s_andn2_b64 s[4:5], s[4:5], exec
	s_and_b64 s[8:9], vcc, exec
	v_mov_b32_e32 v2, 0
	s_or_b64 s[4:5], s[4:5], s[8:9]
	s_or_b64 exec, exec, s[6:7]
	s_and_saveexec_b64 s[6:7], s[4:5]
	s_cbranch_execnz .LBB3_499
	s_branch .LBB3_500
.LBB3_2549:
	s_movk_i32 s4, 0x80
	v_cmp_eq_u16_e32 vcc, s4, v3
	s_mov_b64 s[4:5], -1
                                        ; implicit-def: $sgpr10
	s_and_saveexec_b64 s[8:9], vcc
; %bb.2550:
	s_mov_b32 s10, 0x7f800001
	s_xor_b64 s[4:5], exec, -1
; %bb.2551:
	s_or_b64 exec, exec, s[8:9]
	s_and_b64 s[4:5], s[4:5], exec
                                        ; implicit-def: $vgpr3
	s_or_saveexec_b64 s[6:7], s[6:7]
	v_mov_b32_e32 v4, s10
	s_xor_b64 exec, exec, s[6:7]
	s_cbranch_execz .LBB3_502
.LBB3_2552:
	v_cmp_ne_u16_e32 vcc, 0, v3
	s_andn2_b64 s[4:5], s[4:5], exec
	s_and_b64 s[8:9], vcc, exec
	v_mov_b32_e32 v4, 0
	s_or_b64 s[4:5], s[4:5], s[8:9]
	s_or_b64 exec, exec, s[6:7]
	s_and_saveexec_b64 s[6:7], s[4:5]
	s_cbranch_execnz .LBB3_503
	s_branch .LBB3_504
.LBB3_2553:
	s_movk_i32 s4, 0x80
	v_cmp_eq_u16_sdwa s[12:13], v9, s4 src0_sel:BYTE_3 src1_sel:DWORD
	s_mov_b64 s[4:5], -1
                                        ; implicit-def: $sgpr10
	s_and_saveexec_b64 s[8:9], s[12:13]
; %bb.2554:
	s_mov_b32 s10, 0x7f800001
	s_xor_b64 s[4:5], exec, -1
; %bb.2555:
	s_or_b64 exec, exec, s[8:9]
	s_and_b64 s[4:5], s[4:5], exec
	s_or_saveexec_b64 s[6:7], s[6:7]
	v_mov_b32_e32 v2, s10
	s_xor_b64 exec, exec, s[6:7]
	s_cbranch_execz .LBB3_506
.LBB3_2556:
	v_mov_b32_e32 v2, 0
	v_cmp_ne_u16_sdwa s[8:9], v9, v2 src0_sel:BYTE_3 src1_sel:DWORD
	s_andn2_b64 s[4:5], s[4:5], exec
	s_and_b64 s[8:9], s[8:9], exec
	s_or_b64 s[4:5], s[4:5], s[8:9]
	s_or_b64 exec, exec, s[6:7]
	s_and_saveexec_b64 s[6:7], s[4:5]
	s_cbranch_execnz .LBB3_507
	s_branch .LBB3_508
.LBB3_2557:
	s_movk_i32 s4, 0x80
	v_cmp_eq_u16_sdwa s[12:13], v5, s4 src0_sel:BYTE_3 src1_sel:DWORD
	s_mov_b64 s[4:5], -1
                                        ; implicit-def: $sgpr10
	s_and_saveexec_b64 s[8:9], s[12:13]
; %bb.2558:
	s_mov_b32 s10, 0x7f800001
	s_xor_b64 s[4:5], exec, -1
; %bb.2559:
	s_or_b64 exec, exec, s[8:9]
	s_and_b64 s[4:5], s[4:5], exec
	s_or_saveexec_b64 s[6:7], s[6:7]
	v_mov_b32_e32 v3, s10
	s_xor_b64 exec, exec, s[6:7]
	s_cbranch_execz .LBB3_510
.LBB3_2560:
	v_mov_b32_e32 v3, 0
	v_cmp_ne_u16_sdwa s[8:9], v5, v3 src0_sel:BYTE_3 src1_sel:DWORD
	s_andn2_b64 s[4:5], s[4:5], exec
	s_and_b64 s[8:9], s[8:9], exec
	s_or_b64 s[4:5], s[4:5], s[8:9]
	s_or_b64 exec, exec, s[6:7]
	s_and_saveexec_b64 s[6:7], s[4:5]
	s_cbranch_execnz .LBB3_511
	s_branch .LBB3_512
.LBB3_2561:
	s_movk_i32 s4, 0x80
	v_cmp_eq_u16_sdwa s[12:13], v6, s4 src0_sel:BYTE_0 src1_sel:DWORD
	s_mov_b64 s[4:5], -1
                                        ; implicit-def: $sgpr10
	s_and_saveexec_b64 s[8:9], s[12:13]
; %bb.2562:
	s_mov_b32 s10, 0x7f800001
	s_xor_b64 s[4:5], exec, -1
; %bb.2563:
	s_or_b64 exec, exec, s[8:9]
	s_and_b64 s[4:5], s[4:5], exec
	s_or_saveexec_b64 s[6:7], s[6:7]
	v_mov_b32_e32 v12, s10
	s_xor_b64 exec, exec, s[6:7]
	s_cbranch_execz .LBB3_514
.LBB3_2564:
	v_mov_b32_e32 v12, 0
	v_cmp_ne_u16_sdwa s[8:9], v6, v12 src0_sel:BYTE_0 src1_sel:DWORD
	s_andn2_b64 s[4:5], s[4:5], exec
	s_and_b64 s[8:9], s[8:9], exec
	s_or_b64 s[4:5], s[4:5], s[8:9]
	s_or_b64 exec, exec, s[6:7]
	s_and_saveexec_b64 s[6:7], s[4:5]
	s_cbranch_execnz .LBB3_515
	s_branch .LBB3_516
.LBB3_2565:
	s_movk_i32 s4, 0x80
	v_cmp_eq_u16_sdwa s[12:13], v2, s4 src0_sel:BYTE_0 src1_sel:DWORD
	s_mov_b64 s[4:5], -1
                                        ; implicit-def: $sgpr10
	s_and_saveexec_b64 s[8:9], s[12:13]
; %bb.2566:
	s_mov_b32 s10, 0x7f800001
	s_xor_b64 s[4:5], exec, -1
; %bb.2567:
	s_or_b64 exec, exec, s[8:9]
	s_and_b64 s[4:5], s[4:5], exec
	s_or_saveexec_b64 s[6:7], s[6:7]
	v_mov_b32_e32 v13, s10
	s_xor_b64 exec, exec, s[6:7]
	s_cbranch_execz .LBB3_518
.LBB3_2568:
	v_mov_b32_e32 v13, 0
	v_cmp_ne_u16_sdwa s[8:9], v2, v13 src0_sel:BYTE_0 src1_sel:DWORD
	s_andn2_b64 s[4:5], s[4:5], exec
	s_and_b64 s[8:9], s[8:9], exec
	s_or_b64 s[4:5], s[4:5], s[8:9]
	s_or_b64 exec, exec, s[6:7]
	s_and_saveexec_b64 s[6:7], s[4:5]
	s_cbranch_execnz .LBB3_519
	s_branch .LBB3_520
.LBB3_2569:
	s_movk_i32 s4, 0x80
	v_cmp_eq_u16_sdwa s[12:13], v13, s4 src0_sel:BYTE_0 src1_sel:DWORD
	s_mov_b64 s[4:5], -1
                                        ; implicit-def: $sgpr10
	s_and_saveexec_b64 s[8:9], s[12:13]
; %bb.2570:
	s_mov_b32 s10, 0x7f800001
	s_xor_b64 s[4:5], exec, -1
; %bb.2571:
	s_or_b64 exec, exec, s[8:9]
	s_and_b64 s[4:5], s[4:5], exec
	s_or_saveexec_b64 s[6:7], s[6:7]
	v_mov_b32_e32 v12, s10
	s_xor_b64 exec, exec, s[6:7]
	s_cbranch_execz .LBB3_522
.LBB3_2572:
	v_mov_b32_e32 v12, 0
	v_cmp_ne_u16_sdwa s[8:9], v13, v12 src0_sel:BYTE_0 src1_sel:DWORD
	s_andn2_b64 s[4:5], s[4:5], exec
	s_and_b64 s[8:9], s[8:9], exec
	s_or_b64 s[4:5], s[4:5], s[8:9]
	s_or_b64 exec, exec, s[6:7]
	s_and_saveexec_b64 s[6:7], s[4:5]
	s_cbranch_execnz .LBB3_523
	s_branch .LBB3_524
.LBB3_2573:
	s_movk_i32 s4, 0x80
	v_cmp_eq_u16_sdwa s[12:13], v13, s4 src0_sel:BYTE_0 src1_sel:DWORD
	s_mov_b64 s[4:5], -1
                                        ; implicit-def: $sgpr10
	s_and_saveexec_b64 s[8:9], s[12:13]
; %bb.2574:
	s_mov_b32 s10, 0x7f800001
	s_xor_b64 s[4:5], exec, -1
; %bb.2575:
	s_or_b64 exec, exec, s[8:9]
	s_and_b64 s[4:5], s[4:5], exec
	s_or_saveexec_b64 s[6:7], s[6:7]
	v_mov_b32_e32 v14, s10
	s_xor_b64 exec, exec, s[6:7]
	s_cbranch_execz .LBB3_526
.LBB3_2576:
	v_mov_b32_e32 v14, 0
	v_cmp_ne_u16_sdwa s[8:9], v13, v14 src0_sel:BYTE_0 src1_sel:DWORD
	s_andn2_b64 s[4:5], s[4:5], exec
	s_and_b64 s[8:9], s[8:9], exec
	s_or_b64 s[4:5], s[4:5], s[8:9]
	s_or_b64 exec, exec, s[6:7]
	s_and_saveexec_b64 s[6:7], s[4:5]
	s_cbranch_execnz .LBB3_527
	s_branch .LBB3_528
.LBB3_2577:
	s_movk_i32 s4, 0x80
	v_cmp_eq_u16_e32 vcc, s4, v13
	s_mov_b64 s[4:5], -1
                                        ; implicit-def: $sgpr10
	s_and_saveexec_b64 s[8:9], vcc
; %bb.2578:
	s_mov_b32 s10, 0x7f800001
	s_xor_b64 s[4:5], exec, -1
; %bb.2579:
	s_or_b64 exec, exec, s[8:9]
	s_and_b64 s[4:5], s[4:5], exec
                                        ; implicit-def: $vgpr13
	s_or_saveexec_b64 s[6:7], s[6:7]
	v_mov_b32_e32 v12, s10
	s_xor_b64 exec, exec, s[6:7]
	s_cbranch_execz .LBB3_530
.LBB3_2580:
	v_cmp_ne_u16_e32 vcc, 0, v13
	s_andn2_b64 s[4:5], s[4:5], exec
	s_and_b64 s[8:9], vcc, exec
	v_mov_b32_e32 v12, 0
	s_or_b64 s[4:5], s[4:5], s[8:9]
	s_or_b64 exec, exec, s[6:7]
	s_and_saveexec_b64 s[6:7], s[4:5]
	s_cbranch_execnz .LBB3_531
	s_branch .LBB3_532
.LBB3_2581:
	s_movk_i32 s4, 0x80
	v_cmp_eq_u16_e32 vcc, s4, v13
	s_mov_b64 s[4:5], -1
                                        ; implicit-def: $sgpr10
	s_and_saveexec_b64 s[8:9], vcc
; %bb.2582:
	s_mov_b32 s10, 0x7f800001
	s_xor_b64 s[4:5], exec, -1
; %bb.2583:
	s_or_b64 exec, exec, s[8:9]
	s_and_b64 s[4:5], s[4:5], exec
                                        ; implicit-def: $vgpr13
	s_or_saveexec_b64 s[6:7], s[6:7]
	v_mov_b32_e32 v14, s10
	s_xor_b64 exec, exec, s[6:7]
	s_cbranch_execz .LBB3_534
.LBB3_2584:
	v_cmp_ne_u16_e32 vcc, 0, v13
	s_andn2_b64 s[4:5], s[4:5], exec
	s_and_b64 s[8:9], vcc, exec
	v_mov_b32_e32 v14, 0
	s_or_b64 s[4:5], s[4:5], s[8:9]
	s_or_b64 exec, exec, s[6:7]
	s_and_saveexec_b64 s[6:7], s[4:5]
	s_cbranch_execnz .LBB3_535
	s_branch .LBB3_536
.LBB3_2585:
	s_movk_i32 s4, 0x80
	v_cmp_eq_u16_sdwa s[12:13], v6, s4 src0_sel:BYTE_3 src1_sel:DWORD
	s_mov_b64 s[4:5], -1
                                        ; implicit-def: $sgpr10
	s_and_saveexec_b64 s[8:9], s[12:13]
; %bb.2586:
	s_mov_b32 s10, 0x7f800001
	s_xor_b64 s[4:5], exec, -1
; %bb.2587:
	s_or_b64 exec, exec, s[8:9]
	s_and_b64 s[4:5], s[4:5], exec
	s_or_saveexec_b64 s[6:7], s[6:7]
	v_mov_b32_e32 v12, s10
	s_xor_b64 exec, exec, s[6:7]
	s_cbranch_execz .LBB3_538
.LBB3_2588:
	v_mov_b32_e32 v12, 0
	v_cmp_ne_u16_sdwa s[8:9], v6, v12 src0_sel:BYTE_3 src1_sel:DWORD
	s_andn2_b64 s[4:5], s[4:5], exec
	s_and_b64 s[8:9], s[8:9], exec
	s_or_b64 s[4:5], s[4:5], s[8:9]
	s_or_b64 exec, exec, s[6:7]
	s_and_saveexec_b64 s[6:7], s[4:5]
	s_cbranch_execnz .LBB3_539
	s_branch .LBB3_540
.LBB3_2589:
	s_movk_i32 s4, 0x80
	v_cmp_eq_u16_sdwa s[12:13], v2, s4 src0_sel:BYTE_3 src1_sel:DWORD
	s_mov_b64 s[4:5], -1
                                        ; implicit-def: $sgpr10
	s_and_saveexec_b64 s[8:9], s[12:13]
; %bb.2590:
	s_mov_b32 s10, 0x7f800001
	s_xor_b64 s[4:5], exec, -1
; %bb.2591:
	s_or_b64 exec, exec, s[8:9]
	s_and_b64 s[4:5], s[4:5], exec
	s_or_saveexec_b64 s[6:7], s[6:7]
	v_mov_b32_e32 v6, s10
	s_xor_b64 exec, exec, s[6:7]
	s_cbranch_execz .LBB3_542
.LBB3_2592:
	v_mov_b32_e32 v6, 0
	v_cmp_ne_u16_sdwa s[8:9], v2, v6 src0_sel:BYTE_3 src1_sel:DWORD
	s_andn2_b64 s[4:5], s[4:5], exec
	s_and_b64 s[8:9], s[8:9], exec
	s_or_b64 s[4:5], s[4:5], s[8:9]
	s_or_b64 exec, exec, s[6:7]
	s_and_saveexec_b64 s[6:7], s[4:5]
	s_cbranch_execnz .LBB3_543
	s_branch .LBB3_544
.LBB3_2593:
	s_movk_i32 s4, 0x80
	v_cmp_eq_u16_sdwa s[12:13], v7, s4 src0_sel:BYTE_0 src1_sel:DWORD
	s_mov_b64 s[4:5], -1
                                        ; implicit-def: $sgpr10
	s_and_saveexec_b64 s[8:9], s[12:13]
; %bb.2594:
	s_mov_b32 s10, 0x7f800001
	s_xor_b64 s[4:5], exec, -1
; %bb.2595:
	s_or_b64 exec, exec, s[8:9]
	s_and_b64 s[4:5], s[4:5], exec
	s_or_saveexec_b64 s[6:7], s[6:7]
	v_mov_b32_e32 v2, s10
	s_xor_b64 exec, exec, s[6:7]
	s_cbranch_execz .LBB3_546
.LBB3_2596:
	v_mov_b32_e32 v2, 0
	v_cmp_ne_u16_sdwa s[8:9], v7, v2 src0_sel:BYTE_0 src1_sel:DWORD
	s_andn2_b64 s[4:5], s[4:5], exec
	s_and_b64 s[8:9], s[8:9], exec
	s_or_b64 s[4:5], s[4:5], s[8:9]
	s_or_b64 exec, exec, s[6:7]
	s_and_saveexec_b64 s[6:7], s[4:5]
	s_cbranch_execnz .LBB3_547
	s_branch .LBB3_548
.LBB3_2597:
	s_movk_i32 s4, 0x80
	v_cmp_eq_u16_sdwa s[12:13], v3, s4 src0_sel:BYTE_0 src1_sel:DWORD
	s_mov_b64 s[4:5], -1
                                        ; implicit-def: $sgpr10
	s_and_saveexec_b64 s[8:9], s[12:13]
; %bb.2598:
	s_mov_b32 s10, 0x7f800001
	s_xor_b64 s[4:5], exec, -1
; %bb.2599:
	s_or_b64 exec, exec, s[8:9]
	s_and_b64 s[4:5], s[4:5], exec
	s_or_saveexec_b64 s[6:7], s[6:7]
	v_mov_b32_e32 v6, s10
	s_xor_b64 exec, exec, s[6:7]
	s_cbranch_execz .LBB3_550
.LBB3_2600:
	v_mov_b32_e32 v6, 0
	v_cmp_ne_u16_sdwa s[8:9], v3, v6 src0_sel:BYTE_0 src1_sel:DWORD
	s_andn2_b64 s[4:5], s[4:5], exec
	s_and_b64 s[8:9], s[8:9], exec
	s_or_b64 s[4:5], s[4:5], s[8:9]
	s_or_b64 exec, exec, s[6:7]
	s_and_saveexec_b64 s[6:7], s[4:5]
	s_cbranch_execnz .LBB3_551
	s_branch .LBB3_552
.LBB3_2601:
	s_movk_i32 s4, 0x80
	v_cmp_eq_u16_sdwa s[12:13], v6, s4 src0_sel:BYTE_0 src1_sel:DWORD
	s_mov_b64 s[4:5], -1
                                        ; implicit-def: $sgpr10
	s_and_saveexec_b64 s[8:9], s[12:13]
; %bb.2602:
	s_mov_b32 s10, 0x7f800001
	s_xor_b64 s[4:5], exec, -1
; %bb.2603:
	s_or_b64 exec, exec, s[8:9]
	s_and_b64 s[4:5], s[4:5], exec
	s_or_saveexec_b64 s[6:7], s[6:7]
	v_mov_b32_e32 v2, s10
	s_xor_b64 exec, exec, s[6:7]
	s_cbranch_execz .LBB3_554
.LBB3_2604:
	v_mov_b32_e32 v2, 0
	v_cmp_ne_u16_sdwa s[8:9], v6, v2 src0_sel:BYTE_0 src1_sel:DWORD
	s_andn2_b64 s[4:5], s[4:5], exec
	s_and_b64 s[8:9], s[8:9], exec
	s_or_b64 s[4:5], s[4:5], s[8:9]
	s_or_b64 exec, exec, s[6:7]
	s_and_saveexec_b64 s[6:7], s[4:5]
	s_cbranch_execnz .LBB3_555
	s_branch .LBB3_556
.LBB3_2605:
	s_movk_i32 s4, 0x80
	v_cmp_eq_u16_sdwa s[12:13], v6, s4 src0_sel:BYTE_0 src1_sel:DWORD
	s_mov_b64 s[4:5], -1
                                        ; implicit-def: $sgpr10
	s_and_saveexec_b64 s[8:9], s[12:13]
; %bb.2606:
	s_mov_b32 s10, 0x7f800001
	s_xor_b64 s[4:5], exec, -1
; %bb.2607:
	s_or_b64 exec, exec, s[8:9]
	s_and_b64 s[4:5], s[4:5], exec
	s_or_saveexec_b64 s[6:7], s[6:7]
	v_mov_b32_e32 v12, s10
	s_xor_b64 exec, exec, s[6:7]
	s_cbranch_execz .LBB3_558
.LBB3_2608:
	v_mov_b32_e32 v12, 0
	v_cmp_ne_u16_sdwa s[8:9], v6, v12 src0_sel:BYTE_0 src1_sel:DWORD
	s_andn2_b64 s[4:5], s[4:5], exec
	s_and_b64 s[8:9], s[8:9], exec
	s_or_b64 s[4:5], s[4:5], s[8:9]
	s_or_b64 exec, exec, s[6:7]
	s_and_saveexec_b64 s[6:7], s[4:5]
	s_cbranch_execnz .LBB3_559
	s_branch .LBB3_560
.LBB3_2609:
	s_movk_i32 s4, 0x80
	v_cmp_eq_u16_e32 vcc, s4, v6
	s_mov_b64 s[4:5], -1
                                        ; implicit-def: $sgpr10
	s_and_saveexec_b64 s[8:9], vcc
; %bb.2610:
	s_mov_b32 s10, 0x7f800001
	s_xor_b64 s[4:5], exec, -1
; %bb.2611:
	s_or_b64 exec, exec, s[8:9]
	s_and_b64 s[4:5], s[4:5], exec
                                        ; implicit-def: $vgpr6
	s_or_saveexec_b64 s[6:7], s[6:7]
	v_mov_b32_e32 v2, s10
	s_xor_b64 exec, exec, s[6:7]
	s_cbranch_execz .LBB3_562
.LBB3_2612:
	v_cmp_ne_u16_e32 vcc, 0, v6
	s_andn2_b64 s[4:5], s[4:5], exec
	s_and_b64 s[8:9], vcc, exec
	v_mov_b32_e32 v2, 0
	s_or_b64 s[4:5], s[4:5], s[8:9]
	s_or_b64 exec, exec, s[6:7]
	s_and_saveexec_b64 s[6:7], s[4:5]
	s_cbranch_execnz .LBB3_563
	s_branch .LBB3_564
.LBB3_2613:
	s_movk_i32 s4, 0x80
	v_cmp_eq_u16_e32 vcc, s4, v6
	s_mov_b64 s[4:5], -1
                                        ; implicit-def: $sgpr10
	s_and_saveexec_b64 s[8:9], vcc
; %bb.2614:
	s_mov_b32 s10, 0x7f800001
	s_xor_b64 s[4:5], exec, -1
; %bb.2615:
	s_or_b64 exec, exec, s[8:9]
	s_and_b64 s[4:5], s[4:5], exec
                                        ; implicit-def: $vgpr6
	s_or_saveexec_b64 s[6:7], s[6:7]
	v_mov_b32_e32 v12, s10
	s_xor_b64 exec, exec, s[6:7]
	s_cbranch_execz .LBB3_566
.LBB3_2616:
	v_cmp_ne_u16_e32 vcc, 0, v6
	s_andn2_b64 s[4:5], s[4:5], exec
	s_and_b64 s[8:9], vcc, exec
	v_mov_b32_e32 v12, 0
	s_or_b64 s[4:5], s[4:5], s[8:9]
	s_or_b64 exec, exec, s[6:7]
	s_and_saveexec_b64 s[6:7], s[4:5]
	s_cbranch_execnz .LBB3_567
	s_branch .LBB3_568
.LBB3_2617:
	s_movk_i32 s4, 0x80
	v_cmp_eq_u16_sdwa s[12:13], v7, s4 src0_sel:BYTE_3 src1_sel:DWORD
	s_mov_b64 s[4:5], -1
                                        ; implicit-def: $sgpr10
	s_and_saveexec_b64 s[8:9], s[12:13]
; %bb.2618:
	s_mov_b32 s10, 0x7f800001
	s_xor_b64 s[4:5], exec, -1
; %bb.2619:
	s_or_b64 exec, exec, s[8:9]
	s_and_b64 s[4:5], s[4:5], exec
	s_or_saveexec_b64 s[6:7], s[6:7]
	v_mov_b32_e32 v2, s10
	s_xor_b64 exec, exec, s[6:7]
	s_cbranch_execz .LBB3_570
.LBB3_2620:
	v_mov_b32_e32 v2, 0
	v_cmp_ne_u16_sdwa s[8:9], v7, v2 src0_sel:BYTE_3 src1_sel:DWORD
	s_andn2_b64 s[4:5], s[4:5], exec
	s_and_b64 s[8:9], s[8:9], exec
	s_or_b64 s[4:5], s[4:5], s[8:9]
	s_or_b64 exec, exec, s[6:7]
	s_and_saveexec_b64 s[6:7], s[4:5]
	s_cbranch_execnz .LBB3_571
	s_branch .LBB3_572
.LBB3_2621:
	s_movk_i32 s4, 0x80
	v_cmp_eq_u16_sdwa s[12:13], v3, s4 src0_sel:BYTE_3 src1_sel:DWORD
	s_mov_b64 s[4:5], -1
                                        ; implicit-def: $sgpr10
	s_and_saveexec_b64 s[8:9], s[12:13]
; %bb.2622:
	s_mov_b32 s10, 0x7f800001
	s_xor_b64 s[4:5], exec, -1
; %bb.2623:
	s_or_b64 exec, exec, s[8:9]
	s_and_b64 s[4:5], s[4:5], exec
	s_or_saveexec_b64 s[6:7], s[6:7]
	v_mov_b32_e32 v6, s10
	s_xor_b64 exec, exec, s[6:7]
	s_cbranch_execz .LBB3_574
.LBB3_2624:
	v_mov_b32_e32 v6, 0
	v_cmp_ne_u16_sdwa s[8:9], v3, v6 src0_sel:BYTE_3 src1_sel:DWORD
	s_andn2_b64 s[4:5], s[4:5], exec
	s_and_b64 s[8:9], s[8:9], exec
	s_or_b64 s[4:5], s[4:5], s[8:9]
	s_or_b64 exec, exec, s[6:7]
	s_and_saveexec_b64 s[6:7], s[4:5]
	s_cbranch_execnz .LBB3_575
	s_branch .LBB3_576
.LBB3_2625:
	s_movk_i32 s4, 0x80
	v_cmp_eq_u16_sdwa s[12:13], v8, s4 src0_sel:BYTE_0 src1_sel:DWORD
	s_mov_b64 s[4:5], -1
                                        ; implicit-def: $sgpr10
	s_and_saveexec_b64 s[8:9], s[12:13]
; %bb.2626:
	s_mov_b32 s10, 0x7f800001
	s_xor_b64 s[4:5], exec, -1
; %bb.2627:
	s_or_b64 exec, exec, s[8:9]
	s_and_b64 s[4:5], s[4:5], exec
	s_or_saveexec_b64 s[6:7], s[6:7]
	v_mov_b32_e32 v2, s10
	s_xor_b64 exec, exec, s[6:7]
	s_cbranch_execz .LBB3_578
.LBB3_2628:
	v_mov_b32_e32 v2, 0
	v_cmp_ne_u16_sdwa s[8:9], v8, v2 src0_sel:BYTE_0 src1_sel:DWORD
	s_andn2_b64 s[4:5], s[4:5], exec
	s_and_b64 s[8:9], s[8:9], exec
	s_or_b64 s[4:5], s[4:5], s[8:9]
	s_or_b64 exec, exec, s[6:7]
	s_and_saveexec_b64 s[6:7], s[4:5]
	s_cbranch_execnz .LBB3_579
	s_branch .LBB3_580
.LBB3_2629:
	s_movk_i32 s4, 0x80
	v_cmp_eq_u16_sdwa s[12:13], v4, s4 src0_sel:BYTE_0 src1_sel:DWORD
	s_mov_b64 s[4:5], -1
                                        ; implicit-def: $sgpr10
	s_and_saveexec_b64 s[8:9], s[12:13]
; %bb.2630:
	s_mov_b32 s10, 0x7f800001
	s_xor_b64 s[4:5], exec, -1
; %bb.2631:
	s_or_b64 exec, exec, s[8:9]
	s_and_b64 s[4:5], s[4:5], exec
	s_or_saveexec_b64 s[6:7], s[6:7]
	v_mov_b32_e32 v3, s10
	s_xor_b64 exec, exec, s[6:7]
	s_cbranch_execz .LBB3_582
.LBB3_2632:
	v_mov_b32_e32 v3, 0
	v_cmp_ne_u16_sdwa s[8:9], v4, v3 src0_sel:BYTE_0 src1_sel:DWORD
	s_andn2_b64 s[4:5], s[4:5], exec
	s_and_b64 s[8:9], s[8:9], exec
	s_or_b64 s[4:5], s[4:5], s[8:9]
	s_or_b64 exec, exec, s[6:7]
	s_and_saveexec_b64 s[6:7], s[4:5]
	s_cbranch_execnz .LBB3_583
	s_branch .LBB3_584
.LBB3_2633:
	s_movk_i32 s4, 0x80
	v_cmp_eq_u16_sdwa s[12:13], v3, s4 src0_sel:BYTE_0 src1_sel:DWORD
	s_mov_b64 s[4:5], -1
                                        ; implicit-def: $sgpr10
	s_and_saveexec_b64 s[8:9], s[12:13]
; %bb.2634:
	s_mov_b32 s10, 0x7f800001
	s_xor_b64 s[4:5], exec, -1
; %bb.2635:
	s_or_b64 exec, exec, s[8:9]
	s_and_b64 s[4:5], s[4:5], exec
	s_or_saveexec_b64 s[6:7], s[6:7]
	v_mov_b32_e32 v2, s10
	s_xor_b64 exec, exec, s[6:7]
	s_cbranch_execz .LBB3_586
.LBB3_2636:
	v_mov_b32_e32 v2, 0
	v_cmp_ne_u16_sdwa s[8:9], v3, v2 src0_sel:BYTE_0 src1_sel:DWORD
	s_andn2_b64 s[4:5], s[4:5], exec
	s_and_b64 s[8:9], s[8:9], exec
	s_or_b64 s[4:5], s[4:5], s[8:9]
	s_or_b64 exec, exec, s[6:7]
	s_and_saveexec_b64 s[6:7], s[4:5]
	s_cbranch_execnz .LBB3_587
	s_branch .LBB3_588
.LBB3_2637:
	s_movk_i32 s4, 0x80
	v_cmp_eq_u16_sdwa s[12:13], v3, s4 src0_sel:BYTE_0 src1_sel:DWORD
	s_mov_b64 s[4:5], -1
                                        ; implicit-def: $sgpr10
	s_and_saveexec_b64 s[8:9], s[12:13]
; %bb.2638:
	s_mov_b32 s10, 0x7f800001
	s_xor_b64 s[4:5], exec, -1
; %bb.2639:
	s_or_b64 exec, exec, s[8:9]
	s_and_b64 s[4:5], s[4:5], exec
	s_or_saveexec_b64 s[6:7], s[6:7]
	v_mov_b32_e32 v6, s10
	s_xor_b64 exec, exec, s[6:7]
	s_cbranch_execz .LBB3_590
.LBB3_2640:
	v_mov_b32_e32 v6, 0
	v_cmp_ne_u16_sdwa s[8:9], v3, v6 src0_sel:BYTE_0 src1_sel:DWORD
	s_andn2_b64 s[4:5], s[4:5], exec
	s_and_b64 s[8:9], s[8:9], exec
	s_or_b64 s[4:5], s[4:5], s[8:9]
	s_or_b64 exec, exec, s[6:7]
	s_and_saveexec_b64 s[6:7], s[4:5]
	s_cbranch_execnz .LBB3_591
	s_branch .LBB3_592
.LBB3_2641:
	s_movk_i32 s4, 0x80
	v_cmp_eq_u16_e32 vcc, s4, v3
	s_mov_b64 s[4:5], -1
                                        ; implicit-def: $sgpr10
	s_and_saveexec_b64 s[8:9], vcc
; %bb.2642:
	s_mov_b32 s10, 0x7f800001
	s_xor_b64 s[4:5], exec, -1
; %bb.2643:
	s_or_b64 exec, exec, s[8:9]
	s_and_b64 s[4:5], s[4:5], exec
                                        ; implicit-def: $vgpr3
	s_or_saveexec_b64 s[6:7], s[6:7]
	v_mov_b32_e32 v2, s10
	s_xor_b64 exec, exec, s[6:7]
	s_cbranch_execz .LBB3_594
.LBB3_2644:
	v_cmp_ne_u16_e32 vcc, 0, v3
	s_andn2_b64 s[4:5], s[4:5], exec
	s_and_b64 s[8:9], vcc, exec
	v_mov_b32_e32 v2, 0
	s_or_b64 s[4:5], s[4:5], s[8:9]
	s_or_b64 exec, exec, s[6:7]
	s_and_saveexec_b64 s[6:7], s[4:5]
	s_cbranch_execnz .LBB3_595
	s_branch .LBB3_596
.LBB3_2645:
	s_movk_i32 s4, 0x80
	v_cmp_eq_u16_e32 vcc, s4, v3
	s_mov_b64 s[4:5], -1
                                        ; implicit-def: $sgpr10
	s_and_saveexec_b64 s[8:9], vcc
; %bb.2646:
	s_mov_b32 s10, 0x7f800001
	s_xor_b64 s[4:5], exec, -1
; %bb.2647:
	s_or_b64 exec, exec, s[8:9]
	s_and_b64 s[4:5], s[4:5], exec
                                        ; implicit-def: $vgpr3
	s_or_saveexec_b64 s[6:7], s[6:7]
	v_mov_b32_e32 v6, s10
	s_xor_b64 exec, exec, s[6:7]
	s_cbranch_execz .LBB3_598
.LBB3_2648:
	v_cmp_ne_u16_e32 vcc, 0, v3
	s_andn2_b64 s[4:5], s[4:5], exec
	s_and_b64 s[8:9], vcc, exec
	v_mov_b32_e32 v6, 0
	s_or_b64 s[4:5], s[4:5], s[8:9]
	s_or_b64 exec, exec, s[6:7]
	s_and_saveexec_b64 s[6:7], s[4:5]
	s_cbranch_execnz .LBB3_599
	s_branch .LBB3_600
.LBB3_2649:
	s_movk_i32 s4, 0x80
	v_cmp_eq_u16_sdwa s[12:13], v8, s4 src0_sel:BYTE_3 src1_sel:DWORD
	s_mov_b64 s[4:5], -1
                                        ; implicit-def: $sgpr10
	s_and_saveexec_b64 s[8:9], s[12:13]
; %bb.2650:
	s_mov_b32 s10, 0x7f800001
	s_xor_b64 s[4:5], exec, -1
; %bb.2651:
	s_or_b64 exec, exec, s[8:9]
	s_and_b64 s[4:5], s[4:5], exec
	s_or_saveexec_b64 s[6:7], s[6:7]
	v_mov_b32_e32 v2, s10
	s_xor_b64 exec, exec, s[6:7]
	s_cbranch_execz .LBB3_602
.LBB3_2652:
	v_mov_b32_e32 v2, 0
	v_cmp_ne_u16_sdwa s[8:9], v8, v2 src0_sel:BYTE_3 src1_sel:DWORD
	s_andn2_b64 s[4:5], s[4:5], exec
	s_and_b64 s[8:9], s[8:9], exec
	s_or_b64 s[4:5], s[4:5], s[8:9]
	s_or_b64 exec, exec, s[6:7]
	s_and_saveexec_b64 s[6:7], s[4:5]
	s_cbranch_execnz .LBB3_603
	s_branch .LBB3_604
.LBB3_2653:
	s_movk_i32 s4, 0x80
	v_cmp_eq_u16_sdwa s[12:13], v4, s4 src0_sel:BYTE_3 src1_sel:DWORD
	s_mov_b64 s[4:5], -1
                                        ; implicit-def: $sgpr10
	s_and_saveexec_b64 s[8:9], s[12:13]
; %bb.2654:
	s_mov_b32 s10, 0x7f800001
	s_xor_b64 s[4:5], exec, -1
; %bb.2655:
	s_or_b64 exec, exec, s[8:9]
	s_and_b64 s[4:5], s[4:5], exec
	s_or_saveexec_b64 s[6:7], s[6:7]
	v_mov_b32_e32 v3, s10
	s_xor_b64 exec, exec, s[6:7]
	s_cbranch_execz .LBB3_606
.LBB3_2656:
	v_mov_b32_e32 v3, 0
	v_cmp_ne_u16_sdwa s[8:9], v4, v3 src0_sel:BYTE_3 src1_sel:DWORD
	s_andn2_b64 s[4:5], s[4:5], exec
	s_and_b64 s[8:9], s[8:9], exec
	s_or_b64 s[4:5], s[4:5], s[8:9]
	s_or_b64 exec, exec, s[6:7]
	s_and_saveexec_b64 s[6:7], s[4:5]
	s_cbranch_execnz .LBB3_607
	s_branch .LBB3_608
.LBB3_2657:
	s_movk_i32 s4, 0x80
	v_cmp_eq_u16_sdwa s[12:13], v9, s4 src0_sel:BYTE_0 src1_sel:DWORD
	s_mov_b64 s[4:5], -1
                                        ; implicit-def: $sgpr10
	s_and_saveexec_b64 s[8:9], s[12:13]
; %bb.2658:
	s_mov_b32 s10, 0x7f800001
	s_xor_b64 s[4:5], exec, -1
; %bb.2659:
	s_or_b64 exec, exec, s[8:9]
	s_and_b64 s[4:5], s[4:5], exec
	s_or_saveexec_b64 s[6:7], s[6:7]
	v_mov_b32_e32 v2, s10
	s_xor_b64 exec, exec, s[6:7]
	s_cbranch_execz .LBB3_610
.LBB3_2660:
	v_mov_b32_e32 v2, 0
	v_cmp_ne_u16_sdwa s[8:9], v9, v2 src0_sel:BYTE_0 src1_sel:DWORD
	s_andn2_b64 s[4:5], s[4:5], exec
	s_and_b64 s[8:9], s[8:9], exec
	s_or_b64 s[4:5], s[4:5], s[8:9]
	s_or_b64 exec, exec, s[6:7]
	s_and_saveexec_b64 s[6:7], s[4:5]
	s_cbranch_execnz .LBB3_611
	s_branch .LBB3_612
.LBB3_2661:
	s_movk_i32 s4, 0x80
	v_cmp_eq_u16_sdwa s[12:13], v5, s4 src0_sel:BYTE_0 src1_sel:DWORD
	s_mov_b64 s[4:5], -1
                                        ; implicit-def: $sgpr10
	s_and_saveexec_b64 s[8:9], s[12:13]
; %bb.2662:
	s_mov_b32 s10, 0x7f800001
	s_xor_b64 s[4:5], exec, -1
; %bb.2663:
	s_or_b64 exec, exec, s[8:9]
	s_and_b64 s[4:5], s[4:5], exec
	s_or_saveexec_b64 s[6:7], s[6:7]
	v_mov_b32_e32 v3, s10
	s_xor_b64 exec, exec, s[6:7]
	s_cbranch_execz .LBB3_614
.LBB3_2664:
	v_mov_b32_e32 v3, 0
	v_cmp_ne_u16_sdwa s[8:9], v5, v3 src0_sel:BYTE_0 src1_sel:DWORD
	s_andn2_b64 s[4:5], s[4:5], exec
	s_and_b64 s[8:9], s[8:9], exec
	s_or_b64 s[4:5], s[4:5], s[8:9]
	s_or_b64 exec, exec, s[6:7]
	s_and_saveexec_b64 s[6:7], s[4:5]
	s_cbranch_execnz .LBB3_615
	s_branch .LBB3_616
.LBB3_2665:
	s_movk_i32 s4, 0x80
	v_cmp_eq_u16_sdwa s[12:13], v3, s4 src0_sel:BYTE_0 src1_sel:DWORD
	s_mov_b64 s[4:5], -1
                                        ; implicit-def: $sgpr10
	s_and_saveexec_b64 s[8:9], s[12:13]
; %bb.2666:
	s_mov_b32 s10, 0x7f800001
	s_xor_b64 s[4:5], exec, -1
; %bb.2667:
	s_or_b64 exec, exec, s[8:9]
	s_and_b64 s[4:5], s[4:5], exec
	s_or_saveexec_b64 s[6:7], s[6:7]
	v_mov_b32_e32 v2, s10
	s_xor_b64 exec, exec, s[6:7]
	s_cbranch_execz .LBB3_618
.LBB3_2668:
	v_mov_b32_e32 v2, 0
	v_cmp_ne_u16_sdwa s[8:9], v3, v2 src0_sel:BYTE_0 src1_sel:DWORD
	s_andn2_b64 s[4:5], s[4:5], exec
	s_and_b64 s[8:9], s[8:9], exec
	s_or_b64 s[4:5], s[4:5], s[8:9]
	s_or_b64 exec, exec, s[6:7]
	s_and_saveexec_b64 s[6:7], s[4:5]
	s_cbranch_execnz .LBB3_619
	s_branch .LBB3_620
.LBB3_2669:
	s_movk_i32 s4, 0x80
	v_cmp_eq_u16_sdwa s[12:13], v3, s4 src0_sel:BYTE_0 src1_sel:DWORD
	s_mov_b64 s[4:5], -1
                                        ; implicit-def: $sgpr10
	s_and_saveexec_b64 s[8:9], s[12:13]
; %bb.2670:
	s_mov_b32 s10, 0x7f800001
	s_xor_b64 s[4:5], exec, -1
; %bb.2671:
	s_or_b64 exec, exec, s[8:9]
	s_and_b64 s[4:5], s[4:5], exec
	s_or_saveexec_b64 s[6:7], s[6:7]
	v_mov_b32_e32 v4, s10
	s_xor_b64 exec, exec, s[6:7]
	s_cbranch_execz .LBB3_622
.LBB3_2672:
	v_mov_b32_e32 v4, 0
	v_cmp_ne_u16_sdwa s[8:9], v3, v4 src0_sel:BYTE_0 src1_sel:DWORD
	s_andn2_b64 s[4:5], s[4:5], exec
	s_and_b64 s[8:9], s[8:9], exec
	s_or_b64 s[4:5], s[4:5], s[8:9]
	s_or_b64 exec, exec, s[6:7]
	s_and_saveexec_b64 s[6:7], s[4:5]
	s_cbranch_execnz .LBB3_623
	s_branch .LBB3_624
.LBB3_2673:
	s_movk_i32 s4, 0x80
	v_cmp_eq_u16_e32 vcc, s4, v3
	s_mov_b64 s[4:5], -1
                                        ; implicit-def: $sgpr10
	s_and_saveexec_b64 s[8:9], vcc
; %bb.2674:
	s_mov_b32 s10, 0x7f800001
	s_xor_b64 s[4:5], exec, -1
; %bb.2675:
	s_or_b64 exec, exec, s[8:9]
	s_and_b64 s[4:5], s[4:5], exec
                                        ; implicit-def: $vgpr3
	s_or_saveexec_b64 s[6:7], s[6:7]
	v_mov_b32_e32 v2, s10
	s_xor_b64 exec, exec, s[6:7]
	s_cbranch_execz .LBB3_626
.LBB3_2676:
	v_cmp_ne_u16_e32 vcc, 0, v3
	s_andn2_b64 s[4:5], s[4:5], exec
	s_and_b64 s[8:9], vcc, exec
	v_mov_b32_e32 v2, 0
	s_or_b64 s[4:5], s[4:5], s[8:9]
	s_or_b64 exec, exec, s[6:7]
	s_and_saveexec_b64 s[6:7], s[4:5]
	s_cbranch_execnz .LBB3_627
	s_branch .LBB3_628
.LBB3_2677:
	s_movk_i32 s4, 0x80
	v_cmp_eq_u16_e32 vcc, s4, v3
	s_mov_b64 s[4:5], -1
                                        ; implicit-def: $sgpr10
	s_and_saveexec_b64 s[8:9], vcc
; %bb.2678:
	s_mov_b32 s10, 0x7f800001
	s_xor_b64 s[4:5], exec, -1
; %bb.2679:
	s_or_b64 exec, exec, s[8:9]
	s_and_b64 s[4:5], s[4:5], exec
                                        ; implicit-def: $vgpr3
	s_or_saveexec_b64 s[6:7], s[6:7]
	v_mov_b32_e32 v4, s10
	s_xor_b64 exec, exec, s[6:7]
	s_cbranch_execz .LBB3_630
.LBB3_2680:
	v_cmp_ne_u16_e32 vcc, 0, v3
	s_andn2_b64 s[4:5], s[4:5], exec
	s_and_b64 s[8:9], vcc, exec
	v_mov_b32_e32 v4, 0
	s_or_b64 s[4:5], s[4:5], s[8:9]
	s_or_b64 exec, exec, s[6:7]
	s_and_saveexec_b64 s[6:7], s[4:5]
	s_cbranch_execnz .LBB3_631
	s_branch .LBB3_632
.LBB3_2681:
	s_movk_i32 s4, 0x80
	v_cmp_eq_u16_sdwa s[12:13], v9, s4 src0_sel:BYTE_3 src1_sel:DWORD
	s_mov_b64 s[4:5], -1
                                        ; implicit-def: $sgpr10
	s_and_saveexec_b64 s[8:9], s[12:13]
; %bb.2682:
	s_mov_b32 s10, 0x7f800001
	s_xor_b64 s[4:5], exec, -1
; %bb.2683:
	s_or_b64 exec, exec, s[8:9]
	s_and_b64 s[4:5], s[4:5], exec
	s_or_saveexec_b64 s[6:7], s[6:7]
	v_mov_b32_e32 v2, s10
	s_xor_b64 exec, exec, s[6:7]
	s_cbranch_execz .LBB3_634
.LBB3_2684:
	v_mov_b32_e32 v2, 0
	v_cmp_ne_u16_sdwa s[8:9], v9, v2 src0_sel:BYTE_3 src1_sel:DWORD
	s_andn2_b64 s[4:5], s[4:5], exec
	s_and_b64 s[8:9], s[8:9], exec
	s_or_b64 s[4:5], s[4:5], s[8:9]
	s_or_b64 exec, exec, s[6:7]
	s_and_saveexec_b64 s[6:7], s[4:5]
	s_cbranch_execnz .LBB3_635
	s_branch .LBB3_636
.LBB3_2685:
	s_movk_i32 s4, 0x80
	v_cmp_eq_u16_sdwa s[12:13], v5, s4 src0_sel:BYTE_3 src1_sel:DWORD
	s_mov_b64 s[4:5], -1
                                        ; implicit-def: $sgpr10
	s_and_saveexec_b64 s[8:9], s[12:13]
; %bb.2686:
	s_mov_b32 s10, 0x7f800001
	s_xor_b64 s[4:5], exec, -1
; %bb.2687:
	s_or_b64 exec, exec, s[8:9]
	s_and_b64 s[4:5], s[4:5], exec
	s_or_saveexec_b64 s[6:7], s[6:7]
	v_mov_b32_e32 v3, s10
	s_xor_b64 exec, exec, s[6:7]
	s_cbranch_execz .LBB3_638
.LBB3_2688:
	v_mov_b32_e32 v3, 0
	v_cmp_ne_u16_sdwa s[8:9], v5, v3 src0_sel:BYTE_3 src1_sel:DWORD
	s_andn2_b64 s[4:5], s[4:5], exec
	s_and_b64 s[8:9], s[8:9], exec
	s_or_b64 s[4:5], s[4:5], s[8:9]
	s_or_b64 exec, exec, s[6:7]
	s_and_saveexec_b64 s[6:7], s[4:5]
	s_cbranch_execnz .LBB3_639
	s_branch .LBB3_640
.LBB3_2689:
	s_movk_i32 s4, 0x80
	v_cmp_eq_u16_sdwa s[12:13], v6, s4 src0_sel:BYTE_0 src1_sel:DWORD
	s_mov_b64 s[4:5], -1
                                        ; implicit-def: $sgpr10
	s_and_saveexec_b64 s[8:9], s[12:13]
; %bb.2690:
	s_mov_b32 s10, 0x7f800001
	s_xor_b64 s[4:5], exec, -1
; %bb.2691:
	s_or_b64 exec, exec, s[8:9]
	s_and_b64 s[4:5], s[4:5], exec
	s_or_saveexec_b64 s[6:7], s[6:7]
	v_mov_b32_e32 v12, s10
	s_xor_b64 exec, exec, s[6:7]
	s_cbranch_execz .LBB3_642
.LBB3_2692:
	v_mov_b32_e32 v12, 0
	v_cmp_ne_u16_sdwa s[8:9], v6, v12 src0_sel:BYTE_0 src1_sel:DWORD
	s_andn2_b64 s[4:5], s[4:5], exec
	s_and_b64 s[8:9], s[8:9], exec
	s_or_b64 s[4:5], s[4:5], s[8:9]
	s_or_b64 exec, exec, s[6:7]
	s_and_saveexec_b64 s[6:7], s[4:5]
	s_cbranch_execnz .LBB3_643
	s_branch .LBB3_644
.LBB3_2693:
	s_movk_i32 s4, 0x80
	v_cmp_eq_u16_sdwa s[12:13], v2, s4 src0_sel:BYTE_0 src1_sel:DWORD
	s_mov_b64 s[4:5], -1
                                        ; implicit-def: $sgpr10
	s_and_saveexec_b64 s[8:9], s[12:13]
; %bb.2694:
	s_mov_b32 s10, 0x7f800001
	s_xor_b64 s[4:5], exec, -1
; %bb.2695:
	s_or_b64 exec, exec, s[8:9]
	s_and_b64 s[4:5], s[4:5], exec
	s_or_saveexec_b64 s[6:7], s[6:7]
	v_mov_b32_e32 v13, s10
	s_xor_b64 exec, exec, s[6:7]
	s_cbranch_execz .LBB3_646
.LBB3_2696:
	v_mov_b32_e32 v13, 0
	v_cmp_ne_u16_sdwa s[8:9], v2, v13 src0_sel:BYTE_0 src1_sel:DWORD
	s_andn2_b64 s[4:5], s[4:5], exec
	s_and_b64 s[8:9], s[8:9], exec
	s_or_b64 s[4:5], s[4:5], s[8:9]
	s_or_b64 exec, exec, s[6:7]
	s_and_saveexec_b64 s[6:7], s[4:5]
	s_cbranch_execnz .LBB3_647
	s_branch .LBB3_648
.LBB3_2697:
	s_movk_i32 s4, 0x80
	v_cmp_eq_u16_sdwa s[12:13], v13, s4 src0_sel:BYTE_0 src1_sel:DWORD
	s_mov_b64 s[4:5], -1
                                        ; implicit-def: $sgpr10
	s_and_saveexec_b64 s[8:9], s[12:13]
; %bb.2698:
	s_mov_b32 s10, 0x7f800001
	s_xor_b64 s[4:5], exec, -1
; %bb.2699:
	s_or_b64 exec, exec, s[8:9]
	s_and_b64 s[4:5], s[4:5], exec
	s_or_saveexec_b64 s[6:7], s[6:7]
	v_mov_b32_e32 v12, s10
	s_xor_b64 exec, exec, s[6:7]
	s_cbranch_execz .LBB3_650
.LBB3_2700:
	v_mov_b32_e32 v12, 0
	v_cmp_ne_u16_sdwa s[8:9], v13, v12 src0_sel:BYTE_0 src1_sel:DWORD
	s_andn2_b64 s[4:5], s[4:5], exec
	s_and_b64 s[8:9], s[8:9], exec
	s_or_b64 s[4:5], s[4:5], s[8:9]
	s_or_b64 exec, exec, s[6:7]
	s_and_saveexec_b64 s[6:7], s[4:5]
	s_cbranch_execnz .LBB3_651
	s_branch .LBB3_652
.LBB3_2701:
	s_movk_i32 s4, 0x80
	v_cmp_eq_u16_sdwa s[12:13], v13, s4 src0_sel:BYTE_0 src1_sel:DWORD
	s_mov_b64 s[4:5], -1
                                        ; implicit-def: $sgpr10
	s_and_saveexec_b64 s[8:9], s[12:13]
; %bb.2702:
	s_mov_b32 s10, 0x7f800001
	s_xor_b64 s[4:5], exec, -1
; %bb.2703:
	s_or_b64 exec, exec, s[8:9]
	s_and_b64 s[4:5], s[4:5], exec
	s_or_saveexec_b64 s[6:7], s[6:7]
	v_mov_b32_e32 v14, s10
	s_xor_b64 exec, exec, s[6:7]
	s_cbranch_execz .LBB3_654
.LBB3_2704:
	v_mov_b32_e32 v14, 0
	v_cmp_ne_u16_sdwa s[8:9], v13, v14 src0_sel:BYTE_0 src1_sel:DWORD
	s_andn2_b64 s[4:5], s[4:5], exec
	s_and_b64 s[8:9], s[8:9], exec
	s_or_b64 s[4:5], s[4:5], s[8:9]
	s_or_b64 exec, exec, s[6:7]
	s_and_saveexec_b64 s[6:7], s[4:5]
	s_cbranch_execnz .LBB3_655
	s_branch .LBB3_656
.LBB3_2705:
	s_movk_i32 s4, 0x80
	v_cmp_eq_u16_e32 vcc, s4, v13
	s_mov_b64 s[4:5], -1
                                        ; implicit-def: $sgpr10
	s_and_saveexec_b64 s[8:9], vcc
; %bb.2706:
	s_mov_b32 s10, 0x7f800001
	s_xor_b64 s[4:5], exec, -1
; %bb.2707:
	s_or_b64 exec, exec, s[8:9]
	s_and_b64 s[4:5], s[4:5], exec
                                        ; implicit-def: $vgpr13
	s_or_saveexec_b64 s[6:7], s[6:7]
	v_mov_b32_e32 v12, s10
	s_xor_b64 exec, exec, s[6:7]
	s_cbranch_execz .LBB3_658
.LBB3_2708:
	v_cmp_ne_u16_e32 vcc, 0, v13
	s_andn2_b64 s[4:5], s[4:5], exec
	s_and_b64 s[8:9], vcc, exec
	v_mov_b32_e32 v12, 0
	s_or_b64 s[4:5], s[4:5], s[8:9]
	s_or_b64 exec, exec, s[6:7]
	s_and_saveexec_b64 s[6:7], s[4:5]
	s_cbranch_execnz .LBB3_659
	s_branch .LBB3_660
.LBB3_2709:
	s_movk_i32 s4, 0x80
	v_cmp_eq_u16_e32 vcc, s4, v13
	s_mov_b64 s[4:5], -1
                                        ; implicit-def: $sgpr10
	s_and_saveexec_b64 s[8:9], vcc
; %bb.2710:
	s_mov_b32 s10, 0x7f800001
	s_xor_b64 s[4:5], exec, -1
; %bb.2711:
	s_or_b64 exec, exec, s[8:9]
	s_and_b64 s[4:5], s[4:5], exec
                                        ; implicit-def: $vgpr13
	s_or_saveexec_b64 s[6:7], s[6:7]
	v_mov_b32_e32 v14, s10
	s_xor_b64 exec, exec, s[6:7]
	s_cbranch_execz .LBB3_662
.LBB3_2712:
	v_cmp_ne_u16_e32 vcc, 0, v13
	s_andn2_b64 s[4:5], s[4:5], exec
	s_and_b64 s[8:9], vcc, exec
	v_mov_b32_e32 v14, 0
	s_or_b64 s[4:5], s[4:5], s[8:9]
	s_or_b64 exec, exec, s[6:7]
	s_and_saveexec_b64 s[6:7], s[4:5]
	s_cbranch_execnz .LBB3_663
	s_branch .LBB3_664
.LBB3_2713:
	s_movk_i32 s4, 0x80
	v_cmp_eq_u16_sdwa s[12:13], v6, s4 src0_sel:BYTE_3 src1_sel:DWORD
	s_mov_b64 s[4:5], -1
                                        ; implicit-def: $sgpr10
	s_and_saveexec_b64 s[8:9], s[12:13]
; %bb.2714:
	s_mov_b32 s10, 0x7f800001
	s_xor_b64 s[4:5], exec, -1
; %bb.2715:
	s_or_b64 exec, exec, s[8:9]
	s_and_b64 s[4:5], s[4:5], exec
	s_or_saveexec_b64 s[6:7], s[6:7]
	v_mov_b32_e32 v12, s10
	s_xor_b64 exec, exec, s[6:7]
	s_cbranch_execz .LBB3_666
.LBB3_2716:
	v_mov_b32_e32 v12, 0
	v_cmp_ne_u16_sdwa s[8:9], v6, v12 src0_sel:BYTE_3 src1_sel:DWORD
	s_andn2_b64 s[4:5], s[4:5], exec
	s_and_b64 s[8:9], s[8:9], exec
	s_or_b64 s[4:5], s[4:5], s[8:9]
	s_or_b64 exec, exec, s[6:7]
	s_and_saveexec_b64 s[6:7], s[4:5]
	s_cbranch_execnz .LBB3_667
	s_branch .LBB3_668
.LBB3_2717:
	s_movk_i32 s4, 0x80
	v_cmp_eq_u16_sdwa s[12:13], v2, s4 src0_sel:BYTE_3 src1_sel:DWORD
	s_mov_b64 s[4:5], -1
                                        ; implicit-def: $sgpr10
	s_and_saveexec_b64 s[8:9], s[12:13]
; %bb.2718:
	s_mov_b32 s10, 0x7f800001
	s_xor_b64 s[4:5], exec, -1
; %bb.2719:
	s_or_b64 exec, exec, s[8:9]
	s_and_b64 s[4:5], s[4:5], exec
	s_or_saveexec_b64 s[6:7], s[6:7]
	v_mov_b32_e32 v6, s10
	s_xor_b64 exec, exec, s[6:7]
	s_cbranch_execz .LBB3_670
.LBB3_2720:
	v_mov_b32_e32 v6, 0
	v_cmp_ne_u16_sdwa s[8:9], v2, v6 src0_sel:BYTE_3 src1_sel:DWORD
	s_andn2_b64 s[4:5], s[4:5], exec
	s_and_b64 s[8:9], s[8:9], exec
	s_or_b64 s[4:5], s[4:5], s[8:9]
	s_or_b64 exec, exec, s[6:7]
	s_and_saveexec_b64 s[6:7], s[4:5]
	s_cbranch_execnz .LBB3_671
	s_branch .LBB3_672
.LBB3_2721:
	s_movk_i32 s4, 0x80
	v_cmp_eq_u16_sdwa s[12:13], v7, s4 src0_sel:BYTE_0 src1_sel:DWORD
	s_mov_b64 s[4:5], -1
                                        ; implicit-def: $sgpr10
	s_and_saveexec_b64 s[8:9], s[12:13]
; %bb.2722:
	s_mov_b32 s10, 0x7f800001
	s_xor_b64 s[4:5], exec, -1
; %bb.2723:
	s_or_b64 exec, exec, s[8:9]
	s_and_b64 s[4:5], s[4:5], exec
	s_or_saveexec_b64 s[6:7], s[6:7]
	v_mov_b32_e32 v2, s10
	s_xor_b64 exec, exec, s[6:7]
	s_cbranch_execz .LBB3_674
.LBB3_2724:
	v_mov_b32_e32 v2, 0
	v_cmp_ne_u16_sdwa s[8:9], v7, v2 src0_sel:BYTE_0 src1_sel:DWORD
	s_andn2_b64 s[4:5], s[4:5], exec
	s_and_b64 s[8:9], s[8:9], exec
	s_or_b64 s[4:5], s[4:5], s[8:9]
	s_or_b64 exec, exec, s[6:7]
	s_and_saveexec_b64 s[6:7], s[4:5]
	s_cbranch_execnz .LBB3_675
	s_branch .LBB3_676
.LBB3_2725:
	s_movk_i32 s4, 0x80
	v_cmp_eq_u16_sdwa s[12:13], v3, s4 src0_sel:BYTE_0 src1_sel:DWORD
	s_mov_b64 s[4:5], -1
                                        ; implicit-def: $sgpr10
	s_and_saveexec_b64 s[8:9], s[12:13]
; %bb.2726:
	s_mov_b32 s10, 0x7f800001
	s_xor_b64 s[4:5], exec, -1
; %bb.2727:
	s_or_b64 exec, exec, s[8:9]
	s_and_b64 s[4:5], s[4:5], exec
	s_or_saveexec_b64 s[6:7], s[6:7]
	v_mov_b32_e32 v6, s10
	s_xor_b64 exec, exec, s[6:7]
	s_cbranch_execz .LBB3_678
.LBB3_2728:
	v_mov_b32_e32 v6, 0
	v_cmp_ne_u16_sdwa s[8:9], v3, v6 src0_sel:BYTE_0 src1_sel:DWORD
	s_andn2_b64 s[4:5], s[4:5], exec
	s_and_b64 s[8:9], s[8:9], exec
	s_or_b64 s[4:5], s[4:5], s[8:9]
	s_or_b64 exec, exec, s[6:7]
	s_and_saveexec_b64 s[6:7], s[4:5]
	s_cbranch_execnz .LBB3_679
	s_branch .LBB3_680
.LBB3_2729:
	s_movk_i32 s4, 0x80
	v_cmp_eq_u16_sdwa s[12:13], v6, s4 src0_sel:BYTE_0 src1_sel:DWORD
	s_mov_b64 s[4:5], -1
                                        ; implicit-def: $sgpr10
	s_and_saveexec_b64 s[8:9], s[12:13]
; %bb.2730:
	s_mov_b32 s10, 0x7f800001
	s_xor_b64 s[4:5], exec, -1
; %bb.2731:
	s_or_b64 exec, exec, s[8:9]
	s_and_b64 s[4:5], s[4:5], exec
	s_or_saveexec_b64 s[6:7], s[6:7]
	v_mov_b32_e32 v2, s10
	s_xor_b64 exec, exec, s[6:7]
	s_cbranch_execz .LBB3_682
.LBB3_2732:
	v_mov_b32_e32 v2, 0
	v_cmp_ne_u16_sdwa s[8:9], v6, v2 src0_sel:BYTE_0 src1_sel:DWORD
	s_andn2_b64 s[4:5], s[4:5], exec
	s_and_b64 s[8:9], s[8:9], exec
	s_or_b64 s[4:5], s[4:5], s[8:9]
	s_or_b64 exec, exec, s[6:7]
	s_and_saveexec_b64 s[6:7], s[4:5]
	s_cbranch_execnz .LBB3_683
	s_branch .LBB3_684
.LBB3_2733:
	s_movk_i32 s4, 0x80
	v_cmp_eq_u16_sdwa s[12:13], v6, s4 src0_sel:BYTE_0 src1_sel:DWORD
	s_mov_b64 s[4:5], -1
                                        ; implicit-def: $sgpr10
	s_and_saveexec_b64 s[8:9], s[12:13]
; %bb.2734:
	s_mov_b32 s10, 0x7f800001
	s_xor_b64 s[4:5], exec, -1
; %bb.2735:
	s_or_b64 exec, exec, s[8:9]
	s_and_b64 s[4:5], s[4:5], exec
	s_or_saveexec_b64 s[6:7], s[6:7]
	v_mov_b32_e32 v12, s10
	s_xor_b64 exec, exec, s[6:7]
	s_cbranch_execz .LBB3_686
.LBB3_2736:
	v_mov_b32_e32 v12, 0
	v_cmp_ne_u16_sdwa s[8:9], v6, v12 src0_sel:BYTE_0 src1_sel:DWORD
	s_andn2_b64 s[4:5], s[4:5], exec
	s_and_b64 s[8:9], s[8:9], exec
	s_or_b64 s[4:5], s[4:5], s[8:9]
	s_or_b64 exec, exec, s[6:7]
	s_and_saveexec_b64 s[6:7], s[4:5]
	s_cbranch_execnz .LBB3_687
	s_branch .LBB3_688
.LBB3_2737:
	s_movk_i32 s4, 0x80
	v_cmp_eq_u16_e32 vcc, s4, v6
	s_mov_b64 s[4:5], -1
                                        ; implicit-def: $sgpr10
	s_and_saveexec_b64 s[8:9], vcc
; %bb.2738:
	s_mov_b32 s10, 0x7f800001
	s_xor_b64 s[4:5], exec, -1
; %bb.2739:
	s_or_b64 exec, exec, s[8:9]
	s_and_b64 s[4:5], s[4:5], exec
                                        ; implicit-def: $vgpr6
	s_or_saveexec_b64 s[6:7], s[6:7]
	v_mov_b32_e32 v2, s10
	s_xor_b64 exec, exec, s[6:7]
	s_cbranch_execz .LBB3_690
.LBB3_2740:
	v_cmp_ne_u16_e32 vcc, 0, v6
	s_andn2_b64 s[4:5], s[4:5], exec
	s_and_b64 s[8:9], vcc, exec
	v_mov_b32_e32 v2, 0
	s_or_b64 s[4:5], s[4:5], s[8:9]
	s_or_b64 exec, exec, s[6:7]
	s_and_saveexec_b64 s[6:7], s[4:5]
	s_cbranch_execnz .LBB3_691
	s_branch .LBB3_692
.LBB3_2741:
	s_movk_i32 s4, 0x80
	v_cmp_eq_u16_e32 vcc, s4, v6
	s_mov_b64 s[4:5], -1
                                        ; implicit-def: $sgpr10
	s_and_saveexec_b64 s[8:9], vcc
; %bb.2742:
	s_mov_b32 s10, 0x7f800001
	s_xor_b64 s[4:5], exec, -1
; %bb.2743:
	s_or_b64 exec, exec, s[8:9]
	s_and_b64 s[4:5], s[4:5], exec
                                        ; implicit-def: $vgpr6
	s_or_saveexec_b64 s[6:7], s[6:7]
	v_mov_b32_e32 v12, s10
	s_xor_b64 exec, exec, s[6:7]
	s_cbranch_execz .LBB3_694
.LBB3_2744:
	v_cmp_ne_u16_e32 vcc, 0, v6
	s_andn2_b64 s[4:5], s[4:5], exec
	s_and_b64 s[8:9], vcc, exec
	v_mov_b32_e32 v12, 0
	s_or_b64 s[4:5], s[4:5], s[8:9]
	s_or_b64 exec, exec, s[6:7]
	s_and_saveexec_b64 s[6:7], s[4:5]
	s_cbranch_execnz .LBB3_695
	s_branch .LBB3_696
.LBB3_2745:
	s_movk_i32 s4, 0x80
	v_cmp_eq_u16_sdwa s[12:13], v7, s4 src0_sel:BYTE_3 src1_sel:DWORD
	s_mov_b64 s[4:5], -1
                                        ; implicit-def: $sgpr10
	s_and_saveexec_b64 s[8:9], s[12:13]
; %bb.2746:
	s_mov_b32 s10, 0x7f800001
	s_xor_b64 s[4:5], exec, -1
; %bb.2747:
	s_or_b64 exec, exec, s[8:9]
	s_and_b64 s[4:5], s[4:5], exec
	s_or_saveexec_b64 s[6:7], s[6:7]
	v_mov_b32_e32 v2, s10
	s_xor_b64 exec, exec, s[6:7]
	s_cbranch_execz .LBB3_698
.LBB3_2748:
	v_mov_b32_e32 v2, 0
	v_cmp_ne_u16_sdwa s[8:9], v7, v2 src0_sel:BYTE_3 src1_sel:DWORD
	s_andn2_b64 s[4:5], s[4:5], exec
	s_and_b64 s[8:9], s[8:9], exec
	s_or_b64 s[4:5], s[4:5], s[8:9]
	s_or_b64 exec, exec, s[6:7]
	s_and_saveexec_b64 s[6:7], s[4:5]
	s_cbranch_execnz .LBB3_699
	s_branch .LBB3_700
.LBB3_2749:
	s_movk_i32 s4, 0x80
	v_cmp_eq_u16_sdwa s[12:13], v3, s4 src0_sel:BYTE_3 src1_sel:DWORD
	s_mov_b64 s[4:5], -1
                                        ; implicit-def: $sgpr10
	s_and_saveexec_b64 s[8:9], s[12:13]
; %bb.2750:
	s_mov_b32 s10, 0x7f800001
	s_xor_b64 s[4:5], exec, -1
; %bb.2751:
	s_or_b64 exec, exec, s[8:9]
	s_and_b64 s[4:5], s[4:5], exec
	s_or_saveexec_b64 s[6:7], s[6:7]
	v_mov_b32_e32 v6, s10
	s_xor_b64 exec, exec, s[6:7]
	s_cbranch_execz .LBB3_702
.LBB3_2752:
	v_mov_b32_e32 v6, 0
	v_cmp_ne_u16_sdwa s[8:9], v3, v6 src0_sel:BYTE_3 src1_sel:DWORD
	s_andn2_b64 s[4:5], s[4:5], exec
	s_and_b64 s[8:9], s[8:9], exec
	s_or_b64 s[4:5], s[4:5], s[8:9]
	s_or_b64 exec, exec, s[6:7]
	s_and_saveexec_b64 s[6:7], s[4:5]
	s_cbranch_execnz .LBB3_703
	s_branch .LBB3_704
.LBB3_2753:
	s_movk_i32 s4, 0x80
	v_cmp_eq_u16_sdwa s[12:13], v8, s4 src0_sel:BYTE_0 src1_sel:DWORD
	s_mov_b64 s[4:5], -1
                                        ; implicit-def: $sgpr10
	s_and_saveexec_b64 s[8:9], s[12:13]
; %bb.2754:
	s_mov_b32 s10, 0x7f800001
	s_xor_b64 s[4:5], exec, -1
; %bb.2755:
	s_or_b64 exec, exec, s[8:9]
	s_and_b64 s[4:5], s[4:5], exec
	s_or_saveexec_b64 s[6:7], s[6:7]
	v_mov_b32_e32 v2, s10
	s_xor_b64 exec, exec, s[6:7]
	s_cbranch_execz .LBB3_706
.LBB3_2756:
	v_mov_b32_e32 v2, 0
	v_cmp_ne_u16_sdwa s[8:9], v8, v2 src0_sel:BYTE_0 src1_sel:DWORD
	s_andn2_b64 s[4:5], s[4:5], exec
	s_and_b64 s[8:9], s[8:9], exec
	s_or_b64 s[4:5], s[4:5], s[8:9]
	s_or_b64 exec, exec, s[6:7]
	s_and_saveexec_b64 s[6:7], s[4:5]
	s_cbranch_execnz .LBB3_707
	s_branch .LBB3_708
.LBB3_2757:
	s_movk_i32 s4, 0x80
	v_cmp_eq_u16_sdwa s[12:13], v4, s4 src0_sel:BYTE_0 src1_sel:DWORD
	s_mov_b64 s[4:5], -1
                                        ; implicit-def: $sgpr10
	s_and_saveexec_b64 s[8:9], s[12:13]
; %bb.2758:
	s_mov_b32 s10, 0x7f800001
	s_xor_b64 s[4:5], exec, -1
; %bb.2759:
	s_or_b64 exec, exec, s[8:9]
	s_and_b64 s[4:5], s[4:5], exec
	s_or_saveexec_b64 s[6:7], s[6:7]
	v_mov_b32_e32 v3, s10
	s_xor_b64 exec, exec, s[6:7]
	s_cbranch_execz .LBB3_710
.LBB3_2760:
	v_mov_b32_e32 v3, 0
	v_cmp_ne_u16_sdwa s[8:9], v4, v3 src0_sel:BYTE_0 src1_sel:DWORD
	s_andn2_b64 s[4:5], s[4:5], exec
	s_and_b64 s[8:9], s[8:9], exec
	s_or_b64 s[4:5], s[4:5], s[8:9]
	s_or_b64 exec, exec, s[6:7]
	s_and_saveexec_b64 s[6:7], s[4:5]
	s_cbranch_execnz .LBB3_711
	s_branch .LBB3_712
.LBB3_2761:
	s_movk_i32 s4, 0x80
	v_cmp_eq_u16_sdwa s[12:13], v3, s4 src0_sel:BYTE_0 src1_sel:DWORD
	s_mov_b64 s[4:5], -1
                                        ; implicit-def: $sgpr10
	s_and_saveexec_b64 s[8:9], s[12:13]
; %bb.2762:
	s_mov_b32 s10, 0x7f800001
	s_xor_b64 s[4:5], exec, -1
; %bb.2763:
	s_or_b64 exec, exec, s[8:9]
	s_and_b64 s[4:5], s[4:5], exec
	s_or_saveexec_b64 s[6:7], s[6:7]
	v_mov_b32_e32 v2, s10
	s_xor_b64 exec, exec, s[6:7]
	s_cbranch_execz .LBB3_714
.LBB3_2764:
	v_mov_b32_e32 v2, 0
	v_cmp_ne_u16_sdwa s[8:9], v3, v2 src0_sel:BYTE_0 src1_sel:DWORD
	s_andn2_b64 s[4:5], s[4:5], exec
	s_and_b64 s[8:9], s[8:9], exec
	s_or_b64 s[4:5], s[4:5], s[8:9]
	s_or_b64 exec, exec, s[6:7]
	s_and_saveexec_b64 s[6:7], s[4:5]
	s_cbranch_execnz .LBB3_715
	s_branch .LBB3_716
.LBB3_2765:
	s_movk_i32 s4, 0x80
	v_cmp_eq_u16_sdwa s[12:13], v3, s4 src0_sel:BYTE_0 src1_sel:DWORD
	s_mov_b64 s[4:5], -1
                                        ; implicit-def: $sgpr10
	s_and_saveexec_b64 s[8:9], s[12:13]
; %bb.2766:
	s_mov_b32 s10, 0x7f800001
	s_xor_b64 s[4:5], exec, -1
; %bb.2767:
	s_or_b64 exec, exec, s[8:9]
	s_and_b64 s[4:5], s[4:5], exec
	s_or_saveexec_b64 s[6:7], s[6:7]
	v_mov_b32_e32 v6, s10
	s_xor_b64 exec, exec, s[6:7]
	s_cbranch_execz .LBB3_718
.LBB3_2768:
	v_mov_b32_e32 v6, 0
	v_cmp_ne_u16_sdwa s[8:9], v3, v6 src0_sel:BYTE_0 src1_sel:DWORD
	s_andn2_b64 s[4:5], s[4:5], exec
	s_and_b64 s[8:9], s[8:9], exec
	s_or_b64 s[4:5], s[4:5], s[8:9]
	s_or_b64 exec, exec, s[6:7]
	s_and_saveexec_b64 s[6:7], s[4:5]
	s_cbranch_execnz .LBB3_719
	s_branch .LBB3_720
.LBB3_2769:
	s_movk_i32 s4, 0x80
	v_cmp_eq_u16_e32 vcc, s4, v3
	s_mov_b64 s[4:5], -1
                                        ; implicit-def: $sgpr10
	s_and_saveexec_b64 s[8:9], vcc
; %bb.2770:
	s_mov_b32 s10, 0x7f800001
	s_xor_b64 s[4:5], exec, -1
; %bb.2771:
	s_or_b64 exec, exec, s[8:9]
	s_and_b64 s[4:5], s[4:5], exec
                                        ; implicit-def: $vgpr3
	s_or_saveexec_b64 s[6:7], s[6:7]
	v_mov_b32_e32 v2, s10
	s_xor_b64 exec, exec, s[6:7]
	s_cbranch_execz .LBB3_722
.LBB3_2772:
	v_cmp_ne_u16_e32 vcc, 0, v3
	s_andn2_b64 s[4:5], s[4:5], exec
	s_and_b64 s[8:9], vcc, exec
	v_mov_b32_e32 v2, 0
	s_or_b64 s[4:5], s[4:5], s[8:9]
	s_or_b64 exec, exec, s[6:7]
	s_and_saveexec_b64 s[6:7], s[4:5]
	s_cbranch_execnz .LBB3_723
	s_branch .LBB3_724
.LBB3_2773:
	s_movk_i32 s4, 0x80
	v_cmp_eq_u16_e32 vcc, s4, v3
	s_mov_b64 s[4:5], -1
                                        ; implicit-def: $sgpr10
	s_and_saveexec_b64 s[8:9], vcc
; %bb.2774:
	s_mov_b32 s10, 0x7f800001
	s_xor_b64 s[4:5], exec, -1
; %bb.2775:
	s_or_b64 exec, exec, s[8:9]
	s_and_b64 s[4:5], s[4:5], exec
                                        ; implicit-def: $vgpr3
	s_or_saveexec_b64 s[6:7], s[6:7]
	v_mov_b32_e32 v6, s10
	s_xor_b64 exec, exec, s[6:7]
	s_cbranch_execz .LBB3_726
.LBB3_2776:
	v_cmp_ne_u16_e32 vcc, 0, v3
	s_andn2_b64 s[4:5], s[4:5], exec
	s_and_b64 s[8:9], vcc, exec
	v_mov_b32_e32 v6, 0
	s_or_b64 s[4:5], s[4:5], s[8:9]
	s_or_b64 exec, exec, s[6:7]
	s_and_saveexec_b64 s[6:7], s[4:5]
	s_cbranch_execnz .LBB3_727
	s_branch .LBB3_728
.LBB3_2777:
	s_movk_i32 s4, 0x80
	v_cmp_eq_u16_sdwa s[12:13], v8, s4 src0_sel:BYTE_3 src1_sel:DWORD
	s_mov_b64 s[4:5], -1
                                        ; implicit-def: $sgpr10
	s_and_saveexec_b64 s[8:9], s[12:13]
; %bb.2778:
	s_mov_b32 s10, 0x7f800001
	s_xor_b64 s[4:5], exec, -1
; %bb.2779:
	s_or_b64 exec, exec, s[8:9]
	s_and_b64 s[4:5], s[4:5], exec
	s_or_saveexec_b64 s[6:7], s[6:7]
	v_mov_b32_e32 v2, s10
	s_xor_b64 exec, exec, s[6:7]
	s_cbranch_execz .LBB3_730
.LBB3_2780:
	v_mov_b32_e32 v2, 0
	v_cmp_ne_u16_sdwa s[8:9], v8, v2 src0_sel:BYTE_3 src1_sel:DWORD
	s_andn2_b64 s[4:5], s[4:5], exec
	s_and_b64 s[8:9], s[8:9], exec
	s_or_b64 s[4:5], s[4:5], s[8:9]
	s_or_b64 exec, exec, s[6:7]
	s_and_saveexec_b64 s[6:7], s[4:5]
	s_cbranch_execnz .LBB3_731
	s_branch .LBB3_732
.LBB3_2781:
	s_movk_i32 s4, 0x80
	v_cmp_eq_u16_sdwa s[12:13], v4, s4 src0_sel:BYTE_3 src1_sel:DWORD
	s_mov_b64 s[4:5], -1
                                        ; implicit-def: $sgpr10
	s_and_saveexec_b64 s[8:9], s[12:13]
; %bb.2782:
	s_mov_b32 s10, 0x7f800001
	s_xor_b64 s[4:5], exec, -1
; %bb.2783:
	s_or_b64 exec, exec, s[8:9]
	s_and_b64 s[4:5], s[4:5], exec
	s_or_saveexec_b64 s[6:7], s[6:7]
	v_mov_b32_e32 v3, s10
	s_xor_b64 exec, exec, s[6:7]
	s_cbranch_execz .LBB3_734
.LBB3_2784:
	v_mov_b32_e32 v3, 0
	v_cmp_ne_u16_sdwa s[8:9], v4, v3 src0_sel:BYTE_3 src1_sel:DWORD
	s_andn2_b64 s[4:5], s[4:5], exec
	s_and_b64 s[8:9], s[8:9], exec
	s_or_b64 s[4:5], s[4:5], s[8:9]
	s_or_b64 exec, exec, s[6:7]
	s_and_saveexec_b64 s[6:7], s[4:5]
	s_cbranch_execnz .LBB3_735
	s_branch .LBB3_736
.LBB3_2785:
	s_movk_i32 s4, 0x80
	v_cmp_eq_u16_sdwa s[12:13], v9, s4 src0_sel:BYTE_0 src1_sel:DWORD
	s_mov_b64 s[4:5], -1
                                        ; implicit-def: $sgpr10
	s_and_saveexec_b64 s[8:9], s[12:13]
; %bb.2786:
	s_mov_b32 s10, 0x7f800001
	s_xor_b64 s[4:5], exec, -1
; %bb.2787:
	s_or_b64 exec, exec, s[8:9]
	s_and_b64 s[4:5], s[4:5], exec
	s_or_saveexec_b64 s[6:7], s[6:7]
	v_mov_b32_e32 v2, s10
	s_xor_b64 exec, exec, s[6:7]
	s_cbranch_execz .LBB3_738
.LBB3_2788:
	v_mov_b32_e32 v2, 0
	v_cmp_ne_u16_sdwa s[8:9], v9, v2 src0_sel:BYTE_0 src1_sel:DWORD
	s_andn2_b64 s[4:5], s[4:5], exec
	s_and_b64 s[8:9], s[8:9], exec
	s_or_b64 s[4:5], s[4:5], s[8:9]
	s_or_b64 exec, exec, s[6:7]
	s_and_saveexec_b64 s[6:7], s[4:5]
	s_cbranch_execnz .LBB3_739
	s_branch .LBB3_740
.LBB3_2789:
	s_movk_i32 s4, 0x80
	v_cmp_eq_u16_sdwa s[12:13], v5, s4 src0_sel:BYTE_0 src1_sel:DWORD
	s_mov_b64 s[4:5], -1
                                        ; implicit-def: $sgpr10
	s_and_saveexec_b64 s[8:9], s[12:13]
; %bb.2790:
	s_mov_b32 s10, 0x7f800001
	s_xor_b64 s[4:5], exec, -1
; %bb.2791:
	s_or_b64 exec, exec, s[8:9]
	s_and_b64 s[4:5], s[4:5], exec
	s_or_saveexec_b64 s[6:7], s[6:7]
	v_mov_b32_e32 v3, s10
	s_xor_b64 exec, exec, s[6:7]
	s_cbranch_execz .LBB3_742
.LBB3_2792:
	v_mov_b32_e32 v3, 0
	v_cmp_ne_u16_sdwa s[8:9], v5, v3 src0_sel:BYTE_0 src1_sel:DWORD
	s_andn2_b64 s[4:5], s[4:5], exec
	s_and_b64 s[8:9], s[8:9], exec
	s_or_b64 s[4:5], s[4:5], s[8:9]
	s_or_b64 exec, exec, s[6:7]
	s_and_saveexec_b64 s[6:7], s[4:5]
	s_cbranch_execnz .LBB3_743
	s_branch .LBB3_744
.LBB3_2793:
	s_movk_i32 s4, 0x80
	v_cmp_eq_u16_sdwa s[12:13], v3, s4 src0_sel:BYTE_0 src1_sel:DWORD
	s_mov_b64 s[4:5], -1
                                        ; implicit-def: $sgpr10
	s_and_saveexec_b64 s[8:9], s[12:13]
; %bb.2794:
	s_mov_b32 s10, 0x7f800001
	s_xor_b64 s[4:5], exec, -1
; %bb.2795:
	s_or_b64 exec, exec, s[8:9]
	s_and_b64 s[4:5], s[4:5], exec
	s_or_saveexec_b64 s[6:7], s[6:7]
	v_mov_b32_e32 v2, s10
	s_xor_b64 exec, exec, s[6:7]
	s_cbranch_execz .LBB3_746
.LBB3_2796:
	v_mov_b32_e32 v2, 0
	v_cmp_ne_u16_sdwa s[8:9], v3, v2 src0_sel:BYTE_0 src1_sel:DWORD
	s_andn2_b64 s[4:5], s[4:5], exec
	s_and_b64 s[8:9], s[8:9], exec
	s_or_b64 s[4:5], s[4:5], s[8:9]
	s_or_b64 exec, exec, s[6:7]
	s_and_saveexec_b64 s[6:7], s[4:5]
	s_cbranch_execnz .LBB3_747
	s_branch .LBB3_748
.LBB3_2797:
	s_movk_i32 s4, 0x80
	v_cmp_eq_u16_sdwa s[12:13], v3, s4 src0_sel:BYTE_0 src1_sel:DWORD
	s_mov_b64 s[4:5], -1
                                        ; implicit-def: $sgpr10
	s_and_saveexec_b64 s[8:9], s[12:13]
; %bb.2798:
	s_mov_b32 s10, 0x7f800001
	s_xor_b64 s[4:5], exec, -1
; %bb.2799:
	s_or_b64 exec, exec, s[8:9]
	s_and_b64 s[4:5], s[4:5], exec
	s_or_saveexec_b64 s[6:7], s[6:7]
	v_mov_b32_e32 v4, s10
	s_xor_b64 exec, exec, s[6:7]
	s_cbranch_execz .LBB3_750
.LBB3_2800:
	v_mov_b32_e32 v4, 0
	v_cmp_ne_u16_sdwa s[8:9], v3, v4 src0_sel:BYTE_0 src1_sel:DWORD
	s_andn2_b64 s[4:5], s[4:5], exec
	s_and_b64 s[8:9], s[8:9], exec
	s_or_b64 s[4:5], s[4:5], s[8:9]
	s_or_b64 exec, exec, s[6:7]
	s_and_saveexec_b64 s[6:7], s[4:5]
	s_cbranch_execnz .LBB3_751
	s_branch .LBB3_752
.LBB3_2801:
	s_movk_i32 s4, 0x80
	v_cmp_eq_u16_e32 vcc, s4, v3
	s_mov_b64 s[4:5], -1
                                        ; implicit-def: $sgpr10
	s_and_saveexec_b64 s[8:9], vcc
; %bb.2802:
	s_mov_b32 s10, 0x7f800001
	s_xor_b64 s[4:5], exec, -1
; %bb.2803:
	s_or_b64 exec, exec, s[8:9]
	s_and_b64 s[4:5], s[4:5], exec
                                        ; implicit-def: $vgpr3
	s_or_saveexec_b64 s[6:7], s[6:7]
	v_mov_b32_e32 v2, s10
	s_xor_b64 exec, exec, s[6:7]
	s_cbranch_execz .LBB3_754
.LBB3_2804:
	v_cmp_ne_u16_e32 vcc, 0, v3
	s_andn2_b64 s[4:5], s[4:5], exec
	s_and_b64 s[8:9], vcc, exec
	v_mov_b32_e32 v2, 0
	s_or_b64 s[4:5], s[4:5], s[8:9]
	s_or_b64 exec, exec, s[6:7]
	s_and_saveexec_b64 s[6:7], s[4:5]
	s_cbranch_execnz .LBB3_755
	s_branch .LBB3_756
.LBB3_2805:
	s_movk_i32 s4, 0x80
	v_cmp_eq_u16_e32 vcc, s4, v3
	s_mov_b64 s[4:5], -1
                                        ; implicit-def: $sgpr10
	s_and_saveexec_b64 s[8:9], vcc
; %bb.2806:
	s_mov_b32 s10, 0x7f800001
	s_xor_b64 s[4:5], exec, -1
; %bb.2807:
	s_or_b64 exec, exec, s[8:9]
	s_and_b64 s[4:5], s[4:5], exec
                                        ; implicit-def: $vgpr3
	s_or_saveexec_b64 s[6:7], s[6:7]
	v_mov_b32_e32 v4, s10
	s_xor_b64 exec, exec, s[6:7]
	s_cbranch_execz .LBB3_758
.LBB3_2808:
	v_cmp_ne_u16_e32 vcc, 0, v3
	s_andn2_b64 s[4:5], s[4:5], exec
	s_and_b64 s[8:9], vcc, exec
	v_mov_b32_e32 v4, 0
	s_or_b64 s[4:5], s[4:5], s[8:9]
	s_or_b64 exec, exec, s[6:7]
	s_and_saveexec_b64 s[6:7], s[4:5]
	s_cbranch_execnz .LBB3_759
	s_branch .LBB3_760
.LBB3_2809:
	s_movk_i32 s4, 0x80
	v_cmp_eq_u16_sdwa s[12:13], v9, s4 src0_sel:BYTE_3 src1_sel:DWORD
	s_mov_b64 s[4:5], -1
                                        ; implicit-def: $sgpr10
	s_and_saveexec_b64 s[8:9], s[12:13]
; %bb.2810:
	s_mov_b32 s10, 0x7f800001
	s_xor_b64 s[4:5], exec, -1
; %bb.2811:
	s_or_b64 exec, exec, s[8:9]
	s_and_b64 s[4:5], s[4:5], exec
	s_or_saveexec_b64 s[6:7], s[6:7]
	v_mov_b32_e32 v2, s10
	s_xor_b64 exec, exec, s[6:7]
	s_cbranch_execz .LBB3_762
.LBB3_2812:
	v_mov_b32_e32 v2, 0
	v_cmp_ne_u16_sdwa s[8:9], v9, v2 src0_sel:BYTE_3 src1_sel:DWORD
	s_andn2_b64 s[4:5], s[4:5], exec
	s_and_b64 s[8:9], s[8:9], exec
	s_or_b64 s[4:5], s[4:5], s[8:9]
	s_or_b64 exec, exec, s[6:7]
	s_and_saveexec_b64 s[6:7], s[4:5]
	s_cbranch_execnz .LBB3_763
	s_branch .LBB3_764
.LBB3_2813:
	s_movk_i32 s4, 0x80
	v_cmp_eq_u16_sdwa s[12:13], v5, s4 src0_sel:BYTE_3 src1_sel:DWORD
	s_mov_b64 s[4:5], -1
                                        ; implicit-def: $sgpr10
	s_and_saveexec_b64 s[8:9], s[12:13]
; %bb.2814:
	s_mov_b32 s10, 0x7f800001
	s_xor_b64 s[4:5], exec, -1
; %bb.2815:
	s_or_b64 exec, exec, s[8:9]
	s_and_b64 s[4:5], s[4:5], exec
	s_or_saveexec_b64 s[6:7], s[6:7]
	v_mov_b32_e32 v3, s10
	s_xor_b64 exec, exec, s[6:7]
	s_cbranch_execz .LBB3_766
.LBB3_2816:
	v_mov_b32_e32 v3, 0
	v_cmp_ne_u16_sdwa s[8:9], v5, v3 src0_sel:BYTE_3 src1_sel:DWORD
	s_andn2_b64 s[4:5], s[4:5], exec
	s_and_b64 s[8:9], s[8:9], exec
	s_or_b64 s[4:5], s[4:5], s[8:9]
	s_or_b64 exec, exec, s[6:7]
	s_and_saveexec_b64 s[6:7], s[4:5]
	s_cbranch_execnz .LBB3_767
	s_branch .LBB3_768
.LBB3_2817:
	s_movk_i32 s4, 0x80
	v_cmp_eq_u16_sdwa s[12:13], v6, s4 src0_sel:BYTE_0 src1_sel:DWORD
	s_mov_b64 s[4:5], -1
                                        ; implicit-def: $sgpr10
	s_and_saveexec_b64 s[8:9], s[12:13]
; %bb.2818:
	s_mov_b32 s10, 0x7f800001
	s_xor_b64 s[4:5], exec, -1
; %bb.2819:
	s_or_b64 exec, exec, s[8:9]
	s_and_b64 s[4:5], s[4:5], exec
	s_or_saveexec_b64 s[6:7], s[6:7]
	v_mov_b32_e32 v12, s10
	s_xor_b64 exec, exec, s[6:7]
	s_cbranch_execz .LBB3_770
.LBB3_2820:
	v_mov_b32_e32 v12, 0
	v_cmp_ne_u16_sdwa s[8:9], v6, v12 src0_sel:BYTE_0 src1_sel:DWORD
	s_andn2_b64 s[4:5], s[4:5], exec
	s_and_b64 s[8:9], s[8:9], exec
	s_or_b64 s[4:5], s[4:5], s[8:9]
	s_or_b64 exec, exec, s[6:7]
	s_and_saveexec_b64 s[6:7], s[4:5]
	s_cbranch_execnz .LBB3_771
	s_branch .LBB3_772
.LBB3_2821:
	s_movk_i32 s4, 0x80
	v_cmp_eq_u16_sdwa s[12:13], v2, s4 src0_sel:BYTE_0 src1_sel:DWORD
	s_mov_b64 s[4:5], -1
                                        ; implicit-def: $sgpr10
	s_and_saveexec_b64 s[8:9], s[12:13]
; %bb.2822:
	s_mov_b32 s10, 0x7f800001
	s_xor_b64 s[4:5], exec, -1
; %bb.2823:
	s_or_b64 exec, exec, s[8:9]
	s_and_b64 s[4:5], s[4:5], exec
	s_or_saveexec_b64 s[6:7], s[6:7]
	v_mov_b32_e32 v13, s10
	s_xor_b64 exec, exec, s[6:7]
	s_cbranch_execz .LBB3_774
.LBB3_2824:
	v_mov_b32_e32 v13, 0
	v_cmp_ne_u16_sdwa s[8:9], v2, v13 src0_sel:BYTE_0 src1_sel:DWORD
	s_andn2_b64 s[4:5], s[4:5], exec
	s_and_b64 s[8:9], s[8:9], exec
	s_or_b64 s[4:5], s[4:5], s[8:9]
	s_or_b64 exec, exec, s[6:7]
	s_and_saveexec_b64 s[6:7], s[4:5]
	s_cbranch_execnz .LBB3_775
	s_branch .LBB3_776
.LBB3_2825:
	s_movk_i32 s4, 0x80
	v_cmp_eq_u16_sdwa s[12:13], v13, s4 src0_sel:BYTE_0 src1_sel:DWORD
	s_mov_b64 s[4:5], -1
                                        ; implicit-def: $sgpr10
	s_and_saveexec_b64 s[8:9], s[12:13]
; %bb.2826:
	s_mov_b32 s10, 0x7f800001
	s_xor_b64 s[4:5], exec, -1
; %bb.2827:
	s_or_b64 exec, exec, s[8:9]
	s_and_b64 s[4:5], s[4:5], exec
	s_or_saveexec_b64 s[6:7], s[6:7]
	v_mov_b32_e32 v12, s10
	s_xor_b64 exec, exec, s[6:7]
	s_cbranch_execz .LBB3_778
.LBB3_2828:
	v_mov_b32_e32 v12, 0
	v_cmp_ne_u16_sdwa s[8:9], v13, v12 src0_sel:BYTE_0 src1_sel:DWORD
	s_andn2_b64 s[4:5], s[4:5], exec
	s_and_b64 s[8:9], s[8:9], exec
	s_or_b64 s[4:5], s[4:5], s[8:9]
	s_or_b64 exec, exec, s[6:7]
	s_and_saveexec_b64 s[6:7], s[4:5]
	s_cbranch_execnz .LBB3_779
	s_branch .LBB3_780
.LBB3_2829:
	s_movk_i32 s4, 0x80
	v_cmp_eq_u16_sdwa s[12:13], v13, s4 src0_sel:BYTE_0 src1_sel:DWORD
	s_mov_b64 s[4:5], -1
                                        ; implicit-def: $sgpr10
	s_and_saveexec_b64 s[8:9], s[12:13]
; %bb.2830:
	s_mov_b32 s10, 0x7f800001
	s_xor_b64 s[4:5], exec, -1
; %bb.2831:
	s_or_b64 exec, exec, s[8:9]
	s_and_b64 s[4:5], s[4:5], exec
	s_or_saveexec_b64 s[6:7], s[6:7]
	v_mov_b32_e32 v14, s10
	s_xor_b64 exec, exec, s[6:7]
	s_cbranch_execz .LBB3_782
.LBB3_2832:
	v_mov_b32_e32 v14, 0
	v_cmp_ne_u16_sdwa s[8:9], v13, v14 src0_sel:BYTE_0 src1_sel:DWORD
	s_andn2_b64 s[4:5], s[4:5], exec
	s_and_b64 s[8:9], s[8:9], exec
	s_or_b64 s[4:5], s[4:5], s[8:9]
	s_or_b64 exec, exec, s[6:7]
	s_and_saveexec_b64 s[6:7], s[4:5]
	s_cbranch_execnz .LBB3_783
	s_branch .LBB3_784
.LBB3_2833:
	s_movk_i32 s4, 0x80
	v_cmp_eq_u16_e32 vcc, s4, v13
	s_mov_b64 s[4:5], -1
                                        ; implicit-def: $sgpr10
	s_and_saveexec_b64 s[8:9], vcc
; %bb.2834:
	s_mov_b32 s10, 0x7f800001
	s_xor_b64 s[4:5], exec, -1
; %bb.2835:
	s_or_b64 exec, exec, s[8:9]
	s_and_b64 s[4:5], s[4:5], exec
                                        ; implicit-def: $vgpr13
	s_or_saveexec_b64 s[6:7], s[6:7]
	v_mov_b32_e32 v12, s10
	s_xor_b64 exec, exec, s[6:7]
	s_cbranch_execz .LBB3_786
.LBB3_2836:
	v_cmp_ne_u16_e32 vcc, 0, v13
	s_andn2_b64 s[4:5], s[4:5], exec
	s_and_b64 s[8:9], vcc, exec
	v_mov_b32_e32 v12, 0
	s_or_b64 s[4:5], s[4:5], s[8:9]
	s_or_b64 exec, exec, s[6:7]
	s_and_saveexec_b64 s[6:7], s[4:5]
	s_cbranch_execnz .LBB3_787
	s_branch .LBB3_788
.LBB3_2837:
	s_movk_i32 s4, 0x80
	v_cmp_eq_u16_e32 vcc, s4, v13
	s_mov_b64 s[4:5], -1
                                        ; implicit-def: $sgpr10
	s_and_saveexec_b64 s[8:9], vcc
; %bb.2838:
	s_mov_b32 s10, 0x7f800001
	s_xor_b64 s[4:5], exec, -1
; %bb.2839:
	s_or_b64 exec, exec, s[8:9]
	s_and_b64 s[4:5], s[4:5], exec
                                        ; implicit-def: $vgpr13
	s_or_saveexec_b64 s[6:7], s[6:7]
	v_mov_b32_e32 v14, s10
	s_xor_b64 exec, exec, s[6:7]
	s_cbranch_execz .LBB3_790
.LBB3_2840:
	v_cmp_ne_u16_e32 vcc, 0, v13
	s_andn2_b64 s[4:5], s[4:5], exec
	s_and_b64 s[8:9], vcc, exec
	v_mov_b32_e32 v14, 0
	s_or_b64 s[4:5], s[4:5], s[8:9]
	s_or_b64 exec, exec, s[6:7]
	s_and_saveexec_b64 s[6:7], s[4:5]
	s_cbranch_execnz .LBB3_791
	s_branch .LBB3_792
.LBB3_2841:
	s_movk_i32 s4, 0x80
	v_cmp_eq_u16_sdwa s[12:13], v6, s4 src0_sel:BYTE_3 src1_sel:DWORD
	s_mov_b64 s[4:5], -1
                                        ; implicit-def: $sgpr10
	s_and_saveexec_b64 s[8:9], s[12:13]
; %bb.2842:
	s_mov_b32 s10, 0x7f800001
	s_xor_b64 s[4:5], exec, -1
; %bb.2843:
	s_or_b64 exec, exec, s[8:9]
	s_and_b64 s[4:5], s[4:5], exec
	s_or_saveexec_b64 s[6:7], s[6:7]
	v_mov_b32_e32 v12, s10
	s_xor_b64 exec, exec, s[6:7]
	s_cbranch_execz .LBB3_794
.LBB3_2844:
	v_mov_b32_e32 v12, 0
	v_cmp_ne_u16_sdwa s[8:9], v6, v12 src0_sel:BYTE_3 src1_sel:DWORD
	s_andn2_b64 s[4:5], s[4:5], exec
	s_and_b64 s[8:9], s[8:9], exec
	s_or_b64 s[4:5], s[4:5], s[8:9]
	s_or_b64 exec, exec, s[6:7]
	s_and_saveexec_b64 s[6:7], s[4:5]
	s_cbranch_execnz .LBB3_795
	s_branch .LBB3_796
.LBB3_2845:
	s_movk_i32 s4, 0x80
	v_cmp_eq_u16_sdwa s[12:13], v2, s4 src0_sel:BYTE_3 src1_sel:DWORD
	s_mov_b64 s[4:5], -1
                                        ; implicit-def: $sgpr10
	s_and_saveexec_b64 s[8:9], s[12:13]
; %bb.2846:
	s_mov_b32 s10, 0x7f800001
	s_xor_b64 s[4:5], exec, -1
; %bb.2847:
	s_or_b64 exec, exec, s[8:9]
	s_and_b64 s[4:5], s[4:5], exec
	s_or_saveexec_b64 s[6:7], s[6:7]
	v_mov_b32_e32 v6, s10
	s_xor_b64 exec, exec, s[6:7]
	s_cbranch_execz .LBB3_798
.LBB3_2848:
	v_mov_b32_e32 v6, 0
	v_cmp_ne_u16_sdwa s[8:9], v2, v6 src0_sel:BYTE_3 src1_sel:DWORD
	s_andn2_b64 s[4:5], s[4:5], exec
	s_and_b64 s[8:9], s[8:9], exec
	s_or_b64 s[4:5], s[4:5], s[8:9]
	s_or_b64 exec, exec, s[6:7]
	s_and_saveexec_b64 s[6:7], s[4:5]
	s_cbranch_execnz .LBB3_799
	s_branch .LBB3_800
.LBB3_2849:
	s_movk_i32 s4, 0x80
	v_cmp_eq_u16_sdwa s[12:13], v7, s4 src0_sel:BYTE_0 src1_sel:DWORD
	s_mov_b64 s[4:5], -1
                                        ; implicit-def: $sgpr10
	s_and_saveexec_b64 s[8:9], s[12:13]
; %bb.2850:
	s_mov_b32 s10, 0x7f800001
	s_xor_b64 s[4:5], exec, -1
; %bb.2851:
	s_or_b64 exec, exec, s[8:9]
	s_and_b64 s[4:5], s[4:5], exec
	s_or_saveexec_b64 s[6:7], s[6:7]
	v_mov_b32_e32 v2, s10
	s_xor_b64 exec, exec, s[6:7]
	s_cbranch_execz .LBB3_802
.LBB3_2852:
	v_mov_b32_e32 v2, 0
	v_cmp_ne_u16_sdwa s[8:9], v7, v2 src0_sel:BYTE_0 src1_sel:DWORD
	s_andn2_b64 s[4:5], s[4:5], exec
	s_and_b64 s[8:9], s[8:9], exec
	s_or_b64 s[4:5], s[4:5], s[8:9]
	s_or_b64 exec, exec, s[6:7]
	s_and_saveexec_b64 s[6:7], s[4:5]
	s_cbranch_execnz .LBB3_803
	s_branch .LBB3_804
.LBB3_2853:
	s_movk_i32 s4, 0x80
	v_cmp_eq_u16_sdwa s[12:13], v3, s4 src0_sel:BYTE_0 src1_sel:DWORD
	s_mov_b64 s[4:5], -1
                                        ; implicit-def: $sgpr10
	s_and_saveexec_b64 s[8:9], s[12:13]
; %bb.2854:
	s_mov_b32 s10, 0x7f800001
	s_xor_b64 s[4:5], exec, -1
; %bb.2855:
	s_or_b64 exec, exec, s[8:9]
	s_and_b64 s[4:5], s[4:5], exec
	s_or_saveexec_b64 s[6:7], s[6:7]
	v_mov_b32_e32 v6, s10
	s_xor_b64 exec, exec, s[6:7]
	s_cbranch_execz .LBB3_806
.LBB3_2856:
	v_mov_b32_e32 v6, 0
	v_cmp_ne_u16_sdwa s[8:9], v3, v6 src0_sel:BYTE_0 src1_sel:DWORD
	s_andn2_b64 s[4:5], s[4:5], exec
	s_and_b64 s[8:9], s[8:9], exec
	s_or_b64 s[4:5], s[4:5], s[8:9]
	s_or_b64 exec, exec, s[6:7]
	s_and_saveexec_b64 s[6:7], s[4:5]
	s_cbranch_execnz .LBB3_807
	s_branch .LBB3_808
.LBB3_2857:
	s_movk_i32 s4, 0x80
	v_cmp_eq_u16_sdwa s[12:13], v6, s4 src0_sel:BYTE_0 src1_sel:DWORD
	s_mov_b64 s[4:5], -1
                                        ; implicit-def: $sgpr10
	s_and_saveexec_b64 s[8:9], s[12:13]
; %bb.2858:
	s_mov_b32 s10, 0x7f800001
	s_xor_b64 s[4:5], exec, -1
; %bb.2859:
	s_or_b64 exec, exec, s[8:9]
	s_and_b64 s[4:5], s[4:5], exec
	s_or_saveexec_b64 s[6:7], s[6:7]
	v_mov_b32_e32 v2, s10
	s_xor_b64 exec, exec, s[6:7]
	s_cbranch_execz .LBB3_810
.LBB3_2860:
	v_mov_b32_e32 v2, 0
	v_cmp_ne_u16_sdwa s[8:9], v6, v2 src0_sel:BYTE_0 src1_sel:DWORD
	s_andn2_b64 s[4:5], s[4:5], exec
	s_and_b64 s[8:9], s[8:9], exec
	s_or_b64 s[4:5], s[4:5], s[8:9]
	s_or_b64 exec, exec, s[6:7]
	s_and_saveexec_b64 s[6:7], s[4:5]
	s_cbranch_execnz .LBB3_811
	s_branch .LBB3_812
.LBB3_2861:
	s_movk_i32 s4, 0x80
	v_cmp_eq_u16_sdwa s[12:13], v6, s4 src0_sel:BYTE_0 src1_sel:DWORD
	s_mov_b64 s[4:5], -1
                                        ; implicit-def: $sgpr10
	s_and_saveexec_b64 s[8:9], s[12:13]
; %bb.2862:
	s_mov_b32 s10, 0x7f800001
	s_xor_b64 s[4:5], exec, -1
; %bb.2863:
	s_or_b64 exec, exec, s[8:9]
	s_and_b64 s[4:5], s[4:5], exec
	s_or_saveexec_b64 s[6:7], s[6:7]
	v_mov_b32_e32 v12, s10
	s_xor_b64 exec, exec, s[6:7]
	s_cbranch_execz .LBB3_814
.LBB3_2864:
	v_mov_b32_e32 v12, 0
	v_cmp_ne_u16_sdwa s[8:9], v6, v12 src0_sel:BYTE_0 src1_sel:DWORD
	s_andn2_b64 s[4:5], s[4:5], exec
	s_and_b64 s[8:9], s[8:9], exec
	s_or_b64 s[4:5], s[4:5], s[8:9]
	s_or_b64 exec, exec, s[6:7]
	s_and_saveexec_b64 s[6:7], s[4:5]
	s_cbranch_execnz .LBB3_815
	s_branch .LBB3_816
.LBB3_2865:
	s_movk_i32 s4, 0x80
	v_cmp_eq_u16_e32 vcc, s4, v6
	s_mov_b64 s[4:5], -1
                                        ; implicit-def: $sgpr10
	s_and_saveexec_b64 s[8:9], vcc
; %bb.2866:
	s_mov_b32 s10, 0x7f800001
	s_xor_b64 s[4:5], exec, -1
; %bb.2867:
	s_or_b64 exec, exec, s[8:9]
	s_and_b64 s[4:5], s[4:5], exec
                                        ; implicit-def: $vgpr6
	s_or_saveexec_b64 s[6:7], s[6:7]
	v_mov_b32_e32 v2, s10
	s_xor_b64 exec, exec, s[6:7]
	s_cbranch_execz .LBB3_818
.LBB3_2868:
	v_cmp_ne_u16_e32 vcc, 0, v6
	s_andn2_b64 s[4:5], s[4:5], exec
	s_and_b64 s[8:9], vcc, exec
	v_mov_b32_e32 v2, 0
	s_or_b64 s[4:5], s[4:5], s[8:9]
	s_or_b64 exec, exec, s[6:7]
	s_and_saveexec_b64 s[6:7], s[4:5]
	s_cbranch_execnz .LBB3_819
	s_branch .LBB3_820
.LBB3_2869:
	s_movk_i32 s4, 0x80
	v_cmp_eq_u16_e32 vcc, s4, v6
	s_mov_b64 s[4:5], -1
                                        ; implicit-def: $sgpr10
	s_and_saveexec_b64 s[8:9], vcc
; %bb.2870:
	s_mov_b32 s10, 0x7f800001
	s_xor_b64 s[4:5], exec, -1
; %bb.2871:
	s_or_b64 exec, exec, s[8:9]
	s_and_b64 s[4:5], s[4:5], exec
                                        ; implicit-def: $vgpr6
	s_or_saveexec_b64 s[6:7], s[6:7]
	v_mov_b32_e32 v12, s10
	s_xor_b64 exec, exec, s[6:7]
	s_cbranch_execz .LBB3_822
.LBB3_2872:
	v_cmp_ne_u16_e32 vcc, 0, v6
	s_andn2_b64 s[4:5], s[4:5], exec
	s_and_b64 s[8:9], vcc, exec
	v_mov_b32_e32 v12, 0
	s_or_b64 s[4:5], s[4:5], s[8:9]
	s_or_b64 exec, exec, s[6:7]
	s_and_saveexec_b64 s[6:7], s[4:5]
	s_cbranch_execnz .LBB3_823
	s_branch .LBB3_824
.LBB3_2873:
	s_movk_i32 s4, 0x80
	v_cmp_eq_u16_sdwa s[12:13], v7, s4 src0_sel:BYTE_3 src1_sel:DWORD
	s_mov_b64 s[4:5], -1
                                        ; implicit-def: $sgpr10
	s_and_saveexec_b64 s[8:9], s[12:13]
; %bb.2874:
	s_mov_b32 s10, 0x7f800001
	s_xor_b64 s[4:5], exec, -1
; %bb.2875:
	s_or_b64 exec, exec, s[8:9]
	s_and_b64 s[4:5], s[4:5], exec
	s_or_saveexec_b64 s[6:7], s[6:7]
	v_mov_b32_e32 v2, s10
	s_xor_b64 exec, exec, s[6:7]
	s_cbranch_execz .LBB3_826
.LBB3_2876:
	v_mov_b32_e32 v2, 0
	v_cmp_ne_u16_sdwa s[8:9], v7, v2 src0_sel:BYTE_3 src1_sel:DWORD
	s_andn2_b64 s[4:5], s[4:5], exec
	s_and_b64 s[8:9], s[8:9], exec
	s_or_b64 s[4:5], s[4:5], s[8:9]
	s_or_b64 exec, exec, s[6:7]
	s_and_saveexec_b64 s[6:7], s[4:5]
	s_cbranch_execnz .LBB3_827
	s_branch .LBB3_828
.LBB3_2877:
	s_movk_i32 s4, 0x80
	v_cmp_eq_u16_sdwa s[12:13], v3, s4 src0_sel:BYTE_3 src1_sel:DWORD
	s_mov_b64 s[4:5], -1
                                        ; implicit-def: $sgpr10
	s_and_saveexec_b64 s[8:9], s[12:13]
; %bb.2878:
	s_mov_b32 s10, 0x7f800001
	s_xor_b64 s[4:5], exec, -1
; %bb.2879:
	s_or_b64 exec, exec, s[8:9]
	s_and_b64 s[4:5], s[4:5], exec
	s_or_saveexec_b64 s[6:7], s[6:7]
	v_mov_b32_e32 v6, s10
	s_xor_b64 exec, exec, s[6:7]
	s_cbranch_execz .LBB3_830
.LBB3_2880:
	v_mov_b32_e32 v6, 0
	v_cmp_ne_u16_sdwa s[8:9], v3, v6 src0_sel:BYTE_3 src1_sel:DWORD
	s_andn2_b64 s[4:5], s[4:5], exec
	s_and_b64 s[8:9], s[8:9], exec
	s_or_b64 s[4:5], s[4:5], s[8:9]
	s_or_b64 exec, exec, s[6:7]
	s_and_saveexec_b64 s[6:7], s[4:5]
	s_cbranch_execnz .LBB3_831
	s_branch .LBB3_832
.LBB3_2881:
	s_movk_i32 s4, 0x80
	v_cmp_eq_u16_sdwa s[12:13], v8, s4 src0_sel:BYTE_0 src1_sel:DWORD
	s_mov_b64 s[4:5], -1
                                        ; implicit-def: $sgpr10
	s_and_saveexec_b64 s[8:9], s[12:13]
; %bb.2882:
	s_mov_b32 s10, 0x7f800001
	s_xor_b64 s[4:5], exec, -1
; %bb.2883:
	s_or_b64 exec, exec, s[8:9]
	s_and_b64 s[4:5], s[4:5], exec
	s_or_saveexec_b64 s[6:7], s[6:7]
	v_mov_b32_e32 v2, s10
	s_xor_b64 exec, exec, s[6:7]
	s_cbranch_execz .LBB3_834
.LBB3_2884:
	v_mov_b32_e32 v2, 0
	v_cmp_ne_u16_sdwa s[8:9], v8, v2 src0_sel:BYTE_0 src1_sel:DWORD
	s_andn2_b64 s[4:5], s[4:5], exec
	s_and_b64 s[8:9], s[8:9], exec
	s_or_b64 s[4:5], s[4:5], s[8:9]
	s_or_b64 exec, exec, s[6:7]
	s_and_saveexec_b64 s[6:7], s[4:5]
	s_cbranch_execnz .LBB3_835
	s_branch .LBB3_836
.LBB3_2885:
	s_movk_i32 s4, 0x80
	v_cmp_eq_u16_sdwa s[12:13], v4, s4 src0_sel:BYTE_0 src1_sel:DWORD
	s_mov_b64 s[4:5], -1
                                        ; implicit-def: $sgpr10
	s_and_saveexec_b64 s[8:9], s[12:13]
; %bb.2886:
	s_mov_b32 s10, 0x7f800001
	s_xor_b64 s[4:5], exec, -1
; %bb.2887:
	s_or_b64 exec, exec, s[8:9]
	s_and_b64 s[4:5], s[4:5], exec
	s_or_saveexec_b64 s[6:7], s[6:7]
	v_mov_b32_e32 v3, s10
	s_xor_b64 exec, exec, s[6:7]
	s_cbranch_execz .LBB3_838
.LBB3_2888:
	v_mov_b32_e32 v3, 0
	v_cmp_ne_u16_sdwa s[8:9], v4, v3 src0_sel:BYTE_0 src1_sel:DWORD
	s_andn2_b64 s[4:5], s[4:5], exec
	s_and_b64 s[8:9], s[8:9], exec
	s_or_b64 s[4:5], s[4:5], s[8:9]
	s_or_b64 exec, exec, s[6:7]
	s_and_saveexec_b64 s[6:7], s[4:5]
	s_cbranch_execnz .LBB3_839
	s_branch .LBB3_840
.LBB3_2889:
	s_movk_i32 s4, 0x80
	v_cmp_eq_u16_sdwa s[12:13], v3, s4 src0_sel:BYTE_0 src1_sel:DWORD
	s_mov_b64 s[4:5], -1
                                        ; implicit-def: $sgpr10
	s_and_saveexec_b64 s[8:9], s[12:13]
; %bb.2890:
	s_mov_b32 s10, 0x7f800001
	s_xor_b64 s[4:5], exec, -1
; %bb.2891:
	s_or_b64 exec, exec, s[8:9]
	s_and_b64 s[4:5], s[4:5], exec
	s_or_saveexec_b64 s[6:7], s[6:7]
	v_mov_b32_e32 v2, s10
	s_xor_b64 exec, exec, s[6:7]
	s_cbranch_execz .LBB3_842
.LBB3_2892:
	v_mov_b32_e32 v2, 0
	v_cmp_ne_u16_sdwa s[8:9], v3, v2 src0_sel:BYTE_0 src1_sel:DWORD
	s_andn2_b64 s[4:5], s[4:5], exec
	s_and_b64 s[8:9], s[8:9], exec
	s_or_b64 s[4:5], s[4:5], s[8:9]
	s_or_b64 exec, exec, s[6:7]
	s_and_saveexec_b64 s[6:7], s[4:5]
	s_cbranch_execnz .LBB3_843
	s_branch .LBB3_844
.LBB3_2893:
	s_movk_i32 s4, 0x80
	v_cmp_eq_u16_sdwa s[12:13], v3, s4 src0_sel:BYTE_0 src1_sel:DWORD
	s_mov_b64 s[4:5], -1
                                        ; implicit-def: $sgpr10
	s_and_saveexec_b64 s[8:9], s[12:13]
; %bb.2894:
	s_mov_b32 s10, 0x7f800001
	s_xor_b64 s[4:5], exec, -1
; %bb.2895:
	s_or_b64 exec, exec, s[8:9]
	s_and_b64 s[4:5], s[4:5], exec
	s_or_saveexec_b64 s[6:7], s[6:7]
	v_mov_b32_e32 v6, s10
	s_xor_b64 exec, exec, s[6:7]
	s_cbranch_execz .LBB3_846
.LBB3_2896:
	v_mov_b32_e32 v6, 0
	v_cmp_ne_u16_sdwa s[8:9], v3, v6 src0_sel:BYTE_0 src1_sel:DWORD
	s_andn2_b64 s[4:5], s[4:5], exec
	s_and_b64 s[8:9], s[8:9], exec
	s_or_b64 s[4:5], s[4:5], s[8:9]
	s_or_b64 exec, exec, s[6:7]
	s_and_saveexec_b64 s[6:7], s[4:5]
	s_cbranch_execnz .LBB3_847
	s_branch .LBB3_848
.LBB3_2897:
	s_movk_i32 s4, 0x80
	v_cmp_eq_u16_e32 vcc, s4, v3
	s_mov_b64 s[4:5], -1
                                        ; implicit-def: $sgpr10
	s_and_saveexec_b64 s[8:9], vcc
; %bb.2898:
	s_mov_b32 s10, 0x7f800001
	s_xor_b64 s[4:5], exec, -1
; %bb.2899:
	s_or_b64 exec, exec, s[8:9]
	s_and_b64 s[4:5], s[4:5], exec
                                        ; implicit-def: $vgpr3
	s_or_saveexec_b64 s[6:7], s[6:7]
	v_mov_b32_e32 v2, s10
	s_xor_b64 exec, exec, s[6:7]
	s_cbranch_execz .LBB3_850
.LBB3_2900:
	v_cmp_ne_u16_e32 vcc, 0, v3
	s_andn2_b64 s[4:5], s[4:5], exec
	s_and_b64 s[8:9], vcc, exec
	v_mov_b32_e32 v2, 0
	s_or_b64 s[4:5], s[4:5], s[8:9]
	s_or_b64 exec, exec, s[6:7]
	s_and_saveexec_b64 s[6:7], s[4:5]
	s_cbranch_execnz .LBB3_851
	s_branch .LBB3_852
.LBB3_2901:
	s_movk_i32 s4, 0x80
	v_cmp_eq_u16_e32 vcc, s4, v3
	s_mov_b64 s[4:5], -1
                                        ; implicit-def: $sgpr10
	s_and_saveexec_b64 s[8:9], vcc
; %bb.2902:
	s_mov_b32 s10, 0x7f800001
	s_xor_b64 s[4:5], exec, -1
; %bb.2903:
	s_or_b64 exec, exec, s[8:9]
	s_and_b64 s[4:5], s[4:5], exec
                                        ; implicit-def: $vgpr3
	s_or_saveexec_b64 s[6:7], s[6:7]
	v_mov_b32_e32 v6, s10
	s_xor_b64 exec, exec, s[6:7]
	s_cbranch_execz .LBB3_854
.LBB3_2904:
	v_cmp_ne_u16_e32 vcc, 0, v3
	s_andn2_b64 s[4:5], s[4:5], exec
	s_and_b64 s[8:9], vcc, exec
	v_mov_b32_e32 v6, 0
	s_or_b64 s[4:5], s[4:5], s[8:9]
	s_or_b64 exec, exec, s[6:7]
	s_and_saveexec_b64 s[6:7], s[4:5]
	s_cbranch_execnz .LBB3_855
	s_branch .LBB3_856
.LBB3_2905:
	s_movk_i32 s4, 0x80
	v_cmp_eq_u16_sdwa s[12:13], v8, s4 src0_sel:BYTE_3 src1_sel:DWORD
	s_mov_b64 s[4:5], -1
                                        ; implicit-def: $sgpr10
	s_and_saveexec_b64 s[8:9], s[12:13]
; %bb.2906:
	s_mov_b32 s10, 0x7f800001
	s_xor_b64 s[4:5], exec, -1
; %bb.2907:
	s_or_b64 exec, exec, s[8:9]
	s_and_b64 s[4:5], s[4:5], exec
	s_or_saveexec_b64 s[6:7], s[6:7]
	v_mov_b32_e32 v2, s10
	s_xor_b64 exec, exec, s[6:7]
	s_cbranch_execz .LBB3_858
.LBB3_2908:
	v_mov_b32_e32 v2, 0
	v_cmp_ne_u16_sdwa s[8:9], v8, v2 src0_sel:BYTE_3 src1_sel:DWORD
	s_andn2_b64 s[4:5], s[4:5], exec
	s_and_b64 s[8:9], s[8:9], exec
	s_or_b64 s[4:5], s[4:5], s[8:9]
	s_or_b64 exec, exec, s[6:7]
	s_and_saveexec_b64 s[6:7], s[4:5]
	s_cbranch_execnz .LBB3_859
	s_branch .LBB3_860
.LBB3_2909:
	s_movk_i32 s4, 0x80
	v_cmp_eq_u16_sdwa s[12:13], v4, s4 src0_sel:BYTE_3 src1_sel:DWORD
	s_mov_b64 s[4:5], -1
                                        ; implicit-def: $sgpr10
	s_and_saveexec_b64 s[8:9], s[12:13]
; %bb.2910:
	s_mov_b32 s10, 0x7f800001
	s_xor_b64 s[4:5], exec, -1
; %bb.2911:
	s_or_b64 exec, exec, s[8:9]
	s_and_b64 s[4:5], s[4:5], exec
	s_or_saveexec_b64 s[6:7], s[6:7]
	v_mov_b32_e32 v3, s10
	s_xor_b64 exec, exec, s[6:7]
	s_cbranch_execz .LBB3_862
.LBB3_2912:
	v_mov_b32_e32 v3, 0
	v_cmp_ne_u16_sdwa s[8:9], v4, v3 src0_sel:BYTE_3 src1_sel:DWORD
	s_andn2_b64 s[4:5], s[4:5], exec
	s_and_b64 s[8:9], s[8:9], exec
	s_or_b64 s[4:5], s[4:5], s[8:9]
	s_or_b64 exec, exec, s[6:7]
	s_and_saveexec_b64 s[6:7], s[4:5]
	s_cbranch_execnz .LBB3_863
	s_branch .LBB3_864
.LBB3_2913:
	s_movk_i32 s4, 0x80
	v_cmp_eq_u16_sdwa s[12:13], v9, s4 src0_sel:BYTE_0 src1_sel:DWORD
	s_mov_b64 s[4:5], -1
                                        ; implicit-def: $sgpr10
	s_and_saveexec_b64 s[8:9], s[12:13]
; %bb.2914:
	s_mov_b32 s10, 0x7f800001
	s_xor_b64 s[4:5], exec, -1
; %bb.2915:
	s_or_b64 exec, exec, s[8:9]
	s_and_b64 s[4:5], s[4:5], exec
	s_or_saveexec_b64 s[6:7], s[6:7]
	v_mov_b32_e32 v2, s10
	s_xor_b64 exec, exec, s[6:7]
	s_cbranch_execz .LBB3_866
.LBB3_2916:
	v_mov_b32_e32 v2, 0
	v_cmp_ne_u16_sdwa s[8:9], v9, v2 src0_sel:BYTE_0 src1_sel:DWORD
	s_andn2_b64 s[4:5], s[4:5], exec
	s_and_b64 s[8:9], s[8:9], exec
	s_or_b64 s[4:5], s[4:5], s[8:9]
	s_or_b64 exec, exec, s[6:7]
	s_and_saveexec_b64 s[6:7], s[4:5]
	s_cbranch_execnz .LBB3_867
	s_branch .LBB3_868
.LBB3_2917:
	s_movk_i32 s4, 0x80
	v_cmp_eq_u16_sdwa s[12:13], v5, s4 src0_sel:BYTE_0 src1_sel:DWORD
	s_mov_b64 s[4:5], -1
                                        ; implicit-def: $sgpr10
	s_and_saveexec_b64 s[8:9], s[12:13]
; %bb.2918:
	s_mov_b32 s10, 0x7f800001
	s_xor_b64 s[4:5], exec, -1
; %bb.2919:
	s_or_b64 exec, exec, s[8:9]
	s_and_b64 s[4:5], s[4:5], exec
	s_or_saveexec_b64 s[6:7], s[6:7]
	v_mov_b32_e32 v3, s10
	s_xor_b64 exec, exec, s[6:7]
	s_cbranch_execz .LBB3_870
.LBB3_2920:
	v_mov_b32_e32 v3, 0
	v_cmp_ne_u16_sdwa s[8:9], v5, v3 src0_sel:BYTE_0 src1_sel:DWORD
	s_andn2_b64 s[4:5], s[4:5], exec
	s_and_b64 s[8:9], s[8:9], exec
	s_or_b64 s[4:5], s[4:5], s[8:9]
	s_or_b64 exec, exec, s[6:7]
	s_and_saveexec_b64 s[6:7], s[4:5]
	s_cbranch_execnz .LBB3_871
	s_branch .LBB3_872
.LBB3_2921:
	s_movk_i32 s4, 0x80
	v_cmp_eq_u16_sdwa s[12:13], v3, s4 src0_sel:BYTE_0 src1_sel:DWORD
	s_mov_b64 s[4:5], -1
                                        ; implicit-def: $sgpr10
	s_and_saveexec_b64 s[8:9], s[12:13]
; %bb.2922:
	s_mov_b32 s10, 0x7f800001
	s_xor_b64 s[4:5], exec, -1
; %bb.2923:
	s_or_b64 exec, exec, s[8:9]
	s_and_b64 s[4:5], s[4:5], exec
	s_or_saveexec_b64 s[6:7], s[6:7]
	v_mov_b32_e32 v2, s10
	s_xor_b64 exec, exec, s[6:7]
	s_cbranch_execz .LBB3_874
.LBB3_2924:
	v_mov_b32_e32 v2, 0
	v_cmp_ne_u16_sdwa s[8:9], v3, v2 src0_sel:BYTE_0 src1_sel:DWORD
	s_andn2_b64 s[4:5], s[4:5], exec
	s_and_b64 s[8:9], s[8:9], exec
	s_or_b64 s[4:5], s[4:5], s[8:9]
	s_or_b64 exec, exec, s[6:7]
	s_and_saveexec_b64 s[6:7], s[4:5]
	s_cbranch_execnz .LBB3_875
	s_branch .LBB3_876
.LBB3_2925:
	s_movk_i32 s4, 0x80
	v_cmp_eq_u16_sdwa s[12:13], v3, s4 src0_sel:BYTE_0 src1_sel:DWORD
	s_mov_b64 s[4:5], -1
                                        ; implicit-def: $sgpr10
	s_and_saveexec_b64 s[8:9], s[12:13]
; %bb.2926:
	s_mov_b32 s10, 0x7f800001
	s_xor_b64 s[4:5], exec, -1
; %bb.2927:
	s_or_b64 exec, exec, s[8:9]
	s_and_b64 s[4:5], s[4:5], exec
	s_or_saveexec_b64 s[6:7], s[6:7]
	v_mov_b32_e32 v4, s10
	s_xor_b64 exec, exec, s[6:7]
	s_cbranch_execz .LBB3_878
.LBB3_2928:
	v_mov_b32_e32 v4, 0
	v_cmp_ne_u16_sdwa s[8:9], v3, v4 src0_sel:BYTE_0 src1_sel:DWORD
	s_andn2_b64 s[4:5], s[4:5], exec
	s_and_b64 s[8:9], s[8:9], exec
	s_or_b64 s[4:5], s[4:5], s[8:9]
	s_or_b64 exec, exec, s[6:7]
	s_and_saveexec_b64 s[6:7], s[4:5]
	s_cbranch_execnz .LBB3_879
	s_branch .LBB3_880
.LBB3_2929:
	s_movk_i32 s4, 0x80
	v_cmp_eq_u16_e32 vcc, s4, v3
	s_mov_b64 s[4:5], -1
                                        ; implicit-def: $sgpr10
	s_and_saveexec_b64 s[8:9], vcc
; %bb.2930:
	s_mov_b32 s10, 0x7f800001
	s_xor_b64 s[4:5], exec, -1
; %bb.2931:
	s_or_b64 exec, exec, s[8:9]
	s_and_b64 s[4:5], s[4:5], exec
                                        ; implicit-def: $vgpr3
	s_or_saveexec_b64 s[6:7], s[6:7]
	v_mov_b32_e32 v2, s10
	s_xor_b64 exec, exec, s[6:7]
	s_cbranch_execz .LBB3_882
.LBB3_2932:
	v_cmp_ne_u16_e32 vcc, 0, v3
	s_andn2_b64 s[4:5], s[4:5], exec
	s_and_b64 s[8:9], vcc, exec
	v_mov_b32_e32 v2, 0
	s_or_b64 s[4:5], s[4:5], s[8:9]
	s_or_b64 exec, exec, s[6:7]
	s_and_saveexec_b64 s[6:7], s[4:5]
	s_cbranch_execnz .LBB3_883
	s_branch .LBB3_884
.LBB3_2933:
	s_movk_i32 s4, 0x80
	v_cmp_eq_u16_e32 vcc, s4, v3
	s_mov_b64 s[4:5], -1
                                        ; implicit-def: $sgpr10
	s_and_saveexec_b64 s[8:9], vcc
; %bb.2934:
	s_mov_b32 s10, 0x7f800001
	s_xor_b64 s[4:5], exec, -1
; %bb.2935:
	s_or_b64 exec, exec, s[8:9]
	s_and_b64 s[4:5], s[4:5], exec
                                        ; implicit-def: $vgpr3
	s_or_saveexec_b64 s[6:7], s[6:7]
	v_mov_b32_e32 v4, s10
	s_xor_b64 exec, exec, s[6:7]
	s_cbranch_execz .LBB3_886
.LBB3_2936:
	v_cmp_ne_u16_e32 vcc, 0, v3
	s_andn2_b64 s[4:5], s[4:5], exec
	s_and_b64 s[8:9], vcc, exec
	v_mov_b32_e32 v4, 0
	s_or_b64 s[4:5], s[4:5], s[8:9]
	s_or_b64 exec, exec, s[6:7]
	s_and_saveexec_b64 s[6:7], s[4:5]
	s_cbranch_execnz .LBB3_887
	s_branch .LBB3_888
.LBB3_2937:
	s_movk_i32 s4, 0x80
	v_cmp_eq_u16_sdwa s[12:13], v9, s4 src0_sel:BYTE_3 src1_sel:DWORD
	s_mov_b64 s[4:5], -1
                                        ; implicit-def: $sgpr10
	s_and_saveexec_b64 s[8:9], s[12:13]
; %bb.2938:
	s_mov_b32 s10, 0x7f800001
	s_xor_b64 s[4:5], exec, -1
; %bb.2939:
	s_or_b64 exec, exec, s[8:9]
	s_and_b64 s[4:5], s[4:5], exec
	s_or_saveexec_b64 s[6:7], s[6:7]
	v_mov_b32_e32 v2, s10
	s_xor_b64 exec, exec, s[6:7]
	s_cbranch_execz .LBB3_890
.LBB3_2940:
	v_mov_b32_e32 v2, 0
	v_cmp_ne_u16_sdwa s[8:9], v9, v2 src0_sel:BYTE_3 src1_sel:DWORD
	s_andn2_b64 s[4:5], s[4:5], exec
	s_and_b64 s[8:9], s[8:9], exec
	s_or_b64 s[4:5], s[4:5], s[8:9]
	s_or_b64 exec, exec, s[6:7]
	s_and_saveexec_b64 s[6:7], s[4:5]
	s_cbranch_execnz .LBB3_891
	s_branch .LBB3_892
.LBB3_2941:
	s_movk_i32 s4, 0x80
	v_cmp_eq_u16_sdwa s[12:13], v5, s4 src0_sel:BYTE_3 src1_sel:DWORD
	s_mov_b64 s[4:5], -1
                                        ; implicit-def: $sgpr10
	s_and_saveexec_b64 s[8:9], s[12:13]
; %bb.2942:
	s_mov_b32 s10, 0x7f800001
	s_xor_b64 s[4:5], exec, -1
; %bb.2943:
	s_or_b64 exec, exec, s[8:9]
	s_and_b64 s[4:5], s[4:5], exec
	s_or_saveexec_b64 s[6:7], s[6:7]
	v_mov_b32_e32 v3, s10
	s_xor_b64 exec, exec, s[6:7]
	s_cbranch_execz .LBB3_894
.LBB3_2944:
	v_mov_b32_e32 v3, 0
	v_cmp_ne_u16_sdwa s[8:9], v5, v3 src0_sel:BYTE_3 src1_sel:DWORD
	s_andn2_b64 s[4:5], s[4:5], exec
	s_and_b64 s[8:9], s[8:9], exec
	s_or_b64 s[4:5], s[4:5], s[8:9]
	s_or_b64 exec, exec, s[6:7]
	s_and_saveexec_b64 s[6:7], s[4:5]
	s_cbranch_execnz .LBB3_895
	s_branch .LBB3_896
.LBB3_2945:
	s_movk_i32 s4, 0x80
	v_cmp_eq_u16_sdwa s[12:13], v6, s4 src0_sel:BYTE_0 src1_sel:DWORD
	s_mov_b64 s[4:5], -1
                                        ; implicit-def: $sgpr10
	s_and_saveexec_b64 s[8:9], s[12:13]
; %bb.2946:
	s_mov_b32 s10, 0x7f800001
	s_xor_b64 s[4:5], exec, -1
; %bb.2947:
	s_or_b64 exec, exec, s[8:9]
	s_and_b64 s[4:5], s[4:5], exec
	s_or_saveexec_b64 s[6:7], s[6:7]
	v_mov_b32_e32 v12, s10
	s_xor_b64 exec, exec, s[6:7]
	s_cbranch_execz .LBB3_898
.LBB3_2948:
	v_mov_b32_e32 v12, 0
	v_cmp_ne_u16_sdwa s[8:9], v6, v12 src0_sel:BYTE_0 src1_sel:DWORD
	s_andn2_b64 s[4:5], s[4:5], exec
	s_and_b64 s[8:9], s[8:9], exec
	s_or_b64 s[4:5], s[4:5], s[8:9]
	s_or_b64 exec, exec, s[6:7]
	s_and_saveexec_b64 s[6:7], s[4:5]
	s_cbranch_execnz .LBB3_899
	s_branch .LBB3_900
.LBB3_2949:
	s_movk_i32 s4, 0x80
	v_cmp_eq_u16_sdwa s[12:13], v2, s4 src0_sel:BYTE_0 src1_sel:DWORD
	s_mov_b64 s[4:5], -1
                                        ; implicit-def: $sgpr10
	s_and_saveexec_b64 s[8:9], s[12:13]
; %bb.2950:
	s_mov_b32 s10, 0x7f800001
	s_xor_b64 s[4:5], exec, -1
; %bb.2951:
	s_or_b64 exec, exec, s[8:9]
	s_and_b64 s[4:5], s[4:5], exec
	s_or_saveexec_b64 s[6:7], s[6:7]
	v_mov_b32_e32 v13, s10
	s_xor_b64 exec, exec, s[6:7]
	s_cbranch_execz .LBB3_902
.LBB3_2952:
	v_mov_b32_e32 v13, 0
	v_cmp_ne_u16_sdwa s[8:9], v2, v13 src0_sel:BYTE_0 src1_sel:DWORD
	s_andn2_b64 s[4:5], s[4:5], exec
	s_and_b64 s[8:9], s[8:9], exec
	s_or_b64 s[4:5], s[4:5], s[8:9]
	s_or_b64 exec, exec, s[6:7]
	s_and_saveexec_b64 s[6:7], s[4:5]
	s_cbranch_execnz .LBB3_903
	s_branch .LBB3_904
.LBB3_2953:
	s_movk_i32 s4, 0x80
	v_cmp_eq_u16_sdwa s[12:13], v13, s4 src0_sel:BYTE_0 src1_sel:DWORD
	s_mov_b64 s[4:5], -1
                                        ; implicit-def: $sgpr10
	s_and_saveexec_b64 s[8:9], s[12:13]
; %bb.2954:
	s_mov_b32 s10, 0x7f800001
	s_xor_b64 s[4:5], exec, -1
; %bb.2955:
	s_or_b64 exec, exec, s[8:9]
	s_and_b64 s[4:5], s[4:5], exec
	s_or_saveexec_b64 s[6:7], s[6:7]
	v_mov_b32_e32 v12, s10
	s_xor_b64 exec, exec, s[6:7]
	s_cbranch_execz .LBB3_906
.LBB3_2956:
	v_mov_b32_e32 v12, 0
	v_cmp_ne_u16_sdwa s[8:9], v13, v12 src0_sel:BYTE_0 src1_sel:DWORD
	s_andn2_b64 s[4:5], s[4:5], exec
	s_and_b64 s[8:9], s[8:9], exec
	s_or_b64 s[4:5], s[4:5], s[8:9]
	s_or_b64 exec, exec, s[6:7]
	s_and_saveexec_b64 s[6:7], s[4:5]
	s_cbranch_execnz .LBB3_907
	s_branch .LBB3_908
.LBB3_2957:
	s_movk_i32 s4, 0x80
	v_cmp_eq_u16_sdwa s[12:13], v13, s4 src0_sel:BYTE_0 src1_sel:DWORD
	s_mov_b64 s[4:5], -1
                                        ; implicit-def: $sgpr10
	s_and_saveexec_b64 s[8:9], s[12:13]
; %bb.2958:
	s_mov_b32 s10, 0x7f800001
	s_xor_b64 s[4:5], exec, -1
; %bb.2959:
	s_or_b64 exec, exec, s[8:9]
	s_and_b64 s[4:5], s[4:5], exec
	s_or_saveexec_b64 s[6:7], s[6:7]
	v_mov_b32_e32 v14, s10
	s_xor_b64 exec, exec, s[6:7]
	s_cbranch_execz .LBB3_910
.LBB3_2960:
	v_mov_b32_e32 v14, 0
	v_cmp_ne_u16_sdwa s[8:9], v13, v14 src0_sel:BYTE_0 src1_sel:DWORD
	s_andn2_b64 s[4:5], s[4:5], exec
	s_and_b64 s[8:9], s[8:9], exec
	s_or_b64 s[4:5], s[4:5], s[8:9]
	s_or_b64 exec, exec, s[6:7]
	s_and_saveexec_b64 s[6:7], s[4:5]
	s_cbranch_execnz .LBB3_911
	s_branch .LBB3_912
.LBB3_2961:
	s_movk_i32 s4, 0x80
	v_cmp_eq_u16_e32 vcc, s4, v13
	s_mov_b64 s[4:5], -1
                                        ; implicit-def: $sgpr10
	s_and_saveexec_b64 s[8:9], vcc
; %bb.2962:
	s_mov_b32 s10, 0x7f800001
	s_xor_b64 s[4:5], exec, -1
; %bb.2963:
	s_or_b64 exec, exec, s[8:9]
	s_and_b64 s[4:5], s[4:5], exec
                                        ; implicit-def: $vgpr13
	s_or_saveexec_b64 s[6:7], s[6:7]
	v_mov_b32_e32 v12, s10
	s_xor_b64 exec, exec, s[6:7]
	s_cbranch_execz .LBB3_914
.LBB3_2964:
	v_cmp_ne_u16_e32 vcc, 0, v13
	s_andn2_b64 s[4:5], s[4:5], exec
	s_and_b64 s[8:9], vcc, exec
	v_mov_b32_e32 v12, 0
	s_or_b64 s[4:5], s[4:5], s[8:9]
	s_or_b64 exec, exec, s[6:7]
	s_and_saveexec_b64 s[6:7], s[4:5]
	s_cbranch_execnz .LBB3_915
	s_branch .LBB3_916
.LBB3_2965:
	s_movk_i32 s4, 0x80
	v_cmp_eq_u16_e32 vcc, s4, v13
	s_mov_b64 s[4:5], -1
                                        ; implicit-def: $sgpr10
	s_and_saveexec_b64 s[8:9], vcc
; %bb.2966:
	s_mov_b32 s10, 0x7f800001
	s_xor_b64 s[4:5], exec, -1
; %bb.2967:
	s_or_b64 exec, exec, s[8:9]
	s_and_b64 s[4:5], s[4:5], exec
                                        ; implicit-def: $vgpr13
	s_or_saveexec_b64 s[6:7], s[6:7]
	v_mov_b32_e32 v14, s10
	s_xor_b64 exec, exec, s[6:7]
	s_cbranch_execz .LBB3_918
.LBB3_2968:
	v_cmp_ne_u16_e32 vcc, 0, v13
	s_andn2_b64 s[4:5], s[4:5], exec
	s_and_b64 s[8:9], vcc, exec
	v_mov_b32_e32 v14, 0
	s_or_b64 s[4:5], s[4:5], s[8:9]
	s_or_b64 exec, exec, s[6:7]
	s_and_saveexec_b64 s[6:7], s[4:5]
	s_cbranch_execnz .LBB3_919
	s_branch .LBB3_920
.LBB3_2969:
	s_movk_i32 s4, 0x80
	v_cmp_eq_u16_sdwa s[12:13], v6, s4 src0_sel:BYTE_3 src1_sel:DWORD
	s_mov_b64 s[4:5], -1
                                        ; implicit-def: $sgpr10
	s_and_saveexec_b64 s[8:9], s[12:13]
; %bb.2970:
	s_mov_b32 s10, 0x7f800001
	s_xor_b64 s[4:5], exec, -1
; %bb.2971:
	s_or_b64 exec, exec, s[8:9]
	s_and_b64 s[4:5], s[4:5], exec
	s_or_saveexec_b64 s[6:7], s[6:7]
	v_mov_b32_e32 v12, s10
	s_xor_b64 exec, exec, s[6:7]
	s_cbranch_execz .LBB3_922
.LBB3_2972:
	v_mov_b32_e32 v12, 0
	v_cmp_ne_u16_sdwa s[8:9], v6, v12 src0_sel:BYTE_3 src1_sel:DWORD
	s_andn2_b64 s[4:5], s[4:5], exec
	s_and_b64 s[8:9], s[8:9], exec
	s_or_b64 s[4:5], s[4:5], s[8:9]
	s_or_b64 exec, exec, s[6:7]
	s_and_saveexec_b64 s[6:7], s[4:5]
	s_cbranch_execnz .LBB3_923
	s_branch .LBB3_924
.LBB3_2973:
	s_movk_i32 s4, 0x80
	v_cmp_eq_u16_sdwa s[12:13], v2, s4 src0_sel:BYTE_3 src1_sel:DWORD
	s_mov_b64 s[4:5], -1
                                        ; implicit-def: $sgpr10
	s_and_saveexec_b64 s[8:9], s[12:13]
; %bb.2974:
	s_mov_b32 s10, 0x7f800001
	s_xor_b64 s[4:5], exec, -1
; %bb.2975:
	s_or_b64 exec, exec, s[8:9]
	s_and_b64 s[4:5], s[4:5], exec
	s_or_saveexec_b64 s[6:7], s[6:7]
	v_mov_b32_e32 v6, s10
	s_xor_b64 exec, exec, s[6:7]
	s_cbranch_execz .LBB3_926
.LBB3_2976:
	v_mov_b32_e32 v6, 0
	v_cmp_ne_u16_sdwa s[8:9], v2, v6 src0_sel:BYTE_3 src1_sel:DWORD
	s_andn2_b64 s[4:5], s[4:5], exec
	s_and_b64 s[8:9], s[8:9], exec
	s_or_b64 s[4:5], s[4:5], s[8:9]
	s_or_b64 exec, exec, s[6:7]
	s_and_saveexec_b64 s[6:7], s[4:5]
	s_cbranch_execnz .LBB3_927
	s_branch .LBB3_928
.LBB3_2977:
	s_movk_i32 s4, 0x80
	v_cmp_eq_u16_sdwa s[12:13], v7, s4 src0_sel:BYTE_0 src1_sel:DWORD
	s_mov_b64 s[4:5], -1
                                        ; implicit-def: $sgpr10
	s_and_saveexec_b64 s[8:9], s[12:13]
; %bb.2978:
	s_mov_b32 s10, 0x7f800001
	s_xor_b64 s[4:5], exec, -1
; %bb.2979:
	s_or_b64 exec, exec, s[8:9]
	s_and_b64 s[4:5], s[4:5], exec
	s_or_saveexec_b64 s[6:7], s[6:7]
	v_mov_b32_e32 v2, s10
	s_xor_b64 exec, exec, s[6:7]
	s_cbranch_execz .LBB3_930
.LBB3_2980:
	v_mov_b32_e32 v2, 0
	v_cmp_ne_u16_sdwa s[8:9], v7, v2 src0_sel:BYTE_0 src1_sel:DWORD
	s_andn2_b64 s[4:5], s[4:5], exec
	s_and_b64 s[8:9], s[8:9], exec
	s_or_b64 s[4:5], s[4:5], s[8:9]
	s_or_b64 exec, exec, s[6:7]
	s_and_saveexec_b64 s[6:7], s[4:5]
	s_cbranch_execnz .LBB3_931
	s_branch .LBB3_932
.LBB3_2981:
	s_movk_i32 s4, 0x80
	v_cmp_eq_u16_sdwa s[12:13], v3, s4 src0_sel:BYTE_0 src1_sel:DWORD
	s_mov_b64 s[4:5], -1
                                        ; implicit-def: $sgpr10
	s_and_saveexec_b64 s[8:9], s[12:13]
; %bb.2982:
	s_mov_b32 s10, 0x7f800001
	s_xor_b64 s[4:5], exec, -1
; %bb.2983:
	s_or_b64 exec, exec, s[8:9]
	s_and_b64 s[4:5], s[4:5], exec
	s_or_saveexec_b64 s[6:7], s[6:7]
	v_mov_b32_e32 v6, s10
	s_xor_b64 exec, exec, s[6:7]
	s_cbranch_execz .LBB3_934
.LBB3_2984:
	v_mov_b32_e32 v6, 0
	v_cmp_ne_u16_sdwa s[8:9], v3, v6 src0_sel:BYTE_0 src1_sel:DWORD
	s_andn2_b64 s[4:5], s[4:5], exec
	s_and_b64 s[8:9], s[8:9], exec
	s_or_b64 s[4:5], s[4:5], s[8:9]
	s_or_b64 exec, exec, s[6:7]
	s_and_saveexec_b64 s[6:7], s[4:5]
	s_cbranch_execnz .LBB3_935
	s_branch .LBB3_936
.LBB3_2985:
	s_movk_i32 s4, 0x80
	v_cmp_eq_u16_sdwa s[12:13], v6, s4 src0_sel:BYTE_0 src1_sel:DWORD
	s_mov_b64 s[4:5], -1
                                        ; implicit-def: $sgpr10
	s_and_saveexec_b64 s[8:9], s[12:13]
; %bb.2986:
	s_mov_b32 s10, 0x7f800001
	s_xor_b64 s[4:5], exec, -1
; %bb.2987:
	s_or_b64 exec, exec, s[8:9]
	s_and_b64 s[4:5], s[4:5], exec
	s_or_saveexec_b64 s[6:7], s[6:7]
	v_mov_b32_e32 v2, s10
	s_xor_b64 exec, exec, s[6:7]
	s_cbranch_execz .LBB3_938
.LBB3_2988:
	v_mov_b32_e32 v2, 0
	v_cmp_ne_u16_sdwa s[8:9], v6, v2 src0_sel:BYTE_0 src1_sel:DWORD
	s_andn2_b64 s[4:5], s[4:5], exec
	s_and_b64 s[8:9], s[8:9], exec
	s_or_b64 s[4:5], s[4:5], s[8:9]
	s_or_b64 exec, exec, s[6:7]
	s_and_saveexec_b64 s[6:7], s[4:5]
	s_cbranch_execnz .LBB3_939
	s_branch .LBB3_940
.LBB3_2989:
	s_movk_i32 s4, 0x80
	v_cmp_eq_u16_sdwa s[12:13], v6, s4 src0_sel:BYTE_0 src1_sel:DWORD
	s_mov_b64 s[4:5], -1
                                        ; implicit-def: $sgpr10
	s_and_saveexec_b64 s[8:9], s[12:13]
; %bb.2990:
	s_mov_b32 s10, 0x7f800001
	s_xor_b64 s[4:5], exec, -1
; %bb.2991:
	s_or_b64 exec, exec, s[8:9]
	s_and_b64 s[4:5], s[4:5], exec
	s_or_saveexec_b64 s[6:7], s[6:7]
	v_mov_b32_e32 v12, s10
	s_xor_b64 exec, exec, s[6:7]
	s_cbranch_execz .LBB3_942
.LBB3_2992:
	v_mov_b32_e32 v12, 0
	v_cmp_ne_u16_sdwa s[8:9], v6, v12 src0_sel:BYTE_0 src1_sel:DWORD
	s_andn2_b64 s[4:5], s[4:5], exec
	s_and_b64 s[8:9], s[8:9], exec
	s_or_b64 s[4:5], s[4:5], s[8:9]
	s_or_b64 exec, exec, s[6:7]
	s_and_saveexec_b64 s[6:7], s[4:5]
	s_cbranch_execnz .LBB3_943
	s_branch .LBB3_944
.LBB3_2993:
	s_movk_i32 s4, 0x80
	v_cmp_eq_u16_e32 vcc, s4, v6
	s_mov_b64 s[4:5], -1
                                        ; implicit-def: $sgpr10
	s_and_saveexec_b64 s[8:9], vcc
; %bb.2994:
	s_mov_b32 s10, 0x7f800001
	s_xor_b64 s[4:5], exec, -1
; %bb.2995:
	s_or_b64 exec, exec, s[8:9]
	s_and_b64 s[4:5], s[4:5], exec
                                        ; implicit-def: $vgpr6
	s_or_saveexec_b64 s[6:7], s[6:7]
	v_mov_b32_e32 v2, s10
	s_xor_b64 exec, exec, s[6:7]
	s_cbranch_execz .LBB3_946
.LBB3_2996:
	v_cmp_ne_u16_e32 vcc, 0, v6
	s_andn2_b64 s[4:5], s[4:5], exec
	s_and_b64 s[8:9], vcc, exec
	v_mov_b32_e32 v2, 0
	s_or_b64 s[4:5], s[4:5], s[8:9]
	s_or_b64 exec, exec, s[6:7]
	s_and_saveexec_b64 s[6:7], s[4:5]
	s_cbranch_execnz .LBB3_947
	s_branch .LBB3_948
.LBB3_2997:
	s_movk_i32 s4, 0x80
	v_cmp_eq_u16_e32 vcc, s4, v6
	s_mov_b64 s[4:5], -1
                                        ; implicit-def: $sgpr10
	s_and_saveexec_b64 s[8:9], vcc
; %bb.2998:
	s_mov_b32 s10, 0x7f800001
	s_xor_b64 s[4:5], exec, -1
; %bb.2999:
	s_or_b64 exec, exec, s[8:9]
	s_and_b64 s[4:5], s[4:5], exec
                                        ; implicit-def: $vgpr6
	s_or_saveexec_b64 s[6:7], s[6:7]
	v_mov_b32_e32 v12, s10
	s_xor_b64 exec, exec, s[6:7]
	s_cbranch_execz .LBB3_950
.LBB3_3000:
	v_cmp_ne_u16_e32 vcc, 0, v6
	s_andn2_b64 s[4:5], s[4:5], exec
	s_and_b64 s[8:9], vcc, exec
	v_mov_b32_e32 v12, 0
	s_or_b64 s[4:5], s[4:5], s[8:9]
	s_or_b64 exec, exec, s[6:7]
	s_and_saveexec_b64 s[6:7], s[4:5]
	s_cbranch_execnz .LBB3_951
	s_branch .LBB3_952
.LBB3_3001:
	s_movk_i32 s4, 0x80
	v_cmp_eq_u16_sdwa s[12:13], v7, s4 src0_sel:BYTE_3 src1_sel:DWORD
	s_mov_b64 s[4:5], -1
                                        ; implicit-def: $sgpr10
	s_and_saveexec_b64 s[8:9], s[12:13]
; %bb.3002:
	s_mov_b32 s10, 0x7f800001
	s_xor_b64 s[4:5], exec, -1
; %bb.3003:
	s_or_b64 exec, exec, s[8:9]
	s_and_b64 s[4:5], s[4:5], exec
	s_or_saveexec_b64 s[6:7], s[6:7]
	v_mov_b32_e32 v2, s10
	s_xor_b64 exec, exec, s[6:7]
	s_cbranch_execz .LBB3_954
.LBB3_3004:
	v_mov_b32_e32 v2, 0
	v_cmp_ne_u16_sdwa s[8:9], v7, v2 src0_sel:BYTE_3 src1_sel:DWORD
	s_andn2_b64 s[4:5], s[4:5], exec
	s_and_b64 s[8:9], s[8:9], exec
	s_or_b64 s[4:5], s[4:5], s[8:9]
	s_or_b64 exec, exec, s[6:7]
	s_and_saveexec_b64 s[6:7], s[4:5]
	s_cbranch_execnz .LBB3_955
	s_branch .LBB3_956
.LBB3_3005:
	s_movk_i32 s4, 0x80
	v_cmp_eq_u16_sdwa s[12:13], v3, s4 src0_sel:BYTE_3 src1_sel:DWORD
	s_mov_b64 s[4:5], -1
                                        ; implicit-def: $sgpr10
	s_and_saveexec_b64 s[8:9], s[12:13]
; %bb.3006:
	s_mov_b32 s10, 0x7f800001
	s_xor_b64 s[4:5], exec, -1
; %bb.3007:
	s_or_b64 exec, exec, s[8:9]
	s_and_b64 s[4:5], s[4:5], exec
	s_or_saveexec_b64 s[6:7], s[6:7]
	v_mov_b32_e32 v6, s10
	s_xor_b64 exec, exec, s[6:7]
	s_cbranch_execz .LBB3_958
.LBB3_3008:
	v_mov_b32_e32 v6, 0
	v_cmp_ne_u16_sdwa s[8:9], v3, v6 src0_sel:BYTE_3 src1_sel:DWORD
	s_andn2_b64 s[4:5], s[4:5], exec
	s_and_b64 s[8:9], s[8:9], exec
	s_or_b64 s[4:5], s[4:5], s[8:9]
	s_or_b64 exec, exec, s[6:7]
	s_and_saveexec_b64 s[6:7], s[4:5]
	s_cbranch_execnz .LBB3_959
	s_branch .LBB3_960
.LBB3_3009:
	s_movk_i32 s4, 0x80
	v_cmp_eq_u16_sdwa s[12:13], v8, s4 src0_sel:BYTE_0 src1_sel:DWORD
	s_mov_b64 s[4:5], -1
                                        ; implicit-def: $sgpr10
	s_and_saveexec_b64 s[8:9], s[12:13]
; %bb.3010:
	s_mov_b32 s10, 0x7f800001
	s_xor_b64 s[4:5], exec, -1
; %bb.3011:
	s_or_b64 exec, exec, s[8:9]
	s_and_b64 s[4:5], s[4:5], exec
	s_or_saveexec_b64 s[6:7], s[6:7]
	v_mov_b32_e32 v2, s10
	s_xor_b64 exec, exec, s[6:7]
	s_cbranch_execz .LBB3_962
.LBB3_3012:
	v_mov_b32_e32 v2, 0
	v_cmp_ne_u16_sdwa s[8:9], v8, v2 src0_sel:BYTE_0 src1_sel:DWORD
	s_andn2_b64 s[4:5], s[4:5], exec
	s_and_b64 s[8:9], s[8:9], exec
	s_or_b64 s[4:5], s[4:5], s[8:9]
	s_or_b64 exec, exec, s[6:7]
	s_and_saveexec_b64 s[6:7], s[4:5]
	s_cbranch_execnz .LBB3_963
	s_branch .LBB3_964
.LBB3_3013:
	s_movk_i32 s4, 0x80
	v_cmp_eq_u16_sdwa s[12:13], v4, s4 src0_sel:BYTE_0 src1_sel:DWORD
	s_mov_b64 s[4:5], -1
                                        ; implicit-def: $sgpr10
	s_and_saveexec_b64 s[8:9], s[12:13]
; %bb.3014:
	s_mov_b32 s10, 0x7f800001
	s_xor_b64 s[4:5], exec, -1
; %bb.3015:
	s_or_b64 exec, exec, s[8:9]
	s_and_b64 s[4:5], s[4:5], exec
	s_or_saveexec_b64 s[6:7], s[6:7]
	v_mov_b32_e32 v3, s10
	s_xor_b64 exec, exec, s[6:7]
	s_cbranch_execz .LBB3_966
.LBB3_3016:
	v_mov_b32_e32 v3, 0
	v_cmp_ne_u16_sdwa s[8:9], v4, v3 src0_sel:BYTE_0 src1_sel:DWORD
	s_andn2_b64 s[4:5], s[4:5], exec
	s_and_b64 s[8:9], s[8:9], exec
	s_or_b64 s[4:5], s[4:5], s[8:9]
	s_or_b64 exec, exec, s[6:7]
	s_and_saveexec_b64 s[6:7], s[4:5]
	s_cbranch_execnz .LBB3_967
	s_branch .LBB3_968
.LBB3_3017:
	s_movk_i32 s4, 0x80
	v_cmp_eq_u16_sdwa s[12:13], v3, s4 src0_sel:BYTE_0 src1_sel:DWORD
	s_mov_b64 s[4:5], -1
                                        ; implicit-def: $sgpr10
	s_and_saveexec_b64 s[8:9], s[12:13]
; %bb.3018:
	s_mov_b32 s10, 0x7f800001
	s_xor_b64 s[4:5], exec, -1
; %bb.3019:
	s_or_b64 exec, exec, s[8:9]
	s_and_b64 s[4:5], s[4:5], exec
	s_or_saveexec_b64 s[6:7], s[6:7]
	v_mov_b32_e32 v2, s10
	s_xor_b64 exec, exec, s[6:7]
	s_cbranch_execz .LBB3_970
.LBB3_3020:
	v_mov_b32_e32 v2, 0
	v_cmp_ne_u16_sdwa s[8:9], v3, v2 src0_sel:BYTE_0 src1_sel:DWORD
	s_andn2_b64 s[4:5], s[4:5], exec
	s_and_b64 s[8:9], s[8:9], exec
	s_or_b64 s[4:5], s[4:5], s[8:9]
	s_or_b64 exec, exec, s[6:7]
	s_and_saveexec_b64 s[6:7], s[4:5]
	s_cbranch_execnz .LBB3_971
	s_branch .LBB3_972
.LBB3_3021:
	s_movk_i32 s4, 0x80
	v_cmp_eq_u16_sdwa s[12:13], v3, s4 src0_sel:BYTE_0 src1_sel:DWORD
	s_mov_b64 s[4:5], -1
                                        ; implicit-def: $sgpr10
	s_and_saveexec_b64 s[8:9], s[12:13]
; %bb.3022:
	s_mov_b32 s10, 0x7f800001
	s_xor_b64 s[4:5], exec, -1
; %bb.3023:
	s_or_b64 exec, exec, s[8:9]
	s_and_b64 s[4:5], s[4:5], exec
	s_or_saveexec_b64 s[6:7], s[6:7]
	v_mov_b32_e32 v6, s10
	s_xor_b64 exec, exec, s[6:7]
	s_cbranch_execz .LBB3_974
.LBB3_3024:
	v_mov_b32_e32 v6, 0
	v_cmp_ne_u16_sdwa s[8:9], v3, v6 src0_sel:BYTE_0 src1_sel:DWORD
	s_andn2_b64 s[4:5], s[4:5], exec
	s_and_b64 s[8:9], s[8:9], exec
	s_or_b64 s[4:5], s[4:5], s[8:9]
	s_or_b64 exec, exec, s[6:7]
	s_and_saveexec_b64 s[6:7], s[4:5]
	s_cbranch_execnz .LBB3_975
	s_branch .LBB3_976
.LBB3_3025:
	s_movk_i32 s4, 0x80
	v_cmp_eq_u16_e32 vcc, s4, v3
	s_mov_b64 s[4:5], -1
                                        ; implicit-def: $sgpr10
	s_and_saveexec_b64 s[8:9], vcc
; %bb.3026:
	s_mov_b32 s10, 0x7f800001
	s_xor_b64 s[4:5], exec, -1
; %bb.3027:
	s_or_b64 exec, exec, s[8:9]
	s_and_b64 s[4:5], s[4:5], exec
                                        ; implicit-def: $vgpr3
	s_or_saveexec_b64 s[6:7], s[6:7]
	v_mov_b32_e32 v2, s10
	s_xor_b64 exec, exec, s[6:7]
	s_cbranch_execz .LBB3_978
.LBB3_3028:
	v_cmp_ne_u16_e32 vcc, 0, v3
	s_andn2_b64 s[4:5], s[4:5], exec
	s_and_b64 s[8:9], vcc, exec
	v_mov_b32_e32 v2, 0
	s_or_b64 s[4:5], s[4:5], s[8:9]
	s_or_b64 exec, exec, s[6:7]
	s_and_saveexec_b64 s[6:7], s[4:5]
	s_cbranch_execnz .LBB3_979
	s_branch .LBB3_980
.LBB3_3029:
	s_movk_i32 s4, 0x80
	v_cmp_eq_u16_e32 vcc, s4, v3
	s_mov_b64 s[4:5], -1
                                        ; implicit-def: $sgpr10
	s_and_saveexec_b64 s[8:9], vcc
; %bb.3030:
	s_mov_b32 s10, 0x7f800001
	s_xor_b64 s[4:5], exec, -1
; %bb.3031:
	s_or_b64 exec, exec, s[8:9]
	s_and_b64 s[4:5], s[4:5], exec
                                        ; implicit-def: $vgpr3
	s_or_saveexec_b64 s[6:7], s[6:7]
	v_mov_b32_e32 v6, s10
	s_xor_b64 exec, exec, s[6:7]
	s_cbranch_execz .LBB3_982
.LBB3_3032:
	v_cmp_ne_u16_e32 vcc, 0, v3
	s_andn2_b64 s[4:5], s[4:5], exec
	s_and_b64 s[8:9], vcc, exec
	v_mov_b32_e32 v6, 0
	s_or_b64 s[4:5], s[4:5], s[8:9]
	s_or_b64 exec, exec, s[6:7]
	s_and_saveexec_b64 s[6:7], s[4:5]
	s_cbranch_execnz .LBB3_983
	s_branch .LBB3_984
.LBB3_3033:
	s_movk_i32 s4, 0x80
	v_cmp_eq_u16_sdwa s[12:13], v8, s4 src0_sel:BYTE_3 src1_sel:DWORD
	s_mov_b64 s[4:5], -1
                                        ; implicit-def: $sgpr10
	s_and_saveexec_b64 s[8:9], s[12:13]
; %bb.3034:
	s_mov_b32 s10, 0x7f800001
	s_xor_b64 s[4:5], exec, -1
; %bb.3035:
	s_or_b64 exec, exec, s[8:9]
	s_and_b64 s[4:5], s[4:5], exec
	s_or_saveexec_b64 s[6:7], s[6:7]
	v_mov_b32_e32 v2, s10
	s_xor_b64 exec, exec, s[6:7]
	s_cbranch_execz .LBB3_986
.LBB3_3036:
	v_mov_b32_e32 v2, 0
	v_cmp_ne_u16_sdwa s[8:9], v8, v2 src0_sel:BYTE_3 src1_sel:DWORD
	s_andn2_b64 s[4:5], s[4:5], exec
	s_and_b64 s[8:9], s[8:9], exec
	s_or_b64 s[4:5], s[4:5], s[8:9]
	s_or_b64 exec, exec, s[6:7]
	s_and_saveexec_b64 s[6:7], s[4:5]
	s_cbranch_execnz .LBB3_987
	s_branch .LBB3_988
.LBB3_3037:
	s_movk_i32 s4, 0x80
	v_cmp_eq_u16_sdwa s[12:13], v4, s4 src0_sel:BYTE_3 src1_sel:DWORD
	s_mov_b64 s[4:5], -1
                                        ; implicit-def: $sgpr10
	s_and_saveexec_b64 s[8:9], s[12:13]
; %bb.3038:
	s_mov_b32 s10, 0x7f800001
	s_xor_b64 s[4:5], exec, -1
; %bb.3039:
	s_or_b64 exec, exec, s[8:9]
	s_and_b64 s[4:5], s[4:5], exec
	s_or_saveexec_b64 s[6:7], s[6:7]
	v_mov_b32_e32 v3, s10
	s_xor_b64 exec, exec, s[6:7]
	s_cbranch_execz .LBB3_990
.LBB3_3040:
	v_mov_b32_e32 v3, 0
	v_cmp_ne_u16_sdwa s[8:9], v4, v3 src0_sel:BYTE_3 src1_sel:DWORD
	s_andn2_b64 s[4:5], s[4:5], exec
	s_and_b64 s[8:9], s[8:9], exec
	s_or_b64 s[4:5], s[4:5], s[8:9]
	s_or_b64 exec, exec, s[6:7]
	s_and_saveexec_b64 s[6:7], s[4:5]
	s_cbranch_execnz .LBB3_991
	s_branch .LBB3_992
.LBB3_3041:
	s_movk_i32 s4, 0x80
	v_cmp_eq_u16_sdwa s[12:13], v9, s4 src0_sel:BYTE_0 src1_sel:DWORD
	s_mov_b64 s[4:5], -1
                                        ; implicit-def: $sgpr10
	s_and_saveexec_b64 s[8:9], s[12:13]
; %bb.3042:
	s_mov_b32 s10, 0x7f800001
	s_xor_b64 s[4:5], exec, -1
; %bb.3043:
	s_or_b64 exec, exec, s[8:9]
	s_and_b64 s[4:5], s[4:5], exec
	s_or_saveexec_b64 s[6:7], s[6:7]
	v_mov_b32_e32 v2, s10
	s_xor_b64 exec, exec, s[6:7]
	s_cbranch_execz .LBB3_994
.LBB3_3044:
	v_mov_b32_e32 v2, 0
	v_cmp_ne_u16_sdwa s[8:9], v9, v2 src0_sel:BYTE_0 src1_sel:DWORD
	s_andn2_b64 s[4:5], s[4:5], exec
	s_and_b64 s[8:9], s[8:9], exec
	s_or_b64 s[4:5], s[4:5], s[8:9]
	s_or_b64 exec, exec, s[6:7]
	s_and_saveexec_b64 s[6:7], s[4:5]
	s_cbranch_execnz .LBB3_995
	s_branch .LBB3_996
.LBB3_3045:
	s_movk_i32 s4, 0x80
	v_cmp_eq_u16_sdwa s[12:13], v5, s4 src0_sel:BYTE_0 src1_sel:DWORD
	s_mov_b64 s[4:5], -1
                                        ; implicit-def: $sgpr10
	s_and_saveexec_b64 s[8:9], s[12:13]
; %bb.3046:
	s_mov_b32 s10, 0x7f800001
	s_xor_b64 s[4:5], exec, -1
; %bb.3047:
	s_or_b64 exec, exec, s[8:9]
	s_and_b64 s[4:5], s[4:5], exec
	s_or_saveexec_b64 s[6:7], s[6:7]
	v_mov_b32_e32 v3, s10
	s_xor_b64 exec, exec, s[6:7]
	s_cbranch_execz .LBB3_998
.LBB3_3048:
	v_mov_b32_e32 v3, 0
	v_cmp_ne_u16_sdwa s[8:9], v5, v3 src0_sel:BYTE_0 src1_sel:DWORD
	s_andn2_b64 s[4:5], s[4:5], exec
	s_and_b64 s[8:9], s[8:9], exec
	s_or_b64 s[4:5], s[4:5], s[8:9]
	s_or_b64 exec, exec, s[6:7]
	s_and_saveexec_b64 s[6:7], s[4:5]
	s_cbranch_execnz .LBB3_999
	s_branch .LBB3_1000
.LBB3_3049:
	s_movk_i32 s4, 0x80
	v_cmp_eq_u16_sdwa s[12:13], v3, s4 src0_sel:BYTE_0 src1_sel:DWORD
	s_mov_b64 s[4:5], -1
                                        ; implicit-def: $sgpr10
	s_and_saveexec_b64 s[8:9], s[12:13]
; %bb.3050:
	s_mov_b32 s10, 0x7f800001
	s_xor_b64 s[4:5], exec, -1
; %bb.3051:
	s_or_b64 exec, exec, s[8:9]
	s_and_b64 s[4:5], s[4:5], exec
	s_or_saveexec_b64 s[6:7], s[6:7]
	v_mov_b32_e32 v2, s10
	s_xor_b64 exec, exec, s[6:7]
	s_cbranch_execz .LBB3_1002
.LBB3_3052:
	v_mov_b32_e32 v2, 0
	v_cmp_ne_u16_sdwa s[8:9], v3, v2 src0_sel:BYTE_0 src1_sel:DWORD
	s_andn2_b64 s[4:5], s[4:5], exec
	s_and_b64 s[8:9], s[8:9], exec
	s_or_b64 s[4:5], s[4:5], s[8:9]
	s_or_b64 exec, exec, s[6:7]
	s_and_saveexec_b64 s[6:7], s[4:5]
	s_cbranch_execnz .LBB3_1003
	s_branch .LBB3_1004
.LBB3_3053:
	s_movk_i32 s4, 0x80
	v_cmp_eq_u16_sdwa s[12:13], v3, s4 src0_sel:BYTE_0 src1_sel:DWORD
	s_mov_b64 s[4:5], -1
                                        ; implicit-def: $sgpr10
	s_and_saveexec_b64 s[8:9], s[12:13]
; %bb.3054:
	s_mov_b32 s10, 0x7f800001
	s_xor_b64 s[4:5], exec, -1
; %bb.3055:
	s_or_b64 exec, exec, s[8:9]
	s_and_b64 s[4:5], s[4:5], exec
	s_or_saveexec_b64 s[6:7], s[6:7]
	v_mov_b32_e32 v4, s10
	s_xor_b64 exec, exec, s[6:7]
	s_cbranch_execz .LBB3_1006
.LBB3_3056:
	v_mov_b32_e32 v4, 0
	v_cmp_ne_u16_sdwa s[8:9], v3, v4 src0_sel:BYTE_0 src1_sel:DWORD
	s_andn2_b64 s[4:5], s[4:5], exec
	s_and_b64 s[8:9], s[8:9], exec
	s_or_b64 s[4:5], s[4:5], s[8:9]
	s_or_b64 exec, exec, s[6:7]
	s_and_saveexec_b64 s[6:7], s[4:5]
	s_cbranch_execnz .LBB3_1007
	s_branch .LBB3_1008
.LBB3_3057:
	s_movk_i32 s4, 0x80
	v_cmp_eq_u16_e32 vcc, s4, v3
	s_mov_b64 s[4:5], -1
                                        ; implicit-def: $sgpr10
	s_and_saveexec_b64 s[8:9], vcc
; %bb.3058:
	s_mov_b32 s10, 0x7f800001
	s_xor_b64 s[4:5], exec, -1
; %bb.3059:
	s_or_b64 exec, exec, s[8:9]
	s_and_b64 s[4:5], s[4:5], exec
                                        ; implicit-def: $vgpr3
	s_or_saveexec_b64 s[6:7], s[6:7]
	v_mov_b32_e32 v2, s10
	s_xor_b64 exec, exec, s[6:7]
	s_cbranch_execz .LBB3_1010
.LBB3_3060:
	v_cmp_ne_u16_e32 vcc, 0, v3
	s_andn2_b64 s[4:5], s[4:5], exec
	s_and_b64 s[8:9], vcc, exec
	v_mov_b32_e32 v2, 0
	s_or_b64 s[4:5], s[4:5], s[8:9]
	s_or_b64 exec, exec, s[6:7]
	s_and_saveexec_b64 s[6:7], s[4:5]
	s_cbranch_execnz .LBB3_1011
	s_branch .LBB3_1012
.LBB3_3061:
	s_movk_i32 s4, 0x80
	v_cmp_eq_u16_e32 vcc, s4, v3
	s_mov_b64 s[4:5], -1
                                        ; implicit-def: $sgpr10
	s_and_saveexec_b64 s[8:9], vcc
; %bb.3062:
	s_mov_b32 s10, 0x7f800001
	s_xor_b64 s[4:5], exec, -1
; %bb.3063:
	s_or_b64 exec, exec, s[8:9]
	s_and_b64 s[4:5], s[4:5], exec
                                        ; implicit-def: $vgpr3
	s_or_saveexec_b64 s[6:7], s[6:7]
	v_mov_b32_e32 v4, s10
	s_xor_b64 exec, exec, s[6:7]
	s_cbranch_execz .LBB3_1014
.LBB3_3064:
	v_cmp_ne_u16_e32 vcc, 0, v3
	s_andn2_b64 s[4:5], s[4:5], exec
	s_and_b64 s[8:9], vcc, exec
	v_mov_b32_e32 v4, 0
	s_or_b64 s[4:5], s[4:5], s[8:9]
	s_or_b64 exec, exec, s[6:7]
	s_and_saveexec_b64 s[6:7], s[4:5]
	s_cbranch_execnz .LBB3_1015
	s_branch .LBB3_1016
.LBB3_3065:
	s_movk_i32 s4, 0x80
	v_cmp_eq_u16_sdwa s[12:13], v9, s4 src0_sel:BYTE_3 src1_sel:DWORD
	s_mov_b64 s[4:5], -1
                                        ; implicit-def: $sgpr10
	s_and_saveexec_b64 s[8:9], s[12:13]
; %bb.3066:
	s_mov_b32 s10, 0x7f800001
	s_xor_b64 s[4:5], exec, -1
; %bb.3067:
	s_or_b64 exec, exec, s[8:9]
	s_and_b64 s[4:5], s[4:5], exec
	s_or_saveexec_b64 s[6:7], s[6:7]
	v_mov_b32_e32 v2, s10
	s_xor_b64 exec, exec, s[6:7]
	s_cbranch_execz .LBB3_1018
.LBB3_3068:
	v_mov_b32_e32 v2, 0
	v_cmp_ne_u16_sdwa s[8:9], v9, v2 src0_sel:BYTE_3 src1_sel:DWORD
	s_andn2_b64 s[4:5], s[4:5], exec
	s_and_b64 s[8:9], s[8:9], exec
	s_or_b64 s[4:5], s[4:5], s[8:9]
	s_or_b64 exec, exec, s[6:7]
	s_and_saveexec_b64 s[6:7], s[4:5]
	s_cbranch_execnz .LBB3_1019
	s_branch .LBB3_1020
.LBB3_3069:
	s_movk_i32 s4, 0x80
	v_cmp_eq_u16_sdwa s[12:13], v5, s4 src0_sel:BYTE_3 src1_sel:DWORD
	s_mov_b64 s[4:5], -1
                                        ; implicit-def: $sgpr10
	s_and_saveexec_b64 s[8:9], s[12:13]
; %bb.3070:
	s_mov_b32 s10, 0x7f800001
	s_xor_b64 s[4:5], exec, -1
; %bb.3071:
	s_or_b64 exec, exec, s[8:9]
	s_and_b64 s[4:5], s[4:5], exec
	s_or_saveexec_b64 s[6:7], s[6:7]
	v_mov_b32_e32 v3, s10
	s_xor_b64 exec, exec, s[6:7]
	s_cbranch_execz .LBB3_1022
.LBB3_3072:
	v_mov_b32_e32 v3, 0
	v_cmp_ne_u16_sdwa s[8:9], v5, v3 src0_sel:BYTE_3 src1_sel:DWORD
	s_andn2_b64 s[4:5], s[4:5], exec
	s_and_b64 s[8:9], s[8:9], exec
	s_or_b64 s[4:5], s[4:5], s[8:9]
	s_or_b64 exec, exec, s[6:7]
	s_and_saveexec_b64 s[6:7], s[4:5]
	s_cbranch_execnz .LBB3_1023
	s_branch .LBB3_1024
.LBB3_3073:
	s_movk_i32 s4, 0x80
	v_cmp_eq_u16_sdwa s[12:13], v6, s4 src0_sel:BYTE_0 src1_sel:DWORD
	s_mov_b64 s[4:5], -1
                                        ; implicit-def: $sgpr10
	s_and_saveexec_b64 s[8:9], s[12:13]
; %bb.3074:
	s_mov_b32 s10, 0x7f800001
	s_xor_b64 s[4:5], exec, -1
; %bb.3075:
	s_or_b64 exec, exec, s[8:9]
	s_and_b64 s[4:5], s[4:5], exec
	s_or_saveexec_b64 s[6:7], s[6:7]
	v_mov_b32_e32 v12, s10
	s_xor_b64 exec, exec, s[6:7]
	s_cbranch_execz .LBB3_1026
.LBB3_3076:
	v_mov_b32_e32 v12, 0
	v_cmp_ne_u16_sdwa s[8:9], v6, v12 src0_sel:BYTE_0 src1_sel:DWORD
	s_andn2_b64 s[4:5], s[4:5], exec
	s_and_b64 s[8:9], s[8:9], exec
	s_or_b64 s[4:5], s[4:5], s[8:9]
	s_or_b64 exec, exec, s[6:7]
	s_and_saveexec_b64 s[6:7], s[4:5]
	s_cbranch_execnz .LBB3_1027
	s_branch .LBB3_1028
.LBB3_3077:
	s_movk_i32 s4, 0x80
	v_cmp_eq_u16_sdwa s[12:13], v2, s4 src0_sel:BYTE_0 src1_sel:DWORD
	s_mov_b64 s[4:5], -1
                                        ; implicit-def: $sgpr10
	s_and_saveexec_b64 s[8:9], s[12:13]
; %bb.3078:
	s_mov_b32 s10, 0x7f800001
	s_xor_b64 s[4:5], exec, -1
; %bb.3079:
	s_or_b64 exec, exec, s[8:9]
	s_and_b64 s[4:5], s[4:5], exec
	s_or_saveexec_b64 s[6:7], s[6:7]
	v_mov_b32_e32 v13, s10
	s_xor_b64 exec, exec, s[6:7]
	s_cbranch_execz .LBB3_1030
.LBB3_3080:
	v_mov_b32_e32 v13, 0
	v_cmp_ne_u16_sdwa s[8:9], v2, v13 src0_sel:BYTE_0 src1_sel:DWORD
	s_andn2_b64 s[4:5], s[4:5], exec
	s_and_b64 s[8:9], s[8:9], exec
	s_or_b64 s[4:5], s[4:5], s[8:9]
	s_or_b64 exec, exec, s[6:7]
	s_and_saveexec_b64 s[6:7], s[4:5]
	s_cbranch_execnz .LBB3_1031
	s_branch .LBB3_1032
.LBB3_3081:
	s_movk_i32 s4, 0x80
	v_cmp_eq_u16_sdwa s[12:13], v13, s4 src0_sel:BYTE_0 src1_sel:DWORD
	s_mov_b64 s[4:5], -1
                                        ; implicit-def: $sgpr10
	s_and_saveexec_b64 s[8:9], s[12:13]
; %bb.3082:
	s_mov_b32 s10, 0x7f800001
	s_xor_b64 s[4:5], exec, -1
; %bb.3083:
	s_or_b64 exec, exec, s[8:9]
	s_and_b64 s[4:5], s[4:5], exec
	s_or_saveexec_b64 s[6:7], s[6:7]
	v_mov_b32_e32 v12, s10
	s_xor_b64 exec, exec, s[6:7]
	s_cbranch_execz .LBB3_1034
.LBB3_3084:
	v_mov_b32_e32 v12, 0
	v_cmp_ne_u16_sdwa s[8:9], v13, v12 src0_sel:BYTE_0 src1_sel:DWORD
	s_andn2_b64 s[4:5], s[4:5], exec
	s_and_b64 s[8:9], s[8:9], exec
	s_or_b64 s[4:5], s[4:5], s[8:9]
	s_or_b64 exec, exec, s[6:7]
	s_and_saveexec_b64 s[6:7], s[4:5]
	s_cbranch_execnz .LBB3_1035
	s_branch .LBB3_1036
.LBB3_3085:
	s_movk_i32 s4, 0x80
	v_cmp_eq_u16_sdwa s[12:13], v13, s4 src0_sel:BYTE_0 src1_sel:DWORD
	s_mov_b64 s[4:5], -1
                                        ; implicit-def: $sgpr10
	s_and_saveexec_b64 s[8:9], s[12:13]
; %bb.3086:
	s_mov_b32 s10, 0x7f800001
	s_xor_b64 s[4:5], exec, -1
; %bb.3087:
	s_or_b64 exec, exec, s[8:9]
	s_and_b64 s[4:5], s[4:5], exec
	s_or_saveexec_b64 s[6:7], s[6:7]
	v_mov_b32_e32 v14, s10
	s_xor_b64 exec, exec, s[6:7]
	s_cbranch_execz .LBB3_1038
.LBB3_3088:
	v_mov_b32_e32 v14, 0
	v_cmp_ne_u16_sdwa s[8:9], v13, v14 src0_sel:BYTE_0 src1_sel:DWORD
	s_andn2_b64 s[4:5], s[4:5], exec
	s_and_b64 s[8:9], s[8:9], exec
	s_or_b64 s[4:5], s[4:5], s[8:9]
	s_or_b64 exec, exec, s[6:7]
	s_and_saveexec_b64 s[6:7], s[4:5]
	s_cbranch_execnz .LBB3_1039
	s_branch .LBB3_1040
.LBB3_3089:
	s_movk_i32 s4, 0x80
	v_cmp_eq_u16_e32 vcc, s4, v13
	s_mov_b64 s[4:5], -1
                                        ; implicit-def: $sgpr10
	s_and_saveexec_b64 s[8:9], vcc
; %bb.3090:
	s_mov_b32 s10, 0x7f800001
	s_xor_b64 s[4:5], exec, -1
; %bb.3091:
	s_or_b64 exec, exec, s[8:9]
	s_and_b64 s[4:5], s[4:5], exec
                                        ; implicit-def: $vgpr13
	s_or_saveexec_b64 s[6:7], s[6:7]
	v_mov_b32_e32 v12, s10
	s_xor_b64 exec, exec, s[6:7]
	s_cbranch_execz .LBB3_1042
.LBB3_3092:
	v_cmp_ne_u16_e32 vcc, 0, v13
	s_andn2_b64 s[4:5], s[4:5], exec
	s_and_b64 s[8:9], vcc, exec
	v_mov_b32_e32 v12, 0
	s_or_b64 s[4:5], s[4:5], s[8:9]
	s_or_b64 exec, exec, s[6:7]
	s_and_saveexec_b64 s[6:7], s[4:5]
	s_cbranch_execnz .LBB3_1043
	s_branch .LBB3_1044
.LBB3_3093:
	s_movk_i32 s4, 0x80
	v_cmp_eq_u16_e32 vcc, s4, v13
	s_mov_b64 s[4:5], -1
                                        ; implicit-def: $sgpr10
	s_and_saveexec_b64 s[8:9], vcc
; %bb.3094:
	s_mov_b32 s10, 0x7f800001
	s_xor_b64 s[4:5], exec, -1
; %bb.3095:
	s_or_b64 exec, exec, s[8:9]
	s_and_b64 s[4:5], s[4:5], exec
                                        ; implicit-def: $vgpr13
	s_or_saveexec_b64 s[6:7], s[6:7]
	v_mov_b32_e32 v14, s10
	s_xor_b64 exec, exec, s[6:7]
	s_cbranch_execz .LBB3_1046
.LBB3_3096:
	v_cmp_ne_u16_e32 vcc, 0, v13
	s_andn2_b64 s[4:5], s[4:5], exec
	s_and_b64 s[8:9], vcc, exec
	v_mov_b32_e32 v14, 0
	s_or_b64 s[4:5], s[4:5], s[8:9]
	s_or_b64 exec, exec, s[6:7]
	s_and_saveexec_b64 s[6:7], s[4:5]
	s_cbranch_execnz .LBB3_1047
	s_branch .LBB3_1048
.LBB3_3097:
	s_movk_i32 s4, 0x80
	v_cmp_eq_u16_sdwa s[12:13], v6, s4 src0_sel:BYTE_3 src1_sel:DWORD
	s_mov_b64 s[4:5], -1
                                        ; implicit-def: $sgpr10
	s_and_saveexec_b64 s[8:9], s[12:13]
; %bb.3098:
	s_mov_b32 s10, 0x7f800001
	s_xor_b64 s[4:5], exec, -1
; %bb.3099:
	s_or_b64 exec, exec, s[8:9]
	s_and_b64 s[4:5], s[4:5], exec
	s_or_saveexec_b64 s[6:7], s[6:7]
	v_mov_b32_e32 v12, s10
	s_xor_b64 exec, exec, s[6:7]
	s_cbranch_execz .LBB3_1050
.LBB3_3100:
	v_mov_b32_e32 v12, 0
	v_cmp_ne_u16_sdwa s[8:9], v6, v12 src0_sel:BYTE_3 src1_sel:DWORD
	s_andn2_b64 s[4:5], s[4:5], exec
	s_and_b64 s[8:9], s[8:9], exec
	s_or_b64 s[4:5], s[4:5], s[8:9]
	s_or_b64 exec, exec, s[6:7]
	s_and_saveexec_b64 s[6:7], s[4:5]
	s_cbranch_execnz .LBB3_1051
	s_branch .LBB3_1052
.LBB3_3101:
	s_movk_i32 s4, 0x80
	v_cmp_eq_u16_sdwa s[12:13], v2, s4 src0_sel:BYTE_3 src1_sel:DWORD
	s_mov_b64 s[4:5], -1
                                        ; implicit-def: $sgpr10
	s_and_saveexec_b64 s[8:9], s[12:13]
; %bb.3102:
	s_mov_b32 s10, 0x7f800001
	s_xor_b64 s[4:5], exec, -1
; %bb.3103:
	s_or_b64 exec, exec, s[8:9]
	s_and_b64 s[4:5], s[4:5], exec
	s_or_saveexec_b64 s[6:7], s[6:7]
	v_mov_b32_e32 v6, s10
	s_xor_b64 exec, exec, s[6:7]
	s_cbranch_execz .LBB3_1054
.LBB3_3104:
	v_mov_b32_e32 v6, 0
	v_cmp_ne_u16_sdwa s[8:9], v2, v6 src0_sel:BYTE_3 src1_sel:DWORD
	s_andn2_b64 s[4:5], s[4:5], exec
	s_and_b64 s[8:9], s[8:9], exec
	s_or_b64 s[4:5], s[4:5], s[8:9]
	s_or_b64 exec, exec, s[6:7]
	s_and_saveexec_b64 s[6:7], s[4:5]
	s_cbranch_execnz .LBB3_1055
	s_branch .LBB3_1056
.LBB3_3105:
	s_movk_i32 s4, 0x80
	v_cmp_eq_u16_sdwa s[12:13], v7, s4 src0_sel:BYTE_0 src1_sel:DWORD
	s_mov_b64 s[4:5], -1
                                        ; implicit-def: $sgpr10
	s_and_saveexec_b64 s[8:9], s[12:13]
; %bb.3106:
	s_mov_b32 s10, 0x7f800001
	s_xor_b64 s[4:5], exec, -1
; %bb.3107:
	s_or_b64 exec, exec, s[8:9]
	s_and_b64 s[4:5], s[4:5], exec
	s_or_saveexec_b64 s[6:7], s[6:7]
	v_mov_b32_e32 v2, s10
	s_xor_b64 exec, exec, s[6:7]
	s_cbranch_execz .LBB3_1058
.LBB3_3108:
	v_mov_b32_e32 v2, 0
	v_cmp_ne_u16_sdwa s[8:9], v7, v2 src0_sel:BYTE_0 src1_sel:DWORD
	s_andn2_b64 s[4:5], s[4:5], exec
	s_and_b64 s[8:9], s[8:9], exec
	s_or_b64 s[4:5], s[4:5], s[8:9]
	s_or_b64 exec, exec, s[6:7]
	s_and_saveexec_b64 s[6:7], s[4:5]
	s_cbranch_execnz .LBB3_1059
	s_branch .LBB3_1060
.LBB3_3109:
	s_movk_i32 s4, 0x80
	v_cmp_eq_u16_sdwa s[12:13], v3, s4 src0_sel:BYTE_0 src1_sel:DWORD
	s_mov_b64 s[4:5], -1
                                        ; implicit-def: $sgpr10
	s_and_saveexec_b64 s[8:9], s[12:13]
; %bb.3110:
	s_mov_b32 s10, 0x7f800001
	s_xor_b64 s[4:5], exec, -1
; %bb.3111:
	s_or_b64 exec, exec, s[8:9]
	s_and_b64 s[4:5], s[4:5], exec
	s_or_saveexec_b64 s[6:7], s[6:7]
	v_mov_b32_e32 v6, s10
	s_xor_b64 exec, exec, s[6:7]
	s_cbranch_execz .LBB3_1062
.LBB3_3112:
	v_mov_b32_e32 v6, 0
	v_cmp_ne_u16_sdwa s[8:9], v3, v6 src0_sel:BYTE_0 src1_sel:DWORD
	s_andn2_b64 s[4:5], s[4:5], exec
	s_and_b64 s[8:9], s[8:9], exec
	s_or_b64 s[4:5], s[4:5], s[8:9]
	s_or_b64 exec, exec, s[6:7]
	s_and_saveexec_b64 s[6:7], s[4:5]
	s_cbranch_execnz .LBB3_1063
	s_branch .LBB3_1064
.LBB3_3113:
	s_movk_i32 s4, 0x80
	v_cmp_eq_u16_sdwa s[12:13], v6, s4 src0_sel:BYTE_0 src1_sel:DWORD
	s_mov_b64 s[4:5], -1
                                        ; implicit-def: $sgpr10
	s_and_saveexec_b64 s[8:9], s[12:13]
; %bb.3114:
	s_mov_b32 s10, 0x7f800001
	s_xor_b64 s[4:5], exec, -1
; %bb.3115:
	s_or_b64 exec, exec, s[8:9]
	s_and_b64 s[4:5], s[4:5], exec
	s_or_saveexec_b64 s[6:7], s[6:7]
	v_mov_b32_e32 v2, s10
	s_xor_b64 exec, exec, s[6:7]
	s_cbranch_execz .LBB3_1066
.LBB3_3116:
	v_mov_b32_e32 v2, 0
	v_cmp_ne_u16_sdwa s[8:9], v6, v2 src0_sel:BYTE_0 src1_sel:DWORD
	s_andn2_b64 s[4:5], s[4:5], exec
	s_and_b64 s[8:9], s[8:9], exec
	s_or_b64 s[4:5], s[4:5], s[8:9]
	s_or_b64 exec, exec, s[6:7]
	s_and_saveexec_b64 s[6:7], s[4:5]
	s_cbranch_execnz .LBB3_1067
	s_branch .LBB3_1068
.LBB3_3117:
	s_movk_i32 s4, 0x80
	v_cmp_eq_u16_sdwa s[12:13], v6, s4 src0_sel:BYTE_0 src1_sel:DWORD
	s_mov_b64 s[4:5], -1
                                        ; implicit-def: $sgpr10
	s_and_saveexec_b64 s[8:9], s[12:13]
; %bb.3118:
	s_mov_b32 s10, 0x7f800001
	s_xor_b64 s[4:5], exec, -1
; %bb.3119:
	s_or_b64 exec, exec, s[8:9]
	s_and_b64 s[4:5], s[4:5], exec
	s_or_saveexec_b64 s[6:7], s[6:7]
	v_mov_b32_e32 v12, s10
	s_xor_b64 exec, exec, s[6:7]
	s_cbranch_execz .LBB3_1070
.LBB3_3120:
	v_mov_b32_e32 v12, 0
	v_cmp_ne_u16_sdwa s[8:9], v6, v12 src0_sel:BYTE_0 src1_sel:DWORD
	s_andn2_b64 s[4:5], s[4:5], exec
	s_and_b64 s[8:9], s[8:9], exec
	s_or_b64 s[4:5], s[4:5], s[8:9]
	s_or_b64 exec, exec, s[6:7]
	s_and_saveexec_b64 s[6:7], s[4:5]
	s_cbranch_execnz .LBB3_1071
	s_branch .LBB3_1072
.LBB3_3121:
	s_movk_i32 s4, 0x80
	v_cmp_eq_u16_e32 vcc, s4, v6
	s_mov_b64 s[4:5], -1
                                        ; implicit-def: $sgpr10
	s_and_saveexec_b64 s[8:9], vcc
; %bb.3122:
	s_mov_b32 s10, 0x7f800001
	s_xor_b64 s[4:5], exec, -1
; %bb.3123:
	s_or_b64 exec, exec, s[8:9]
	s_and_b64 s[4:5], s[4:5], exec
                                        ; implicit-def: $vgpr6
	s_or_saveexec_b64 s[6:7], s[6:7]
	v_mov_b32_e32 v2, s10
	s_xor_b64 exec, exec, s[6:7]
	s_cbranch_execz .LBB3_1074
.LBB3_3124:
	v_cmp_ne_u16_e32 vcc, 0, v6
	s_andn2_b64 s[4:5], s[4:5], exec
	s_and_b64 s[8:9], vcc, exec
	v_mov_b32_e32 v2, 0
	s_or_b64 s[4:5], s[4:5], s[8:9]
	s_or_b64 exec, exec, s[6:7]
	s_and_saveexec_b64 s[6:7], s[4:5]
	s_cbranch_execnz .LBB3_1075
	s_branch .LBB3_1076
.LBB3_3125:
	s_movk_i32 s4, 0x80
	v_cmp_eq_u16_e32 vcc, s4, v6
	s_mov_b64 s[4:5], -1
                                        ; implicit-def: $sgpr10
	s_and_saveexec_b64 s[8:9], vcc
; %bb.3126:
	s_mov_b32 s10, 0x7f800001
	s_xor_b64 s[4:5], exec, -1
; %bb.3127:
	s_or_b64 exec, exec, s[8:9]
	s_and_b64 s[4:5], s[4:5], exec
                                        ; implicit-def: $vgpr6
	s_or_saveexec_b64 s[6:7], s[6:7]
	v_mov_b32_e32 v12, s10
	s_xor_b64 exec, exec, s[6:7]
	s_cbranch_execz .LBB3_1078
.LBB3_3128:
	v_cmp_ne_u16_e32 vcc, 0, v6
	s_andn2_b64 s[4:5], s[4:5], exec
	s_and_b64 s[8:9], vcc, exec
	v_mov_b32_e32 v12, 0
	s_or_b64 s[4:5], s[4:5], s[8:9]
	s_or_b64 exec, exec, s[6:7]
	s_and_saveexec_b64 s[6:7], s[4:5]
	s_cbranch_execnz .LBB3_1079
	s_branch .LBB3_1080
.LBB3_3129:
	s_movk_i32 s4, 0x80
	v_cmp_eq_u16_sdwa s[12:13], v7, s4 src0_sel:BYTE_3 src1_sel:DWORD
	s_mov_b64 s[4:5], -1
                                        ; implicit-def: $sgpr10
	s_and_saveexec_b64 s[8:9], s[12:13]
; %bb.3130:
	s_mov_b32 s10, 0x7f800001
	s_xor_b64 s[4:5], exec, -1
; %bb.3131:
	s_or_b64 exec, exec, s[8:9]
	s_and_b64 s[4:5], s[4:5], exec
	s_or_saveexec_b64 s[6:7], s[6:7]
	v_mov_b32_e32 v2, s10
	s_xor_b64 exec, exec, s[6:7]
	s_cbranch_execz .LBB3_1082
.LBB3_3132:
	v_mov_b32_e32 v2, 0
	v_cmp_ne_u16_sdwa s[8:9], v7, v2 src0_sel:BYTE_3 src1_sel:DWORD
	s_andn2_b64 s[4:5], s[4:5], exec
	s_and_b64 s[8:9], s[8:9], exec
	s_or_b64 s[4:5], s[4:5], s[8:9]
	s_or_b64 exec, exec, s[6:7]
	s_and_saveexec_b64 s[6:7], s[4:5]
	s_cbranch_execnz .LBB3_1083
	s_branch .LBB3_1084
.LBB3_3133:
	s_movk_i32 s4, 0x80
	v_cmp_eq_u16_sdwa s[12:13], v3, s4 src0_sel:BYTE_3 src1_sel:DWORD
	s_mov_b64 s[4:5], -1
                                        ; implicit-def: $sgpr10
	s_and_saveexec_b64 s[8:9], s[12:13]
; %bb.3134:
	s_mov_b32 s10, 0x7f800001
	s_xor_b64 s[4:5], exec, -1
; %bb.3135:
	s_or_b64 exec, exec, s[8:9]
	s_and_b64 s[4:5], s[4:5], exec
	s_or_saveexec_b64 s[6:7], s[6:7]
	v_mov_b32_e32 v6, s10
	s_xor_b64 exec, exec, s[6:7]
	s_cbranch_execz .LBB3_1086
.LBB3_3136:
	v_mov_b32_e32 v6, 0
	v_cmp_ne_u16_sdwa s[8:9], v3, v6 src0_sel:BYTE_3 src1_sel:DWORD
	s_andn2_b64 s[4:5], s[4:5], exec
	s_and_b64 s[8:9], s[8:9], exec
	s_or_b64 s[4:5], s[4:5], s[8:9]
	s_or_b64 exec, exec, s[6:7]
	s_and_saveexec_b64 s[6:7], s[4:5]
	s_cbranch_execnz .LBB3_1087
	s_branch .LBB3_1088
.LBB3_3137:
	s_movk_i32 s4, 0x80
	v_cmp_eq_u16_sdwa s[12:13], v8, s4 src0_sel:BYTE_0 src1_sel:DWORD
	s_mov_b64 s[4:5], -1
                                        ; implicit-def: $sgpr10
	s_and_saveexec_b64 s[8:9], s[12:13]
; %bb.3138:
	s_mov_b32 s10, 0x7f800001
	s_xor_b64 s[4:5], exec, -1
; %bb.3139:
	s_or_b64 exec, exec, s[8:9]
	s_and_b64 s[4:5], s[4:5], exec
	s_or_saveexec_b64 s[6:7], s[6:7]
	v_mov_b32_e32 v2, s10
	s_xor_b64 exec, exec, s[6:7]
	s_cbranch_execz .LBB3_1090
.LBB3_3140:
	v_mov_b32_e32 v2, 0
	v_cmp_ne_u16_sdwa s[8:9], v8, v2 src0_sel:BYTE_0 src1_sel:DWORD
	s_andn2_b64 s[4:5], s[4:5], exec
	s_and_b64 s[8:9], s[8:9], exec
	s_or_b64 s[4:5], s[4:5], s[8:9]
	s_or_b64 exec, exec, s[6:7]
	s_and_saveexec_b64 s[6:7], s[4:5]
	s_cbranch_execnz .LBB3_1091
	s_branch .LBB3_1092
.LBB3_3141:
	s_movk_i32 s4, 0x80
	v_cmp_eq_u16_sdwa s[12:13], v4, s4 src0_sel:BYTE_0 src1_sel:DWORD
	s_mov_b64 s[4:5], -1
                                        ; implicit-def: $sgpr10
	s_and_saveexec_b64 s[8:9], s[12:13]
; %bb.3142:
	s_mov_b32 s10, 0x7f800001
	s_xor_b64 s[4:5], exec, -1
; %bb.3143:
	s_or_b64 exec, exec, s[8:9]
	s_and_b64 s[4:5], s[4:5], exec
	s_or_saveexec_b64 s[6:7], s[6:7]
	v_mov_b32_e32 v3, s10
	s_xor_b64 exec, exec, s[6:7]
	s_cbranch_execz .LBB3_1094
.LBB3_3144:
	v_mov_b32_e32 v3, 0
	v_cmp_ne_u16_sdwa s[8:9], v4, v3 src0_sel:BYTE_0 src1_sel:DWORD
	s_andn2_b64 s[4:5], s[4:5], exec
	s_and_b64 s[8:9], s[8:9], exec
	s_or_b64 s[4:5], s[4:5], s[8:9]
	s_or_b64 exec, exec, s[6:7]
	s_and_saveexec_b64 s[6:7], s[4:5]
	s_cbranch_execnz .LBB3_1095
	s_branch .LBB3_1096
.LBB3_3145:
	s_movk_i32 s4, 0x80
	v_cmp_eq_u16_sdwa s[12:13], v3, s4 src0_sel:BYTE_0 src1_sel:DWORD
	s_mov_b64 s[4:5], -1
                                        ; implicit-def: $sgpr10
	s_and_saveexec_b64 s[8:9], s[12:13]
; %bb.3146:
	s_mov_b32 s10, 0x7f800001
	s_xor_b64 s[4:5], exec, -1
; %bb.3147:
	s_or_b64 exec, exec, s[8:9]
	s_and_b64 s[4:5], s[4:5], exec
	s_or_saveexec_b64 s[6:7], s[6:7]
	v_mov_b32_e32 v2, s10
	s_xor_b64 exec, exec, s[6:7]
	s_cbranch_execz .LBB3_1098
.LBB3_3148:
	v_mov_b32_e32 v2, 0
	v_cmp_ne_u16_sdwa s[8:9], v3, v2 src0_sel:BYTE_0 src1_sel:DWORD
	s_andn2_b64 s[4:5], s[4:5], exec
	s_and_b64 s[8:9], s[8:9], exec
	s_or_b64 s[4:5], s[4:5], s[8:9]
	s_or_b64 exec, exec, s[6:7]
	s_and_saveexec_b64 s[6:7], s[4:5]
	s_cbranch_execnz .LBB3_1099
	s_branch .LBB3_1100
.LBB3_3149:
	s_movk_i32 s4, 0x80
	v_cmp_eq_u16_sdwa s[12:13], v3, s4 src0_sel:BYTE_0 src1_sel:DWORD
	s_mov_b64 s[4:5], -1
                                        ; implicit-def: $sgpr10
	s_and_saveexec_b64 s[8:9], s[12:13]
; %bb.3150:
	s_mov_b32 s10, 0x7f800001
	s_xor_b64 s[4:5], exec, -1
; %bb.3151:
	s_or_b64 exec, exec, s[8:9]
	s_and_b64 s[4:5], s[4:5], exec
	s_or_saveexec_b64 s[6:7], s[6:7]
	v_mov_b32_e32 v6, s10
	s_xor_b64 exec, exec, s[6:7]
	s_cbranch_execz .LBB3_1102
.LBB3_3152:
	v_mov_b32_e32 v6, 0
	v_cmp_ne_u16_sdwa s[8:9], v3, v6 src0_sel:BYTE_0 src1_sel:DWORD
	s_andn2_b64 s[4:5], s[4:5], exec
	s_and_b64 s[8:9], s[8:9], exec
	s_or_b64 s[4:5], s[4:5], s[8:9]
	s_or_b64 exec, exec, s[6:7]
	s_and_saveexec_b64 s[6:7], s[4:5]
	s_cbranch_execnz .LBB3_1103
	s_branch .LBB3_1104
.LBB3_3153:
	s_movk_i32 s4, 0x80
	v_cmp_eq_u16_e32 vcc, s4, v3
	s_mov_b64 s[4:5], -1
                                        ; implicit-def: $sgpr10
	s_and_saveexec_b64 s[8:9], vcc
; %bb.3154:
	s_mov_b32 s10, 0x7f800001
	s_xor_b64 s[4:5], exec, -1
; %bb.3155:
	s_or_b64 exec, exec, s[8:9]
	s_and_b64 s[4:5], s[4:5], exec
                                        ; implicit-def: $vgpr3
	s_or_saveexec_b64 s[6:7], s[6:7]
	v_mov_b32_e32 v2, s10
	s_xor_b64 exec, exec, s[6:7]
	s_cbranch_execz .LBB3_1106
.LBB3_3156:
	v_cmp_ne_u16_e32 vcc, 0, v3
	s_andn2_b64 s[4:5], s[4:5], exec
	s_and_b64 s[8:9], vcc, exec
	v_mov_b32_e32 v2, 0
	s_or_b64 s[4:5], s[4:5], s[8:9]
	s_or_b64 exec, exec, s[6:7]
	s_and_saveexec_b64 s[6:7], s[4:5]
	s_cbranch_execnz .LBB3_1107
	s_branch .LBB3_1108
.LBB3_3157:
	s_movk_i32 s4, 0x80
	v_cmp_eq_u16_e32 vcc, s4, v3
	s_mov_b64 s[4:5], -1
                                        ; implicit-def: $sgpr10
	s_and_saveexec_b64 s[8:9], vcc
; %bb.3158:
	s_mov_b32 s10, 0x7f800001
	s_xor_b64 s[4:5], exec, -1
; %bb.3159:
	s_or_b64 exec, exec, s[8:9]
	s_and_b64 s[4:5], s[4:5], exec
                                        ; implicit-def: $vgpr3
	s_or_saveexec_b64 s[6:7], s[6:7]
	v_mov_b32_e32 v6, s10
	s_xor_b64 exec, exec, s[6:7]
	s_cbranch_execz .LBB3_1110
.LBB3_3160:
	v_cmp_ne_u16_e32 vcc, 0, v3
	s_andn2_b64 s[4:5], s[4:5], exec
	s_and_b64 s[8:9], vcc, exec
	v_mov_b32_e32 v6, 0
	s_or_b64 s[4:5], s[4:5], s[8:9]
	s_or_b64 exec, exec, s[6:7]
	s_and_saveexec_b64 s[6:7], s[4:5]
	s_cbranch_execnz .LBB3_1111
	s_branch .LBB3_1112
.LBB3_3161:
	s_movk_i32 s4, 0x80
	v_cmp_eq_u16_sdwa s[12:13], v8, s4 src0_sel:BYTE_3 src1_sel:DWORD
	s_mov_b64 s[4:5], -1
                                        ; implicit-def: $sgpr10
	s_and_saveexec_b64 s[8:9], s[12:13]
; %bb.3162:
	s_mov_b32 s10, 0x7f800001
	s_xor_b64 s[4:5], exec, -1
; %bb.3163:
	s_or_b64 exec, exec, s[8:9]
	s_and_b64 s[4:5], s[4:5], exec
	s_or_saveexec_b64 s[6:7], s[6:7]
	v_mov_b32_e32 v2, s10
	s_xor_b64 exec, exec, s[6:7]
	s_cbranch_execz .LBB3_1114
.LBB3_3164:
	v_mov_b32_e32 v2, 0
	v_cmp_ne_u16_sdwa s[8:9], v8, v2 src0_sel:BYTE_3 src1_sel:DWORD
	s_andn2_b64 s[4:5], s[4:5], exec
	s_and_b64 s[8:9], s[8:9], exec
	s_or_b64 s[4:5], s[4:5], s[8:9]
	s_or_b64 exec, exec, s[6:7]
	s_and_saveexec_b64 s[6:7], s[4:5]
	s_cbranch_execnz .LBB3_1115
	s_branch .LBB3_1116
.LBB3_3165:
	s_movk_i32 s4, 0x80
	v_cmp_eq_u16_sdwa s[12:13], v4, s4 src0_sel:BYTE_3 src1_sel:DWORD
	s_mov_b64 s[4:5], -1
                                        ; implicit-def: $sgpr10
	s_and_saveexec_b64 s[8:9], s[12:13]
; %bb.3166:
	s_mov_b32 s10, 0x7f800001
	s_xor_b64 s[4:5], exec, -1
; %bb.3167:
	s_or_b64 exec, exec, s[8:9]
	s_and_b64 s[4:5], s[4:5], exec
	s_or_saveexec_b64 s[6:7], s[6:7]
	v_mov_b32_e32 v3, s10
	s_xor_b64 exec, exec, s[6:7]
	s_cbranch_execz .LBB3_1118
.LBB3_3168:
	v_mov_b32_e32 v3, 0
	v_cmp_ne_u16_sdwa s[8:9], v4, v3 src0_sel:BYTE_3 src1_sel:DWORD
	s_andn2_b64 s[4:5], s[4:5], exec
	s_and_b64 s[8:9], s[8:9], exec
	s_or_b64 s[4:5], s[4:5], s[8:9]
	s_or_b64 exec, exec, s[6:7]
	s_and_saveexec_b64 s[6:7], s[4:5]
	s_cbranch_execnz .LBB3_1119
	s_branch .LBB3_1120
.LBB3_3169:
	s_movk_i32 s4, 0x80
	v_cmp_eq_u16_sdwa s[12:13], v9, s4 src0_sel:BYTE_0 src1_sel:DWORD
	s_mov_b64 s[4:5], -1
                                        ; implicit-def: $sgpr10
	s_and_saveexec_b64 s[8:9], s[12:13]
; %bb.3170:
	s_mov_b32 s10, 0x7f800001
	s_xor_b64 s[4:5], exec, -1
; %bb.3171:
	s_or_b64 exec, exec, s[8:9]
	s_and_b64 s[4:5], s[4:5], exec
	s_or_saveexec_b64 s[6:7], s[6:7]
	v_mov_b32_e32 v2, s10
	s_xor_b64 exec, exec, s[6:7]
	s_cbranch_execz .LBB3_1122
.LBB3_3172:
	v_mov_b32_e32 v2, 0
	v_cmp_ne_u16_sdwa s[8:9], v9, v2 src0_sel:BYTE_0 src1_sel:DWORD
	s_andn2_b64 s[4:5], s[4:5], exec
	s_and_b64 s[8:9], s[8:9], exec
	s_or_b64 s[4:5], s[4:5], s[8:9]
	s_or_b64 exec, exec, s[6:7]
	s_and_saveexec_b64 s[6:7], s[4:5]
	s_cbranch_execnz .LBB3_1123
	s_branch .LBB3_1124
.LBB3_3173:
	s_movk_i32 s4, 0x80
	v_cmp_eq_u16_sdwa s[12:13], v5, s4 src0_sel:BYTE_0 src1_sel:DWORD
	s_mov_b64 s[4:5], -1
                                        ; implicit-def: $sgpr10
	s_and_saveexec_b64 s[8:9], s[12:13]
; %bb.3174:
	s_mov_b32 s10, 0x7f800001
	s_xor_b64 s[4:5], exec, -1
; %bb.3175:
	s_or_b64 exec, exec, s[8:9]
	s_and_b64 s[4:5], s[4:5], exec
	s_or_saveexec_b64 s[6:7], s[6:7]
	v_mov_b32_e32 v3, s10
	s_xor_b64 exec, exec, s[6:7]
	s_cbranch_execz .LBB3_1126
.LBB3_3176:
	v_mov_b32_e32 v3, 0
	v_cmp_ne_u16_sdwa s[8:9], v5, v3 src0_sel:BYTE_0 src1_sel:DWORD
	s_andn2_b64 s[4:5], s[4:5], exec
	s_and_b64 s[8:9], s[8:9], exec
	s_or_b64 s[4:5], s[4:5], s[8:9]
	s_or_b64 exec, exec, s[6:7]
	s_and_saveexec_b64 s[6:7], s[4:5]
	s_cbranch_execnz .LBB3_1127
	s_branch .LBB3_1128
.LBB3_3177:
	s_movk_i32 s4, 0x80
	v_cmp_eq_u16_sdwa s[12:13], v3, s4 src0_sel:BYTE_0 src1_sel:DWORD
	s_mov_b64 s[4:5], -1
                                        ; implicit-def: $sgpr10
	s_and_saveexec_b64 s[8:9], s[12:13]
; %bb.3178:
	s_mov_b32 s10, 0x7f800001
	s_xor_b64 s[4:5], exec, -1
; %bb.3179:
	s_or_b64 exec, exec, s[8:9]
	s_and_b64 s[4:5], s[4:5], exec
	s_or_saveexec_b64 s[6:7], s[6:7]
	v_mov_b32_e32 v2, s10
	s_xor_b64 exec, exec, s[6:7]
	s_cbranch_execz .LBB3_1130
.LBB3_3180:
	v_mov_b32_e32 v2, 0
	v_cmp_ne_u16_sdwa s[8:9], v3, v2 src0_sel:BYTE_0 src1_sel:DWORD
	s_andn2_b64 s[4:5], s[4:5], exec
	s_and_b64 s[8:9], s[8:9], exec
	s_or_b64 s[4:5], s[4:5], s[8:9]
	s_or_b64 exec, exec, s[6:7]
	s_and_saveexec_b64 s[6:7], s[4:5]
	s_cbranch_execnz .LBB3_1131
	s_branch .LBB3_1132
.LBB3_3181:
	s_movk_i32 s4, 0x80
	v_cmp_eq_u16_sdwa s[12:13], v3, s4 src0_sel:BYTE_0 src1_sel:DWORD
	s_mov_b64 s[4:5], -1
                                        ; implicit-def: $sgpr10
	s_and_saveexec_b64 s[8:9], s[12:13]
; %bb.3182:
	s_mov_b32 s10, 0x7f800001
	s_xor_b64 s[4:5], exec, -1
; %bb.3183:
	s_or_b64 exec, exec, s[8:9]
	s_and_b64 s[4:5], s[4:5], exec
	s_or_saveexec_b64 s[6:7], s[6:7]
	v_mov_b32_e32 v4, s10
	s_xor_b64 exec, exec, s[6:7]
	s_cbranch_execz .LBB3_1134
.LBB3_3184:
	v_mov_b32_e32 v4, 0
	v_cmp_ne_u16_sdwa s[8:9], v3, v4 src0_sel:BYTE_0 src1_sel:DWORD
	s_andn2_b64 s[4:5], s[4:5], exec
	s_and_b64 s[8:9], s[8:9], exec
	s_or_b64 s[4:5], s[4:5], s[8:9]
	s_or_b64 exec, exec, s[6:7]
	s_and_saveexec_b64 s[6:7], s[4:5]
	s_cbranch_execnz .LBB3_1135
	s_branch .LBB3_1136
.LBB3_3185:
	s_movk_i32 s4, 0x80
	v_cmp_eq_u16_e32 vcc, s4, v3
	s_mov_b64 s[4:5], -1
                                        ; implicit-def: $sgpr10
	s_and_saveexec_b64 s[8:9], vcc
; %bb.3186:
	s_mov_b32 s10, 0x7f800001
	s_xor_b64 s[4:5], exec, -1
; %bb.3187:
	s_or_b64 exec, exec, s[8:9]
	s_and_b64 s[4:5], s[4:5], exec
                                        ; implicit-def: $vgpr3
	s_or_saveexec_b64 s[6:7], s[6:7]
	v_mov_b32_e32 v2, s10
	s_xor_b64 exec, exec, s[6:7]
	s_cbranch_execz .LBB3_1138
.LBB3_3188:
	v_cmp_ne_u16_e32 vcc, 0, v3
	s_andn2_b64 s[4:5], s[4:5], exec
	s_and_b64 s[8:9], vcc, exec
	v_mov_b32_e32 v2, 0
	s_or_b64 s[4:5], s[4:5], s[8:9]
	s_or_b64 exec, exec, s[6:7]
	s_and_saveexec_b64 s[6:7], s[4:5]
	s_cbranch_execnz .LBB3_1139
	s_branch .LBB3_1140
.LBB3_3189:
	s_movk_i32 s4, 0x80
	v_cmp_eq_u16_e32 vcc, s4, v3
	s_mov_b64 s[4:5], -1
                                        ; implicit-def: $sgpr10
	s_and_saveexec_b64 s[8:9], vcc
; %bb.3190:
	s_mov_b32 s10, 0x7f800001
	s_xor_b64 s[4:5], exec, -1
; %bb.3191:
	s_or_b64 exec, exec, s[8:9]
	s_and_b64 s[4:5], s[4:5], exec
                                        ; implicit-def: $vgpr3
	s_or_saveexec_b64 s[6:7], s[6:7]
	v_mov_b32_e32 v4, s10
	s_xor_b64 exec, exec, s[6:7]
	s_cbranch_execz .LBB3_1142
.LBB3_3192:
	v_cmp_ne_u16_e32 vcc, 0, v3
	s_andn2_b64 s[4:5], s[4:5], exec
	s_and_b64 s[8:9], vcc, exec
	v_mov_b32_e32 v4, 0
	s_or_b64 s[4:5], s[4:5], s[8:9]
	s_or_b64 exec, exec, s[6:7]
	s_and_saveexec_b64 s[6:7], s[4:5]
	s_cbranch_execnz .LBB3_1143
	s_branch .LBB3_1144
.LBB3_3193:
	s_movk_i32 s4, 0x80
	v_cmp_eq_u16_sdwa s[12:13], v9, s4 src0_sel:BYTE_3 src1_sel:DWORD
	s_mov_b64 s[4:5], -1
                                        ; implicit-def: $sgpr10
	s_and_saveexec_b64 s[8:9], s[12:13]
; %bb.3194:
	s_mov_b32 s10, 0x7f800001
	s_xor_b64 s[4:5], exec, -1
; %bb.3195:
	s_or_b64 exec, exec, s[8:9]
	s_and_b64 s[4:5], s[4:5], exec
	s_or_saveexec_b64 s[6:7], s[6:7]
	v_mov_b32_e32 v2, s10
	s_xor_b64 exec, exec, s[6:7]
	s_cbranch_execz .LBB3_1146
.LBB3_3196:
	v_mov_b32_e32 v2, 0
	v_cmp_ne_u16_sdwa s[8:9], v9, v2 src0_sel:BYTE_3 src1_sel:DWORD
	s_andn2_b64 s[4:5], s[4:5], exec
	s_and_b64 s[8:9], s[8:9], exec
	s_or_b64 s[4:5], s[4:5], s[8:9]
	s_or_b64 exec, exec, s[6:7]
	s_and_saveexec_b64 s[6:7], s[4:5]
	s_cbranch_execnz .LBB3_1147
	s_branch .LBB3_1148
.LBB3_3197:
	s_movk_i32 s4, 0x80
	v_cmp_eq_u16_sdwa s[12:13], v5, s4 src0_sel:BYTE_3 src1_sel:DWORD
	s_mov_b64 s[4:5], -1
                                        ; implicit-def: $sgpr10
	s_and_saveexec_b64 s[8:9], s[12:13]
; %bb.3198:
	s_mov_b32 s10, 0x7f800001
	s_xor_b64 s[4:5], exec, -1
; %bb.3199:
	s_or_b64 exec, exec, s[8:9]
	s_and_b64 s[4:5], s[4:5], exec
	s_or_saveexec_b64 s[6:7], s[6:7]
	v_mov_b32_e32 v3, s10
	s_xor_b64 exec, exec, s[6:7]
	s_cbranch_execz .LBB3_1150
.LBB3_3200:
	v_mov_b32_e32 v3, 0
	v_cmp_ne_u16_sdwa s[8:9], v5, v3 src0_sel:BYTE_3 src1_sel:DWORD
	s_andn2_b64 s[4:5], s[4:5], exec
	s_and_b64 s[8:9], s[8:9], exec
	s_or_b64 s[4:5], s[4:5], s[8:9]
	s_or_b64 exec, exec, s[6:7]
	s_and_saveexec_b64 s[6:7], s[4:5]
	s_cbranch_execnz .LBB3_1151
	s_branch .LBB3_1152
.LBB3_3201:
	s_movk_i32 s4, 0x80
	v_cmp_eq_u16_sdwa s[12:13], v6, s4 src0_sel:BYTE_0 src1_sel:DWORD
	s_mov_b64 s[4:5], -1
                                        ; implicit-def: $sgpr10
	s_and_saveexec_b64 s[8:9], s[12:13]
; %bb.3202:
	s_mov_b32 s10, 0x7f800001
	s_xor_b64 s[4:5], exec, -1
; %bb.3203:
	s_or_b64 exec, exec, s[8:9]
	s_and_b64 s[4:5], s[4:5], exec
	s_or_saveexec_b64 s[6:7], s[6:7]
	v_mov_b32_e32 v12, s10
	s_xor_b64 exec, exec, s[6:7]
	s_cbranch_execz .LBB3_1154
.LBB3_3204:
	v_mov_b32_e32 v12, 0
	v_cmp_ne_u16_sdwa s[8:9], v6, v12 src0_sel:BYTE_0 src1_sel:DWORD
	s_andn2_b64 s[4:5], s[4:5], exec
	s_and_b64 s[8:9], s[8:9], exec
	s_or_b64 s[4:5], s[4:5], s[8:9]
	s_or_b64 exec, exec, s[6:7]
	s_and_saveexec_b64 s[6:7], s[4:5]
	s_cbranch_execnz .LBB3_1155
	s_branch .LBB3_1156
.LBB3_3205:
	s_movk_i32 s4, 0x80
	v_cmp_eq_u16_sdwa s[12:13], v2, s4 src0_sel:BYTE_0 src1_sel:DWORD
	s_mov_b64 s[4:5], -1
                                        ; implicit-def: $sgpr10
	s_and_saveexec_b64 s[8:9], s[12:13]
; %bb.3206:
	s_mov_b32 s10, 0x7f800001
	s_xor_b64 s[4:5], exec, -1
; %bb.3207:
	s_or_b64 exec, exec, s[8:9]
	s_and_b64 s[4:5], s[4:5], exec
	s_or_saveexec_b64 s[6:7], s[6:7]
	v_mov_b32_e32 v13, s10
	s_xor_b64 exec, exec, s[6:7]
	s_cbranch_execz .LBB3_1158
.LBB3_3208:
	v_mov_b32_e32 v13, 0
	v_cmp_ne_u16_sdwa s[8:9], v2, v13 src0_sel:BYTE_0 src1_sel:DWORD
	s_andn2_b64 s[4:5], s[4:5], exec
	s_and_b64 s[8:9], s[8:9], exec
	s_or_b64 s[4:5], s[4:5], s[8:9]
	s_or_b64 exec, exec, s[6:7]
	s_and_saveexec_b64 s[6:7], s[4:5]
	s_cbranch_execnz .LBB3_1159
	s_branch .LBB3_1160
.LBB3_3209:
	s_movk_i32 s4, 0x80
	v_cmp_eq_u16_sdwa s[12:13], v13, s4 src0_sel:BYTE_0 src1_sel:DWORD
	s_mov_b64 s[4:5], -1
                                        ; implicit-def: $sgpr10
	s_and_saveexec_b64 s[8:9], s[12:13]
; %bb.3210:
	s_mov_b32 s10, 0x7f800001
	s_xor_b64 s[4:5], exec, -1
; %bb.3211:
	s_or_b64 exec, exec, s[8:9]
	s_and_b64 s[4:5], s[4:5], exec
	s_or_saveexec_b64 s[6:7], s[6:7]
	v_mov_b32_e32 v12, s10
	s_xor_b64 exec, exec, s[6:7]
	s_cbranch_execz .LBB3_1162
.LBB3_3212:
	v_mov_b32_e32 v12, 0
	v_cmp_ne_u16_sdwa s[8:9], v13, v12 src0_sel:BYTE_0 src1_sel:DWORD
	s_andn2_b64 s[4:5], s[4:5], exec
	s_and_b64 s[8:9], s[8:9], exec
	s_or_b64 s[4:5], s[4:5], s[8:9]
	s_or_b64 exec, exec, s[6:7]
	s_and_saveexec_b64 s[6:7], s[4:5]
	s_cbranch_execnz .LBB3_1163
	s_branch .LBB3_1164
.LBB3_3213:
	s_movk_i32 s4, 0x80
	v_cmp_eq_u16_sdwa s[12:13], v13, s4 src0_sel:BYTE_0 src1_sel:DWORD
	s_mov_b64 s[4:5], -1
                                        ; implicit-def: $sgpr10
	s_and_saveexec_b64 s[8:9], s[12:13]
; %bb.3214:
	s_mov_b32 s10, 0x7f800001
	s_xor_b64 s[4:5], exec, -1
; %bb.3215:
	s_or_b64 exec, exec, s[8:9]
	s_and_b64 s[4:5], s[4:5], exec
	s_or_saveexec_b64 s[6:7], s[6:7]
	v_mov_b32_e32 v14, s10
	s_xor_b64 exec, exec, s[6:7]
	s_cbranch_execz .LBB3_1166
.LBB3_3216:
	v_mov_b32_e32 v14, 0
	v_cmp_ne_u16_sdwa s[8:9], v13, v14 src0_sel:BYTE_0 src1_sel:DWORD
	s_andn2_b64 s[4:5], s[4:5], exec
	s_and_b64 s[8:9], s[8:9], exec
	s_or_b64 s[4:5], s[4:5], s[8:9]
	s_or_b64 exec, exec, s[6:7]
	s_and_saveexec_b64 s[6:7], s[4:5]
	s_cbranch_execnz .LBB3_1167
	s_branch .LBB3_1168
.LBB3_3217:
	s_movk_i32 s4, 0x80
	v_cmp_eq_u16_e32 vcc, s4, v13
	s_mov_b64 s[4:5], -1
                                        ; implicit-def: $sgpr10
	s_and_saveexec_b64 s[8:9], vcc
; %bb.3218:
	s_mov_b32 s10, 0x7f800001
	s_xor_b64 s[4:5], exec, -1
; %bb.3219:
	s_or_b64 exec, exec, s[8:9]
	s_and_b64 s[4:5], s[4:5], exec
                                        ; implicit-def: $vgpr13
	s_or_saveexec_b64 s[6:7], s[6:7]
	v_mov_b32_e32 v12, s10
	s_xor_b64 exec, exec, s[6:7]
	s_cbranch_execz .LBB3_1170
.LBB3_3220:
	v_cmp_ne_u16_e32 vcc, 0, v13
	s_andn2_b64 s[4:5], s[4:5], exec
	s_and_b64 s[8:9], vcc, exec
	v_mov_b32_e32 v12, 0
	s_or_b64 s[4:5], s[4:5], s[8:9]
	s_or_b64 exec, exec, s[6:7]
	s_and_saveexec_b64 s[6:7], s[4:5]
	s_cbranch_execnz .LBB3_1171
	s_branch .LBB3_1172
.LBB3_3221:
	s_movk_i32 s4, 0x80
	v_cmp_eq_u16_e32 vcc, s4, v13
	s_mov_b64 s[4:5], -1
                                        ; implicit-def: $sgpr10
	s_and_saveexec_b64 s[8:9], vcc
; %bb.3222:
	s_mov_b32 s10, 0x7f800001
	s_xor_b64 s[4:5], exec, -1
; %bb.3223:
	s_or_b64 exec, exec, s[8:9]
	s_and_b64 s[4:5], s[4:5], exec
                                        ; implicit-def: $vgpr13
	s_or_saveexec_b64 s[6:7], s[6:7]
	v_mov_b32_e32 v14, s10
	s_xor_b64 exec, exec, s[6:7]
	s_cbranch_execz .LBB3_1174
.LBB3_3224:
	v_cmp_ne_u16_e32 vcc, 0, v13
	s_andn2_b64 s[4:5], s[4:5], exec
	s_and_b64 s[8:9], vcc, exec
	v_mov_b32_e32 v14, 0
	s_or_b64 s[4:5], s[4:5], s[8:9]
	s_or_b64 exec, exec, s[6:7]
	s_and_saveexec_b64 s[6:7], s[4:5]
	s_cbranch_execnz .LBB3_1175
	s_branch .LBB3_1176
.LBB3_3225:
	s_movk_i32 s4, 0x80
	v_cmp_eq_u16_sdwa s[12:13], v6, s4 src0_sel:BYTE_3 src1_sel:DWORD
	s_mov_b64 s[4:5], -1
                                        ; implicit-def: $sgpr10
	s_and_saveexec_b64 s[8:9], s[12:13]
; %bb.3226:
	s_mov_b32 s10, 0x7f800001
	s_xor_b64 s[4:5], exec, -1
; %bb.3227:
	s_or_b64 exec, exec, s[8:9]
	s_and_b64 s[4:5], s[4:5], exec
	s_or_saveexec_b64 s[6:7], s[6:7]
	v_mov_b32_e32 v12, s10
	s_xor_b64 exec, exec, s[6:7]
	s_cbranch_execz .LBB3_1178
.LBB3_3228:
	v_mov_b32_e32 v12, 0
	v_cmp_ne_u16_sdwa s[8:9], v6, v12 src0_sel:BYTE_3 src1_sel:DWORD
	s_andn2_b64 s[4:5], s[4:5], exec
	s_and_b64 s[8:9], s[8:9], exec
	s_or_b64 s[4:5], s[4:5], s[8:9]
	s_or_b64 exec, exec, s[6:7]
	s_and_saveexec_b64 s[6:7], s[4:5]
	s_cbranch_execnz .LBB3_1179
	s_branch .LBB3_1180
.LBB3_3229:
	s_movk_i32 s4, 0x80
	v_cmp_eq_u16_sdwa s[12:13], v2, s4 src0_sel:BYTE_3 src1_sel:DWORD
	s_mov_b64 s[4:5], -1
                                        ; implicit-def: $sgpr10
	s_and_saveexec_b64 s[8:9], s[12:13]
; %bb.3230:
	s_mov_b32 s10, 0x7f800001
	s_xor_b64 s[4:5], exec, -1
; %bb.3231:
	s_or_b64 exec, exec, s[8:9]
	s_and_b64 s[4:5], s[4:5], exec
	s_or_saveexec_b64 s[6:7], s[6:7]
	v_mov_b32_e32 v6, s10
	s_xor_b64 exec, exec, s[6:7]
	s_cbranch_execz .LBB3_1182
.LBB3_3232:
	v_mov_b32_e32 v6, 0
	v_cmp_ne_u16_sdwa s[8:9], v2, v6 src0_sel:BYTE_3 src1_sel:DWORD
	s_andn2_b64 s[4:5], s[4:5], exec
	s_and_b64 s[8:9], s[8:9], exec
	s_or_b64 s[4:5], s[4:5], s[8:9]
	s_or_b64 exec, exec, s[6:7]
	s_and_saveexec_b64 s[6:7], s[4:5]
	s_cbranch_execnz .LBB3_1183
	s_branch .LBB3_1184
.LBB3_3233:
	s_movk_i32 s4, 0x80
	v_cmp_eq_u16_sdwa s[12:13], v7, s4 src0_sel:BYTE_0 src1_sel:DWORD
	s_mov_b64 s[4:5], -1
                                        ; implicit-def: $sgpr10
	s_and_saveexec_b64 s[8:9], s[12:13]
; %bb.3234:
	s_mov_b32 s10, 0x7f800001
	s_xor_b64 s[4:5], exec, -1
; %bb.3235:
	s_or_b64 exec, exec, s[8:9]
	s_and_b64 s[4:5], s[4:5], exec
	s_or_saveexec_b64 s[6:7], s[6:7]
	v_mov_b32_e32 v2, s10
	s_xor_b64 exec, exec, s[6:7]
	s_cbranch_execz .LBB3_1186
.LBB3_3236:
	v_mov_b32_e32 v2, 0
	v_cmp_ne_u16_sdwa s[8:9], v7, v2 src0_sel:BYTE_0 src1_sel:DWORD
	s_andn2_b64 s[4:5], s[4:5], exec
	s_and_b64 s[8:9], s[8:9], exec
	s_or_b64 s[4:5], s[4:5], s[8:9]
	s_or_b64 exec, exec, s[6:7]
	s_and_saveexec_b64 s[6:7], s[4:5]
	s_cbranch_execnz .LBB3_1187
	s_branch .LBB3_1188
.LBB3_3237:
	s_movk_i32 s4, 0x80
	v_cmp_eq_u16_sdwa s[12:13], v3, s4 src0_sel:BYTE_0 src1_sel:DWORD
	s_mov_b64 s[4:5], -1
                                        ; implicit-def: $sgpr10
	s_and_saveexec_b64 s[8:9], s[12:13]
; %bb.3238:
	s_mov_b32 s10, 0x7f800001
	s_xor_b64 s[4:5], exec, -1
; %bb.3239:
	s_or_b64 exec, exec, s[8:9]
	s_and_b64 s[4:5], s[4:5], exec
	s_or_saveexec_b64 s[6:7], s[6:7]
	v_mov_b32_e32 v6, s10
	s_xor_b64 exec, exec, s[6:7]
	s_cbranch_execz .LBB3_1190
.LBB3_3240:
	v_mov_b32_e32 v6, 0
	v_cmp_ne_u16_sdwa s[8:9], v3, v6 src0_sel:BYTE_0 src1_sel:DWORD
	s_andn2_b64 s[4:5], s[4:5], exec
	s_and_b64 s[8:9], s[8:9], exec
	s_or_b64 s[4:5], s[4:5], s[8:9]
	s_or_b64 exec, exec, s[6:7]
	s_and_saveexec_b64 s[6:7], s[4:5]
	s_cbranch_execnz .LBB3_1191
	s_branch .LBB3_1192
.LBB3_3241:
	s_movk_i32 s4, 0x80
	v_cmp_eq_u16_sdwa s[12:13], v6, s4 src0_sel:BYTE_0 src1_sel:DWORD
	s_mov_b64 s[4:5], -1
                                        ; implicit-def: $sgpr10
	s_and_saveexec_b64 s[8:9], s[12:13]
; %bb.3242:
	s_mov_b32 s10, 0x7f800001
	s_xor_b64 s[4:5], exec, -1
; %bb.3243:
	s_or_b64 exec, exec, s[8:9]
	s_and_b64 s[4:5], s[4:5], exec
	s_or_saveexec_b64 s[6:7], s[6:7]
	v_mov_b32_e32 v2, s10
	s_xor_b64 exec, exec, s[6:7]
	s_cbranch_execz .LBB3_1194
.LBB3_3244:
	v_mov_b32_e32 v2, 0
	v_cmp_ne_u16_sdwa s[8:9], v6, v2 src0_sel:BYTE_0 src1_sel:DWORD
	s_andn2_b64 s[4:5], s[4:5], exec
	s_and_b64 s[8:9], s[8:9], exec
	s_or_b64 s[4:5], s[4:5], s[8:9]
	s_or_b64 exec, exec, s[6:7]
	s_and_saveexec_b64 s[6:7], s[4:5]
	s_cbranch_execnz .LBB3_1195
	s_branch .LBB3_1196
.LBB3_3245:
	s_movk_i32 s4, 0x80
	v_cmp_eq_u16_sdwa s[12:13], v6, s4 src0_sel:BYTE_0 src1_sel:DWORD
	s_mov_b64 s[4:5], -1
                                        ; implicit-def: $sgpr10
	s_and_saveexec_b64 s[8:9], s[12:13]
; %bb.3246:
	s_mov_b32 s10, 0x7f800001
	s_xor_b64 s[4:5], exec, -1
; %bb.3247:
	s_or_b64 exec, exec, s[8:9]
	s_and_b64 s[4:5], s[4:5], exec
	s_or_saveexec_b64 s[6:7], s[6:7]
	v_mov_b32_e32 v12, s10
	s_xor_b64 exec, exec, s[6:7]
	s_cbranch_execz .LBB3_1198
.LBB3_3248:
	v_mov_b32_e32 v12, 0
	v_cmp_ne_u16_sdwa s[8:9], v6, v12 src0_sel:BYTE_0 src1_sel:DWORD
	s_andn2_b64 s[4:5], s[4:5], exec
	s_and_b64 s[8:9], s[8:9], exec
	s_or_b64 s[4:5], s[4:5], s[8:9]
	s_or_b64 exec, exec, s[6:7]
	s_and_saveexec_b64 s[6:7], s[4:5]
	s_cbranch_execnz .LBB3_1199
	s_branch .LBB3_1200
.LBB3_3249:
	s_movk_i32 s4, 0x80
	v_cmp_eq_u16_e32 vcc, s4, v6
	s_mov_b64 s[4:5], -1
                                        ; implicit-def: $sgpr10
	s_and_saveexec_b64 s[8:9], vcc
; %bb.3250:
	s_mov_b32 s10, 0x7f800001
	s_xor_b64 s[4:5], exec, -1
; %bb.3251:
	s_or_b64 exec, exec, s[8:9]
	s_and_b64 s[4:5], s[4:5], exec
                                        ; implicit-def: $vgpr6
	s_or_saveexec_b64 s[6:7], s[6:7]
	v_mov_b32_e32 v2, s10
	s_xor_b64 exec, exec, s[6:7]
	s_cbranch_execz .LBB3_1202
.LBB3_3252:
	v_cmp_ne_u16_e32 vcc, 0, v6
	s_andn2_b64 s[4:5], s[4:5], exec
	s_and_b64 s[8:9], vcc, exec
	v_mov_b32_e32 v2, 0
	s_or_b64 s[4:5], s[4:5], s[8:9]
	s_or_b64 exec, exec, s[6:7]
	s_and_saveexec_b64 s[6:7], s[4:5]
	s_cbranch_execnz .LBB3_1203
	s_branch .LBB3_1204
.LBB3_3253:
	s_movk_i32 s4, 0x80
	v_cmp_eq_u16_e32 vcc, s4, v6
	s_mov_b64 s[4:5], -1
                                        ; implicit-def: $sgpr10
	s_and_saveexec_b64 s[8:9], vcc
; %bb.3254:
	s_mov_b32 s10, 0x7f800001
	s_xor_b64 s[4:5], exec, -1
; %bb.3255:
	s_or_b64 exec, exec, s[8:9]
	s_and_b64 s[4:5], s[4:5], exec
                                        ; implicit-def: $vgpr6
	s_or_saveexec_b64 s[6:7], s[6:7]
	v_mov_b32_e32 v12, s10
	s_xor_b64 exec, exec, s[6:7]
	s_cbranch_execz .LBB3_1206
.LBB3_3256:
	v_cmp_ne_u16_e32 vcc, 0, v6
	s_andn2_b64 s[4:5], s[4:5], exec
	s_and_b64 s[8:9], vcc, exec
	v_mov_b32_e32 v12, 0
	s_or_b64 s[4:5], s[4:5], s[8:9]
	s_or_b64 exec, exec, s[6:7]
	s_and_saveexec_b64 s[6:7], s[4:5]
	s_cbranch_execnz .LBB3_1207
	s_branch .LBB3_1208
.LBB3_3257:
	s_movk_i32 s4, 0x80
	v_cmp_eq_u16_sdwa s[12:13], v7, s4 src0_sel:BYTE_3 src1_sel:DWORD
	s_mov_b64 s[4:5], -1
                                        ; implicit-def: $sgpr10
	s_and_saveexec_b64 s[8:9], s[12:13]
; %bb.3258:
	s_mov_b32 s10, 0x7f800001
	s_xor_b64 s[4:5], exec, -1
; %bb.3259:
	s_or_b64 exec, exec, s[8:9]
	s_and_b64 s[4:5], s[4:5], exec
	s_or_saveexec_b64 s[6:7], s[6:7]
	v_mov_b32_e32 v2, s10
	s_xor_b64 exec, exec, s[6:7]
	s_cbranch_execz .LBB3_1210
.LBB3_3260:
	v_mov_b32_e32 v2, 0
	v_cmp_ne_u16_sdwa s[8:9], v7, v2 src0_sel:BYTE_3 src1_sel:DWORD
	s_andn2_b64 s[4:5], s[4:5], exec
	s_and_b64 s[8:9], s[8:9], exec
	s_or_b64 s[4:5], s[4:5], s[8:9]
	s_or_b64 exec, exec, s[6:7]
	s_and_saveexec_b64 s[6:7], s[4:5]
	s_cbranch_execnz .LBB3_1211
	s_branch .LBB3_1212
.LBB3_3261:
	s_movk_i32 s4, 0x80
	v_cmp_eq_u16_sdwa s[12:13], v3, s4 src0_sel:BYTE_3 src1_sel:DWORD
	s_mov_b64 s[4:5], -1
                                        ; implicit-def: $sgpr10
	s_and_saveexec_b64 s[8:9], s[12:13]
; %bb.3262:
	s_mov_b32 s10, 0x7f800001
	s_xor_b64 s[4:5], exec, -1
; %bb.3263:
	s_or_b64 exec, exec, s[8:9]
	s_and_b64 s[4:5], s[4:5], exec
	s_or_saveexec_b64 s[6:7], s[6:7]
	v_mov_b32_e32 v6, s10
	s_xor_b64 exec, exec, s[6:7]
	s_cbranch_execz .LBB3_1214
.LBB3_3264:
	v_mov_b32_e32 v6, 0
	v_cmp_ne_u16_sdwa s[8:9], v3, v6 src0_sel:BYTE_3 src1_sel:DWORD
	s_andn2_b64 s[4:5], s[4:5], exec
	s_and_b64 s[8:9], s[8:9], exec
	s_or_b64 s[4:5], s[4:5], s[8:9]
	s_or_b64 exec, exec, s[6:7]
	s_and_saveexec_b64 s[6:7], s[4:5]
	s_cbranch_execnz .LBB3_1215
	s_branch .LBB3_1216
.LBB3_3265:
	s_movk_i32 s4, 0x80
	v_cmp_eq_u16_sdwa s[12:13], v8, s4 src0_sel:BYTE_0 src1_sel:DWORD
	s_mov_b64 s[4:5], -1
                                        ; implicit-def: $sgpr10
	s_and_saveexec_b64 s[8:9], s[12:13]
; %bb.3266:
	s_mov_b32 s10, 0x7f800001
	s_xor_b64 s[4:5], exec, -1
; %bb.3267:
	s_or_b64 exec, exec, s[8:9]
	s_and_b64 s[4:5], s[4:5], exec
	s_or_saveexec_b64 s[6:7], s[6:7]
	v_mov_b32_e32 v2, s10
	s_xor_b64 exec, exec, s[6:7]
	s_cbranch_execz .LBB3_1218
.LBB3_3268:
	v_mov_b32_e32 v2, 0
	v_cmp_ne_u16_sdwa s[8:9], v8, v2 src0_sel:BYTE_0 src1_sel:DWORD
	s_andn2_b64 s[4:5], s[4:5], exec
	s_and_b64 s[8:9], s[8:9], exec
	s_or_b64 s[4:5], s[4:5], s[8:9]
	s_or_b64 exec, exec, s[6:7]
	s_and_saveexec_b64 s[6:7], s[4:5]
	s_cbranch_execnz .LBB3_1219
	s_branch .LBB3_1220
.LBB3_3269:
	s_movk_i32 s4, 0x80
	v_cmp_eq_u16_sdwa s[12:13], v4, s4 src0_sel:BYTE_0 src1_sel:DWORD
	s_mov_b64 s[4:5], -1
                                        ; implicit-def: $sgpr10
	s_and_saveexec_b64 s[8:9], s[12:13]
; %bb.3270:
	s_mov_b32 s10, 0x7f800001
	s_xor_b64 s[4:5], exec, -1
; %bb.3271:
	s_or_b64 exec, exec, s[8:9]
	s_and_b64 s[4:5], s[4:5], exec
	s_or_saveexec_b64 s[6:7], s[6:7]
	v_mov_b32_e32 v3, s10
	s_xor_b64 exec, exec, s[6:7]
	s_cbranch_execz .LBB3_1222
.LBB3_3272:
	v_mov_b32_e32 v3, 0
	v_cmp_ne_u16_sdwa s[8:9], v4, v3 src0_sel:BYTE_0 src1_sel:DWORD
	s_andn2_b64 s[4:5], s[4:5], exec
	s_and_b64 s[8:9], s[8:9], exec
	s_or_b64 s[4:5], s[4:5], s[8:9]
	s_or_b64 exec, exec, s[6:7]
	s_and_saveexec_b64 s[6:7], s[4:5]
	s_cbranch_execnz .LBB3_1223
	s_branch .LBB3_1224
.LBB3_3273:
	s_movk_i32 s4, 0x80
	v_cmp_eq_u16_sdwa s[12:13], v3, s4 src0_sel:BYTE_0 src1_sel:DWORD
	s_mov_b64 s[4:5], -1
                                        ; implicit-def: $sgpr10
	s_and_saveexec_b64 s[8:9], s[12:13]
; %bb.3274:
	s_mov_b32 s10, 0x7f800001
	s_xor_b64 s[4:5], exec, -1
; %bb.3275:
	s_or_b64 exec, exec, s[8:9]
	s_and_b64 s[4:5], s[4:5], exec
	s_or_saveexec_b64 s[6:7], s[6:7]
	v_mov_b32_e32 v2, s10
	s_xor_b64 exec, exec, s[6:7]
	s_cbranch_execz .LBB3_1226
.LBB3_3276:
	v_mov_b32_e32 v2, 0
	v_cmp_ne_u16_sdwa s[8:9], v3, v2 src0_sel:BYTE_0 src1_sel:DWORD
	s_andn2_b64 s[4:5], s[4:5], exec
	s_and_b64 s[8:9], s[8:9], exec
	s_or_b64 s[4:5], s[4:5], s[8:9]
	s_or_b64 exec, exec, s[6:7]
	s_and_saveexec_b64 s[6:7], s[4:5]
	s_cbranch_execnz .LBB3_1227
	s_branch .LBB3_1228
.LBB3_3277:
	s_movk_i32 s4, 0x80
	v_cmp_eq_u16_sdwa s[12:13], v3, s4 src0_sel:BYTE_0 src1_sel:DWORD
	s_mov_b64 s[4:5], -1
                                        ; implicit-def: $sgpr10
	s_and_saveexec_b64 s[8:9], s[12:13]
; %bb.3278:
	s_mov_b32 s10, 0x7f800001
	s_xor_b64 s[4:5], exec, -1
; %bb.3279:
	s_or_b64 exec, exec, s[8:9]
	s_and_b64 s[4:5], s[4:5], exec
	s_or_saveexec_b64 s[6:7], s[6:7]
	v_mov_b32_e32 v6, s10
	s_xor_b64 exec, exec, s[6:7]
	s_cbranch_execz .LBB3_1230
.LBB3_3280:
	v_mov_b32_e32 v6, 0
	v_cmp_ne_u16_sdwa s[8:9], v3, v6 src0_sel:BYTE_0 src1_sel:DWORD
	s_andn2_b64 s[4:5], s[4:5], exec
	s_and_b64 s[8:9], s[8:9], exec
	s_or_b64 s[4:5], s[4:5], s[8:9]
	s_or_b64 exec, exec, s[6:7]
	s_and_saveexec_b64 s[6:7], s[4:5]
	s_cbranch_execnz .LBB3_1231
	s_branch .LBB3_1232
.LBB3_3281:
	s_movk_i32 s4, 0x80
	v_cmp_eq_u16_e32 vcc, s4, v3
	s_mov_b64 s[4:5], -1
                                        ; implicit-def: $sgpr10
	s_and_saveexec_b64 s[8:9], vcc
; %bb.3282:
	s_mov_b32 s10, 0x7f800001
	s_xor_b64 s[4:5], exec, -1
; %bb.3283:
	s_or_b64 exec, exec, s[8:9]
	s_and_b64 s[4:5], s[4:5], exec
                                        ; implicit-def: $vgpr3
	s_or_saveexec_b64 s[6:7], s[6:7]
	v_mov_b32_e32 v2, s10
	s_xor_b64 exec, exec, s[6:7]
	s_cbranch_execz .LBB3_1234
.LBB3_3284:
	v_cmp_ne_u16_e32 vcc, 0, v3
	s_andn2_b64 s[4:5], s[4:5], exec
	s_and_b64 s[8:9], vcc, exec
	v_mov_b32_e32 v2, 0
	s_or_b64 s[4:5], s[4:5], s[8:9]
	s_or_b64 exec, exec, s[6:7]
	s_and_saveexec_b64 s[6:7], s[4:5]
	s_cbranch_execnz .LBB3_1235
	s_branch .LBB3_1236
.LBB3_3285:
	s_movk_i32 s4, 0x80
	v_cmp_eq_u16_e32 vcc, s4, v3
	s_mov_b64 s[4:5], -1
                                        ; implicit-def: $sgpr10
	s_and_saveexec_b64 s[8:9], vcc
; %bb.3286:
	s_mov_b32 s10, 0x7f800001
	s_xor_b64 s[4:5], exec, -1
; %bb.3287:
	s_or_b64 exec, exec, s[8:9]
	s_and_b64 s[4:5], s[4:5], exec
                                        ; implicit-def: $vgpr3
	s_or_saveexec_b64 s[6:7], s[6:7]
	v_mov_b32_e32 v6, s10
	s_xor_b64 exec, exec, s[6:7]
	s_cbranch_execz .LBB3_1238
.LBB3_3288:
	v_cmp_ne_u16_e32 vcc, 0, v3
	s_andn2_b64 s[4:5], s[4:5], exec
	s_and_b64 s[8:9], vcc, exec
	v_mov_b32_e32 v6, 0
	s_or_b64 s[4:5], s[4:5], s[8:9]
	s_or_b64 exec, exec, s[6:7]
	s_and_saveexec_b64 s[6:7], s[4:5]
	s_cbranch_execnz .LBB3_1239
	s_branch .LBB3_1240
.LBB3_3289:
	s_movk_i32 s4, 0x80
	v_cmp_eq_u16_sdwa s[12:13], v8, s4 src0_sel:BYTE_3 src1_sel:DWORD
	s_mov_b64 s[4:5], -1
                                        ; implicit-def: $sgpr10
	s_and_saveexec_b64 s[8:9], s[12:13]
; %bb.3290:
	s_mov_b32 s10, 0x7f800001
	s_xor_b64 s[4:5], exec, -1
; %bb.3291:
	s_or_b64 exec, exec, s[8:9]
	s_and_b64 s[4:5], s[4:5], exec
	s_or_saveexec_b64 s[6:7], s[6:7]
	v_mov_b32_e32 v2, s10
	s_xor_b64 exec, exec, s[6:7]
	s_cbranch_execz .LBB3_1242
.LBB3_3292:
	v_mov_b32_e32 v2, 0
	v_cmp_ne_u16_sdwa s[8:9], v8, v2 src0_sel:BYTE_3 src1_sel:DWORD
	s_andn2_b64 s[4:5], s[4:5], exec
	s_and_b64 s[8:9], s[8:9], exec
	s_or_b64 s[4:5], s[4:5], s[8:9]
	s_or_b64 exec, exec, s[6:7]
	s_and_saveexec_b64 s[6:7], s[4:5]
	s_cbranch_execnz .LBB3_1243
	s_branch .LBB3_1244
.LBB3_3293:
	s_movk_i32 s4, 0x80
	v_cmp_eq_u16_sdwa s[12:13], v4, s4 src0_sel:BYTE_3 src1_sel:DWORD
	s_mov_b64 s[4:5], -1
                                        ; implicit-def: $sgpr10
	s_and_saveexec_b64 s[8:9], s[12:13]
; %bb.3294:
	s_mov_b32 s10, 0x7f800001
	s_xor_b64 s[4:5], exec, -1
; %bb.3295:
	s_or_b64 exec, exec, s[8:9]
	s_and_b64 s[4:5], s[4:5], exec
	s_or_saveexec_b64 s[6:7], s[6:7]
	v_mov_b32_e32 v3, s10
	s_xor_b64 exec, exec, s[6:7]
	s_cbranch_execz .LBB3_1246
.LBB3_3296:
	v_mov_b32_e32 v3, 0
	v_cmp_ne_u16_sdwa s[8:9], v4, v3 src0_sel:BYTE_3 src1_sel:DWORD
	s_andn2_b64 s[4:5], s[4:5], exec
	s_and_b64 s[8:9], s[8:9], exec
	s_or_b64 s[4:5], s[4:5], s[8:9]
	s_or_b64 exec, exec, s[6:7]
	s_and_saveexec_b64 s[6:7], s[4:5]
	s_cbranch_execnz .LBB3_1247
	s_branch .LBB3_1248
.LBB3_3297:
	s_movk_i32 s4, 0x80
	v_cmp_eq_u16_sdwa s[12:13], v9, s4 src0_sel:BYTE_0 src1_sel:DWORD
	s_mov_b64 s[4:5], -1
                                        ; implicit-def: $sgpr10
	s_and_saveexec_b64 s[8:9], s[12:13]
; %bb.3298:
	s_mov_b32 s10, 0x7f800001
	s_xor_b64 s[4:5], exec, -1
; %bb.3299:
	s_or_b64 exec, exec, s[8:9]
	s_and_b64 s[4:5], s[4:5], exec
	s_or_saveexec_b64 s[6:7], s[6:7]
	v_mov_b32_e32 v2, s10
	s_xor_b64 exec, exec, s[6:7]
	s_cbranch_execz .LBB3_1250
.LBB3_3300:
	v_mov_b32_e32 v2, 0
	v_cmp_ne_u16_sdwa s[8:9], v9, v2 src0_sel:BYTE_0 src1_sel:DWORD
	s_andn2_b64 s[4:5], s[4:5], exec
	s_and_b64 s[8:9], s[8:9], exec
	s_or_b64 s[4:5], s[4:5], s[8:9]
	s_or_b64 exec, exec, s[6:7]
	s_and_saveexec_b64 s[6:7], s[4:5]
	s_cbranch_execnz .LBB3_1251
	s_branch .LBB3_1252
.LBB3_3301:
	s_movk_i32 s4, 0x80
	v_cmp_eq_u16_sdwa s[12:13], v5, s4 src0_sel:BYTE_0 src1_sel:DWORD
	s_mov_b64 s[4:5], -1
                                        ; implicit-def: $sgpr10
	s_and_saveexec_b64 s[8:9], s[12:13]
; %bb.3302:
	s_mov_b32 s10, 0x7f800001
	s_xor_b64 s[4:5], exec, -1
; %bb.3303:
	s_or_b64 exec, exec, s[8:9]
	s_and_b64 s[4:5], s[4:5], exec
	s_or_saveexec_b64 s[6:7], s[6:7]
	v_mov_b32_e32 v3, s10
	s_xor_b64 exec, exec, s[6:7]
	s_cbranch_execz .LBB3_1254
.LBB3_3304:
	v_mov_b32_e32 v3, 0
	v_cmp_ne_u16_sdwa s[8:9], v5, v3 src0_sel:BYTE_0 src1_sel:DWORD
	s_andn2_b64 s[4:5], s[4:5], exec
	s_and_b64 s[8:9], s[8:9], exec
	s_or_b64 s[4:5], s[4:5], s[8:9]
	s_or_b64 exec, exec, s[6:7]
	s_and_saveexec_b64 s[6:7], s[4:5]
	s_cbranch_execnz .LBB3_1255
	s_branch .LBB3_1256
.LBB3_3305:
	s_movk_i32 s4, 0x80
	v_cmp_eq_u16_sdwa s[12:13], v3, s4 src0_sel:BYTE_0 src1_sel:DWORD
	s_mov_b64 s[4:5], -1
                                        ; implicit-def: $sgpr10
	s_and_saveexec_b64 s[8:9], s[12:13]
; %bb.3306:
	s_mov_b32 s10, 0x7f800001
	s_xor_b64 s[4:5], exec, -1
; %bb.3307:
	s_or_b64 exec, exec, s[8:9]
	s_and_b64 s[4:5], s[4:5], exec
	s_or_saveexec_b64 s[6:7], s[6:7]
	v_mov_b32_e32 v2, s10
	s_xor_b64 exec, exec, s[6:7]
	s_cbranch_execz .LBB3_1258
.LBB3_3308:
	v_mov_b32_e32 v2, 0
	v_cmp_ne_u16_sdwa s[8:9], v3, v2 src0_sel:BYTE_0 src1_sel:DWORD
	s_andn2_b64 s[4:5], s[4:5], exec
	s_and_b64 s[8:9], s[8:9], exec
	s_or_b64 s[4:5], s[4:5], s[8:9]
	s_or_b64 exec, exec, s[6:7]
	s_and_saveexec_b64 s[6:7], s[4:5]
	s_cbranch_execnz .LBB3_1259
	s_branch .LBB3_1260
.LBB3_3309:
	s_movk_i32 s4, 0x80
	v_cmp_eq_u16_sdwa s[12:13], v3, s4 src0_sel:BYTE_0 src1_sel:DWORD
	s_mov_b64 s[4:5], -1
                                        ; implicit-def: $sgpr10
	s_and_saveexec_b64 s[8:9], s[12:13]
; %bb.3310:
	s_mov_b32 s10, 0x7f800001
	s_xor_b64 s[4:5], exec, -1
; %bb.3311:
	s_or_b64 exec, exec, s[8:9]
	s_and_b64 s[4:5], s[4:5], exec
	s_or_saveexec_b64 s[6:7], s[6:7]
	v_mov_b32_e32 v4, s10
	s_xor_b64 exec, exec, s[6:7]
	s_cbranch_execz .LBB3_1262
.LBB3_3312:
	v_mov_b32_e32 v4, 0
	v_cmp_ne_u16_sdwa s[8:9], v3, v4 src0_sel:BYTE_0 src1_sel:DWORD
	s_andn2_b64 s[4:5], s[4:5], exec
	s_and_b64 s[8:9], s[8:9], exec
	s_or_b64 s[4:5], s[4:5], s[8:9]
	s_or_b64 exec, exec, s[6:7]
	s_and_saveexec_b64 s[6:7], s[4:5]
	s_cbranch_execnz .LBB3_1263
	s_branch .LBB3_1264
.LBB3_3313:
	s_movk_i32 s4, 0x80
	v_cmp_eq_u16_e32 vcc, s4, v3
	s_mov_b64 s[4:5], -1
                                        ; implicit-def: $sgpr10
	s_and_saveexec_b64 s[8:9], vcc
; %bb.3314:
	s_mov_b32 s10, 0x7f800001
	s_xor_b64 s[4:5], exec, -1
; %bb.3315:
	s_or_b64 exec, exec, s[8:9]
	s_and_b64 s[4:5], s[4:5], exec
                                        ; implicit-def: $vgpr3
	s_or_saveexec_b64 s[6:7], s[6:7]
	v_mov_b32_e32 v2, s10
	s_xor_b64 exec, exec, s[6:7]
	s_cbranch_execz .LBB3_1266
.LBB3_3316:
	v_cmp_ne_u16_e32 vcc, 0, v3
	s_andn2_b64 s[4:5], s[4:5], exec
	s_and_b64 s[8:9], vcc, exec
	v_mov_b32_e32 v2, 0
	s_or_b64 s[4:5], s[4:5], s[8:9]
	s_or_b64 exec, exec, s[6:7]
	s_and_saveexec_b64 s[6:7], s[4:5]
	s_cbranch_execnz .LBB3_1267
	s_branch .LBB3_1268
.LBB3_3317:
	s_movk_i32 s4, 0x80
	v_cmp_eq_u16_e32 vcc, s4, v3
	s_mov_b64 s[4:5], -1
                                        ; implicit-def: $sgpr10
	s_and_saveexec_b64 s[8:9], vcc
; %bb.3318:
	s_mov_b32 s10, 0x7f800001
	s_xor_b64 s[4:5], exec, -1
; %bb.3319:
	s_or_b64 exec, exec, s[8:9]
	s_and_b64 s[4:5], s[4:5], exec
                                        ; implicit-def: $vgpr3
	s_or_saveexec_b64 s[6:7], s[6:7]
	v_mov_b32_e32 v4, s10
	s_xor_b64 exec, exec, s[6:7]
	s_cbranch_execz .LBB3_1270
.LBB3_3320:
	v_cmp_ne_u16_e32 vcc, 0, v3
	s_andn2_b64 s[4:5], s[4:5], exec
	s_and_b64 s[8:9], vcc, exec
	v_mov_b32_e32 v4, 0
	s_or_b64 s[4:5], s[4:5], s[8:9]
	s_or_b64 exec, exec, s[6:7]
	s_and_saveexec_b64 s[6:7], s[4:5]
	s_cbranch_execnz .LBB3_1271
	s_branch .LBB3_1272
.LBB3_3321:
	s_movk_i32 s4, 0x80
	v_cmp_eq_u16_sdwa s[12:13], v9, s4 src0_sel:BYTE_3 src1_sel:DWORD
	s_mov_b64 s[4:5], -1
                                        ; implicit-def: $sgpr10
	s_and_saveexec_b64 s[8:9], s[12:13]
; %bb.3322:
	s_mov_b32 s10, 0x7f800001
	s_xor_b64 s[4:5], exec, -1
; %bb.3323:
	s_or_b64 exec, exec, s[8:9]
	s_and_b64 s[4:5], s[4:5], exec
	s_or_saveexec_b64 s[6:7], s[6:7]
	v_mov_b32_e32 v2, s10
	s_xor_b64 exec, exec, s[6:7]
	s_cbranch_execz .LBB3_1274
.LBB3_3324:
	v_mov_b32_e32 v2, 0
	v_cmp_ne_u16_sdwa s[8:9], v9, v2 src0_sel:BYTE_3 src1_sel:DWORD
	s_andn2_b64 s[4:5], s[4:5], exec
	s_and_b64 s[8:9], s[8:9], exec
	s_or_b64 s[4:5], s[4:5], s[8:9]
	s_or_b64 exec, exec, s[6:7]
	s_and_saveexec_b64 s[6:7], s[4:5]
	s_cbranch_execnz .LBB3_1275
	s_branch .LBB3_1276
.LBB3_3325:
	s_movk_i32 s4, 0x80
	v_cmp_eq_u16_sdwa s[12:13], v5, s4 src0_sel:BYTE_3 src1_sel:DWORD
	s_mov_b64 s[4:5], -1
                                        ; implicit-def: $sgpr10
	s_and_saveexec_b64 s[8:9], s[12:13]
; %bb.3326:
	s_mov_b32 s10, 0x7f800001
	s_xor_b64 s[4:5], exec, -1
; %bb.3327:
	s_or_b64 exec, exec, s[8:9]
	s_and_b64 s[4:5], s[4:5], exec
	s_or_saveexec_b64 s[6:7], s[6:7]
	v_mov_b32_e32 v3, s10
	s_xor_b64 exec, exec, s[6:7]
	s_cbranch_execz .LBB3_1278
.LBB3_3328:
	v_mov_b32_e32 v3, 0
	v_cmp_ne_u16_sdwa s[8:9], v5, v3 src0_sel:BYTE_3 src1_sel:DWORD
	s_andn2_b64 s[4:5], s[4:5], exec
	s_and_b64 s[8:9], s[8:9], exec
	s_or_b64 s[4:5], s[4:5], s[8:9]
	s_or_b64 exec, exec, s[6:7]
	s_and_saveexec_b64 s[6:7], s[4:5]
	s_cbranch_execnz .LBB3_1279
	s_branch .LBB3_1280
.LBB3_3329:
	s_movk_i32 s4, 0x80
	v_cmp_eq_u16_sdwa s[12:13], v6, s4 src0_sel:BYTE_0 src1_sel:DWORD
	s_mov_b64 s[4:5], -1
                                        ; implicit-def: $sgpr10
	s_and_saveexec_b64 s[8:9], s[12:13]
; %bb.3330:
	s_mov_b32 s10, 0x7f800001
	s_xor_b64 s[4:5], exec, -1
; %bb.3331:
	s_or_b64 exec, exec, s[8:9]
	s_and_b64 s[4:5], s[4:5], exec
	s_or_saveexec_b64 s[6:7], s[6:7]
	v_mov_b32_e32 v12, s10
	s_xor_b64 exec, exec, s[6:7]
	s_cbranch_execz .LBB3_1282
.LBB3_3332:
	v_mov_b32_e32 v12, 0
	v_cmp_ne_u16_sdwa s[8:9], v6, v12 src0_sel:BYTE_0 src1_sel:DWORD
	s_andn2_b64 s[4:5], s[4:5], exec
	s_and_b64 s[8:9], s[8:9], exec
	s_or_b64 s[4:5], s[4:5], s[8:9]
	s_or_b64 exec, exec, s[6:7]
	s_and_saveexec_b64 s[6:7], s[4:5]
	s_cbranch_execnz .LBB3_1283
	s_branch .LBB3_1284
.LBB3_3333:
	s_movk_i32 s4, 0x80
	v_cmp_eq_u16_sdwa s[12:13], v2, s4 src0_sel:BYTE_0 src1_sel:DWORD
	s_mov_b64 s[4:5], -1
                                        ; implicit-def: $sgpr10
	s_and_saveexec_b64 s[8:9], s[12:13]
; %bb.3334:
	s_mov_b32 s10, 0x7f800001
	s_xor_b64 s[4:5], exec, -1
; %bb.3335:
	s_or_b64 exec, exec, s[8:9]
	s_and_b64 s[4:5], s[4:5], exec
	s_or_saveexec_b64 s[6:7], s[6:7]
	v_mov_b32_e32 v13, s10
	s_xor_b64 exec, exec, s[6:7]
	s_cbranch_execz .LBB3_1286
.LBB3_3336:
	v_mov_b32_e32 v13, 0
	v_cmp_ne_u16_sdwa s[8:9], v2, v13 src0_sel:BYTE_0 src1_sel:DWORD
	s_andn2_b64 s[4:5], s[4:5], exec
	s_and_b64 s[8:9], s[8:9], exec
	s_or_b64 s[4:5], s[4:5], s[8:9]
	s_or_b64 exec, exec, s[6:7]
	s_and_saveexec_b64 s[6:7], s[4:5]
	s_cbranch_execnz .LBB3_1287
	s_branch .LBB3_1288
.LBB3_3337:
	s_movk_i32 s4, 0x80
	v_cmp_eq_u16_sdwa s[12:13], v13, s4 src0_sel:BYTE_0 src1_sel:DWORD
	s_mov_b64 s[4:5], -1
                                        ; implicit-def: $sgpr10
	s_and_saveexec_b64 s[8:9], s[12:13]
; %bb.3338:
	s_mov_b32 s10, 0x7f800001
	s_xor_b64 s[4:5], exec, -1
; %bb.3339:
	s_or_b64 exec, exec, s[8:9]
	s_and_b64 s[4:5], s[4:5], exec
	s_or_saveexec_b64 s[6:7], s[6:7]
	v_mov_b32_e32 v12, s10
	s_xor_b64 exec, exec, s[6:7]
	s_cbranch_execz .LBB3_1290
.LBB3_3340:
	v_mov_b32_e32 v12, 0
	v_cmp_ne_u16_sdwa s[8:9], v13, v12 src0_sel:BYTE_0 src1_sel:DWORD
	s_andn2_b64 s[4:5], s[4:5], exec
	s_and_b64 s[8:9], s[8:9], exec
	s_or_b64 s[4:5], s[4:5], s[8:9]
	s_or_b64 exec, exec, s[6:7]
	s_and_saveexec_b64 s[6:7], s[4:5]
	s_cbranch_execnz .LBB3_1291
	s_branch .LBB3_1292
.LBB3_3341:
	s_movk_i32 s4, 0x80
	v_cmp_eq_u16_sdwa s[12:13], v13, s4 src0_sel:BYTE_0 src1_sel:DWORD
	s_mov_b64 s[4:5], -1
                                        ; implicit-def: $sgpr10
	s_and_saveexec_b64 s[8:9], s[12:13]
; %bb.3342:
	s_mov_b32 s10, 0x7f800001
	s_xor_b64 s[4:5], exec, -1
; %bb.3343:
	s_or_b64 exec, exec, s[8:9]
	s_and_b64 s[4:5], s[4:5], exec
	s_or_saveexec_b64 s[6:7], s[6:7]
	v_mov_b32_e32 v14, s10
	s_xor_b64 exec, exec, s[6:7]
	s_cbranch_execz .LBB3_1294
.LBB3_3344:
	v_mov_b32_e32 v14, 0
	v_cmp_ne_u16_sdwa s[8:9], v13, v14 src0_sel:BYTE_0 src1_sel:DWORD
	s_andn2_b64 s[4:5], s[4:5], exec
	s_and_b64 s[8:9], s[8:9], exec
	s_or_b64 s[4:5], s[4:5], s[8:9]
	s_or_b64 exec, exec, s[6:7]
	s_and_saveexec_b64 s[6:7], s[4:5]
	s_cbranch_execnz .LBB3_1295
	s_branch .LBB3_1296
.LBB3_3345:
	s_movk_i32 s4, 0x80
	v_cmp_eq_u16_e32 vcc, s4, v13
	s_mov_b64 s[4:5], -1
                                        ; implicit-def: $sgpr10
	s_and_saveexec_b64 s[8:9], vcc
; %bb.3346:
	s_mov_b32 s10, 0x7f800001
	s_xor_b64 s[4:5], exec, -1
; %bb.3347:
	s_or_b64 exec, exec, s[8:9]
	s_and_b64 s[4:5], s[4:5], exec
                                        ; implicit-def: $vgpr13
	s_or_saveexec_b64 s[6:7], s[6:7]
	v_mov_b32_e32 v12, s10
	s_xor_b64 exec, exec, s[6:7]
	s_cbranch_execz .LBB3_1298
.LBB3_3348:
	v_cmp_ne_u16_e32 vcc, 0, v13
	s_andn2_b64 s[4:5], s[4:5], exec
	s_and_b64 s[8:9], vcc, exec
	v_mov_b32_e32 v12, 0
	s_or_b64 s[4:5], s[4:5], s[8:9]
	s_or_b64 exec, exec, s[6:7]
	s_and_saveexec_b64 s[6:7], s[4:5]
	s_cbranch_execnz .LBB3_1299
	s_branch .LBB3_1300
.LBB3_3349:
	s_movk_i32 s4, 0x80
	v_cmp_eq_u16_e32 vcc, s4, v13
	s_mov_b64 s[4:5], -1
                                        ; implicit-def: $sgpr10
	s_and_saveexec_b64 s[8:9], vcc
; %bb.3350:
	s_mov_b32 s10, 0x7f800001
	s_xor_b64 s[4:5], exec, -1
; %bb.3351:
	s_or_b64 exec, exec, s[8:9]
	s_and_b64 s[4:5], s[4:5], exec
                                        ; implicit-def: $vgpr13
	s_or_saveexec_b64 s[6:7], s[6:7]
	v_mov_b32_e32 v14, s10
	s_xor_b64 exec, exec, s[6:7]
	s_cbranch_execz .LBB3_1302
.LBB3_3352:
	v_cmp_ne_u16_e32 vcc, 0, v13
	s_andn2_b64 s[4:5], s[4:5], exec
	s_and_b64 s[8:9], vcc, exec
	v_mov_b32_e32 v14, 0
	s_or_b64 s[4:5], s[4:5], s[8:9]
	s_or_b64 exec, exec, s[6:7]
	s_and_saveexec_b64 s[6:7], s[4:5]
	s_cbranch_execnz .LBB3_1303
	s_branch .LBB3_1304
.LBB3_3353:
	s_movk_i32 s4, 0x80
	v_cmp_eq_u16_sdwa s[12:13], v6, s4 src0_sel:BYTE_3 src1_sel:DWORD
	s_mov_b64 s[4:5], -1
                                        ; implicit-def: $sgpr10
	s_and_saveexec_b64 s[8:9], s[12:13]
; %bb.3354:
	s_mov_b32 s10, 0x7f800001
	s_xor_b64 s[4:5], exec, -1
; %bb.3355:
	s_or_b64 exec, exec, s[8:9]
	s_and_b64 s[4:5], s[4:5], exec
	s_or_saveexec_b64 s[6:7], s[6:7]
	v_mov_b32_e32 v12, s10
	s_xor_b64 exec, exec, s[6:7]
	s_cbranch_execz .LBB3_1306
.LBB3_3356:
	v_mov_b32_e32 v12, 0
	v_cmp_ne_u16_sdwa s[8:9], v6, v12 src0_sel:BYTE_3 src1_sel:DWORD
	s_andn2_b64 s[4:5], s[4:5], exec
	s_and_b64 s[8:9], s[8:9], exec
	s_or_b64 s[4:5], s[4:5], s[8:9]
	s_or_b64 exec, exec, s[6:7]
	s_and_saveexec_b64 s[6:7], s[4:5]
	s_cbranch_execnz .LBB3_1307
	s_branch .LBB3_1308
.LBB3_3357:
	s_movk_i32 s4, 0x80
	v_cmp_eq_u16_sdwa s[12:13], v2, s4 src0_sel:BYTE_3 src1_sel:DWORD
	s_mov_b64 s[4:5], -1
                                        ; implicit-def: $sgpr10
	s_and_saveexec_b64 s[8:9], s[12:13]
; %bb.3358:
	s_mov_b32 s10, 0x7f800001
	s_xor_b64 s[4:5], exec, -1
; %bb.3359:
	s_or_b64 exec, exec, s[8:9]
	s_and_b64 s[4:5], s[4:5], exec
	s_or_saveexec_b64 s[6:7], s[6:7]
	v_mov_b32_e32 v6, s10
	s_xor_b64 exec, exec, s[6:7]
	s_cbranch_execz .LBB3_1310
.LBB3_3360:
	v_mov_b32_e32 v6, 0
	v_cmp_ne_u16_sdwa s[8:9], v2, v6 src0_sel:BYTE_3 src1_sel:DWORD
	s_andn2_b64 s[4:5], s[4:5], exec
	s_and_b64 s[8:9], s[8:9], exec
	s_or_b64 s[4:5], s[4:5], s[8:9]
	s_or_b64 exec, exec, s[6:7]
	s_and_saveexec_b64 s[6:7], s[4:5]
	s_cbranch_execnz .LBB3_1311
	s_branch .LBB3_1312
.LBB3_3361:
	s_movk_i32 s4, 0x80
	v_cmp_eq_u16_sdwa s[12:13], v7, s4 src0_sel:BYTE_0 src1_sel:DWORD
	s_mov_b64 s[4:5], -1
                                        ; implicit-def: $sgpr10
	s_and_saveexec_b64 s[8:9], s[12:13]
; %bb.3362:
	s_mov_b32 s10, 0x7f800001
	s_xor_b64 s[4:5], exec, -1
; %bb.3363:
	s_or_b64 exec, exec, s[8:9]
	s_and_b64 s[4:5], s[4:5], exec
	s_or_saveexec_b64 s[6:7], s[6:7]
	v_mov_b32_e32 v2, s10
	s_xor_b64 exec, exec, s[6:7]
	s_cbranch_execz .LBB3_1314
.LBB3_3364:
	v_mov_b32_e32 v2, 0
	v_cmp_ne_u16_sdwa s[8:9], v7, v2 src0_sel:BYTE_0 src1_sel:DWORD
	s_andn2_b64 s[4:5], s[4:5], exec
	s_and_b64 s[8:9], s[8:9], exec
	s_or_b64 s[4:5], s[4:5], s[8:9]
	s_or_b64 exec, exec, s[6:7]
	s_and_saveexec_b64 s[6:7], s[4:5]
	s_cbranch_execnz .LBB3_1315
	s_branch .LBB3_1316
.LBB3_3365:
	s_movk_i32 s4, 0x80
	v_cmp_eq_u16_sdwa s[12:13], v3, s4 src0_sel:BYTE_0 src1_sel:DWORD
	s_mov_b64 s[4:5], -1
                                        ; implicit-def: $sgpr10
	s_and_saveexec_b64 s[8:9], s[12:13]
; %bb.3366:
	s_mov_b32 s10, 0x7f800001
	s_xor_b64 s[4:5], exec, -1
; %bb.3367:
	s_or_b64 exec, exec, s[8:9]
	s_and_b64 s[4:5], s[4:5], exec
	s_or_saveexec_b64 s[6:7], s[6:7]
	v_mov_b32_e32 v6, s10
	s_xor_b64 exec, exec, s[6:7]
	s_cbranch_execz .LBB3_1318
.LBB3_3368:
	v_mov_b32_e32 v6, 0
	v_cmp_ne_u16_sdwa s[8:9], v3, v6 src0_sel:BYTE_0 src1_sel:DWORD
	s_andn2_b64 s[4:5], s[4:5], exec
	s_and_b64 s[8:9], s[8:9], exec
	s_or_b64 s[4:5], s[4:5], s[8:9]
	s_or_b64 exec, exec, s[6:7]
	s_and_saveexec_b64 s[6:7], s[4:5]
	s_cbranch_execnz .LBB3_1319
	s_branch .LBB3_1320
.LBB3_3369:
	s_movk_i32 s4, 0x80
	v_cmp_eq_u16_sdwa s[12:13], v6, s4 src0_sel:BYTE_0 src1_sel:DWORD
	s_mov_b64 s[4:5], -1
                                        ; implicit-def: $sgpr10
	s_and_saveexec_b64 s[8:9], s[12:13]
; %bb.3370:
	s_mov_b32 s10, 0x7f800001
	s_xor_b64 s[4:5], exec, -1
; %bb.3371:
	s_or_b64 exec, exec, s[8:9]
	s_and_b64 s[4:5], s[4:5], exec
	s_or_saveexec_b64 s[6:7], s[6:7]
	v_mov_b32_e32 v2, s10
	s_xor_b64 exec, exec, s[6:7]
	s_cbranch_execz .LBB3_1322
.LBB3_3372:
	v_mov_b32_e32 v2, 0
	v_cmp_ne_u16_sdwa s[8:9], v6, v2 src0_sel:BYTE_0 src1_sel:DWORD
	s_andn2_b64 s[4:5], s[4:5], exec
	s_and_b64 s[8:9], s[8:9], exec
	s_or_b64 s[4:5], s[4:5], s[8:9]
	s_or_b64 exec, exec, s[6:7]
	s_and_saveexec_b64 s[6:7], s[4:5]
	s_cbranch_execnz .LBB3_1323
	s_branch .LBB3_1324
.LBB3_3373:
	s_movk_i32 s4, 0x80
	v_cmp_eq_u16_sdwa s[12:13], v6, s4 src0_sel:BYTE_0 src1_sel:DWORD
	s_mov_b64 s[4:5], -1
                                        ; implicit-def: $sgpr10
	s_and_saveexec_b64 s[8:9], s[12:13]
; %bb.3374:
	s_mov_b32 s10, 0x7f800001
	s_xor_b64 s[4:5], exec, -1
; %bb.3375:
	s_or_b64 exec, exec, s[8:9]
	s_and_b64 s[4:5], s[4:5], exec
	s_or_saveexec_b64 s[6:7], s[6:7]
	v_mov_b32_e32 v12, s10
	s_xor_b64 exec, exec, s[6:7]
	s_cbranch_execz .LBB3_1326
.LBB3_3376:
	v_mov_b32_e32 v12, 0
	v_cmp_ne_u16_sdwa s[8:9], v6, v12 src0_sel:BYTE_0 src1_sel:DWORD
	s_andn2_b64 s[4:5], s[4:5], exec
	s_and_b64 s[8:9], s[8:9], exec
	s_or_b64 s[4:5], s[4:5], s[8:9]
	s_or_b64 exec, exec, s[6:7]
	s_and_saveexec_b64 s[6:7], s[4:5]
	s_cbranch_execnz .LBB3_1327
	s_branch .LBB3_1328
.LBB3_3377:
	s_movk_i32 s4, 0x80
	v_cmp_eq_u16_e32 vcc, s4, v6
	s_mov_b64 s[4:5], -1
                                        ; implicit-def: $sgpr10
	s_and_saveexec_b64 s[8:9], vcc
; %bb.3378:
	s_mov_b32 s10, 0x7f800001
	s_xor_b64 s[4:5], exec, -1
; %bb.3379:
	s_or_b64 exec, exec, s[8:9]
	s_and_b64 s[4:5], s[4:5], exec
                                        ; implicit-def: $vgpr6
	s_or_saveexec_b64 s[6:7], s[6:7]
	v_mov_b32_e32 v2, s10
	s_xor_b64 exec, exec, s[6:7]
	s_cbranch_execz .LBB3_1330
.LBB3_3380:
	v_cmp_ne_u16_e32 vcc, 0, v6
	s_andn2_b64 s[4:5], s[4:5], exec
	s_and_b64 s[8:9], vcc, exec
	v_mov_b32_e32 v2, 0
	s_or_b64 s[4:5], s[4:5], s[8:9]
	s_or_b64 exec, exec, s[6:7]
	s_and_saveexec_b64 s[6:7], s[4:5]
	s_cbranch_execnz .LBB3_1331
	s_branch .LBB3_1332
.LBB3_3381:
	s_movk_i32 s4, 0x80
	v_cmp_eq_u16_e32 vcc, s4, v6
	s_mov_b64 s[4:5], -1
                                        ; implicit-def: $sgpr10
	s_and_saveexec_b64 s[8:9], vcc
; %bb.3382:
	s_mov_b32 s10, 0x7f800001
	s_xor_b64 s[4:5], exec, -1
; %bb.3383:
	s_or_b64 exec, exec, s[8:9]
	s_and_b64 s[4:5], s[4:5], exec
                                        ; implicit-def: $vgpr6
	s_or_saveexec_b64 s[6:7], s[6:7]
	v_mov_b32_e32 v12, s10
	s_xor_b64 exec, exec, s[6:7]
	s_cbranch_execz .LBB3_1334
.LBB3_3384:
	v_cmp_ne_u16_e32 vcc, 0, v6
	s_andn2_b64 s[4:5], s[4:5], exec
	s_and_b64 s[8:9], vcc, exec
	v_mov_b32_e32 v12, 0
	s_or_b64 s[4:5], s[4:5], s[8:9]
	s_or_b64 exec, exec, s[6:7]
	s_and_saveexec_b64 s[6:7], s[4:5]
	s_cbranch_execnz .LBB3_1335
	s_branch .LBB3_1336
.LBB3_3385:
	s_movk_i32 s4, 0x80
	v_cmp_eq_u16_sdwa s[12:13], v7, s4 src0_sel:BYTE_3 src1_sel:DWORD
	s_mov_b64 s[4:5], -1
                                        ; implicit-def: $sgpr10
	s_and_saveexec_b64 s[8:9], s[12:13]
; %bb.3386:
	s_mov_b32 s10, 0x7f800001
	s_xor_b64 s[4:5], exec, -1
; %bb.3387:
	s_or_b64 exec, exec, s[8:9]
	s_and_b64 s[4:5], s[4:5], exec
	s_or_saveexec_b64 s[6:7], s[6:7]
	v_mov_b32_e32 v2, s10
	s_xor_b64 exec, exec, s[6:7]
	s_cbranch_execz .LBB3_1338
.LBB3_3388:
	v_mov_b32_e32 v2, 0
	v_cmp_ne_u16_sdwa s[8:9], v7, v2 src0_sel:BYTE_3 src1_sel:DWORD
	s_andn2_b64 s[4:5], s[4:5], exec
	s_and_b64 s[8:9], s[8:9], exec
	s_or_b64 s[4:5], s[4:5], s[8:9]
	s_or_b64 exec, exec, s[6:7]
	s_and_saveexec_b64 s[6:7], s[4:5]
	s_cbranch_execnz .LBB3_1339
	s_branch .LBB3_1340
.LBB3_3389:
	s_movk_i32 s4, 0x80
	v_cmp_eq_u16_sdwa s[12:13], v3, s4 src0_sel:BYTE_3 src1_sel:DWORD
	s_mov_b64 s[4:5], -1
                                        ; implicit-def: $sgpr10
	s_and_saveexec_b64 s[8:9], s[12:13]
; %bb.3390:
	s_mov_b32 s10, 0x7f800001
	s_xor_b64 s[4:5], exec, -1
; %bb.3391:
	s_or_b64 exec, exec, s[8:9]
	s_and_b64 s[4:5], s[4:5], exec
	s_or_saveexec_b64 s[6:7], s[6:7]
	v_mov_b32_e32 v6, s10
	s_xor_b64 exec, exec, s[6:7]
	s_cbranch_execz .LBB3_1342
.LBB3_3392:
	v_mov_b32_e32 v6, 0
	v_cmp_ne_u16_sdwa s[8:9], v3, v6 src0_sel:BYTE_3 src1_sel:DWORD
	s_andn2_b64 s[4:5], s[4:5], exec
	s_and_b64 s[8:9], s[8:9], exec
	s_or_b64 s[4:5], s[4:5], s[8:9]
	s_or_b64 exec, exec, s[6:7]
	s_and_saveexec_b64 s[6:7], s[4:5]
	s_cbranch_execnz .LBB3_1343
	s_branch .LBB3_1344
.LBB3_3393:
	s_movk_i32 s4, 0x80
	v_cmp_eq_u16_sdwa s[12:13], v8, s4 src0_sel:BYTE_0 src1_sel:DWORD
	s_mov_b64 s[4:5], -1
                                        ; implicit-def: $sgpr10
	s_and_saveexec_b64 s[8:9], s[12:13]
; %bb.3394:
	s_mov_b32 s10, 0x7f800001
	s_xor_b64 s[4:5], exec, -1
; %bb.3395:
	s_or_b64 exec, exec, s[8:9]
	s_and_b64 s[4:5], s[4:5], exec
	s_or_saveexec_b64 s[6:7], s[6:7]
	v_mov_b32_e32 v2, s10
	s_xor_b64 exec, exec, s[6:7]
	s_cbranch_execz .LBB3_1346
.LBB3_3396:
	v_mov_b32_e32 v2, 0
	v_cmp_ne_u16_sdwa s[8:9], v8, v2 src0_sel:BYTE_0 src1_sel:DWORD
	s_andn2_b64 s[4:5], s[4:5], exec
	s_and_b64 s[8:9], s[8:9], exec
	s_or_b64 s[4:5], s[4:5], s[8:9]
	s_or_b64 exec, exec, s[6:7]
	s_and_saveexec_b64 s[6:7], s[4:5]
	s_cbranch_execnz .LBB3_1347
	s_branch .LBB3_1348
.LBB3_3397:
	s_movk_i32 s4, 0x80
	v_cmp_eq_u16_sdwa s[12:13], v4, s4 src0_sel:BYTE_0 src1_sel:DWORD
	s_mov_b64 s[4:5], -1
                                        ; implicit-def: $sgpr10
	s_and_saveexec_b64 s[8:9], s[12:13]
; %bb.3398:
	s_mov_b32 s10, 0x7f800001
	s_xor_b64 s[4:5], exec, -1
; %bb.3399:
	s_or_b64 exec, exec, s[8:9]
	s_and_b64 s[4:5], s[4:5], exec
	s_or_saveexec_b64 s[6:7], s[6:7]
	v_mov_b32_e32 v3, s10
	s_xor_b64 exec, exec, s[6:7]
	s_cbranch_execz .LBB3_1350
.LBB3_3400:
	v_mov_b32_e32 v3, 0
	v_cmp_ne_u16_sdwa s[8:9], v4, v3 src0_sel:BYTE_0 src1_sel:DWORD
	s_andn2_b64 s[4:5], s[4:5], exec
	s_and_b64 s[8:9], s[8:9], exec
	s_or_b64 s[4:5], s[4:5], s[8:9]
	s_or_b64 exec, exec, s[6:7]
	s_and_saveexec_b64 s[6:7], s[4:5]
	s_cbranch_execnz .LBB3_1351
	s_branch .LBB3_1352
.LBB3_3401:
	s_movk_i32 s4, 0x80
	v_cmp_eq_u16_sdwa s[12:13], v3, s4 src0_sel:BYTE_0 src1_sel:DWORD
	s_mov_b64 s[4:5], -1
                                        ; implicit-def: $sgpr10
	s_and_saveexec_b64 s[8:9], s[12:13]
; %bb.3402:
	s_mov_b32 s10, 0x7f800001
	s_xor_b64 s[4:5], exec, -1
; %bb.3403:
	s_or_b64 exec, exec, s[8:9]
	s_and_b64 s[4:5], s[4:5], exec
	s_or_saveexec_b64 s[6:7], s[6:7]
	v_mov_b32_e32 v2, s10
	s_xor_b64 exec, exec, s[6:7]
	s_cbranch_execz .LBB3_1354
.LBB3_3404:
	v_mov_b32_e32 v2, 0
	v_cmp_ne_u16_sdwa s[8:9], v3, v2 src0_sel:BYTE_0 src1_sel:DWORD
	s_andn2_b64 s[4:5], s[4:5], exec
	s_and_b64 s[8:9], s[8:9], exec
	s_or_b64 s[4:5], s[4:5], s[8:9]
	s_or_b64 exec, exec, s[6:7]
	s_and_saveexec_b64 s[6:7], s[4:5]
	s_cbranch_execnz .LBB3_1355
	s_branch .LBB3_1356
.LBB3_3405:
	s_movk_i32 s4, 0x80
	v_cmp_eq_u16_sdwa s[12:13], v3, s4 src0_sel:BYTE_0 src1_sel:DWORD
	s_mov_b64 s[4:5], -1
                                        ; implicit-def: $sgpr10
	s_and_saveexec_b64 s[8:9], s[12:13]
; %bb.3406:
	s_mov_b32 s10, 0x7f800001
	s_xor_b64 s[4:5], exec, -1
; %bb.3407:
	s_or_b64 exec, exec, s[8:9]
	s_and_b64 s[4:5], s[4:5], exec
	s_or_saveexec_b64 s[6:7], s[6:7]
	v_mov_b32_e32 v6, s10
	s_xor_b64 exec, exec, s[6:7]
	s_cbranch_execz .LBB3_1358
.LBB3_3408:
	v_mov_b32_e32 v6, 0
	v_cmp_ne_u16_sdwa s[8:9], v3, v6 src0_sel:BYTE_0 src1_sel:DWORD
	s_andn2_b64 s[4:5], s[4:5], exec
	s_and_b64 s[8:9], s[8:9], exec
	s_or_b64 s[4:5], s[4:5], s[8:9]
	s_or_b64 exec, exec, s[6:7]
	s_and_saveexec_b64 s[6:7], s[4:5]
	s_cbranch_execnz .LBB3_1359
	s_branch .LBB3_1360
.LBB3_3409:
	s_movk_i32 s4, 0x80
	v_cmp_eq_u16_e32 vcc, s4, v3
	s_mov_b64 s[4:5], -1
                                        ; implicit-def: $sgpr10
	s_and_saveexec_b64 s[8:9], vcc
; %bb.3410:
	s_mov_b32 s10, 0x7f800001
	s_xor_b64 s[4:5], exec, -1
; %bb.3411:
	s_or_b64 exec, exec, s[8:9]
	s_and_b64 s[4:5], s[4:5], exec
                                        ; implicit-def: $vgpr3
	s_or_saveexec_b64 s[6:7], s[6:7]
	v_mov_b32_e32 v2, s10
	s_xor_b64 exec, exec, s[6:7]
	s_cbranch_execz .LBB3_1362
.LBB3_3412:
	v_cmp_ne_u16_e32 vcc, 0, v3
	s_andn2_b64 s[4:5], s[4:5], exec
	s_and_b64 s[8:9], vcc, exec
	v_mov_b32_e32 v2, 0
	s_or_b64 s[4:5], s[4:5], s[8:9]
	s_or_b64 exec, exec, s[6:7]
	s_and_saveexec_b64 s[6:7], s[4:5]
	s_cbranch_execnz .LBB3_1363
	s_branch .LBB3_1364
.LBB3_3413:
	s_movk_i32 s4, 0x80
	v_cmp_eq_u16_e32 vcc, s4, v3
	s_mov_b64 s[4:5], -1
                                        ; implicit-def: $sgpr10
	s_and_saveexec_b64 s[8:9], vcc
; %bb.3414:
	s_mov_b32 s10, 0x7f800001
	s_xor_b64 s[4:5], exec, -1
; %bb.3415:
	s_or_b64 exec, exec, s[8:9]
	s_and_b64 s[4:5], s[4:5], exec
                                        ; implicit-def: $vgpr3
	s_or_saveexec_b64 s[6:7], s[6:7]
	v_mov_b32_e32 v6, s10
	s_xor_b64 exec, exec, s[6:7]
	s_cbranch_execz .LBB3_1366
.LBB3_3416:
	v_cmp_ne_u16_e32 vcc, 0, v3
	s_andn2_b64 s[4:5], s[4:5], exec
	s_and_b64 s[8:9], vcc, exec
	v_mov_b32_e32 v6, 0
	s_or_b64 s[4:5], s[4:5], s[8:9]
	s_or_b64 exec, exec, s[6:7]
	s_and_saveexec_b64 s[6:7], s[4:5]
	s_cbranch_execnz .LBB3_1367
	s_branch .LBB3_1368
.LBB3_3417:
	s_movk_i32 s4, 0x80
	v_cmp_eq_u16_sdwa s[12:13], v8, s4 src0_sel:BYTE_3 src1_sel:DWORD
	s_mov_b64 s[4:5], -1
                                        ; implicit-def: $sgpr10
	s_and_saveexec_b64 s[8:9], s[12:13]
; %bb.3418:
	s_mov_b32 s10, 0x7f800001
	s_xor_b64 s[4:5], exec, -1
; %bb.3419:
	s_or_b64 exec, exec, s[8:9]
	s_and_b64 s[4:5], s[4:5], exec
	s_or_saveexec_b64 s[6:7], s[6:7]
	v_mov_b32_e32 v2, s10
	s_xor_b64 exec, exec, s[6:7]
	s_cbranch_execz .LBB3_1370
.LBB3_3420:
	v_mov_b32_e32 v2, 0
	v_cmp_ne_u16_sdwa s[8:9], v8, v2 src0_sel:BYTE_3 src1_sel:DWORD
	s_andn2_b64 s[4:5], s[4:5], exec
	s_and_b64 s[8:9], s[8:9], exec
	s_or_b64 s[4:5], s[4:5], s[8:9]
	s_or_b64 exec, exec, s[6:7]
	s_and_saveexec_b64 s[6:7], s[4:5]
	s_cbranch_execnz .LBB3_1371
	s_branch .LBB3_1372
.LBB3_3421:
	s_movk_i32 s4, 0x80
	v_cmp_eq_u16_sdwa s[12:13], v4, s4 src0_sel:BYTE_3 src1_sel:DWORD
	s_mov_b64 s[4:5], -1
                                        ; implicit-def: $sgpr10
	s_and_saveexec_b64 s[8:9], s[12:13]
; %bb.3422:
	s_mov_b32 s10, 0x7f800001
	s_xor_b64 s[4:5], exec, -1
; %bb.3423:
	s_or_b64 exec, exec, s[8:9]
	s_and_b64 s[4:5], s[4:5], exec
	s_or_saveexec_b64 s[6:7], s[6:7]
	v_mov_b32_e32 v3, s10
	s_xor_b64 exec, exec, s[6:7]
	s_cbranch_execz .LBB3_1374
.LBB3_3424:
	v_mov_b32_e32 v3, 0
	v_cmp_ne_u16_sdwa s[8:9], v4, v3 src0_sel:BYTE_3 src1_sel:DWORD
	s_andn2_b64 s[4:5], s[4:5], exec
	s_and_b64 s[8:9], s[8:9], exec
	s_or_b64 s[4:5], s[4:5], s[8:9]
	s_or_b64 exec, exec, s[6:7]
	s_and_saveexec_b64 s[6:7], s[4:5]
	s_cbranch_execnz .LBB3_1375
	s_branch .LBB3_1376
.LBB3_3425:
	s_movk_i32 s4, 0x80
	v_cmp_eq_u16_sdwa s[12:13], v9, s4 src0_sel:BYTE_0 src1_sel:DWORD
	s_mov_b64 s[4:5], -1
                                        ; implicit-def: $sgpr10
	s_and_saveexec_b64 s[8:9], s[12:13]
; %bb.3426:
	s_mov_b32 s10, 0x7f800001
	s_xor_b64 s[4:5], exec, -1
; %bb.3427:
	s_or_b64 exec, exec, s[8:9]
	s_and_b64 s[4:5], s[4:5], exec
	s_or_saveexec_b64 s[6:7], s[6:7]
	v_mov_b32_e32 v2, s10
	s_xor_b64 exec, exec, s[6:7]
	s_cbranch_execz .LBB3_1378
.LBB3_3428:
	v_mov_b32_e32 v2, 0
	v_cmp_ne_u16_sdwa s[8:9], v9, v2 src0_sel:BYTE_0 src1_sel:DWORD
	s_andn2_b64 s[4:5], s[4:5], exec
	s_and_b64 s[8:9], s[8:9], exec
	s_or_b64 s[4:5], s[4:5], s[8:9]
	s_or_b64 exec, exec, s[6:7]
	s_and_saveexec_b64 s[6:7], s[4:5]
	s_cbranch_execnz .LBB3_1379
	s_branch .LBB3_1380
.LBB3_3429:
	s_movk_i32 s4, 0x80
	v_cmp_eq_u16_sdwa s[12:13], v5, s4 src0_sel:BYTE_0 src1_sel:DWORD
	s_mov_b64 s[4:5], -1
                                        ; implicit-def: $sgpr10
	s_and_saveexec_b64 s[8:9], s[12:13]
; %bb.3430:
	s_mov_b32 s10, 0x7f800001
	s_xor_b64 s[4:5], exec, -1
; %bb.3431:
	s_or_b64 exec, exec, s[8:9]
	s_and_b64 s[4:5], s[4:5], exec
	s_or_saveexec_b64 s[6:7], s[6:7]
	v_mov_b32_e32 v3, s10
	s_xor_b64 exec, exec, s[6:7]
	s_cbranch_execz .LBB3_1382
.LBB3_3432:
	v_mov_b32_e32 v3, 0
	v_cmp_ne_u16_sdwa s[8:9], v5, v3 src0_sel:BYTE_0 src1_sel:DWORD
	s_andn2_b64 s[4:5], s[4:5], exec
	s_and_b64 s[8:9], s[8:9], exec
	s_or_b64 s[4:5], s[4:5], s[8:9]
	s_or_b64 exec, exec, s[6:7]
	s_and_saveexec_b64 s[6:7], s[4:5]
	s_cbranch_execnz .LBB3_1383
	s_branch .LBB3_1384
.LBB3_3433:
	s_movk_i32 s4, 0x80
	v_cmp_eq_u16_sdwa s[12:13], v3, s4 src0_sel:BYTE_0 src1_sel:DWORD
	s_mov_b64 s[4:5], -1
                                        ; implicit-def: $sgpr10
	s_and_saveexec_b64 s[8:9], s[12:13]
; %bb.3434:
	s_mov_b32 s10, 0x7f800001
	s_xor_b64 s[4:5], exec, -1
; %bb.3435:
	s_or_b64 exec, exec, s[8:9]
	s_and_b64 s[4:5], s[4:5], exec
	s_or_saveexec_b64 s[6:7], s[6:7]
	v_mov_b32_e32 v2, s10
	s_xor_b64 exec, exec, s[6:7]
	s_cbranch_execz .LBB3_1386
.LBB3_3436:
	v_mov_b32_e32 v2, 0
	v_cmp_ne_u16_sdwa s[8:9], v3, v2 src0_sel:BYTE_0 src1_sel:DWORD
	s_andn2_b64 s[4:5], s[4:5], exec
	s_and_b64 s[8:9], s[8:9], exec
	s_or_b64 s[4:5], s[4:5], s[8:9]
	s_or_b64 exec, exec, s[6:7]
	s_and_saveexec_b64 s[6:7], s[4:5]
	s_cbranch_execnz .LBB3_1387
	s_branch .LBB3_1388
.LBB3_3437:
	s_movk_i32 s4, 0x80
	v_cmp_eq_u16_sdwa s[12:13], v3, s4 src0_sel:BYTE_0 src1_sel:DWORD
	s_mov_b64 s[4:5], -1
                                        ; implicit-def: $sgpr10
	s_and_saveexec_b64 s[8:9], s[12:13]
; %bb.3438:
	s_mov_b32 s10, 0x7f800001
	s_xor_b64 s[4:5], exec, -1
; %bb.3439:
	s_or_b64 exec, exec, s[8:9]
	s_and_b64 s[4:5], s[4:5], exec
	s_or_saveexec_b64 s[6:7], s[6:7]
	v_mov_b32_e32 v4, s10
	s_xor_b64 exec, exec, s[6:7]
	s_cbranch_execz .LBB3_1390
.LBB3_3440:
	v_mov_b32_e32 v4, 0
	v_cmp_ne_u16_sdwa s[8:9], v3, v4 src0_sel:BYTE_0 src1_sel:DWORD
	s_andn2_b64 s[4:5], s[4:5], exec
	s_and_b64 s[8:9], s[8:9], exec
	s_or_b64 s[4:5], s[4:5], s[8:9]
	s_or_b64 exec, exec, s[6:7]
	s_and_saveexec_b64 s[6:7], s[4:5]
	s_cbranch_execnz .LBB3_1391
	s_branch .LBB3_1392
.LBB3_3441:
	s_movk_i32 s4, 0x80
	v_cmp_eq_u16_e32 vcc, s4, v3
	s_mov_b64 s[4:5], -1
                                        ; implicit-def: $sgpr10
	s_and_saveexec_b64 s[8:9], vcc
; %bb.3442:
	s_mov_b32 s10, 0x7f800001
	s_xor_b64 s[4:5], exec, -1
; %bb.3443:
	s_or_b64 exec, exec, s[8:9]
	s_and_b64 s[4:5], s[4:5], exec
                                        ; implicit-def: $vgpr3
	s_or_saveexec_b64 s[6:7], s[6:7]
	v_mov_b32_e32 v2, s10
	s_xor_b64 exec, exec, s[6:7]
	s_cbranch_execz .LBB3_1394
.LBB3_3444:
	v_cmp_ne_u16_e32 vcc, 0, v3
	s_andn2_b64 s[4:5], s[4:5], exec
	s_and_b64 s[8:9], vcc, exec
	v_mov_b32_e32 v2, 0
	s_or_b64 s[4:5], s[4:5], s[8:9]
	s_or_b64 exec, exec, s[6:7]
	s_and_saveexec_b64 s[6:7], s[4:5]
	s_cbranch_execnz .LBB3_1395
	s_branch .LBB3_1396
.LBB3_3445:
	s_movk_i32 s4, 0x80
	v_cmp_eq_u16_e32 vcc, s4, v3
	s_mov_b64 s[4:5], -1
                                        ; implicit-def: $sgpr10
	s_and_saveexec_b64 s[8:9], vcc
; %bb.3446:
	s_mov_b32 s10, 0x7f800001
	s_xor_b64 s[4:5], exec, -1
; %bb.3447:
	s_or_b64 exec, exec, s[8:9]
	s_and_b64 s[4:5], s[4:5], exec
                                        ; implicit-def: $vgpr3
	s_or_saveexec_b64 s[6:7], s[6:7]
	v_mov_b32_e32 v4, s10
	s_xor_b64 exec, exec, s[6:7]
	s_cbranch_execz .LBB3_1398
.LBB3_3448:
	v_cmp_ne_u16_e32 vcc, 0, v3
	s_andn2_b64 s[4:5], s[4:5], exec
	s_and_b64 s[8:9], vcc, exec
	v_mov_b32_e32 v4, 0
	s_or_b64 s[4:5], s[4:5], s[8:9]
	s_or_b64 exec, exec, s[6:7]
	s_and_saveexec_b64 s[6:7], s[4:5]
	s_cbranch_execnz .LBB3_1399
	s_branch .LBB3_1400
.LBB3_3449:
	s_movk_i32 s4, 0x80
	v_cmp_eq_u16_sdwa s[12:13], v9, s4 src0_sel:BYTE_3 src1_sel:DWORD
	s_mov_b64 s[4:5], -1
                                        ; implicit-def: $sgpr10
	s_and_saveexec_b64 s[8:9], s[12:13]
; %bb.3450:
	s_mov_b32 s10, 0x7f800001
	s_xor_b64 s[4:5], exec, -1
; %bb.3451:
	s_or_b64 exec, exec, s[8:9]
	s_and_b64 s[4:5], s[4:5], exec
	s_or_saveexec_b64 s[6:7], s[6:7]
	v_mov_b32_e32 v2, s10
	s_xor_b64 exec, exec, s[6:7]
	s_cbranch_execz .LBB3_1402
.LBB3_3452:
	v_mov_b32_e32 v2, 0
	v_cmp_ne_u16_sdwa s[8:9], v9, v2 src0_sel:BYTE_3 src1_sel:DWORD
	s_andn2_b64 s[4:5], s[4:5], exec
	s_and_b64 s[8:9], s[8:9], exec
	s_or_b64 s[4:5], s[4:5], s[8:9]
	s_or_b64 exec, exec, s[6:7]
	s_and_saveexec_b64 s[6:7], s[4:5]
	s_cbranch_execnz .LBB3_1403
	s_branch .LBB3_1404
.LBB3_3453:
	s_movk_i32 s4, 0x80
	v_cmp_eq_u16_sdwa s[12:13], v5, s4 src0_sel:BYTE_3 src1_sel:DWORD
	s_mov_b64 s[4:5], -1
                                        ; implicit-def: $sgpr10
	s_and_saveexec_b64 s[8:9], s[12:13]
; %bb.3454:
	s_mov_b32 s10, 0x7f800001
	s_xor_b64 s[4:5], exec, -1
; %bb.3455:
	s_or_b64 exec, exec, s[8:9]
	s_and_b64 s[4:5], s[4:5], exec
	s_or_saveexec_b64 s[6:7], s[6:7]
	v_mov_b32_e32 v3, s10
	s_xor_b64 exec, exec, s[6:7]
	s_cbranch_execz .LBB3_1406
.LBB3_3456:
	v_mov_b32_e32 v3, 0
	v_cmp_ne_u16_sdwa s[8:9], v5, v3 src0_sel:BYTE_3 src1_sel:DWORD
	s_andn2_b64 s[4:5], s[4:5], exec
	s_and_b64 s[8:9], s[8:9], exec
	s_or_b64 s[4:5], s[4:5], s[8:9]
	s_or_b64 exec, exec, s[6:7]
	s_and_saveexec_b64 s[6:7], s[4:5]
	s_cbranch_execnz .LBB3_1407
	s_branch .LBB3_1408
.LBB3_3457:
	s_movk_i32 s4, 0x80
	v_cmp_eq_u16_sdwa s[12:13], v6, s4 src0_sel:BYTE_0 src1_sel:DWORD
	s_mov_b64 s[4:5], -1
                                        ; implicit-def: $sgpr10
	s_and_saveexec_b64 s[8:9], s[12:13]
; %bb.3458:
	s_mov_b32 s10, 0x7f800001
	s_xor_b64 s[4:5], exec, -1
; %bb.3459:
	s_or_b64 exec, exec, s[8:9]
	s_and_b64 s[4:5], s[4:5], exec
	s_or_saveexec_b64 s[6:7], s[6:7]
	v_mov_b32_e32 v12, s10
	s_xor_b64 exec, exec, s[6:7]
	s_cbranch_execz .LBB3_1410
.LBB3_3460:
	v_mov_b32_e32 v12, 0
	v_cmp_ne_u16_sdwa s[8:9], v6, v12 src0_sel:BYTE_0 src1_sel:DWORD
	s_andn2_b64 s[4:5], s[4:5], exec
	s_and_b64 s[8:9], s[8:9], exec
	s_or_b64 s[4:5], s[4:5], s[8:9]
	s_or_b64 exec, exec, s[6:7]
	s_and_saveexec_b64 s[6:7], s[4:5]
	s_cbranch_execnz .LBB3_1411
	s_branch .LBB3_1412
.LBB3_3461:
	s_movk_i32 s4, 0x80
	v_cmp_eq_u16_sdwa s[12:13], v2, s4 src0_sel:BYTE_0 src1_sel:DWORD
	s_mov_b64 s[4:5], -1
                                        ; implicit-def: $sgpr10
	s_and_saveexec_b64 s[8:9], s[12:13]
; %bb.3462:
	s_mov_b32 s10, 0x7f800001
	s_xor_b64 s[4:5], exec, -1
; %bb.3463:
	s_or_b64 exec, exec, s[8:9]
	s_and_b64 s[4:5], s[4:5], exec
	s_or_saveexec_b64 s[6:7], s[6:7]
	v_mov_b32_e32 v13, s10
	s_xor_b64 exec, exec, s[6:7]
	s_cbranch_execz .LBB3_1414
.LBB3_3464:
	v_mov_b32_e32 v13, 0
	v_cmp_ne_u16_sdwa s[8:9], v2, v13 src0_sel:BYTE_0 src1_sel:DWORD
	s_andn2_b64 s[4:5], s[4:5], exec
	s_and_b64 s[8:9], s[8:9], exec
	s_or_b64 s[4:5], s[4:5], s[8:9]
	s_or_b64 exec, exec, s[6:7]
	s_and_saveexec_b64 s[6:7], s[4:5]
	s_cbranch_execnz .LBB3_1415
	s_branch .LBB3_1416
.LBB3_3465:
	s_movk_i32 s4, 0x80
	v_cmp_eq_u16_sdwa s[12:13], v13, s4 src0_sel:BYTE_0 src1_sel:DWORD
	s_mov_b64 s[4:5], -1
                                        ; implicit-def: $sgpr10
	s_and_saveexec_b64 s[8:9], s[12:13]
; %bb.3466:
	s_mov_b32 s10, 0x7f800001
	s_xor_b64 s[4:5], exec, -1
; %bb.3467:
	s_or_b64 exec, exec, s[8:9]
	s_and_b64 s[4:5], s[4:5], exec
	s_or_saveexec_b64 s[6:7], s[6:7]
	v_mov_b32_e32 v12, s10
	s_xor_b64 exec, exec, s[6:7]
	s_cbranch_execz .LBB3_1418
.LBB3_3468:
	v_mov_b32_e32 v12, 0
	v_cmp_ne_u16_sdwa s[8:9], v13, v12 src0_sel:BYTE_0 src1_sel:DWORD
	s_andn2_b64 s[4:5], s[4:5], exec
	s_and_b64 s[8:9], s[8:9], exec
	s_or_b64 s[4:5], s[4:5], s[8:9]
	s_or_b64 exec, exec, s[6:7]
	s_and_saveexec_b64 s[6:7], s[4:5]
	s_cbranch_execnz .LBB3_1419
	s_branch .LBB3_1420
.LBB3_3469:
	s_movk_i32 s4, 0x80
	v_cmp_eq_u16_sdwa s[12:13], v13, s4 src0_sel:BYTE_0 src1_sel:DWORD
	s_mov_b64 s[4:5], -1
                                        ; implicit-def: $sgpr10
	s_and_saveexec_b64 s[8:9], s[12:13]
; %bb.3470:
	s_mov_b32 s10, 0x7f800001
	s_xor_b64 s[4:5], exec, -1
; %bb.3471:
	s_or_b64 exec, exec, s[8:9]
	s_and_b64 s[4:5], s[4:5], exec
	s_or_saveexec_b64 s[6:7], s[6:7]
	v_mov_b32_e32 v14, s10
	s_xor_b64 exec, exec, s[6:7]
	s_cbranch_execz .LBB3_1422
.LBB3_3472:
	v_mov_b32_e32 v14, 0
	v_cmp_ne_u16_sdwa s[8:9], v13, v14 src0_sel:BYTE_0 src1_sel:DWORD
	s_andn2_b64 s[4:5], s[4:5], exec
	s_and_b64 s[8:9], s[8:9], exec
	s_or_b64 s[4:5], s[4:5], s[8:9]
	s_or_b64 exec, exec, s[6:7]
	s_and_saveexec_b64 s[6:7], s[4:5]
	s_cbranch_execnz .LBB3_1423
	s_branch .LBB3_1424
.LBB3_3473:
	s_movk_i32 s4, 0x80
	v_cmp_eq_u16_e32 vcc, s4, v13
	s_mov_b64 s[4:5], -1
                                        ; implicit-def: $sgpr10
	s_and_saveexec_b64 s[8:9], vcc
; %bb.3474:
	s_mov_b32 s10, 0x7f800001
	s_xor_b64 s[4:5], exec, -1
; %bb.3475:
	s_or_b64 exec, exec, s[8:9]
	s_and_b64 s[4:5], s[4:5], exec
                                        ; implicit-def: $vgpr13
	s_or_saveexec_b64 s[6:7], s[6:7]
	v_mov_b32_e32 v12, s10
	s_xor_b64 exec, exec, s[6:7]
	s_cbranch_execz .LBB3_1426
.LBB3_3476:
	v_cmp_ne_u16_e32 vcc, 0, v13
	s_andn2_b64 s[4:5], s[4:5], exec
	s_and_b64 s[8:9], vcc, exec
	v_mov_b32_e32 v12, 0
	s_or_b64 s[4:5], s[4:5], s[8:9]
	s_or_b64 exec, exec, s[6:7]
	s_and_saveexec_b64 s[6:7], s[4:5]
	s_cbranch_execnz .LBB3_1427
	s_branch .LBB3_1428
.LBB3_3477:
	s_movk_i32 s4, 0x80
	v_cmp_eq_u16_e32 vcc, s4, v13
	s_mov_b64 s[4:5], -1
                                        ; implicit-def: $sgpr10
	s_and_saveexec_b64 s[8:9], vcc
; %bb.3478:
	s_mov_b32 s10, 0x7f800001
	s_xor_b64 s[4:5], exec, -1
; %bb.3479:
	s_or_b64 exec, exec, s[8:9]
	s_and_b64 s[4:5], s[4:5], exec
                                        ; implicit-def: $vgpr13
	s_or_saveexec_b64 s[6:7], s[6:7]
	v_mov_b32_e32 v14, s10
	s_xor_b64 exec, exec, s[6:7]
	s_cbranch_execz .LBB3_1430
.LBB3_3480:
	v_cmp_ne_u16_e32 vcc, 0, v13
	s_andn2_b64 s[4:5], s[4:5], exec
	s_and_b64 s[8:9], vcc, exec
	v_mov_b32_e32 v14, 0
	s_or_b64 s[4:5], s[4:5], s[8:9]
	s_or_b64 exec, exec, s[6:7]
	s_and_saveexec_b64 s[6:7], s[4:5]
	s_cbranch_execnz .LBB3_1431
	s_branch .LBB3_1432
.LBB3_3481:
	s_movk_i32 s4, 0x80
	v_cmp_eq_u16_sdwa s[12:13], v6, s4 src0_sel:BYTE_3 src1_sel:DWORD
	s_mov_b64 s[4:5], -1
                                        ; implicit-def: $sgpr10
	s_and_saveexec_b64 s[8:9], s[12:13]
; %bb.3482:
	s_mov_b32 s10, 0x7f800001
	s_xor_b64 s[4:5], exec, -1
; %bb.3483:
	s_or_b64 exec, exec, s[8:9]
	s_and_b64 s[4:5], s[4:5], exec
	s_or_saveexec_b64 s[6:7], s[6:7]
	v_mov_b32_e32 v12, s10
	s_xor_b64 exec, exec, s[6:7]
	s_cbranch_execz .LBB3_1434
.LBB3_3484:
	v_mov_b32_e32 v12, 0
	v_cmp_ne_u16_sdwa s[8:9], v6, v12 src0_sel:BYTE_3 src1_sel:DWORD
	s_andn2_b64 s[4:5], s[4:5], exec
	s_and_b64 s[8:9], s[8:9], exec
	s_or_b64 s[4:5], s[4:5], s[8:9]
	s_or_b64 exec, exec, s[6:7]
	s_and_saveexec_b64 s[6:7], s[4:5]
	s_cbranch_execnz .LBB3_1435
	s_branch .LBB3_1436
.LBB3_3485:
	s_movk_i32 s4, 0x80
	v_cmp_eq_u16_sdwa s[12:13], v2, s4 src0_sel:BYTE_3 src1_sel:DWORD
	s_mov_b64 s[4:5], -1
                                        ; implicit-def: $sgpr10
	s_and_saveexec_b64 s[8:9], s[12:13]
; %bb.3486:
	s_mov_b32 s10, 0x7f800001
	s_xor_b64 s[4:5], exec, -1
; %bb.3487:
	s_or_b64 exec, exec, s[8:9]
	s_and_b64 s[4:5], s[4:5], exec
	s_or_saveexec_b64 s[6:7], s[6:7]
	v_mov_b32_e32 v6, s10
	s_xor_b64 exec, exec, s[6:7]
	s_cbranch_execz .LBB3_1438
.LBB3_3488:
	v_mov_b32_e32 v6, 0
	v_cmp_ne_u16_sdwa s[8:9], v2, v6 src0_sel:BYTE_3 src1_sel:DWORD
	s_andn2_b64 s[4:5], s[4:5], exec
	s_and_b64 s[8:9], s[8:9], exec
	s_or_b64 s[4:5], s[4:5], s[8:9]
	s_or_b64 exec, exec, s[6:7]
	s_and_saveexec_b64 s[6:7], s[4:5]
	s_cbranch_execnz .LBB3_1439
	s_branch .LBB3_1440
.LBB3_3489:
	s_movk_i32 s4, 0x80
	v_cmp_eq_u16_sdwa s[12:13], v7, s4 src0_sel:BYTE_0 src1_sel:DWORD
	s_mov_b64 s[4:5], -1
                                        ; implicit-def: $sgpr10
	s_and_saveexec_b64 s[8:9], s[12:13]
; %bb.3490:
	s_mov_b32 s10, 0x7f800001
	s_xor_b64 s[4:5], exec, -1
; %bb.3491:
	s_or_b64 exec, exec, s[8:9]
	s_and_b64 s[4:5], s[4:5], exec
	s_or_saveexec_b64 s[6:7], s[6:7]
	v_mov_b32_e32 v2, s10
	s_xor_b64 exec, exec, s[6:7]
	s_cbranch_execz .LBB3_1442
.LBB3_3492:
	v_mov_b32_e32 v2, 0
	v_cmp_ne_u16_sdwa s[8:9], v7, v2 src0_sel:BYTE_0 src1_sel:DWORD
	s_andn2_b64 s[4:5], s[4:5], exec
	s_and_b64 s[8:9], s[8:9], exec
	s_or_b64 s[4:5], s[4:5], s[8:9]
	s_or_b64 exec, exec, s[6:7]
	s_and_saveexec_b64 s[6:7], s[4:5]
	s_cbranch_execnz .LBB3_1443
	s_branch .LBB3_1444
.LBB3_3493:
	s_movk_i32 s4, 0x80
	v_cmp_eq_u16_sdwa s[12:13], v3, s4 src0_sel:BYTE_0 src1_sel:DWORD
	s_mov_b64 s[4:5], -1
                                        ; implicit-def: $sgpr10
	s_and_saveexec_b64 s[8:9], s[12:13]
; %bb.3494:
	s_mov_b32 s10, 0x7f800001
	s_xor_b64 s[4:5], exec, -1
; %bb.3495:
	s_or_b64 exec, exec, s[8:9]
	s_and_b64 s[4:5], s[4:5], exec
	s_or_saveexec_b64 s[6:7], s[6:7]
	v_mov_b32_e32 v6, s10
	s_xor_b64 exec, exec, s[6:7]
	s_cbranch_execz .LBB3_1446
.LBB3_3496:
	v_mov_b32_e32 v6, 0
	v_cmp_ne_u16_sdwa s[8:9], v3, v6 src0_sel:BYTE_0 src1_sel:DWORD
	s_andn2_b64 s[4:5], s[4:5], exec
	s_and_b64 s[8:9], s[8:9], exec
	s_or_b64 s[4:5], s[4:5], s[8:9]
	s_or_b64 exec, exec, s[6:7]
	s_and_saveexec_b64 s[6:7], s[4:5]
	s_cbranch_execnz .LBB3_1447
	s_branch .LBB3_1448
.LBB3_3497:
	s_movk_i32 s4, 0x80
	v_cmp_eq_u16_sdwa s[12:13], v6, s4 src0_sel:BYTE_0 src1_sel:DWORD
	s_mov_b64 s[4:5], -1
                                        ; implicit-def: $sgpr10
	s_and_saveexec_b64 s[8:9], s[12:13]
; %bb.3498:
	s_mov_b32 s10, 0x7f800001
	s_xor_b64 s[4:5], exec, -1
; %bb.3499:
	s_or_b64 exec, exec, s[8:9]
	s_and_b64 s[4:5], s[4:5], exec
	s_or_saveexec_b64 s[6:7], s[6:7]
	v_mov_b32_e32 v2, s10
	s_xor_b64 exec, exec, s[6:7]
	s_cbranch_execz .LBB3_1450
.LBB3_3500:
	v_mov_b32_e32 v2, 0
	v_cmp_ne_u16_sdwa s[8:9], v6, v2 src0_sel:BYTE_0 src1_sel:DWORD
	s_andn2_b64 s[4:5], s[4:5], exec
	s_and_b64 s[8:9], s[8:9], exec
	s_or_b64 s[4:5], s[4:5], s[8:9]
	s_or_b64 exec, exec, s[6:7]
	s_and_saveexec_b64 s[6:7], s[4:5]
	s_cbranch_execnz .LBB3_1451
	s_branch .LBB3_1452
.LBB3_3501:
	s_movk_i32 s4, 0x80
	v_cmp_eq_u16_sdwa s[12:13], v6, s4 src0_sel:BYTE_0 src1_sel:DWORD
	s_mov_b64 s[4:5], -1
                                        ; implicit-def: $sgpr10
	s_and_saveexec_b64 s[8:9], s[12:13]
; %bb.3502:
	s_mov_b32 s10, 0x7f800001
	s_xor_b64 s[4:5], exec, -1
; %bb.3503:
	s_or_b64 exec, exec, s[8:9]
	s_and_b64 s[4:5], s[4:5], exec
	s_or_saveexec_b64 s[6:7], s[6:7]
	v_mov_b32_e32 v12, s10
	s_xor_b64 exec, exec, s[6:7]
	s_cbranch_execz .LBB3_1454
.LBB3_3504:
	v_mov_b32_e32 v12, 0
	v_cmp_ne_u16_sdwa s[8:9], v6, v12 src0_sel:BYTE_0 src1_sel:DWORD
	s_andn2_b64 s[4:5], s[4:5], exec
	s_and_b64 s[8:9], s[8:9], exec
	s_or_b64 s[4:5], s[4:5], s[8:9]
	s_or_b64 exec, exec, s[6:7]
	s_and_saveexec_b64 s[6:7], s[4:5]
	s_cbranch_execnz .LBB3_1455
	s_branch .LBB3_1456
.LBB3_3505:
	s_movk_i32 s4, 0x80
	v_cmp_eq_u16_e32 vcc, s4, v6
	s_mov_b64 s[4:5], -1
                                        ; implicit-def: $sgpr10
	s_and_saveexec_b64 s[8:9], vcc
; %bb.3506:
	s_mov_b32 s10, 0x7f800001
	s_xor_b64 s[4:5], exec, -1
; %bb.3507:
	s_or_b64 exec, exec, s[8:9]
	s_and_b64 s[4:5], s[4:5], exec
                                        ; implicit-def: $vgpr6
	s_or_saveexec_b64 s[6:7], s[6:7]
	v_mov_b32_e32 v2, s10
	s_xor_b64 exec, exec, s[6:7]
	s_cbranch_execz .LBB3_1458
.LBB3_3508:
	v_cmp_ne_u16_e32 vcc, 0, v6
	s_andn2_b64 s[4:5], s[4:5], exec
	s_and_b64 s[8:9], vcc, exec
	v_mov_b32_e32 v2, 0
	s_or_b64 s[4:5], s[4:5], s[8:9]
	s_or_b64 exec, exec, s[6:7]
	s_and_saveexec_b64 s[6:7], s[4:5]
	s_cbranch_execnz .LBB3_1459
	s_branch .LBB3_1460
.LBB3_3509:
	s_movk_i32 s4, 0x80
	v_cmp_eq_u16_e32 vcc, s4, v6
	s_mov_b64 s[4:5], -1
                                        ; implicit-def: $sgpr10
	s_and_saveexec_b64 s[8:9], vcc
; %bb.3510:
	s_mov_b32 s10, 0x7f800001
	s_xor_b64 s[4:5], exec, -1
; %bb.3511:
	s_or_b64 exec, exec, s[8:9]
	s_and_b64 s[4:5], s[4:5], exec
                                        ; implicit-def: $vgpr6
	s_or_saveexec_b64 s[6:7], s[6:7]
	v_mov_b32_e32 v12, s10
	s_xor_b64 exec, exec, s[6:7]
	s_cbranch_execz .LBB3_1462
.LBB3_3512:
	v_cmp_ne_u16_e32 vcc, 0, v6
	s_andn2_b64 s[4:5], s[4:5], exec
	s_and_b64 s[8:9], vcc, exec
	v_mov_b32_e32 v12, 0
	s_or_b64 s[4:5], s[4:5], s[8:9]
	s_or_b64 exec, exec, s[6:7]
	s_and_saveexec_b64 s[6:7], s[4:5]
	s_cbranch_execnz .LBB3_1463
	s_branch .LBB3_1464
.LBB3_3513:
	s_movk_i32 s4, 0x80
	v_cmp_eq_u16_sdwa s[12:13], v7, s4 src0_sel:BYTE_3 src1_sel:DWORD
	s_mov_b64 s[4:5], -1
                                        ; implicit-def: $sgpr10
	s_and_saveexec_b64 s[8:9], s[12:13]
; %bb.3514:
	s_mov_b32 s10, 0x7f800001
	s_xor_b64 s[4:5], exec, -1
; %bb.3515:
	s_or_b64 exec, exec, s[8:9]
	s_and_b64 s[4:5], s[4:5], exec
	s_or_saveexec_b64 s[6:7], s[6:7]
	v_mov_b32_e32 v2, s10
	s_xor_b64 exec, exec, s[6:7]
	s_cbranch_execz .LBB3_1466
.LBB3_3516:
	v_mov_b32_e32 v2, 0
	v_cmp_ne_u16_sdwa s[8:9], v7, v2 src0_sel:BYTE_3 src1_sel:DWORD
	s_andn2_b64 s[4:5], s[4:5], exec
	s_and_b64 s[8:9], s[8:9], exec
	s_or_b64 s[4:5], s[4:5], s[8:9]
	s_or_b64 exec, exec, s[6:7]
	s_and_saveexec_b64 s[6:7], s[4:5]
	s_cbranch_execnz .LBB3_1467
	s_branch .LBB3_1468
.LBB3_3517:
	s_movk_i32 s4, 0x80
	v_cmp_eq_u16_sdwa s[12:13], v3, s4 src0_sel:BYTE_3 src1_sel:DWORD
	s_mov_b64 s[4:5], -1
                                        ; implicit-def: $sgpr10
	s_and_saveexec_b64 s[8:9], s[12:13]
; %bb.3518:
	s_mov_b32 s10, 0x7f800001
	s_xor_b64 s[4:5], exec, -1
; %bb.3519:
	s_or_b64 exec, exec, s[8:9]
	s_and_b64 s[4:5], s[4:5], exec
	s_or_saveexec_b64 s[6:7], s[6:7]
	v_mov_b32_e32 v6, s10
	s_xor_b64 exec, exec, s[6:7]
	s_cbranch_execz .LBB3_1470
.LBB3_3520:
	v_mov_b32_e32 v6, 0
	v_cmp_ne_u16_sdwa s[8:9], v3, v6 src0_sel:BYTE_3 src1_sel:DWORD
	s_andn2_b64 s[4:5], s[4:5], exec
	s_and_b64 s[8:9], s[8:9], exec
	s_or_b64 s[4:5], s[4:5], s[8:9]
	s_or_b64 exec, exec, s[6:7]
	s_and_saveexec_b64 s[6:7], s[4:5]
	s_cbranch_execnz .LBB3_1471
	s_branch .LBB3_1472
.LBB3_3521:
	s_movk_i32 s4, 0x80
	v_cmp_eq_u16_sdwa s[12:13], v8, s4 src0_sel:BYTE_0 src1_sel:DWORD
	s_mov_b64 s[4:5], -1
                                        ; implicit-def: $sgpr10
	s_and_saveexec_b64 s[8:9], s[12:13]
; %bb.3522:
	s_mov_b32 s10, 0x7f800001
	s_xor_b64 s[4:5], exec, -1
; %bb.3523:
	s_or_b64 exec, exec, s[8:9]
	s_and_b64 s[4:5], s[4:5], exec
	s_or_saveexec_b64 s[6:7], s[6:7]
	v_mov_b32_e32 v2, s10
	s_xor_b64 exec, exec, s[6:7]
	s_cbranch_execz .LBB3_1474
.LBB3_3524:
	v_mov_b32_e32 v2, 0
	v_cmp_ne_u16_sdwa s[8:9], v8, v2 src0_sel:BYTE_0 src1_sel:DWORD
	s_andn2_b64 s[4:5], s[4:5], exec
	s_and_b64 s[8:9], s[8:9], exec
	s_or_b64 s[4:5], s[4:5], s[8:9]
	s_or_b64 exec, exec, s[6:7]
	s_and_saveexec_b64 s[6:7], s[4:5]
	s_cbranch_execnz .LBB3_1475
	s_branch .LBB3_1476
.LBB3_3525:
	s_movk_i32 s4, 0x80
	v_cmp_eq_u16_sdwa s[12:13], v4, s4 src0_sel:BYTE_0 src1_sel:DWORD
	s_mov_b64 s[4:5], -1
                                        ; implicit-def: $sgpr10
	s_and_saveexec_b64 s[8:9], s[12:13]
; %bb.3526:
	s_mov_b32 s10, 0x7f800001
	s_xor_b64 s[4:5], exec, -1
; %bb.3527:
	s_or_b64 exec, exec, s[8:9]
	s_and_b64 s[4:5], s[4:5], exec
	s_or_saveexec_b64 s[6:7], s[6:7]
	v_mov_b32_e32 v3, s10
	s_xor_b64 exec, exec, s[6:7]
	s_cbranch_execz .LBB3_1478
.LBB3_3528:
	v_mov_b32_e32 v3, 0
	v_cmp_ne_u16_sdwa s[8:9], v4, v3 src0_sel:BYTE_0 src1_sel:DWORD
	s_andn2_b64 s[4:5], s[4:5], exec
	s_and_b64 s[8:9], s[8:9], exec
	s_or_b64 s[4:5], s[4:5], s[8:9]
	s_or_b64 exec, exec, s[6:7]
	s_and_saveexec_b64 s[6:7], s[4:5]
	s_cbranch_execnz .LBB3_1479
	s_branch .LBB3_1480
.LBB3_3529:
	s_movk_i32 s4, 0x80
	v_cmp_eq_u16_sdwa s[12:13], v3, s4 src0_sel:BYTE_0 src1_sel:DWORD
	s_mov_b64 s[4:5], -1
                                        ; implicit-def: $sgpr10
	s_and_saveexec_b64 s[8:9], s[12:13]
; %bb.3530:
	s_mov_b32 s10, 0x7f800001
	s_xor_b64 s[4:5], exec, -1
; %bb.3531:
	s_or_b64 exec, exec, s[8:9]
	s_and_b64 s[4:5], s[4:5], exec
	s_or_saveexec_b64 s[6:7], s[6:7]
	v_mov_b32_e32 v2, s10
	s_xor_b64 exec, exec, s[6:7]
	s_cbranch_execz .LBB3_1482
.LBB3_3532:
	v_mov_b32_e32 v2, 0
	v_cmp_ne_u16_sdwa s[8:9], v3, v2 src0_sel:BYTE_0 src1_sel:DWORD
	s_andn2_b64 s[4:5], s[4:5], exec
	s_and_b64 s[8:9], s[8:9], exec
	s_or_b64 s[4:5], s[4:5], s[8:9]
	s_or_b64 exec, exec, s[6:7]
	s_and_saveexec_b64 s[6:7], s[4:5]
	s_cbranch_execnz .LBB3_1483
	s_branch .LBB3_1484
.LBB3_3533:
	s_movk_i32 s4, 0x80
	v_cmp_eq_u16_sdwa s[12:13], v3, s4 src0_sel:BYTE_0 src1_sel:DWORD
	s_mov_b64 s[4:5], -1
                                        ; implicit-def: $sgpr10
	s_and_saveexec_b64 s[8:9], s[12:13]
; %bb.3534:
	s_mov_b32 s10, 0x7f800001
	s_xor_b64 s[4:5], exec, -1
; %bb.3535:
	s_or_b64 exec, exec, s[8:9]
	s_and_b64 s[4:5], s[4:5], exec
	s_or_saveexec_b64 s[6:7], s[6:7]
	v_mov_b32_e32 v6, s10
	s_xor_b64 exec, exec, s[6:7]
	s_cbranch_execz .LBB3_1486
.LBB3_3536:
	v_mov_b32_e32 v6, 0
	v_cmp_ne_u16_sdwa s[8:9], v3, v6 src0_sel:BYTE_0 src1_sel:DWORD
	s_andn2_b64 s[4:5], s[4:5], exec
	s_and_b64 s[8:9], s[8:9], exec
	s_or_b64 s[4:5], s[4:5], s[8:9]
	s_or_b64 exec, exec, s[6:7]
	s_and_saveexec_b64 s[6:7], s[4:5]
	s_cbranch_execnz .LBB3_1487
	s_branch .LBB3_1488
.LBB3_3537:
	s_movk_i32 s4, 0x80
	v_cmp_eq_u16_e32 vcc, s4, v3
	s_mov_b64 s[4:5], -1
                                        ; implicit-def: $sgpr10
	s_and_saveexec_b64 s[8:9], vcc
; %bb.3538:
	s_mov_b32 s10, 0x7f800001
	s_xor_b64 s[4:5], exec, -1
; %bb.3539:
	s_or_b64 exec, exec, s[8:9]
	s_and_b64 s[4:5], s[4:5], exec
                                        ; implicit-def: $vgpr3
	s_or_saveexec_b64 s[6:7], s[6:7]
	v_mov_b32_e32 v2, s10
	s_xor_b64 exec, exec, s[6:7]
	s_cbranch_execz .LBB3_1490
.LBB3_3540:
	v_cmp_ne_u16_e32 vcc, 0, v3
	s_andn2_b64 s[4:5], s[4:5], exec
	s_and_b64 s[8:9], vcc, exec
	v_mov_b32_e32 v2, 0
	s_or_b64 s[4:5], s[4:5], s[8:9]
	s_or_b64 exec, exec, s[6:7]
	s_and_saveexec_b64 s[6:7], s[4:5]
	s_cbranch_execnz .LBB3_1491
	s_branch .LBB3_1492
.LBB3_3541:
	s_movk_i32 s4, 0x80
	v_cmp_eq_u16_e32 vcc, s4, v3
	s_mov_b64 s[4:5], -1
                                        ; implicit-def: $sgpr10
	s_and_saveexec_b64 s[8:9], vcc
; %bb.3542:
	s_mov_b32 s10, 0x7f800001
	s_xor_b64 s[4:5], exec, -1
; %bb.3543:
	s_or_b64 exec, exec, s[8:9]
	s_and_b64 s[4:5], s[4:5], exec
                                        ; implicit-def: $vgpr3
	s_or_saveexec_b64 s[6:7], s[6:7]
	v_mov_b32_e32 v6, s10
	s_xor_b64 exec, exec, s[6:7]
	s_cbranch_execz .LBB3_1494
.LBB3_3544:
	v_cmp_ne_u16_e32 vcc, 0, v3
	s_andn2_b64 s[4:5], s[4:5], exec
	s_and_b64 s[8:9], vcc, exec
	v_mov_b32_e32 v6, 0
	s_or_b64 s[4:5], s[4:5], s[8:9]
	s_or_b64 exec, exec, s[6:7]
	s_and_saveexec_b64 s[6:7], s[4:5]
	s_cbranch_execnz .LBB3_1495
	s_branch .LBB3_1496
.LBB3_3545:
	s_movk_i32 s4, 0x80
	v_cmp_eq_u16_sdwa s[12:13], v8, s4 src0_sel:BYTE_3 src1_sel:DWORD
	s_mov_b64 s[4:5], -1
                                        ; implicit-def: $sgpr10
	s_and_saveexec_b64 s[8:9], s[12:13]
; %bb.3546:
	s_mov_b32 s10, 0x7f800001
	s_xor_b64 s[4:5], exec, -1
; %bb.3547:
	s_or_b64 exec, exec, s[8:9]
	s_and_b64 s[4:5], s[4:5], exec
	s_or_saveexec_b64 s[6:7], s[6:7]
	v_mov_b32_e32 v2, s10
	s_xor_b64 exec, exec, s[6:7]
	s_cbranch_execz .LBB3_1498
.LBB3_3548:
	v_mov_b32_e32 v2, 0
	v_cmp_ne_u16_sdwa s[8:9], v8, v2 src0_sel:BYTE_3 src1_sel:DWORD
	s_andn2_b64 s[4:5], s[4:5], exec
	s_and_b64 s[8:9], s[8:9], exec
	s_or_b64 s[4:5], s[4:5], s[8:9]
	s_or_b64 exec, exec, s[6:7]
	s_and_saveexec_b64 s[6:7], s[4:5]
	s_cbranch_execnz .LBB3_1499
	s_branch .LBB3_1500
.LBB3_3549:
	s_movk_i32 s4, 0x80
	v_cmp_eq_u16_sdwa s[12:13], v4, s4 src0_sel:BYTE_3 src1_sel:DWORD
	s_mov_b64 s[4:5], -1
                                        ; implicit-def: $sgpr10
	s_and_saveexec_b64 s[8:9], s[12:13]
; %bb.3550:
	s_mov_b32 s10, 0x7f800001
	s_xor_b64 s[4:5], exec, -1
; %bb.3551:
	s_or_b64 exec, exec, s[8:9]
	s_and_b64 s[4:5], s[4:5], exec
	s_or_saveexec_b64 s[6:7], s[6:7]
	v_mov_b32_e32 v3, s10
	s_xor_b64 exec, exec, s[6:7]
	s_cbranch_execz .LBB3_1502
.LBB3_3552:
	v_mov_b32_e32 v3, 0
	v_cmp_ne_u16_sdwa s[8:9], v4, v3 src0_sel:BYTE_3 src1_sel:DWORD
	s_andn2_b64 s[4:5], s[4:5], exec
	s_and_b64 s[8:9], s[8:9], exec
	s_or_b64 s[4:5], s[4:5], s[8:9]
	s_or_b64 exec, exec, s[6:7]
	s_and_saveexec_b64 s[6:7], s[4:5]
	s_cbranch_execnz .LBB3_1503
	s_branch .LBB3_1504
.LBB3_3553:
	s_movk_i32 s4, 0x80
	v_cmp_eq_u16_sdwa s[12:13], v9, s4 src0_sel:BYTE_0 src1_sel:DWORD
	s_mov_b64 s[4:5], -1
                                        ; implicit-def: $sgpr10
	s_and_saveexec_b64 s[8:9], s[12:13]
; %bb.3554:
	s_mov_b32 s10, 0x7f800001
	s_xor_b64 s[4:5], exec, -1
; %bb.3555:
	s_or_b64 exec, exec, s[8:9]
	s_and_b64 s[4:5], s[4:5], exec
	s_or_saveexec_b64 s[6:7], s[6:7]
	v_mov_b32_e32 v2, s10
	s_xor_b64 exec, exec, s[6:7]
	s_cbranch_execz .LBB3_1506
.LBB3_3556:
	v_mov_b32_e32 v2, 0
	v_cmp_ne_u16_sdwa s[8:9], v9, v2 src0_sel:BYTE_0 src1_sel:DWORD
	s_andn2_b64 s[4:5], s[4:5], exec
	s_and_b64 s[8:9], s[8:9], exec
	s_or_b64 s[4:5], s[4:5], s[8:9]
	s_or_b64 exec, exec, s[6:7]
	s_and_saveexec_b64 s[6:7], s[4:5]
	s_cbranch_execnz .LBB3_1507
	s_branch .LBB3_1508
.LBB3_3557:
	s_movk_i32 s4, 0x80
	v_cmp_eq_u16_sdwa s[12:13], v5, s4 src0_sel:BYTE_0 src1_sel:DWORD
	s_mov_b64 s[4:5], -1
                                        ; implicit-def: $sgpr10
	s_and_saveexec_b64 s[8:9], s[12:13]
; %bb.3558:
	s_mov_b32 s10, 0x7f800001
	s_xor_b64 s[4:5], exec, -1
; %bb.3559:
	s_or_b64 exec, exec, s[8:9]
	s_and_b64 s[4:5], s[4:5], exec
	s_or_saveexec_b64 s[6:7], s[6:7]
	v_mov_b32_e32 v3, s10
	s_xor_b64 exec, exec, s[6:7]
	s_cbranch_execz .LBB3_1510
.LBB3_3560:
	v_mov_b32_e32 v3, 0
	v_cmp_ne_u16_sdwa s[8:9], v5, v3 src0_sel:BYTE_0 src1_sel:DWORD
	s_andn2_b64 s[4:5], s[4:5], exec
	s_and_b64 s[8:9], s[8:9], exec
	s_or_b64 s[4:5], s[4:5], s[8:9]
	s_or_b64 exec, exec, s[6:7]
	s_and_saveexec_b64 s[6:7], s[4:5]
	s_cbranch_execnz .LBB3_1511
	s_branch .LBB3_1512
.LBB3_3561:
	s_movk_i32 s4, 0x80
	v_cmp_eq_u16_sdwa s[12:13], v3, s4 src0_sel:BYTE_0 src1_sel:DWORD
	s_mov_b64 s[4:5], -1
                                        ; implicit-def: $sgpr10
	s_and_saveexec_b64 s[8:9], s[12:13]
; %bb.3562:
	s_mov_b32 s10, 0x7f800001
	s_xor_b64 s[4:5], exec, -1
; %bb.3563:
	s_or_b64 exec, exec, s[8:9]
	s_and_b64 s[4:5], s[4:5], exec
	s_or_saveexec_b64 s[6:7], s[6:7]
	v_mov_b32_e32 v2, s10
	s_xor_b64 exec, exec, s[6:7]
	s_cbranch_execz .LBB3_1514
.LBB3_3564:
	v_mov_b32_e32 v2, 0
	v_cmp_ne_u16_sdwa s[8:9], v3, v2 src0_sel:BYTE_0 src1_sel:DWORD
	s_andn2_b64 s[4:5], s[4:5], exec
	s_and_b64 s[8:9], s[8:9], exec
	s_or_b64 s[4:5], s[4:5], s[8:9]
	s_or_b64 exec, exec, s[6:7]
	s_and_saveexec_b64 s[6:7], s[4:5]
	s_cbranch_execnz .LBB3_1515
	s_branch .LBB3_1516
.LBB3_3565:
	s_movk_i32 s4, 0x80
	v_cmp_eq_u16_sdwa s[12:13], v3, s4 src0_sel:BYTE_0 src1_sel:DWORD
	s_mov_b64 s[4:5], -1
                                        ; implicit-def: $sgpr10
	s_and_saveexec_b64 s[8:9], s[12:13]
; %bb.3566:
	s_mov_b32 s10, 0x7f800001
	s_xor_b64 s[4:5], exec, -1
; %bb.3567:
	s_or_b64 exec, exec, s[8:9]
	s_and_b64 s[4:5], s[4:5], exec
	s_or_saveexec_b64 s[6:7], s[6:7]
	v_mov_b32_e32 v4, s10
	s_xor_b64 exec, exec, s[6:7]
	s_cbranch_execz .LBB3_1518
.LBB3_3568:
	v_mov_b32_e32 v4, 0
	v_cmp_ne_u16_sdwa s[8:9], v3, v4 src0_sel:BYTE_0 src1_sel:DWORD
	s_andn2_b64 s[4:5], s[4:5], exec
	s_and_b64 s[8:9], s[8:9], exec
	s_or_b64 s[4:5], s[4:5], s[8:9]
	s_or_b64 exec, exec, s[6:7]
	s_and_saveexec_b64 s[6:7], s[4:5]
	s_cbranch_execnz .LBB3_1519
	s_branch .LBB3_1520
.LBB3_3569:
	s_movk_i32 s4, 0x80
	v_cmp_eq_u16_e32 vcc, s4, v3
	s_mov_b64 s[4:5], -1
                                        ; implicit-def: $sgpr10
	s_and_saveexec_b64 s[8:9], vcc
; %bb.3570:
	s_mov_b32 s10, 0x7f800001
	s_xor_b64 s[4:5], exec, -1
; %bb.3571:
	s_or_b64 exec, exec, s[8:9]
	s_and_b64 s[4:5], s[4:5], exec
                                        ; implicit-def: $vgpr3
	s_or_saveexec_b64 s[6:7], s[6:7]
	v_mov_b32_e32 v2, s10
	s_xor_b64 exec, exec, s[6:7]
	s_cbranch_execz .LBB3_1522
.LBB3_3572:
	v_cmp_ne_u16_e32 vcc, 0, v3
	s_andn2_b64 s[4:5], s[4:5], exec
	s_and_b64 s[8:9], vcc, exec
	v_mov_b32_e32 v2, 0
	s_or_b64 s[4:5], s[4:5], s[8:9]
	s_or_b64 exec, exec, s[6:7]
	s_and_saveexec_b64 s[6:7], s[4:5]
	s_cbranch_execnz .LBB3_1523
	s_branch .LBB3_1524
.LBB3_3573:
	s_movk_i32 s4, 0x80
	v_cmp_eq_u16_e32 vcc, s4, v3
	s_mov_b64 s[4:5], -1
                                        ; implicit-def: $sgpr10
	s_and_saveexec_b64 s[8:9], vcc
; %bb.3574:
	s_mov_b32 s10, 0x7f800001
	s_xor_b64 s[4:5], exec, -1
; %bb.3575:
	s_or_b64 exec, exec, s[8:9]
	s_and_b64 s[4:5], s[4:5], exec
                                        ; implicit-def: $vgpr3
	s_or_saveexec_b64 s[6:7], s[6:7]
	v_mov_b32_e32 v4, s10
	s_xor_b64 exec, exec, s[6:7]
	s_cbranch_execz .LBB3_1526
.LBB3_3576:
	v_cmp_ne_u16_e32 vcc, 0, v3
	s_andn2_b64 s[4:5], s[4:5], exec
	s_and_b64 s[8:9], vcc, exec
	v_mov_b32_e32 v4, 0
	s_or_b64 s[4:5], s[4:5], s[8:9]
	s_or_b64 exec, exec, s[6:7]
	s_and_saveexec_b64 s[6:7], s[4:5]
	s_cbranch_execnz .LBB3_1527
	s_branch .LBB3_1528
.LBB3_3577:
	s_movk_i32 s4, 0x80
	v_cmp_eq_u16_sdwa s[12:13], v9, s4 src0_sel:BYTE_3 src1_sel:DWORD
	s_mov_b64 s[4:5], -1
                                        ; implicit-def: $sgpr10
	s_and_saveexec_b64 s[8:9], s[12:13]
; %bb.3578:
	s_mov_b32 s10, 0x7f800001
	s_xor_b64 s[4:5], exec, -1
; %bb.3579:
	s_or_b64 exec, exec, s[8:9]
	s_and_b64 s[4:5], s[4:5], exec
	s_or_saveexec_b64 s[6:7], s[6:7]
	v_mov_b32_e32 v2, s10
	s_xor_b64 exec, exec, s[6:7]
	s_cbranch_execz .LBB3_1530
.LBB3_3580:
	v_mov_b32_e32 v2, 0
	v_cmp_ne_u16_sdwa s[8:9], v9, v2 src0_sel:BYTE_3 src1_sel:DWORD
	s_andn2_b64 s[4:5], s[4:5], exec
	s_and_b64 s[8:9], s[8:9], exec
	s_or_b64 s[4:5], s[4:5], s[8:9]
	s_or_b64 exec, exec, s[6:7]
	s_and_saveexec_b64 s[6:7], s[4:5]
	s_cbranch_execnz .LBB3_1531
	s_branch .LBB3_1532
.LBB3_3581:
	s_movk_i32 s4, 0x80
	v_cmp_eq_u16_sdwa s[12:13], v5, s4 src0_sel:BYTE_3 src1_sel:DWORD
	s_mov_b64 s[4:5], -1
                                        ; implicit-def: $sgpr10
	s_and_saveexec_b64 s[8:9], s[12:13]
; %bb.3582:
	s_mov_b32 s10, 0x7f800001
	s_xor_b64 s[4:5], exec, -1
; %bb.3583:
	s_or_b64 exec, exec, s[8:9]
	s_and_b64 s[4:5], s[4:5], exec
	s_or_saveexec_b64 s[6:7], s[6:7]
	v_mov_b32_e32 v3, s10
	s_xor_b64 exec, exec, s[6:7]
	s_cbranch_execz .LBB3_1534
.LBB3_3584:
	v_mov_b32_e32 v3, 0
	v_cmp_ne_u16_sdwa s[8:9], v5, v3 src0_sel:BYTE_3 src1_sel:DWORD
	s_andn2_b64 s[4:5], s[4:5], exec
	s_and_b64 s[8:9], s[8:9], exec
	s_or_b64 s[4:5], s[4:5], s[8:9]
	s_or_b64 exec, exec, s[6:7]
	s_and_saveexec_b64 s[6:7], s[4:5]
	s_cbranch_execnz .LBB3_1535
	s_branch .LBB3_1536
.LBB3_3585:
	s_movk_i32 s4, 0x80
	v_cmp_eq_u16_sdwa s[12:13], v6, s4 src0_sel:BYTE_0 src1_sel:DWORD
	s_mov_b64 s[4:5], -1
                                        ; implicit-def: $sgpr10
	s_and_saveexec_b64 s[8:9], s[12:13]
; %bb.3586:
	s_mov_b32 s10, 0x7f800001
	s_xor_b64 s[4:5], exec, -1
; %bb.3587:
	s_or_b64 exec, exec, s[8:9]
	s_and_b64 s[4:5], s[4:5], exec
	s_or_saveexec_b64 s[6:7], s[6:7]
	v_mov_b32_e32 v12, s10
	s_xor_b64 exec, exec, s[6:7]
	s_cbranch_execz .LBB3_1538
.LBB3_3588:
	v_mov_b32_e32 v12, 0
	v_cmp_ne_u16_sdwa s[8:9], v6, v12 src0_sel:BYTE_0 src1_sel:DWORD
	s_andn2_b64 s[4:5], s[4:5], exec
	s_and_b64 s[8:9], s[8:9], exec
	s_or_b64 s[4:5], s[4:5], s[8:9]
	s_or_b64 exec, exec, s[6:7]
	s_and_saveexec_b64 s[6:7], s[4:5]
	s_cbranch_execnz .LBB3_1539
	s_branch .LBB3_1540
.LBB3_3589:
	s_movk_i32 s4, 0x80
	v_cmp_eq_u16_sdwa s[12:13], v2, s4 src0_sel:BYTE_0 src1_sel:DWORD
	s_mov_b64 s[4:5], -1
                                        ; implicit-def: $sgpr10
	s_and_saveexec_b64 s[8:9], s[12:13]
; %bb.3590:
	s_mov_b32 s10, 0x7f800001
	s_xor_b64 s[4:5], exec, -1
; %bb.3591:
	s_or_b64 exec, exec, s[8:9]
	s_and_b64 s[4:5], s[4:5], exec
	s_or_saveexec_b64 s[6:7], s[6:7]
	v_mov_b32_e32 v13, s10
	s_xor_b64 exec, exec, s[6:7]
	s_cbranch_execz .LBB3_1542
.LBB3_3592:
	v_mov_b32_e32 v13, 0
	v_cmp_ne_u16_sdwa s[8:9], v2, v13 src0_sel:BYTE_0 src1_sel:DWORD
	s_andn2_b64 s[4:5], s[4:5], exec
	s_and_b64 s[8:9], s[8:9], exec
	s_or_b64 s[4:5], s[4:5], s[8:9]
	s_or_b64 exec, exec, s[6:7]
	s_and_saveexec_b64 s[6:7], s[4:5]
	s_cbranch_execnz .LBB3_1543
	s_branch .LBB3_1544
.LBB3_3593:
	s_movk_i32 s4, 0x80
	v_cmp_eq_u16_sdwa s[12:13], v13, s4 src0_sel:BYTE_0 src1_sel:DWORD
	s_mov_b64 s[4:5], -1
                                        ; implicit-def: $sgpr10
	s_and_saveexec_b64 s[8:9], s[12:13]
; %bb.3594:
	s_mov_b32 s10, 0x7f800001
	s_xor_b64 s[4:5], exec, -1
; %bb.3595:
	s_or_b64 exec, exec, s[8:9]
	s_and_b64 s[4:5], s[4:5], exec
	s_or_saveexec_b64 s[6:7], s[6:7]
	v_mov_b32_e32 v12, s10
	s_xor_b64 exec, exec, s[6:7]
	s_cbranch_execz .LBB3_1546
.LBB3_3596:
	v_mov_b32_e32 v12, 0
	v_cmp_ne_u16_sdwa s[8:9], v13, v12 src0_sel:BYTE_0 src1_sel:DWORD
	s_andn2_b64 s[4:5], s[4:5], exec
	s_and_b64 s[8:9], s[8:9], exec
	s_or_b64 s[4:5], s[4:5], s[8:9]
	s_or_b64 exec, exec, s[6:7]
	s_and_saveexec_b64 s[6:7], s[4:5]
	s_cbranch_execnz .LBB3_1547
	s_branch .LBB3_1548
.LBB3_3597:
	s_movk_i32 s4, 0x80
	v_cmp_eq_u16_sdwa s[12:13], v13, s4 src0_sel:BYTE_0 src1_sel:DWORD
	s_mov_b64 s[4:5], -1
                                        ; implicit-def: $sgpr10
	s_and_saveexec_b64 s[8:9], s[12:13]
; %bb.3598:
	s_mov_b32 s10, 0x7f800001
	s_xor_b64 s[4:5], exec, -1
; %bb.3599:
	s_or_b64 exec, exec, s[8:9]
	s_and_b64 s[4:5], s[4:5], exec
	s_or_saveexec_b64 s[6:7], s[6:7]
	v_mov_b32_e32 v14, s10
	s_xor_b64 exec, exec, s[6:7]
	s_cbranch_execz .LBB3_1550
.LBB3_3600:
	v_mov_b32_e32 v14, 0
	v_cmp_ne_u16_sdwa s[8:9], v13, v14 src0_sel:BYTE_0 src1_sel:DWORD
	s_andn2_b64 s[4:5], s[4:5], exec
	s_and_b64 s[8:9], s[8:9], exec
	s_or_b64 s[4:5], s[4:5], s[8:9]
	s_or_b64 exec, exec, s[6:7]
	s_and_saveexec_b64 s[6:7], s[4:5]
	s_cbranch_execnz .LBB3_1551
	s_branch .LBB3_1552
.LBB3_3601:
	s_movk_i32 s4, 0x80
	v_cmp_eq_u16_e32 vcc, s4, v13
	s_mov_b64 s[4:5], -1
                                        ; implicit-def: $sgpr10
	s_and_saveexec_b64 s[8:9], vcc
; %bb.3602:
	s_mov_b32 s10, 0x7f800001
	s_xor_b64 s[4:5], exec, -1
; %bb.3603:
	s_or_b64 exec, exec, s[8:9]
	s_and_b64 s[4:5], s[4:5], exec
                                        ; implicit-def: $vgpr13
	s_or_saveexec_b64 s[6:7], s[6:7]
	v_mov_b32_e32 v12, s10
	s_xor_b64 exec, exec, s[6:7]
	s_cbranch_execz .LBB3_1554
.LBB3_3604:
	v_cmp_ne_u16_e32 vcc, 0, v13
	s_andn2_b64 s[4:5], s[4:5], exec
	s_and_b64 s[8:9], vcc, exec
	v_mov_b32_e32 v12, 0
	s_or_b64 s[4:5], s[4:5], s[8:9]
	s_or_b64 exec, exec, s[6:7]
	s_and_saveexec_b64 s[6:7], s[4:5]
	s_cbranch_execnz .LBB3_1555
	s_branch .LBB3_1556
.LBB3_3605:
	s_movk_i32 s4, 0x80
	v_cmp_eq_u16_e32 vcc, s4, v13
	s_mov_b64 s[4:5], -1
                                        ; implicit-def: $sgpr10
	s_and_saveexec_b64 s[8:9], vcc
; %bb.3606:
	s_mov_b32 s10, 0x7f800001
	s_xor_b64 s[4:5], exec, -1
; %bb.3607:
	s_or_b64 exec, exec, s[8:9]
	s_and_b64 s[4:5], s[4:5], exec
                                        ; implicit-def: $vgpr13
	s_or_saveexec_b64 s[6:7], s[6:7]
	v_mov_b32_e32 v14, s10
	s_xor_b64 exec, exec, s[6:7]
	s_cbranch_execz .LBB3_1558
.LBB3_3608:
	v_cmp_ne_u16_e32 vcc, 0, v13
	s_andn2_b64 s[4:5], s[4:5], exec
	s_and_b64 s[8:9], vcc, exec
	v_mov_b32_e32 v14, 0
	s_or_b64 s[4:5], s[4:5], s[8:9]
	s_or_b64 exec, exec, s[6:7]
	s_and_saveexec_b64 s[6:7], s[4:5]
	s_cbranch_execnz .LBB3_1559
	s_branch .LBB3_1560
.LBB3_3609:
	s_movk_i32 s4, 0x80
	v_cmp_eq_u16_sdwa s[12:13], v6, s4 src0_sel:BYTE_3 src1_sel:DWORD
	s_mov_b64 s[4:5], -1
                                        ; implicit-def: $sgpr10
	s_and_saveexec_b64 s[8:9], s[12:13]
; %bb.3610:
	s_mov_b32 s10, 0x7f800001
	s_xor_b64 s[4:5], exec, -1
; %bb.3611:
	s_or_b64 exec, exec, s[8:9]
	s_and_b64 s[4:5], s[4:5], exec
	s_or_saveexec_b64 s[6:7], s[6:7]
	v_mov_b32_e32 v12, s10
	s_xor_b64 exec, exec, s[6:7]
	s_cbranch_execz .LBB3_1562
.LBB3_3612:
	v_mov_b32_e32 v12, 0
	v_cmp_ne_u16_sdwa s[8:9], v6, v12 src0_sel:BYTE_3 src1_sel:DWORD
	s_andn2_b64 s[4:5], s[4:5], exec
	s_and_b64 s[8:9], s[8:9], exec
	s_or_b64 s[4:5], s[4:5], s[8:9]
	s_or_b64 exec, exec, s[6:7]
	s_and_saveexec_b64 s[6:7], s[4:5]
	s_cbranch_execnz .LBB3_1563
	s_branch .LBB3_1564
.LBB3_3613:
	s_movk_i32 s4, 0x80
	v_cmp_eq_u16_sdwa s[12:13], v2, s4 src0_sel:BYTE_3 src1_sel:DWORD
	s_mov_b64 s[4:5], -1
                                        ; implicit-def: $sgpr10
	s_and_saveexec_b64 s[8:9], s[12:13]
; %bb.3614:
	s_mov_b32 s10, 0x7f800001
	s_xor_b64 s[4:5], exec, -1
; %bb.3615:
	s_or_b64 exec, exec, s[8:9]
	s_and_b64 s[4:5], s[4:5], exec
	s_or_saveexec_b64 s[6:7], s[6:7]
	v_mov_b32_e32 v6, s10
	s_xor_b64 exec, exec, s[6:7]
	s_cbranch_execz .LBB3_1566
.LBB3_3616:
	v_mov_b32_e32 v6, 0
	v_cmp_ne_u16_sdwa s[8:9], v2, v6 src0_sel:BYTE_3 src1_sel:DWORD
	s_andn2_b64 s[4:5], s[4:5], exec
	s_and_b64 s[8:9], s[8:9], exec
	s_or_b64 s[4:5], s[4:5], s[8:9]
	s_or_b64 exec, exec, s[6:7]
	s_and_saveexec_b64 s[6:7], s[4:5]
	s_cbranch_execnz .LBB3_1567
	s_branch .LBB3_1568
.LBB3_3617:
	s_movk_i32 s4, 0x80
	v_cmp_eq_u16_sdwa s[12:13], v7, s4 src0_sel:BYTE_0 src1_sel:DWORD
	s_mov_b64 s[4:5], -1
                                        ; implicit-def: $sgpr10
	s_and_saveexec_b64 s[8:9], s[12:13]
; %bb.3618:
	s_mov_b32 s10, 0x7f800001
	s_xor_b64 s[4:5], exec, -1
; %bb.3619:
	s_or_b64 exec, exec, s[8:9]
	s_and_b64 s[4:5], s[4:5], exec
	s_or_saveexec_b64 s[6:7], s[6:7]
	v_mov_b32_e32 v2, s10
	s_xor_b64 exec, exec, s[6:7]
	s_cbranch_execz .LBB3_1570
.LBB3_3620:
	v_mov_b32_e32 v2, 0
	v_cmp_ne_u16_sdwa s[8:9], v7, v2 src0_sel:BYTE_0 src1_sel:DWORD
	s_andn2_b64 s[4:5], s[4:5], exec
	s_and_b64 s[8:9], s[8:9], exec
	s_or_b64 s[4:5], s[4:5], s[8:9]
	s_or_b64 exec, exec, s[6:7]
	s_and_saveexec_b64 s[6:7], s[4:5]
	s_cbranch_execnz .LBB3_1571
	s_branch .LBB3_1572
.LBB3_3621:
	s_movk_i32 s4, 0x80
	v_cmp_eq_u16_sdwa s[12:13], v3, s4 src0_sel:BYTE_0 src1_sel:DWORD
	s_mov_b64 s[4:5], -1
                                        ; implicit-def: $sgpr10
	s_and_saveexec_b64 s[8:9], s[12:13]
; %bb.3622:
	s_mov_b32 s10, 0x7f800001
	s_xor_b64 s[4:5], exec, -1
; %bb.3623:
	s_or_b64 exec, exec, s[8:9]
	s_and_b64 s[4:5], s[4:5], exec
	s_or_saveexec_b64 s[6:7], s[6:7]
	v_mov_b32_e32 v6, s10
	s_xor_b64 exec, exec, s[6:7]
	s_cbranch_execz .LBB3_1574
.LBB3_3624:
	v_mov_b32_e32 v6, 0
	v_cmp_ne_u16_sdwa s[8:9], v3, v6 src0_sel:BYTE_0 src1_sel:DWORD
	s_andn2_b64 s[4:5], s[4:5], exec
	s_and_b64 s[8:9], s[8:9], exec
	s_or_b64 s[4:5], s[4:5], s[8:9]
	s_or_b64 exec, exec, s[6:7]
	s_and_saveexec_b64 s[6:7], s[4:5]
	s_cbranch_execnz .LBB3_1575
	s_branch .LBB3_1576
.LBB3_3625:
	s_movk_i32 s4, 0x80
	v_cmp_eq_u16_sdwa s[12:13], v6, s4 src0_sel:BYTE_0 src1_sel:DWORD
	s_mov_b64 s[4:5], -1
                                        ; implicit-def: $sgpr10
	s_and_saveexec_b64 s[8:9], s[12:13]
; %bb.3626:
	s_mov_b32 s10, 0x7f800001
	s_xor_b64 s[4:5], exec, -1
; %bb.3627:
	s_or_b64 exec, exec, s[8:9]
	s_and_b64 s[4:5], s[4:5], exec
	s_or_saveexec_b64 s[6:7], s[6:7]
	v_mov_b32_e32 v2, s10
	s_xor_b64 exec, exec, s[6:7]
	s_cbranch_execz .LBB3_1578
.LBB3_3628:
	v_mov_b32_e32 v2, 0
	v_cmp_ne_u16_sdwa s[8:9], v6, v2 src0_sel:BYTE_0 src1_sel:DWORD
	s_andn2_b64 s[4:5], s[4:5], exec
	s_and_b64 s[8:9], s[8:9], exec
	s_or_b64 s[4:5], s[4:5], s[8:9]
	s_or_b64 exec, exec, s[6:7]
	s_and_saveexec_b64 s[6:7], s[4:5]
	s_cbranch_execnz .LBB3_1579
	s_branch .LBB3_1580
.LBB3_3629:
	s_movk_i32 s4, 0x80
	v_cmp_eq_u16_sdwa s[12:13], v6, s4 src0_sel:BYTE_0 src1_sel:DWORD
	s_mov_b64 s[4:5], -1
                                        ; implicit-def: $sgpr10
	s_and_saveexec_b64 s[8:9], s[12:13]
; %bb.3630:
	s_mov_b32 s10, 0x7f800001
	s_xor_b64 s[4:5], exec, -1
; %bb.3631:
	s_or_b64 exec, exec, s[8:9]
	s_and_b64 s[4:5], s[4:5], exec
	s_or_saveexec_b64 s[6:7], s[6:7]
	v_mov_b32_e32 v12, s10
	s_xor_b64 exec, exec, s[6:7]
	s_cbranch_execz .LBB3_1582
.LBB3_3632:
	v_mov_b32_e32 v12, 0
	v_cmp_ne_u16_sdwa s[8:9], v6, v12 src0_sel:BYTE_0 src1_sel:DWORD
	s_andn2_b64 s[4:5], s[4:5], exec
	s_and_b64 s[8:9], s[8:9], exec
	s_or_b64 s[4:5], s[4:5], s[8:9]
	s_or_b64 exec, exec, s[6:7]
	s_and_saveexec_b64 s[6:7], s[4:5]
	s_cbranch_execnz .LBB3_1583
	s_branch .LBB3_1584
.LBB3_3633:
	s_movk_i32 s4, 0x80
	v_cmp_eq_u16_e32 vcc, s4, v6
	s_mov_b64 s[4:5], -1
                                        ; implicit-def: $sgpr10
	s_and_saveexec_b64 s[8:9], vcc
; %bb.3634:
	s_mov_b32 s10, 0x7f800001
	s_xor_b64 s[4:5], exec, -1
; %bb.3635:
	s_or_b64 exec, exec, s[8:9]
	s_and_b64 s[4:5], s[4:5], exec
                                        ; implicit-def: $vgpr6
	s_or_saveexec_b64 s[6:7], s[6:7]
	v_mov_b32_e32 v2, s10
	s_xor_b64 exec, exec, s[6:7]
	s_cbranch_execz .LBB3_1586
.LBB3_3636:
	v_cmp_ne_u16_e32 vcc, 0, v6
	s_andn2_b64 s[4:5], s[4:5], exec
	s_and_b64 s[8:9], vcc, exec
	v_mov_b32_e32 v2, 0
	s_or_b64 s[4:5], s[4:5], s[8:9]
	s_or_b64 exec, exec, s[6:7]
	s_and_saveexec_b64 s[6:7], s[4:5]
	s_cbranch_execnz .LBB3_1587
	s_branch .LBB3_1588
.LBB3_3637:
	s_movk_i32 s4, 0x80
	v_cmp_eq_u16_e32 vcc, s4, v6
	s_mov_b64 s[4:5], -1
                                        ; implicit-def: $sgpr10
	s_and_saveexec_b64 s[8:9], vcc
; %bb.3638:
	s_mov_b32 s10, 0x7f800001
	s_xor_b64 s[4:5], exec, -1
; %bb.3639:
	s_or_b64 exec, exec, s[8:9]
	s_and_b64 s[4:5], s[4:5], exec
                                        ; implicit-def: $vgpr6
	s_or_saveexec_b64 s[6:7], s[6:7]
	v_mov_b32_e32 v12, s10
	s_xor_b64 exec, exec, s[6:7]
	s_cbranch_execz .LBB3_1590
.LBB3_3640:
	v_cmp_ne_u16_e32 vcc, 0, v6
	s_andn2_b64 s[4:5], s[4:5], exec
	s_and_b64 s[8:9], vcc, exec
	v_mov_b32_e32 v12, 0
	s_or_b64 s[4:5], s[4:5], s[8:9]
	s_or_b64 exec, exec, s[6:7]
	s_and_saveexec_b64 s[6:7], s[4:5]
	s_cbranch_execnz .LBB3_1591
	s_branch .LBB3_1592
.LBB3_3641:
	s_movk_i32 s4, 0x80
	v_cmp_eq_u16_sdwa s[12:13], v7, s4 src0_sel:BYTE_3 src1_sel:DWORD
	s_mov_b64 s[4:5], -1
                                        ; implicit-def: $sgpr10
	s_and_saveexec_b64 s[8:9], s[12:13]
; %bb.3642:
	s_mov_b32 s10, 0x7f800001
	s_xor_b64 s[4:5], exec, -1
; %bb.3643:
	s_or_b64 exec, exec, s[8:9]
	s_and_b64 s[4:5], s[4:5], exec
	s_or_saveexec_b64 s[6:7], s[6:7]
	v_mov_b32_e32 v2, s10
	s_xor_b64 exec, exec, s[6:7]
	s_cbranch_execz .LBB3_1594
.LBB3_3644:
	v_mov_b32_e32 v2, 0
	v_cmp_ne_u16_sdwa s[8:9], v7, v2 src0_sel:BYTE_3 src1_sel:DWORD
	s_andn2_b64 s[4:5], s[4:5], exec
	s_and_b64 s[8:9], s[8:9], exec
	s_or_b64 s[4:5], s[4:5], s[8:9]
	s_or_b64 exec, exec, s[6:7]
	s_and_saveexec_b64 s[6:7], s[4:5]
	s_cbranch_execnz .LBB3_1595
	s_branch .LBB3_1596
.LBB3_3645:
	s_movk_i32 s4, 0x80
	v_cmp_eq_u16_sdwa s[12:13], v3, s4 src0_sel:BYTE_3 src1_sel:DWORD
	s_mov_b64 s[4:5], -1
                                        ; implicit-def: $sgpr10
	s_and_saveexec_b64 s[8:9], s[12:13]
; %bb.3646:
	s_mov_b32 s10, 0x7f800001
	s_xor_b64 s[4:5], exec, -1
; %bb.3647:
	s_or_b64 exec, exec, s[8:9]
	s_and_b64 s[4:5], s[4:5], exec
	s_or_saveexec_b64 s[6:7], s[6:7]
	v_mov_b32_e32 v6, s10
	s_xor_b64 exec, exec, s[6:7]
	s_cbranch_execz .LBB3_1598
.LBB3_3648:
	v_mov_b32_e32 v6, 0
	v_cmp_ne_u16_sdwa s[8:9], v3, v6 src0_sel:BYTE_3 src1_sel:DWORD
	s_andn2_b64 s[4:5], s[4:5], exec
	s_and_b64 s[8:9], s[8:9], exec
	s_or_b64 s[4:5], s[4:5], s[8:9]
	s_or_b64 exec, exec, s[6:7]
	s_and_saveexec_b64 s[6:7], s[4:5]
	s_cbranch_execnz .LBB3_1599
	s_branch .LBB3_1600
.LBB3_3649:
	s_movk_i32 s4, 0x80
	v_cmp_eq_u16_sdwa s[12:13], v8, s4 src0_sel:BYTE_0 src1_sel:DWORD
	s_mov_b64 s[4:5], -1
                                        ; implicit-def: $sgpr10
	s_and_saveexec_b64 s[8:9], s[12:13]
; %bb.3650:
	s_mov_b32 s10, 0x7f800001
	s_xor_b64 s[4:5], exec, -1
; %bb.3651:
	s_or_b64 exec, exec, s[8:9]
	s_and_b64 s[4:5], s[4:5], exec
	s_or_saveexec_b64 s[6:7], s[6:7]
	v_mov_b32_e32 v2, s10
	s_xor_b64 exec, exec, s[6:7]
	s_cbranch_execz .LBB3_1602
.LBB3_3652:
	v_mov_b32_e32 v2, 0
	v_cmp_ne_u16_sdwa s[8:9], v8, v2 src0_sel:BYTE_0 src1_sel:DWORD
	s_andn2_b64 s[4:5], s[4:5], exec
	s_and_b64 s[8:9], s[8:9], exec
	s_or_b64 s[4:5], s[4:5], s[8:9]
	s_or_b64 exec, exec, s[6:7]
	s_and_saveexec_b64 s[6:7], s[4:5]
	s_cbranch_execnz .LBB3_1603
	s_branch .LBB3_1604
.LBB3_3653:
	s_movk_i32 s4, 0x80
	v_cmp_eq_u16_sdwa s[12:13], v4, s4 src0_sel:BYTE_0 src1_sel:DWORD
	s_mov_b64 s[4:5], -1
                                        ; implicit-def: $sgpr10
	s_and_saveexec_b64 s[8:9], s[12:13]
; %bb.3654:
	s_mov_b32 s10, 0x7f800001
	s_xor_b64 s[4:5], exec, -1
; %bb.3655:
	s_or_b64 exec, exec, s[8:9]
	s_and_b64 s[4:5], s[4:5], exec
	s_or_saveexec_b64 s[6:7], s[6:7]
	v_mov_b32_e32 v3, s10
	s_xor_b64 exec, exec, s[6:7]
	s_cbranch_execz .LBB3_1606
.LBB3_3656:
	v_mov_b32_e32 v3, 0
	v_cmp_ne_u16_sdwa s[8:9], v4, v3 src0_sel:BYTE_0 src1_sel:DWORD
	s_andn2_b64 s[4:5], s[4:5], exec
	s_and_b64 s[8:9], s[8:9], exec
	s_or_b64 s[4:5], s[4:5], s[8:9]
	s_or_b64 exec, exec, s[6:7]
	s_and_saveexec_b64 s[6:7], s[4:5]
	s_cbranch_execnz .LBB3_1607
	s_branch .LBB3_1608
.LBB3_3657:
	s_movk_i32 s4, 0x80
	v_cmp_eq_u16_sdwa s[12:13], v3, s4 src0_sel:BYTE_0 src1_sel:DWORD
	s_mov_b64 s[4:5], -1
                                        ; implicit-def: $sgpr10
	s_and_saveexec_b64 s[8:9], s[12:13]
; %bb.3658:
	s_mov_b32 s10, 0x7f800001
	s_xor_b64 s[4:5], exec, -1
; %bb.3659:
	s_or_b64 exec, exec, s[8:9]
	s_and_b64 s[4:5], s[4:5], exec
	s_or_saveexec_b64 s[6:7], s[6:7]
	v_mov_b32_e32 v2, s10
	s_xor_b64 exec, exec, s[6:7]
	s_cbranch_execz .LBB3_1610
.LBB3_3660:
	v_mov_b32_e32 v2, 0
	v_cmp_ne_u16_sdwa s[8:9], v3, v2 src0_sel:BYTE_0 src1_sel:DWORD
	s_andn2_b64 s[4:5], s[4:5], exec
	s_and_b64 s[8:9], s[8:9], exec
	s_or_b64 s[4:5], s[4:5], s[8:9]
	s_or_b64 exec, exec, s[6:7]
	s_and_saveexec_b64 s[6:7], s[4:5]
	s_cbranch_execnz .LBB3_1611
	s_branch .LBB3_1612
.LBB3_3661:
	s_movk_i32 s4, 0x80
	v_cmp_eq_u16_sdwa s[12:13], v3, s4 src0_sel:BYTE_0 src1_sel:DWORD
	s_mov_b64 s[4:5], -1
                                        ; implicit-def: $sgpr10
	s_and_saveexec_b64 s[8:9], s[12:13]
; %bb.3662:
	s_mov_b32 s10, 0x7f800001
	s_xor_b64 s[4:5], exec, -1
; %bb.3663:
	s_or_b64 exec, exec, s[8:9]
	s_and_b64 s[4:5], s[4:5], exec
	s_or_saveexec_b64 s[6:7], s[6:7]
	v_mov_b32_e32 v6, s10
	s_xor_b64 exec, exec, s[6:7]
	s_cbranch_execz .LBB3_1614
.LBB3_3664:
	v_mov_b32_e32 v6, 0
	v_cmp_ne_u16_sdwa s[8:9], v3, v6 src0_sel:BYTE_0 src1_sel:DWORD
	s_andn2_b64 s[4:5], s[4:5], exec
	s_and_b64 s[8:9], s[8:9], exec
	s_or_b64 s[4:5], s[4:5], s[8:9]
	s_or_b64 exec, exec, s[6:7]
	s_and_saveexec_b64 s[6:7], s[4:5]
	s_cbranch_execnz .LBB3_1615
	s_branch .LBB3_1616
.LBB3_3665:
	s_movk_i32 s4, 0x80
	v_cmp_eq_u16_e32 vcc, s4, v3
	s_mov_b64 s[4:5], -1
                                        ; implicit-def: $sgpr10
	s_and_saveexec_b64 s[8:9], vcc
; %bb.3666:
	s_mov_b32 s10, 0x7f800001
	s_xor_b64 s[4:5], exec, -1
; %bb.3667:
	s_or_b64 exec, exec, s[8:9]
	s_and_b64 s[4:5], s[4:5], exec
                                        ; implicit-def: $vgpr3
	s_or_saveexec_b64 s[6:7], s[6:7]
	v_mov_b32_e32 v2, s10
	s_xor_b64 exec, exec, s[6:7]
	s_cbranch_execz .LBB3_1618
.LBB3_3668:
	v_cmp_ne_u16_e32 vcc, 0, v3
	s_andn2_b64 s[4:5], s[4:5], exec
	s_and_b64 s[8:9], vcc, exec
	v_mov_b32_e32 v2, 0
	s_or_b64 s[4:5], s[4:5], s[8:9]
	s_or_b64 exec, exec, s[6:7]
	s_and_saveexec_b64 s[6:7], s[4:5]
	s_cbranch_execnz .LBB3_1619
	s_branch .LBB3_1620
.LBB3_3669:
	s_movk_i32 s4, 0x80
	v_cmp_eq_u16_e32 vcc, s4, v3
	s_mov_b64 s[4:5], -1
                                        ; implicit-def: $sgpr10
	s_and_saveexec_b64 s[8:9], vcc
; %bb.3670:
	s_mov_b32 s10, 0x7f800001
	s_xor_b64 s[4:5], exec, -1
; %bb.3671:
	s_or_b64 exec, exec, s[8:9]
	s_and_b64 s[4:5], s[4:5], exec
                                        ; implicit-def: $vgpr3
	s_or_saveexec_b64 s[6:7], s[6:7]
	v_mov_b32_e32 v6, s10
	s_xor_b64 exec, exec, s[6:7]
	s_cbranch_execz .LBB3_1622
.LBB3_3672:
	v_cmp_ne_u16_e32 vcc, 0, v3
	s_andn2_b64 s[4:5], s[4:5], exec
	s_and_b64 s[8:9], vcc, exec
	v_mov_b32_e32 v6, 0
	s_or_b64 s[4:5], s[4:5], s[8:9]
	s_or_b64 exec, exec, s[6:7]
	s_and_saveexec_b64 s[6:7], s[4:5]
	s_cbranch_execnz .LBB3_1623
	s_branch .LBB3_1624
.LBB3_3673:
	s_movk_i32 s4, 0x80
	v_cmp_eq_u16_sdwa s[12:13], v8, s4 src0_sel:BYTE_3 src1_sel:DWORD
	s_mov_b64 s[4:5], -1
                                        ; implicit-def: $sgpr10
	s_and_saveexec_b64 s[8:9], s[12:13]
; %bb.3674:
	s_mov_b32 s10, 0x7f800001
	s_xor_b64 s[4:5], exec, -1
; %bb.3675:
	s_or_b64 exec, exec, s[8:9]
	s_and_b64 s[4:5], s[4:5], exec
	s_or_saveexec_b64 s[6:7], s[6:7]
	v_mov_b32_e32 v2, s10
	s_xor_b64 exec, exec, s[6:7]
	s_cbranch_execz .LBB3_1626
.LBB3_3676:
	v_mov_b32_e32 v2, 0
	v_cmp_ne_u16_sdwa s[8:9], v8, v2 src0_sel:BYTE_3 src1_sel:DWORD
	s_andn2_b64 s[4:5], s[4:5], exec
	s_and_b64 s[8:9], s[8:9], exec
	s_or_b64 s[4:5], s[4:5], s[8:9]
	s_or_b64 exec, exec, s[6:7]
	s_and_saveexec_b64 s[6:7], s[4:5]
	s_cbranch_execnz .LBB3_1627
	s_branch .LBB3_1628
.LBB3_3677:
	s_movk_i32 s4, 0x80
	v_cmp_eq_u16_sdwa s[12:13], v4, s4 src0_sel:BYTE_3 src1_sel:DWORD
	s_mov_b64 s[4:5], -1
                                        ; implicit-def: $sgpr10
	s_and_saveexec_b64 s[8:9], s[12:13]
; %bb.3678:
	s_mov_b32 s10, 0x7f800001
	s_xor_b64 s[4:5], exec, -1
; %bb.3679:
	s_or_b64 exec, exec, s[8:9]
	s_and_b64 s[4:5], s[4:5], exec
	s_or_saveexec_b64 s[6:7], s[6:7]
	v_mov_b32_e32 v3, s10
	s_xor_b64 exec, exec, s[6:7]
	s_cbranch_execz .LBB3_1630
.LBB3_3680:
	v_mov_b32_e32 v3, 0
	v_cmp_ne_u16_sdwa s[8:9], v4, v3 src0_sel:BYTE_3 src1_sel:DWORD
	s_andn2_b64 s[4:5], s[4:5], exec
	s_and_b64 s[8:9], s[8:9], exec
	s_or_b64 s[4:5], s[4:5], s[8:9]
	s_or_b64 exec, exec, s[6:7]
	s_and_saveexec_b64 s[6:7], s[4:5]
	s_cbranch_execnz .LBB3_1631
	s_branch .LBB3_1632
.LBB3_3681:
	s_movk_i32 s4, 0x80
	v_cmp_eq_u16_sdwa s[12:13], v9, s4 src0_sel:BYTE_0 src1_sel:DWORD
	s_mov_b64 s[4:5], -1
                                        ; implicit-def: $sgpr10
	s_and_saveexec_b64 s[8:9], s[12:13]
; %bb.3682:
	s_mov_b32 s10, 0x7f800001
	s_xor_b64 s[4:5], exec, -1
; %bb.3683:
	s_or_b64 exec, exec, s[8:9]
	s_and_b64 s[4:5], s[4:5], exec
	s_or_saveexec_b64 s[6:7], s[6:7]
	v_mov_b32_e32 v2, s10
	s_xor_b64 exec, exec, s[6:7]
	s_cbranch_execz .LBB3_1634
.LBB3_3684:
	v_mov_b32_e32 v2, 0
	v_cmp_ne_u16_sdwa s[8:9], v9, v2 src0_sel:BYTE_0 src1_sel:DWORD
	s_andn2_b64 s[4:5], s[4:5], exec
	s_and_b64 s[8:9], s[8:9], exec
	s_or_b64 s[4:5], s[4:5], s[8:9]
	s_or_b64 exec, exec, s[6:7]
	s_and_saveexec_b64 s[6:7], s[4:5]
	s_cbranch_execnz .LBB3_1635
	s_branch .LBB3_1636
.LBB3_3685:
	s_movk_i32 s4, 0x80
	v_cmp_eq_u16_sdwa s[12:13], v5, s4 src0_sel:BYTE_0 src1_sel:DWORD
	s_mov_b64 s[4:5], -1
                                        ; implicit-def: $sgpr10
	s_and_saveexec_b64 s[8:9], s[12:13]
; %bb.3686:
	s_mov_b32 s10, 0x7f800001
	s_xor_b64 s[4:5], exec, -1
; %bb.3687:
	s_or_b64 exec, exec, s[8:9]
	s_and_b64 s[4:5], s[4:5], exec
	s_or_saveexec_b64 s[6:7], s[6:7]
	v_mov_b32_e32 v3, s10
	s_xor_b64 exec, exec, s[6:7]
	s_cbranch_execz .LBB3_1638
.LBB3_3688:
	v_mov_b32_e32 v3, 0
	v_cmp_ne_u16_sdwa s[8:9], v5, v3 src0_sel:BYTE_0 src1_sel:DWORD
	s_andn2_b64 s[4:5], s[4:5], exec
	s_and_b64 s[8:9], s[8:9], exec
	s_or_b64 s[4:5], s[4:5], s[8:9]
	s_or_b64 exec, exec, s[6:7]
	s_and_saveexec_b64 s[6:7], s[4:5]
	s_cbranch_execnz .LBB3_1639
	s_branch .LBB3_1640
.LBB3_3689:
	s_movk_i32 s4, 0x80
	v_cmp_eq_u16_sdwa s[12:13], v3, s4 src0_sel:BYTE_0 src1_sel:DWORD
	s_mov_b64 s[4:5], -1
                                        ; implicit-def: $sgpr10
	s_and_saveexec_b64 s[8:9], s[12:13]
; %bb.3690:
	s_mov_b32 s10, 0x7f800001
	s_xor_b64 s[4:5], exec, -1
; %bb.3691:
	s_or_b64 exec, exec, s[8:9]
	s_and_b64 s[4:5], s[4:5], exec
	s_or_saveexec_b64 s[6:7], s[6:7]
	v_mov_b32_e32 v2, s10
	s_xor_b64 exec, exec, s[6:7]
	s_cbranch_execz .LBB3_1642
.LBB3_3692:
	v_mov_b32_e32 v2, 0
	v_cmp_ne_u16_sdwa s[8:9], v3, v2 src0_sel:BYTE_0 src1_sel:DWORD
	s_andn2_b64 s[4:5], s[4:5], exec
	s_and_b64 s[8:9], s[8:9], exec
	s_or_b64 s[4:5], s[4:5], s[8:9]
	s_or_b64 exec, exec, s[6:7]
	s_and_saveexec_b64 s[6:7], s[4:5]
	s_cbranch_execnz .LBB3_1643
	s_branch .LBB3_1644
.LBB3_3693:
	s_movk_i32 s4, 0x80
	v_cmp_eq_u16_sdwa s[12:13], v3, s4 src0_sel:BYTE_0 src1_sel:DWORD
	s_mov_b64 s[4:5], -1
                                        ; implicit-def: $sgpr10
	s_and_saveexec_b64 s[8:9], s[12:13]
; %bb.3694:
	s_mov_b32 s10, 0x7f800001
	s_xor_b64 s[4:5], exec, -1
; %bb.3695:
	s_or_b64 exec, exec, s[8:9]
	s_and_b64 s[4:5], s[4:5], exec
	s_or_saveexec_b64 s[6:7], s[6:7]
	v_mov_b32_e32 v4, s10
	s_xor_b64 exec, exec, s[6:7]
	s_cbranch_execz .LBB3_1646
.LBB3_3696:
	v_mov_b32_e32 v4, 0
	v_cmp_ne_u16_sdwa s[8:9], v3, v4 src0_sel:BYTE_0 src1_sel:DWORD
	s_andn2_b64 s[4:5], s[4:5], exec
	s_and_b64 s[8:9], s[8:9], exec
	s_or_b64 s[4:5], s[4:5], s[8:9]
	s_or_b64 exec, exec, s[6:7]
	s_and_saveexec_b64 s[6:7], s[4:5]
	s_cbranch_execnz .LBB3_1647
	s_branch .LBB3_1648
.LBB3_3697:
	s_movk_i32 s4, 0x80
	v_cmp_eq_u16_e32 vcc, s4, v3
	s_mov_b64 s[4:5], -1
                                        ; implicit-def: $sgpr10
	s_and_saveexec_b64 s[8:9], vcc
; %bb.3698:
	s_mov_b32 s10, 0x7f800001
	s_xor_b64 s[4:5], exec, -1
; %bb.3699:
	s_or_b64 exec, exec, s[8:9]
	s_and_b64 s[4:5], s[4:5], exec
                                        ; implicit-def: $vgpr3
	s_or_saveexec_b64 s[6:7], s[6:7]
	v_mov_b32_e32 v2, s10
	s_xor_b64 exec, exec, s[6:7]
	s_cbranch_execz .LBB3_1650
.LBB3_3700:
	v_cmp_ne_u16_e32 vcc, 0, v3
	s_andn2_b64 s[4:5], s[4:5], exec
	s_and_b64 s[8:9], vcc, exec
	v_mov_b32_e32 v2, 0
	s_or_b64 s[4:5], s[4:5], s[8:9]
	s_or_b64 exec, exec, s[6:7]
	s_and_saveexec_b64 s[6:7], s[4:5]
	s_cbranch_execnz .LBB3_1651
	s_branch .LBB3_1652
.LBB3_3701:
	s_movk_i32 s4, 0x80
	v_cmp_eq_u16_e32 vcc, s4, v3
	s_mov_b64 s[4:5], -1
                                        ; implicit-def: $sgpr10
	s_and_saveexec_b64 s[8:9], vcc
; %bb.3702:
	s_mov_b32 s10, 0x7f800001
	s_xor_b64 s[4:5], exec, -1
; %bb.3703:
	s_or_b64 exec, exec, s[8:9]
	s_and_b64 s[4:5], s[4:5], exec
                                        ; implicit-def: $vgpr3
	s_or_saveexec_b64 s[6:7], s[6:7]
	v_mov_b32_e32 v4, s10
	s_xor_b64 exec, exec, s[6:7]
	s_cbranch_execz .LBB3_1654
.LBB3_3704:
	v_cmp_ne_u16_e32 vcc, 0, v3
	s_andn2_b64 s[4:5], s[4:5], exec
	s_and_b64 s[8:9], vcc, exec
	v_mov_b32_e32 v4, 0
	s_or_b64 s[4:5], s[4:5], s[8:9]
	s_or_b64 exec, exec, s[6:7]
	s_and_saveexec_b64 s[6:7], s[4:5]
	s_cbranch_execnz .LBB3_1655
	s_branch .LBB3_1656
.LBB3_3705:
	s_movk_i32 s4, 0x80
	v_cmp_eq_u16_sdwa s[12:13], v9, s4 src0_sel:BYTE_3 src1_sel:DWORD
	s_mov_b64 s[4:5], -1
                                        ; implicit-def: $sgpr10
	s_and_saveexec_b64 s[8:9], s[12:13]
; %bb.3706:
	s_mov_b32 s10, 0x7f800001
	s_xor_b64 s[4:5], exec, -1
; %bb.3707:
	s_or_b64 exec, exec, s[8:9]
	s_and_b64 s[4:5], s[4:5], exec
	s_or_saveexec_b64 s[6:7], s[6:7]
	v_mov_b32_e32 v2, s10
	s_xor_b64 exec, exec, s[6:7]
	s_cbranch_execz .LBB3_1658
.LBB3_3708:
	v_mov_b32_e32 v2, 0
	v_cmp_ne_u16_sdwa s[8:9], v9, v2 src0_sel:BYTE_3 src1_sel:DWORD
	s_andn2_b64 s[4:5], s[4:5], exec
	s_and_b64 s[8:9], s[8:9], exec
	s_or_b64 s[4:5], s[4:5], s[8:9]
	s_or_b64 exec, exec, s[6:7]
	s_and_saveexec_b64 s[6:7], s[4:5]
	s_cbranch_execnz .LBB3_1659
	s_branch .LBB3_1660
.LBB3_3709:
	s_movk_i32 s4, 0x80
	v_cmp_eq_u16_sdwa s[12:13], v5, s4 src0_sel:BYTE_3 src1_sel:DWORD
	s_mov_b64 s[4:5], -1
                                        ; implicit-def: $sgpr10
	s_and_saveexec_b64 s[8:9], s[12:13]
; %bb.3710:
	s_mov_b32 s10, 0x7f800001
	s_xor_b64 s[4:5], exec, -1
; %bb.3711:
	s_or_b64 exec, exec, s[8:9]
	s_and_b64 s[4:5], s[4:5], exec
	s_or_saveexec_b64 s[6:7], s[6:7]
	v_mov_b32_e32 v3, s10
	s_xor_b64 exec, exec, s[6:7]
	s_cbranch_execz .LBB3_1662
.LBB3_3712:
	v_mov_b32_e32 v3, 0
	v_cmp_ne_u16_sdwa s[8:9], v5, v3 src0_sel:BYTE_3 src1_sel:DWORD
	s_andn2_b64 s[4:5], s[4:5], exec
	s_and_b64 s[8:9], s[8:9], exec
	s_or_b64 s[4:5], s[4:5], s[8:9]
	s_or_b64 exec, exec, s[6:7]
	s_and_saveexec_b64 s[6:7], s[4:5]
	s_cbranch_execnz .LBB3_1663
	s_branch .LBB3_1664
.LBB3_3713:
	s_movk_i32 s4, 0x80
	v_cmp_eq_u16_sdwa s[12:13], v6, s4 src0_sel:BYTE_0 src1_sel:DWORD
	s_mov_b64 s[4:5], -1
                                        ; implicit-def: $sgpr10
	s_and_saveexec_b64 s[8:9], s[12:13]
; %bb.3714:
	s_mov_b32 s10, 0x7f800001
	s_xor_b64 s[4:5], exec, -1
; %bb.3715:
	s_or_b64 exec, exec, s[8:9]
	s_and_b64 s[4:5], s[4:5], exec
	s_or_saveexec_b64 s[6:7], s[6:7]
	v_mov_b32_e32 v12, s10
	s_xor_b64 exec, exec, s[6:7]
	s_cbranch_execz .LBB3_1666
.LBB3_3716:
	v_mov_b32_e32 v12, 0
	v_cmp_ne_u16_sdwa s[8:9], v6, v12 src0_sel:BYTE_0 src1_sel:DWORD
	s_andn2_b64 s[4:5], s[4:5], exec
	s_and_b64 s[8:9], s[8:9], exec
	s_or_b64 s[4:5], s[4:5], s[8:9]
	s_or_b64 exec, exec, s[6:7]
	s_and_saveexec_b64 s[6:7], s[4:5]
	s_cbranch_execnz .LBB3_1667
	s_branch .LBB3_1668
.LBB3_3717:
	s_movk_i32 s4, 0x80
	v_cmp_eq_u16_sdwa s[12:13], v2, s4 src0_sel:BYTE_0 src1_sel:DWORD
	s_mov_b64 s[4:5], -1
                                        ; implicit-def: $sgpr10
	s_and_saveexec_b64 s[8:9], s[12:13]
; %bb.3718:
	s_mov_b32 s10, 0x7f800001
	s_xor_b64 s[4:5], exec, -1
; %bb.3719:
	s_or_b64 exec, exec, s[8:9]
	s_and_b64 s[4:5], s[4:5], exec
	s_or_saveexec_b64 s[6:7], s[6:7]
	v_mov_b32_e32 v13, s10
	s_xor_b64 exec, exec, s[6:7]
	s_cbranch_execz .LBB3_1670
.LBB3_3720:
	v_mov_b32_e32 v13, 0
	v_cmp_ne_u16_sdwa s[8:9], v2, v13 src0_sel:BYTE_0 src1_sel:DWORD
	s_andn2_b64 s[4:5], s[4:5], exec
	s_and_b64 s[8:9], s[8:9], exec
	s_or_b64 s[4:5], s[4:5], s[8:9]
	s_or_b64 exec, exec, s[6:7]
	s_and_saveexec_b64 s[6:7], s[4:5]
	s_cbranch_execnz .LBB3_1671
	s_branch .LBB3_1672
.LBB3_3721:
	s_movk_i32 s4, 0x80
	v_cmp_eq_u16_sdwa s[12:13], v13, s4 src0_sel:BYTE_0 src1_sel:DWORD
	s_mov_b64 s[4:5], -1
                                        ; implicit-def: $sgpr10
	s_and_saveexec_b64 s[8:9], s[12:13]
; %bb.3722:
	s_mov_b32 s10, 0x7f800001
	s_xor_b64 s[4:5], exec, -1
; %bb.3723:
	s_or_b64 exec, exec, s[8:9]
	s_and_b64 s[4:5], s[4:5], exec
	s_or_saveexec_b64 s[6:7], s[6:7]
	v_mov_b32_e32 v12, s10
	s_xor_b64 exec, exec, s[6:7]
	s_cbranch_execz .LBB3_1674
.LBB3_3724:
	v_mov_b32_e32 v12, 0
	v_cmp_ne_u16_sdwa s[8:9], v13, v12 src0_sel:BYTE_0 src1_sel:DWORD
	s_andn2_b64 s[4:5], s[4:5], exec
	s_and_b64 s[8:9], s[8:9], exec
	s_or_b64 s[4:5], s[4:5], s[8:9]
	s_or_b64 exec, exec, s[6:7]
	s_and_saveexec_b64 s[6:7], s[4:5]
	s_cbranch_execnz .LBB3_1675
	s_branch .LBB3_1676
.LBB3_3725:
	s_movk_i32 s4, 0x80
	v_cmp_eq_u16_sdwa s[12:13], v13, s4 src0_sel:BYTE_0 src1_sel:DWORD
	s_mov_b64 s[4:5], -1
                                        ; implicit-def: $sgpr10
	s_and_saveexec_b64 s[8:9], s[12:13]
; %bb.3726:
	s_mov_b32 s10, 0x7f800001
	s_xor_b64 s[4:5], exec, -1
; %bb.3727:
	s_or_b64 exec, exec, s[8:9]
	s_and_b64 s[4:5], s[4:5], exec
	s_or_saveexec_b64 s[6:7], s[6:7]
	v_mov_b32_e32 v14, s10
	s_xor_b64 exec, exec, s[6:7]
	s_cbranch_execz .LBB3_1678
.LBB3_3728:
	v_mov_b32_e32 v14, 0
	v_cmp_ne_u16_sdwa s[8:9], v13, v14 src0_sel:BYTE_0 src1_sel:DWORD
	s_andn2_b64 s[4:5], s[4:5], exec
	s_and_b64 s[8:9], s[8:9], exec
	s_or_b64 s[4:5], s[4:5], s[8:9]
	s_or_b64 exec, exec, s[6:7]
	s_and_saveexec_b64 s[6:7], s[4:5]
	s_cbranch_execnz .LBB3_1679
	s_branch .LBB3_1680
.LBB3_3729:
	s_movk_i32 s4, 0x80
	v_cmp_eq_u16_e32 vcc, s4, v13
	s_mov_b64 s[4:5], -1
                                        ; implicit-def: $sgpr10
	s_and_saveexec_b64 s[8:9], vcc
; %bb.3730:
	s_mov_b32 s10, 0x7f800001
	s_xor_b64 s[4:5], exec, -1
; %bb.3731:
	s_or_b64 exec, exec, s[8:9]
	s_and_b64 s[4:5], s[4:5], exec
                                        ; implicit-def: $vgpr13
	s_or_saveexec_b64 s[6:7], s[6:7]
	v_mov_b32_e32 v12, s10
	s_xor_b64 exec, exec, s[6:7]
	s_cbranch_execz .LBB3_1682
.LBB3_3732:
	v_cmp_ne_u16_e32 vcc, 0, v13
	s_andn2_b64 s[4:5], s[4:5], exec
	s_and_b64 s[8:9], vcc, exec
	v_mov_b32_e32 v12, 0
	s_or_b64 s[4:5], s[4:5], s[8:9]
	s_or_b64 exec, exec, s[6:7]
	s_and_saveexec_b64 s[6:7], s[4:5]
	s_cbranch_execnz .LBB3_1683
	s_branch .LBB3_1684
.LBB3_3733:
	s_movk_i32 s4, 0x80
	v_cmp_eq_u16_e32 vcc, s4, v13
	s_mov_b64 s[4:5], -1
                                        ; implicit-def: $sgpr10
	s_and_saveexec_b64 s[8:9], vcc
; %bb.3734:
	s_mov_b32 s10, 0x7f800001
	s_xor_b64 s[4:5], exec, -1
; %bb.3735:
	s_or_b64 exec, exec, s[8:9]
	s_and_b64 s[4:5], s[4:5], exec
                                        ; implicit-def: $vgpr13
	s_or_saveexec_b64 s[6:7], s[6:7]
	v_mov_b32_e32 v14, s10
	s_xor_b64 exec, exec, s[6:7]
	s_cbranch_execz .LBB3_1686
.LBB3_3736:
	v_cmp_ne_u16_e32 vcc, 0, v13
	s_andn2_b64 s[4:5], s[4:5], exec
	s_and_b64 s[8:9], vcc, exec
	v_mov_b32_e32 v14, 0
	s_or_b64 s[4:5], s[4:5], s[8:9]
	s_or_b64 exec, exec, s[6:7]
	s_and_saveexec_b64 s[6:7], s[4:5]
	s_cbranch_execnz .LBB3_1687
	s_branch .LBB3_1688
.LBB3_3737:
	s_movk_i32 s4, 0x80
	v_cmp_eq_u16_sdwa s[12:13], v6, s4 src0_sel:BYTE_3 src1_sel:DWORD
	s_mov_b64 s[4:5], -1
                                        ; implicit-def: $sgpr10
	s_and_saveexec_b64 s[8:9], s[12:13]
; %bb.3738:
	s_mov_b32 s10, 0x7f800001
	s_xor_b64 s[4:5], exec, -1
; %bb.3739:
	s_or_b64 exec, exec, s[8:9]
	s_and_b64 s[4:5], s[4:5], exec
	s_or_saveexec_b64 s[6:7], s[6:7]
	v_mov_b32_e32 v12, s10
	s_xor_b64 exec, exec, s[6:7]
	s_cbranch_execz .LBB3_1690
.LBB3_3740:
	v_mov_b32_e32 v12, 0
	v_cmp_ne_u16_sdwa s[8:9], v6, v12 src0_sel:BYTE_3 src1_sel:DWORD
	s_andn2_b64 s[4:5], s[4:5], exec
	s_and_b64 s[8:9], s[8:9], exec
	s_or_b64 s[4:5], s[4:5], s[8:9]
	s_or_b64 exec, exec, s[6:7]
	s_and_saveexec_b64 s[6:7], s[4:5]
	s_cbranch_execnz .LBB3_1691
	s_branch .LBB3_1692
.LBB3_3741:
	s_movk_i32 s4, 0x80
	v_cmp_eq_u16_sdwa s[12:13], v2, s4 src0_sel:BYTE_3 src1_sel:DWORD
	s_mov_b64 s[4:5], -1
                                        ; implicit-def: $sgpr10
	s_and_saveexec_b64 s[8:9], s[12:13]
; %bb.3742:
	s_mov_b32 s10, 0x7f800001
	s_xor_b64 s[4:5], exec, -1
; %bb.3743:
	s_or_b64 exec, exec, s[8:9]
	s_and_b64 s[4:5], s[4:5], exec
	s_or_saveexec_b64 s[6:7], s[6:7]
	v_mov_b32_e32 v6, s10
	s_xor_b64 exec, exec, s[6:7]
	s_cbranch_execz .LBB3_1694
.LBB3_3744:
	v_mov_b32_e32 v6, 0
	v_cmp_ne_u16_sdwa s[8:9], v2, v6 src0_sel:BYTE_3 src1_sel:DWORD
	s_andn2_b64 s[4:5], s[4:5], exec
	s_and_b64 s[8:9], s[8:9], exec
	s_or_b64 s[4:5], s[4:5], s[8:9]
	s_or_b64 exec, exec, s[6:7]
	s_and_saveexec_b64 s[6:7], s[4:5]
	s_cbranch_execnz .LBB3_1695
	s_branch .LBB3_1696
.LBB3_3745:
	s_movk_i32 s4, 0x80
	v_cmp_eq_u16_sdwa s[12:13], v7, s4 src0_sel:BYTE_0 src1_sel:DWORD
	s_mov_b64 s[4:5], -1
                                        ; implicit-def: $sgpr10
	s_and_saveexec_b64 s[8:9], s[12:13]
; %bb.3746:
	s_mov_b32 s10, 0x7f800001
	s_xor_b64 s[4:5], exec, -1
; %bb.3747:
	s_or_b64 exec, exec, s[8:9]
	s_and_b64 s[4:5], s[4:5], exec
	s_or_saveexec_b64 s[6:7], s[6:7]
	v_mov_b32_e32 v2, s10
	s_xor_b64 exec, exec, s[6:7]
	s_cbranch_execz .LBB3_1698
.LBB3_3748:
	v_mov_b32_e32 v2, 0
	v_cmp_ne_u16_sdwa s[8:9], v7, v2 src0_sel:BYTE_0 src1_sel:DWORD
	s_andn2_b64 s[4:5], s[4:5], exec
	s_and_b64 s[8:9], s[8:9], exec
	s_or_b64 s[4:5], s[4:5], s[8:9]
	s_or_b64 exec, exec, s[6:7]
	s_and_saveexec_b64 s[6:7], s[4:5]
	s_cbranch_execnz .LBB3_1699
	s_branch .LBB3_1700
.LBB3_3749:
	s_movk_i32 s4, 0x80
	v_cmp_eq_u16_sdwa s[12:13], v3, s4 src0_sel:BYTE_0 src1_sel:DWORD
	s_mov_b64 s[4:5], -1
                                        ; implicit-def: $sgpr10
	s_and_saveexec_b64 s[8:9], s[12:13]
; %bb.3750:
	s_mov_b32 s10, 0x7f800001
	s_xor_b64 s[4:5], exec, -1
; %bb.3751:
	s_or_b64 exec, exec, s[8:9]
	s_and_b64 s[4:5], s[4:5], exec
	s_or_saveexec_b64 s[6:7], s[6:7]
	v_mov_b32_e32 v6, s10
	s_xor_b64 exec, exec, s[6:7]
	s_cbranch_execz .LBB3_1702
.LBB3_3752:
	v_mov_b32_e32 v6, 0
	v_cmp_ne_u16_sdwa s[8:9], v3, v6 src0_sel:BYTE_0 src1_sel:DWORD
	s_andn2_b64 s[4:5], s[4:5], exec
	s_and_b64 s[8:9], s[8:9], exec
	s_or_b64 s[4:5], s[4:5], s[8:9]
	s_or_b64 exec, exec, s[6:7]
	s_and_saveexec_b64 s[6:7], s[4:5]
	s_cbranch_execnz .LBB3_1703
	s_branch .LBB3_1704
.LBB3_3753:
	s_movk_i32 s4, 0x80
	v_cmp_eq_u16_sdwa s[12:13], v6, s4 src0_sel:BYTE_0 src1_sel:DWORD
	s_mov_b64 s[4:5], -1
                                        ; implicit-def: $sgpr10
	s_and_saveexec_b64 s[8:9], s[12:13]
; %bb.3754:
	s_mov_b32 s10, 0x7f800001
	s_xor_b64 s[4:5], exec, -1
; %bb.3755:
	s_or_b64 exec, exec, s[8:9]
	s_and_b64 s[4:5], s[4:5], exec
	s_or_saveexec_b64 s[6:7], s[6:7]
	v_mov_b32_e32 v2, s10
	s_xor_b64 exec, exec, s[6:7]
	s_cbranch_execz .LBB3_1706
.LBB3_3756:
	v_mov_b32_e32 v2, 0
	v_cmp_ne_u16_sdwa s[8:9], v6, v2 src0_sel:BYTE_0 src1_sel:DWORD
	s_andn2_b64 s[4:5], s[4:5], exec
	s_and_b64 s[8:9], s[8:9], exec
	s_or_b64 s[4:5], s[4:5], s[8:9]
	s_or_b64 exec, exec, s[6:7]
	s_and_saveexec_b64 s[6:7], s[4:5]
	s_cbranch_execnz .LBB3_1707
	s_branch .LBB3_1708
.LBB3_3757:
	s_movk_i32 s4, 0x80
	v_cmp_eq_u16_sdwa s[12:13], v6, s4 src0_sel:BYTE_0 src1_sel:DWORD
	s_mov_b64 s[4:5], -1
                                        ; implicit-def: $sgpr10
	s_and_saveexec_b64 s[8:9], s[12:13]
; %bb.3758:
	s_mov_b32 s10, 0x7f800001
	s_xor_b64 s[4:5], exec, -1
; %bb.3759:
	s_or_b64 exec, exec, s[8:9]
	s_and_b64 s[4:5], s[4:5], exec
	s_or_saveexec_b64 s[6:7], s[6:7]
	v_mov_b32_e32 v12, s10
	s_xor_b64 exec, exec, s[6:7]
	s_cbranch_execz .LBB3_1710
.LBB3_3760:
	v_mov_b32_e32 v12, 0
	v_cmp_ne_u16_sdwa s[8:9], v6, v12 src0_sel:BYTE_0 src1_sel:DWORD
	s_andn2_b64 s[4:5], s[4:5], exec
	s_and_b64 s[8:9], s[8:9], exec
	s_or_b64 s[4:5], s[4:5], s[8:9]
	s_or_b64 exec, exec, s[6:7]
	s_and_saveexec_b64 s[6:7], s[4:5]
	s_cbranch_execnz .LBB3_1711
	s_branch .LBB3_1712
.LBB3_3761:
	s_movk_i32 s4, 0x80
	v_cmp_eq_u16_e32 vcc, s4, v6
	s_mov_b64 s[4:5], -1
                                        ; implicit-def: $sgpr10
	s_and_saveexec_b64 s[8:9], vcc
; %bb.3762:
	s_mov_b32 s10, 0x7f800001
	s_xor_b64 s[4:5], exec, -1
; %bb.3763:
	s_or_b64 exec, exec, s[8:9]
	s_and_b64 s[4:5], s[4:5], exec
                                        ; implicit-def: $vgpr6
	s_or_saveexec_b64 s[6:7], s[6:7]
	v_mov_b32_e32 v2, s10
	s_xor_b64 exec, exec, s[6:7]
	s_cbranch_execz .LBB3_1714
.LBB3_3764:
	v_cmp_ne_u16_e32 vcc, 0, v6
	s_andn2_b64 s[4:5], s[4:5], exec
	s_and_b64 s[8:9], vcc, exec
	v_mov_b32_e32 v2, 0
	s_or_b64 s[4:5], s[4:5], s[8:9]
	s_or_b64 exec, exec, s[6:7]
	s_and_saveexec_b64 s[6:7], s[4:5]
	s_cbranch_execnz .LBB3_1715
	s_branch .LBB3_1716
.LBB3_3765:
	s_movk_i32 s4, 0x80
	v_cmp_eq_u16_e32 vcc, s4, v6
	s_mov_b64 s[4:5], -1
                                        ; implicit-def: $sgpr10
	s_and_saveexec_b64 s[8:9], vcc
; %bb.3766:
	s_mov_b32 s10, 0x7f800001
	s_xor_b64 s[4:5], exec, -1
; %bb.3767:
	s_or_b64 exec, exec, s[8:9]
	s_and_b64 s[4:5], s[4:5], exec
                                        ; implicit-def: $vgpr6
	s_or_saveexec_b64 s[6:7], s[6:7]
	v_mov_b32_e32 v12, s10
	s_xor_b64 exec, exec, s[6:7]
	s_cbranch_execz .LBB3_1718
.LBB3_3768:
	v_cmp_ne_u16_e32 vcc, 0, v6
	s_andn2_b64 s[4:5], s[4:5], exec
	s_and_b64 s[8:9], vcc, exec
	v_mov_b32_e32 v12, 0
	s_or_b64 s[4:5], s[4:5], s[8:9]
	s_or_b64 exec, exec, s[6:7]
	s_and_saveexec_b64 s[6:7], s[4:5]
	s_cbranch_execnz .LBB3_1719
	s_branch .LBB3_1720
.LBB3_3769:
	s_movk_i32 s4, 0x80
	v_cmp_eq_u16_sdwa s[12:13], v7, s4 src0_sel:BYTE_3 src1_sel:DWORD
	s_mov_b64 s[4:5], -1
                                        ; implicit-def: $sgpr10
	s_and_saveexec_b64 s[8:9], s[12:13]
; %bb.3770:
	s_mov_b32 s10, 0x7f800001
	s_xor_b64 s[4:5], exec, -1
; %bb.3771:
	s_or_b64 exec, exec, s[8:9]
	s_and_b64 s[4:5], s[4:5], exec
	s_or_saveexec_b64 s[6:7], s[6:7]
	v_mov_b32_e32 v2, s10
	s_xor_b64 exec, exec, s[6:7]
	s_cbranch_execz .LBB3_1722
.LBB3_3772:
	v_mov_b32_e32 v2, 0
	v_cmp_ne_u16_sdwa s[8:9], v7, v2 src0_sel:BYTE_3 src1_sel:DWORD
	s_andn2_b64 s[4:5], s[4:5], exec
	s_and_b64 s[8:9], s[8:9], exec
	s_or_b64 s[4:5], s[4:5], s[8:9]
	s_or_b64 exec, exec, s[6:7]
	s_and_saveexec_b64 s[6:7], s[4:5]
	s_cbranch_execnz .LBB3_1723
	s_branch .LBB3_1724
.LBB3_3773:
	s_movk_i32 s4, 0x80
	v_cmp_eq_u16_sdwa s[12:13], v3, s4 src0_sel:BYTE_3 src1_sel:DWORD
	s_mov_b64 s[4:5], -1
                                        ; implicit-def: $sgpr10
	s_and_saveexec_b64 s[8:9], s[12:13]
; %bb.3774:
	s_mov_b32 s10, 0x7f800001
	s_xor_b64 s[4:5], exec, -1
; %bb.3775:
	s_or_b64 exec, exec, s[8:9]
	s_and_b64 s[4:5], s[4:5], exec
	s_or_saveexec_b64 s[6:7], s[6:7]
	v_mov_b32_e32 v6, s10
	s_xor_b64 exec, exec, s[6:7]
	s_cbranch_execz .LBB3_1726
.LBB3_3776:
	v_mov_b32_e32 v6, 0
	v_cmp_ne_u16_sdwa s[8:9], v3, v6 src0_sel:BYTE_3 src1_sel:DWORD
	s_andn2_b64 s[4:5], s[4:5], exec
	s_and_b64 s[8:9], s[8:9], exec
	s_or_b64 s[4:5], s[4:5], s[8:9]
	s_or_b64 exec, exec, s[6:7]
	s_and_saveexec_b64 s[6:7], s[4:5]
	s_cbranch_execnz .LBB3_1727
	s_branch .LBB3_1728
.LBB3_3777:
	s_movk_i32 s4, 0x80
	v_cmp_eq_u16_sdwa s[12:13], v8, s4 src0_sel:BYTE_0 src1_sel:DWORD
	s_mov_b64 s[4:5], -1
                                        ; implicit-def: $sgpr10
	s_and_saveexec_b64 s[8:9], s[12:13]
; %bb.3778:
	s_mov_b32 s10, 0x7f800001
	s_xor_b64 s[4:5], exec, -1
; %bb.3779:
	s_or_b64 exec, exec, s[8:9]
	s_and_b64 s[4:5], s[4:5], exec
	s_or_saveexec_b64 s[6:7], s[6:7]
	v_mov_b32_e32 v2, s10
	s_xor_b64 exec, exec, s[6:7]
	s_cbranch_execz .LBB3_1730
.LBB3_3780:
	v_mov_b32_e32 v2, 0
	v_cmp_ne_u16_sdwa s[8:9], v8, v2 src0_sel:BYTE_0 src1_sel:DWORD
	s_andn2_b64 s[4:5], s[4:5], exec
	s_and_b64 s[8:9], s[8:9], exec
	s_or_b64 s[4:5], s[4:5], s[8:9]
	s_or_b64 exec, exec, s[6:7]
	s_and_saveexec_b64 s[6:7], s[4:5]
	s_cbranch_execnz .LBB3_1731
	s_branch .LBB3_1732
.LBB3_3781:
	s_movk_i32 s4, 0x80
	v_cmp_eq_u16_sdwa s[12:13], v4, s4 src0_sel:BYTE_0 src1_sel:DWORD
	s_mov_b64 s[4:5], -1
                                        ; implicit-def: $sgpr10
	s_and_saveexec_b64 s[8:9], s[12:13]
; %bb.3782:
	s_mov_b32 s10, 0x7f800001
	s_xor_b64 s[4:5], exec, -1
; %bb.3783:
	s_or_b64 exec, exec, s[8:9]
	s_and_b64 s[4:5], s[4:5], exec
	s_or_saveexec_b64 s[6:7], s[6:7]
	v_mov_b32_e32 v3, s10
	s_xor_b64 exec, exec, s[6:7]
	s_cbranch_execz .LBB3_1734
.LBB3_3784:
	v_mov_b32_e32 v3, 0
	v_cmp_ne_u16_sdwa s[8:9], v4, v3 src0_sel:BYTE_0 src1_sel:DWORD
	s_andn2_b64 s[4:5], s[4:5], exec
	s_and_b64 s[8:9], s[8:9], exec
	s_or_b64 s[4:5], s[4:5], s[8:9]
	s_or_b64 exec, exec, s[6:7]
	s_and_saveexec_b64 s[6:7], s[4:5]
	s_cbranch_execnz .LBB3_1735
	s_branch .LBB3_1736
.LBB3_3785:
	s_movk_i32 s4, 0x80
	v_cmp_eq_u16_sdwa s[12:13], v3, s4 src0_sel:BYTE_0 src1_sel:DWORD
	s_mov_b64 s[4:5], -1
                                        ; implicit-def: $sgpr10
	s_and_saveexec_b64 s[8:9], s[12:13]
; %bb.3786:
	s_mov_b32 s10, 0x7f800001
	s_xor_b64 s[4:5], exec, -1
; %bb.3787:
	s_or_b64 exec, exec, s[8:9]
	s_and_b64 s[4:5], s[4:5], exec
	s_or_saveexec_b64 s[6:7], s[6:7]
	v_mov_b32_e32 v2, s10
	s_xor_b64 exec, exec, s[6:7]
	s_cbranch_execz .LBB3_1738
.LBB3_3788:
	v_mov_b32_e32 v2, 0
	v_cmp_ne_u16_sdwa s[8:9], v3, v2 src0_sel:BYTE_0 src1_sel:DWORD
	s_andn2_b64 s[4:5], s[4:5], exec
	s_and_b64 s[8:9], s[8:9], exec
	s_or_b64 s[4:5], s[4:5], s[8:9]
	s_or_b64 exec, exec, s[6:7]
	s_and_saveexec_b64 s[6:7], s[4:5]
	s_cbranch_execnz .LBB3_1739
	s_branch .LBB3_1740
.LBB3_3789:
	s_movk_i32 s4, 0x80
	v_cmp_eq_u16_sdwa s[12:13], v3, s4 src0_sel:BYTE_0 src1_sel:DWORD
	s_mov_b64 s[4:5], -1
                                        ; implicit-def: $sgpr10
	s_and_saveexec_b64 s[8:9], s[12:13]
; %bb.3790:
	s_mov_b32 s10, 0x7f800001
	s_xor_b64 s[4:5], exec, -1
; %bb.3791:
	s_or_b64 exec, exec, s[8:9]
	s_and_b64 s[4:5], s[4:5], exec
	s_or_saveexec_b64 s[6:7], s[6:7]
	v_mov_b32_e32 v6, s10
	s_xor_b64 exec, exec, s[6:7]
	s_cbranch_execz .LBB3_1742
.LBB3_3792:
	v_mov_b32_e32 v6, 0
	v_cmp_ne_u16_sdwa s[8:9], v3, v6 src0_sel:BYTE_0 src1_sel:DWORD
	s_andn2_b64 s[4:5], s[4:5], exec
	s_and_b64 s[8:9], s[8:9], exec
	s_or_b64 s[4:5], s[4:5], s[8:9]
	s_or_b64 exec, exec, s[6:7]
	s_and_saveexec_b64 s[6:7], s[4:5]
	s_cbranch_execnz .LBB3_1743
	s_branch .LBB3_1744
.LBB3_3793:
	s_movk_i32 s4, 0x80
	v_cmp_eq_u16_e32 vcc, s4, v3
	s_mov_b64 s[4:5], -1
                                        ; implicit-def: $sgpr10
	s_and_saveexec_b64 s[8:9], vcc
; %bb.3794:
	s_mov_b32 s10, 0x7f800001
	s_xor_b64 s[4:5], exec, -1
; %bb.3795:
	s_or_b64 exec, exec, s[8:9]
	s_and_b64 s[4:5], s[4:5], exec
                                        ; implicit-def: $vgpr3
	s_or_saveexec_b64 s[6:7], s[6:7]
	v_mov_b32_e32 v2, s10
	s_xor_b64 exec, exec, s[6:7]
	s_cbranch_execz .LBB3_1746
.LBB3_3796:
	v_cmp_ne_u16_e32 vcc, 0, v3
	s_andn2_b64 s[4:5], s[4:5], exec
	s_and_b64 s[8:9], vcc, exec
	v_mov_b32_e32 v2, 0
	s_or_b64 s[4:5], s[4:5], s[8:9]
	s_or_b64 exec, exec, s[6:7]
	s_and_saveexec_b64 s[6:7], s[4:5]
	s_cbranch_execnz .LBB3_1747
	s_branch .LBB3_1748
.LBB3_3797:
	s_movk_i32 s4, 0x80
	v_cmp_eq_u16_e32 vcc, s4, v3
	s_mov_b64 s[4:5], -1
                                        ; implicit-def: $sgpr10
	s_and_saveexec_b64 s[8:9], vcc
; %bb.3798:
	s_mov_b32 s10, 0x7f800001
	s_xor_b64 s[4:5], exec, -1
; %bb.3799:
	s_or_b64 exec, exec, s[8:9]
	s_and_b64 s[4:5], s[4:5], exec
                                        ; implicit-def: $vgpr3
	s_or_saveexec_b64 s[6:7], s[6:7]
	v_mov_b32_e32 v6, s10
	s_xor_b64 exec, exec, s[6:7]
	s_cbranch_execz .LBB3_1750
.LBB3_3800:
	v_cmp_ne_u16_e32 vcc, 0, v3
	s_andn2_b64 s[4:5], s[4:5], exec
	s_and_b64 s[8:9], vcc, exec
	v_mov_b32_e32 v6, 0
	s_or_b64 s[4:5], s[4:5], s[8:9]
	s_or_b64 exec, exec, s[6:7]
	s_and_saveexec_b64 s[6:7], s[4:5]
	s_cbranch_execnz .LBB3_1751
	s_branch .LBB3_1752
.LBB3_3801:
	s_movk_i32 s4, 0x80
	v_cmp_eq_u16_sdwa s[12:13], v8, s4 src0_sel:BYTE_3 src1_sel:DWORD
	s_mov_b64 s[4:5], -1
                                        ; implicit-def: $sgpr10
	s_and_saveexec_b64 s[8:9], s[12:13]
; %bb.3802:
	s_mov_b32 s10, 0x7f800001
	s_xor_b64 s[4:5], exec, -1
; %bb.3803:
	s_or_b64 exec, exec, s[8:9]
	s_and_b64 s[4:5], s[4:5], exec
	s_or_saveexec_b64 s[6:7], s[6:7]
	v_mov_b32_e32 v2, s10
	s_xor_b64 exec, exec, s[6:7]
	s_cbranch_execz .LBB3_1754
.LBB3_3804:
	v_mov_b32_e32 v2, 0
	v_cmp_ne_u16_sdwa s[8:9], v8, v2 src0_sel:BYTE_3 src1_sel:DWORD
	s_andn2_b64 s[4:5], s[4:5], exec
	s_and_b64 s[8:9], s[8:9], exec
	s_or_b64 s[4:5], s[4:5], s[8:9]
	s_or_b64 exec, exec, s[6:7]
	s_and_saveexec_b64 s[6:7], s[4:5]
	s_cbranch_execnz .LBB3_1755
	s_branch .LBB3_1756
.LBB3_3805:
	s_movk_i32 s4, 0x80
	v_cmp_eq_u16_sdwa s[12:13], v4, s4 src0_sel:BYTE_3 src1_sel:DWORD
	s_mov_b64 s[4:5], -1
                                        ; implicit-def: $sgpr10
	s_and_saveexec_b64 s[8:9], s[12:13]
; %bb.3806:
	s_mov_b32 s10, 0x7f800001
	s_xor_b64 s[4:5], exec, -1
; %bb.3807:
	s_or_b64 exec, exec, s[8:9]
	s_and_b64 s[4:5], s[4:5], exec
	s_or_saveexec_b64 s[6:7], s[6:7]
	v_mov_b32_e32 v3, s10
	s_xor_b64 exec, exec, s[6:7]
	s_cbranch_execz .LBB3_1758
.LBB3_3808:
	v_mov_b32_e32 v3, 0
	v_cmp_ne_u16_sdwa s[8:9], v4, v3 src0_sel:BYTE_3 src1_sel:DWORD
	s_andn2_b64 s[4:5], s[4:5], exec
	s_and_b64 s[8:9], s[8:9], exec
	s_or_b64 s[4:5], s[4:5], s[8:9]
	s_or_b64 exec, exec, s[6:7]
	s_and_saveexec_b64 s[6:7], s[4:5]
	s_cbranch_execnz .LBB3_1759
	s_branch .LBB3_1760
.LBB3_3809:
	s_movk_i32 s4, 0x80
	v_cmp_eq_u16_sdwa s[12:13], v9, s4 src0_sel:BYTE_0 src1_sel:DWORD
	s_mov_b64 s[4:5], -1
                                        ; implicit-def: $sgpr10
	s_and_saveexec_b64 s[8:9], s[12:13]
; %bb.3810:
	s_mov_b32 s10, 0x7f800001
	s_xor_b64 s[4:5], exec, -1
; %bb.3811:
	s_or_b64 exec, exec, s[8:9]
	s_and_b64 s[4:5], s[4:5], exec
	s_or_saveexec_b64 s[6:7], s[6:7]
	v_mov_b32_e32 v2, s10
	s_xor_b64 exec, exec, s[6:7]
	s_cbranch_execz .LBB3_1762
.LBB3_3812:
	v_mov_b32_e32 v2, 0
	v_cmp_ne_u16_sdwa s[8:9], v9, v2 src0_sel:BYTE_0 src1_sel:DWORD
	s_andn2_b64 s[4:5], s[4:5], exec
	s_and_b64 s[8:9], s[8:9], exec
	s_or_b64 s[4:5], s[4:5], s[8:9]
	s_or_b64 exec, exec, s[6:7]
	s_and_saveexec_b64 s[6:7], s[4:5]
	s_cbranch_execnz .LBB3_1763
	s_branch .LBB3_1764
.LBB3_3813:
	s_movk_i32 s4, 0x80
	v_cmp_eq_u16_sdwa s[12:13], v5, s4 src0_sel:BYTE_0 src1_sel:DWORD
	s_mov_b64 s[4:5], -1
                                        ; implicit-def: $sgpr10
	s_and_saveexec_b64 s[8:9], s[12:13]
; %bb.3814:
	s_mov_b32 s10, 0x7f800001
	s_xor_b64 s[4:5], exec, -1
; %bb.3815:
	s_or_b64 exec, exec, s[8:9]
	s_and_b64 s[4:5], s[4:5], exec
	s_or_saveexec_b64 s[6:7], s[6:7]
	v_mov_b32_e32 v3, s10
	s_xor_b64 exec, exec, s[6:7]
	s_cbranch_execz .LBB3_1766
.LBB3_3816:
	v_mov_b32_e32 v3, 0
	v_cmp_ne_u16_sdwa s[8:9], v5, v3 src0_sel:BYTE_0 src1_sel:DWORD
	s_andn2_b64 s[4:5], s[4:5], exec
	s_and_b64 s[8:9], s[8:9], exec
	s_or_b64 s[4:5], s[4:5], s[8:9]
	s_or_b64 exec, exec, s[6:7]
	s_and_saveexec_b64 s[6:7], s[4:5]
	s_cbranch_execnz .LBB3_1767
	s_branch .LBB3_1768
.LBB3_3817:
	s_movk_i32 s4, 0x80
	v_cmp_eq_u16_sdwa s[12:13], v3, s4 src0_sel:BYTE_0 src1_sel:DWORD
	s_mov_b64 s[4:5], -1
                                        ; implicit-def: $sgpr10
	s_and_saveexec_b64 s[8:9], s[12:13]
; %bb.3818:
	s_mov_b32 s10, 0x7f800001
	s_xor_b64 s[4:5], exec, -1
; %bb.3819:
	s_or_b64 exec, exec, s[8:9]
	s_and_b64 s[4:5], s[4:5], exec
	s_or_saveexec_b64 s[6:7], s[6:7]
	v_mov_b32_e32 v2, s10
	s_xor_b64 exec, exec, s[6:7]
	s_cbranch_execz .LBB3_1770
.LBB3_3820:
	v_mov_b32_e32 v2, 0
	v_cmp_ne_u16_sdwa s[8:9], v3, v2 src0_sel:BYTE_0 src1_sel:DWORD
	s_andn2_b64 s[4:5], s[4:5], exec
	s_and_b64 s[8:9], s[8:9], exec
	s_or_b64 s[4:5], s[4:5], s[8:9]
	s_or_b64 exec, exec, s[6:7]
	s_and_saveexec_b64 s[6:7], s[4:5]
	s_cbranch_execnz .LBB3_1771
	s_branch .LBB3_1772
.LBB3_3821:
	s_movk_i32 s4, 0x80
	v_cmp_eq_u16_sdwa s[12:13], v3, s4 src0_sel:BYTE_0 src1_sel:DWORD
	s_mov_b64 s[4:5], -1
                                        ; implicit-def: $sgpr10
	s_and_saveexec_b64 s[8:9], s[12:13]
; %bb.3822:
	s_mov_b32 s10, 0x7f800001
	s_xor_b64 s[4:5], exec, -1
; %bb.3823:
	s_or_b64 exec, exec, s[8:9]
	s_and_b64 s[4:5], s[4:5], exec
	s_or_saveexec_b64 s[6:7], s[6:7]
	v_mov_b32_e32 v4, s10
	s_xor_b64 exec, exec, s[6:7]
	s_cbranch_execz .LBB3_1774
.LBB3_3824:
	v_mov_b32_e32 v4, 0
	v_cmp_ne_u16_sdwa s[8:9], v3, v4 src0_sel:BYTE_0 src1_sel:DWORD
	s_andn2_b64 s[4:5], s[4:5], exec
	s_and_b64 s[8:9], s[8:9], exec
	s_or_b64 s[4:5], s[4:5], s[8:9]
	s_or_b64 exec, exec, s[6:7]
	s_and_saveexec_b64 s[6:7], s[4:5]
	s_cbranch_execnz .LBB3_1775
	s_branch .LBB3_1776
.LBB3_3825:
	s_movk_i32 s4, 0x80
	v_cmp_eq_u16_e32 vcc, s4, v3
	s_mov_b64 s[4:5], -1
                                        ; implicit-def: $sgpr10
	s_and_saveexec_b64 s[8:9], vcc
; %bb.3826:
	s_mov_b32 s10, 0x7f800001
	s_xor_b64 s[4:5], exec, -1
; %bb.3827:
	s_or_b64 exec, exec, s[8:9]
	s_and_b64 s[4:5], s[4:5], exec
                                        ; implicit-def: $vgpr3
	s_or_saveexec_b64 s[6:7], s[6:7]
	v_mov_b32_e32 v2, s10
	s_xor_b64 exec, exec, s[6:7]
	s_cbranch_execz .LBB3_1778
.LBB3_3828:
	v_cmp_ne_u16_e32 vcc, 0, v3
	s_andn2_b64 s[4:5], s[4:5], exec
	s_and_b64 s[8:9], vcc, exec
	v_mov_b32_e32 v2, 0
	s_or_b64 s[4:5], s[4:5], s[8:9]
	s_or_b64 exec, exec, s[6:7]
	s_and_saveexec_b64 s[6:7], s[4:5]
	s_cbranch_execnz .LBB3_1779
	s_branch .LBB3_1780
.LBB3_3829:
	s_movk_i32 s4, 0x80
	v_cmp_eq_u16_e32 vcc, s4, v3
	s_mov_b64 s[4:5], -1
                                        ; implicit-def: $sgpr10
	s_and_saveexec_b64 s[8:9], vcc
; %bb.3830:
	s_mov_b32 s10, 0x7f800001
	s_xor_b64 s[4:5], exec, -1
; %bb.3831:
	s_or_b64 exec, exec, s[8:9]
	s_and_b64 s[4:5], s[4:5], exec
                                        ; implicit-def: $vgpr3
	s_or_saveexec_b64 s[6:7], s[6:7]
	v_mov_b32_e32 v4, s10
	s_xor_b64 exec, exec, s[6:7]
	s_cbranch_execz .LBB3_1782
.LBB3_3832:
	v_cmp_ne_u16_e32 vcc, 0, v3
	s_andn2_b64 s[4:5], s[4:5], exec
	s_and_b64 s[8:9], vcc, exec
	v_mov_b32_e32 v4, 0
	s_or_b64 s[4:5], s[4:5], s[8:9]
	s_or_b64 exec, exec, s[6:7]
	s_and_saveexec_b64 s[6:7], s[4:5]
	s_cbranch_execnz .LBB3_1783
	s_branch .LBB3_1784
.LBB3_3833:
	s_movk_i32 s4, 0x80
	v_cmp_eq_u16_sdwa s[12:13], v9, s4 src0_sel:BYTE_3 src1_sel:DWORD
	s_mov_b64 s[4:5], -1
                                        ; implicit-def: $sgpr10
	s_and_saveexec_b64 s[8:9], s[12:13]
; %bb.3834:
	s_mov_b32 s10, 0x7f800001
	s_xor_b64 s[4:5], exec, -1
; %bb.3835:
	s_or_b64 exec, exec, s[8:9]
	s_and_b64 s[4:5], s[4:5], exec
	s_or_saveexec_b64 s[6:7], s[6:7]
	v_mov_b32_e32 v2, s10
	s_xor_b64 exec, exec, s[6:7]
	s_cbranch_execz .LBB3_1786
.LBB3_3836:
	v_mov_b32_e32 v2, 0
	v_cmp_ne_u16_sdwa s[8:9], v9, v2 src0_sel:BYTE_3 src1_sel:DWORD
	s_andn2_b64 s[4:5], s[4:5], exec
	s_and_b64 s[8:9], s[8:9], exec
	s_or_b64 s[4:5], s[4:5], s[8:9]
	s_or_b64 exec, exec, s[6:7]
	s_and_saveexec_b64 s[6:7], s[4:5]
	s_cbranch_execnz .LBB3_1787
	s_branch .LBB3_1788
.LBB3_3837:
	s_movk_i32 s4, 0x80
	v_cmp_eq_u16_sdwa s[12:13], v5, s4 src0_sel:BYTE_3 src1_sel:DWORD
	s_mov_b64 s[4:5], -1
                                        ; implicit-def: $sgpr10
	s_and_saveexec_b64 s[8:9], s[12:13]
; %bb.3838:
	s_mov_b32 s10, 0x7f800001
	s_xor_b64 s[4:5], exec, -1
; %bb.3839:
	s_or_b64 exec, exec, s[8:9]
	s_and_b64 s[4:5], s[4:5], exec
	s_or_saveexec_b64 s[6:7], s[6:7]
	v_mov_b32_e32 v3, s10
	s_xor_b64 exec, exec, s[6:7]
	s_cbranch_execz .LBB3_1790
.LBB3_3840:
	v_mov_b32_e32 v3, 0
	v_cmp_ne_u16_sdwa s[8:9], v5, v3 src0_sel:BYTE_3 src1_sel:DWORD
	s_andn2_b64 s[4:5], s[4:5], exec
	s_and_b64 s[8:9], s[8:9], exec
	s_or_b64 s[4:5], s[4:5], s[8:9]
	s_or_b64 exec, exec, s[6:7]
	s_and_saveexec_b64 s[6:7], s[4:5]
	s_cbranch_execnz .LBB3_1791
	s_branch .LBB3_1792
.LBB3_3841:
	s_movk_i32 s4, 0x80
	v_cmp_eq_u16_sdwa s[12:13], v6, s4 src0_sel:BYTE_0 src1_sel:DWORD
	s_mov_b64 s[4:5], -1
                                        ; implicit-def: $sgpr10
	s_and_saveexec_b64 s[8:9], s[12:13]
; %bb.3842:
	s_mov_b32 s10, 0x7f800001
	s_xor_b64 s[4:5], exec, -1
; %bb.3843:
	s_or_b64 exec, exec, s[8:9]
	s_and_b64 s[4:5], s[4:5], exec
	s_or_saveexec_b64 s[6:7], s[6:7]
	v_mov_b32_e32 v12, s10
	s_xor_b64 exec, exec, s[6:7]
	s_cbranch_execz .LBB3_1794
.LBB3_3844:
	v_mov_b32_e32 v12, 0
	v_cmp_ne_u16_sdwa s[8:9], v6, v12 src0_sel:BYTE_0 src1_sel:DWORD
	s_andn2_b64 s[4:5], s[4:5], exec
	s_and_b64 s[8:9], s[8:9], exec
	s_or_b64 s[4:5], s[4:5], s[8:9]
	s_or_b64 exec, exec, s[6:7]
	s_and_saveexec_b64 s[6:7], s[4:5]
	s_cbranch_execnz .LBB3_1795
	s_branch .LBB3_1796
.LBB3_3845:
	s_movk_i32 s4, 0x80
	v_cmp_eq_u16_sdwa s[12:13], v2, s4 src0_sel:BYTE_0 src1_sel:DWORD
	s_mov_b64 s[4:5], -1
                                        ; implicit-def: $sgpr10
	s_and_saveexec_b64 s[8:9], s[12:13]
; %bb.3846:
	s_mov_b32 s10, 0x7f800001
	s_xor_b64 s[4:5], exec, -1
; %bb.3847:
	s_or_b64 exec, exec, s[8:9]
	s_and_b64 s[4:5], s[4:5], exec
	s_or_saveexec_b64 s[6:7], s[6:7]
	v_mov_b32_e32 v13, s10
	s_xor_b64 exec, exec, s[6:7]
	s_cbranch_execz .LBB3_1798
.LBB3_3848:
	v_mov_b32_e32 v13, 0
	v_cmp_ne_u16_sdwa s[8:9], v2, v13 src0_sel:BYTE_0 src1_sel:DWORD
	s_andn2_b64 s[4:5], s[4:5], exec
	s_and_b64 s[8:9], s[8:9], exec
	s_or_b64 s[4:5], s[4:5], s[8:9]
	s_or_b64 exec, exec, s[6:7]
	s_and_saveexec_b64 s[6:7], s[4:5]
	s_cbranch_execnz .LBB3_1799
	s_branch .LBB3_1800
.LBB3_3849:
	s_movk_i32 s4, 0x80
	v_cmp_eq_u16_sdwa s[12:13], v13, s4 src0_sel:BYTE_0 src1_sel:DWORD
	s_mov_b64 s[4:5], -1
                                        ; implicit-def: $sgpr10
	s_and_saveexec_b64 s[8:9], s[12:13]
; %bb.3850:
	s_mov_b32 s10, 0x7f800001
	s_xor_b64 s[4:5], exec, -1
; %bb.3851:
	s_or_b64 exec, exec, s[8:9]
	s_and_b64 s[4:5], s[4:5], exec
	s_or_saveexec_b64 s[6:7], s[6:7]
	v_mov_b32_e32 v12, s10
	s_xor_b64 exec, exec, s[6:7]
	s_cbranch_execz .LBB3_1802
.LBB3_3852:
	v_mov_b32_e32 v12, 0
	v_cmp_ne_u16_sdwa s[8:9], v13, v12 src0_sel:BYTE_0 src1_sel:DWORD
	s_andn2_b64 s[4:5], s[4:5], exec
	s_and_b64 s[8:9], s[8:9], exec
	s_or_b64 s[4:5], s[4:5], s[8:9]
	s_or_b64 exec, exec, s[6:7]
	s_and_saveexec_b64 s[6:7], s[4:5]
	s_cbranch_execnz .LBB3_1803
	s_branch .LBB3_1804
.LBB3_3853:
	s_movk_i32 s4, 0x80
	v_cmp_eq_u16_sdwa s[12:13], v13, s4 src0_sel:BYTE_0 src1_sel:DWORD
	s_mov_b64 s[4:5], -1
                                        ; implicit-def: $sgpr10
	s_and_saveexec_b64 s[8:9], s[12:13]
; %bb.3854:
	s_mov_b32 s10, 0x7f800001
	s_xor_b64 s[4:5], exec, -1
; %bb.3855:
	s_or_b64 exec, exec, s[8:9]
	s_and_b64 s[4:5], s[4:5], exec
	s_or_saveexec_b64 s[6:7], s[6:7]
	v_mov_b32_e32 v14, s10
	s_xor_b64 exec, exec, s[6:7]
	s_cbranch_execz .LBB3_1806
.LBB3_3856:
	v_mov_b32_e32 v14, 0
	v_cmp_ne_u16_sdwa s[8:9], v13, v14 src0_sel:BYTE_0 src1_sel:DWORD
	s_andn2_b64 s[4:5], s[4:5], exec
	s_and_b64 s[8:9], s[8:9], exec
	s_or_b64 s[4:5], s[4:5], s[8:9]
	s_or_b64 exec, exec, s[6:7]
	s_and_saveexec_b64 s[6:7], s[4:5]
	s_cbranch_execnz .LBB3_1807
	s_branch .LBB3_1808
.LBB3_3857:
	s_movk_i32 s4, 0x80
	v_cmp_eq_u16_e32 vcc, s4, v13
	s_mov_b64 s[4:5], -1
                                        ; implicit-def: $sgpr10
	s_and_saveexec_b64 s[8:9], vcc
; %bb.3858:
	s_mov_b32 s10, 0x7f800001
	s_xor_b64 s[4:5], exec, -1
; %bb.3859:
	s_or_b64 exec, exec, s[8:9]
	s_and_b64 s[4:5], s[4:5], exec
                                        ; implicit-def: $vgpr13
	s_or_saveexec_b64 s[6:7], s[6:7]
	v_mov_b32_e32 v12, s10
	s_xor_b64 exec, exec, s[6:7]
	s_cbranch_execz .LBB3_1810
.LBB3_3860:
	v_cmp_ne_u16_e32 vcc, 0, v13
	s_andn2_b64 s[4:5], s[4:5], exec
	s_and_b64 s[8:9], vcc, exec
	v_mov_b32_e32 v12, 0
	s_or_b64 s[4:5], s[4:5], s[8:9]
	s_or_b64 exec, exec, s[6:7]
	s_and_saveexec_b64 s[6:7], s[4:5]
	s_cbranch_execnz .LBB3_1811
	s_branch .LBB3_1812
.LBB3_3861:
	s_movk_i32 s4, 0x80
	v_cmp_eq_u16_e32 vcc, s4, v13
	s_mov_b64 s[4:5], -1
                                        ; implicit-def: $sgpr10
	s_and_saveexec_b64 s[8:9], vcc
; %bb.3862:
	s_mov_b32 s10, 0x7f800001
	s_xor_b64 s[4:5], exec, -1
; %bb.3863:
	s_or_b64 exec, exec, s[8:9]
	s_and_b64 s[4:5], s[4:5], exec
                                        ; implicit-def: $vgpr13
	s_or_saveexec_b64 s[6:7], s[6:7]
	v_mov_b32_e32 v14, s10
	s_xor_b64 exec, exec, s[6:7]
	s_cbranch_execz .LBB3_1814
.LBB3_3864:
	v_cmp_ne_u16_e32 vcc, 0, v13
	s_andn2_b64 s[4:5], s[4:5], exec
	s_and_b64 s[8:9], vcc, exec
	v_mov_b32_e32 v14, 0
	s_or_b64 s[4:5], s[4:5], s[8:9]
	s_or_b64 exec, exec, s[6:7]
	s_and_saveexec_b64 s[6:7], s[4:5]
	s_cbranch_execnz .LBB3_1815
	s_branch .LBB3_1816
.LBB3_3865:
	s_movk_i32 s4, 0x80
	v_cmp_eq_u16_sdwa s[12:13], v6, s4 src0_sel:BYTE_3 src1_sel:DWORD
	s_mov_b64 s[4:5], -1
                                        ; implicit-def: $sgpr10
	s_and_saveexec_b64 s[8:9], s[12:13]
; %bb.3866:
	s_mov_b32 s10, 0x7f800001
	s_xor_b64 s[4:5], exec, -1
; %bb.3867:
	s_or_b64 exec, exec, s[8:9]
	s_and_b64 s[4:5], s[4:5], exec
	s_or_saveexec_b64 s[6:7], s[6:7]
	v_mov_b32_e32 v12, s10
	s_xor_b64 exec, exec, s[6:7]
	s_cbranch_execz .LBB3_1818
.LBB3_3868:
	v_mov_b32_e32 v12, 0
	v_cmp_ne_u16_sdwa s[8:9], v6, v12 src0_sel:BYTE_3 src1_sel:DWORD
	s_andn2_b64 s[4:5], s[4:5], exec
	s_and_b64 s[8:9], s[8:9], exec
	s_or_b64 s[4:5], s[4:5], s[8:9]
	s_or_b64 exec, exec, s[6:7]
	s_and_saveexec_b64 s[6:7], s[4:5]
	s_cbranch_execnz .LBB3_1819
	s_branch .LBB3_1820
.LBB3_3869:
	s_movk_i32 s4, 0x80
	v_cmp_eq_u16_sdwa s[12:13], v2, s4 src0_sel:BYTE_3 src1_sel:DWORD
	s_mov_b64 s[4:5], -1
                                        ; implicit-def: $sgpr10
	s_and_saveexec_b64 s[8:9], s[12:13]
; %bb.3870:
	s_mov_b32 s10, 0x7f800001
	s_xor_b64 s[4:5], exec, -1
; %bb.3871:
	s_or_b64 exec, exec, s[8:9]
	s_and_b64 s[4:5], s[4:5], exec
	s_or_saveexec_b64 s[6:7], s[6:7]
	v_mov_b32_e32 v6, s10
	s_xor_b64 exec, exec, s[6:7]
	s_cbranch_execz .LBB3_1822
.LBB3_3872:
	v_mov_b32_e32 v6, 0
	v_cmp_ne_u16_sdwa s[8:9], v2, v6 src0_sel:BYTE_3 src1_sel:DWORD
	s_andn2_b64 s[4:5], s[4:5], exec
	s_and_b64 s[8:9], s[8:9], exec
	s_or_b64 s[4:5], s[4:5], s[8:9]
	s_or_b64 exec, exec, s[6:7]
	s_and_saveexec_b64 s[6:7], s[4:5]
	s_cbranch_execnz .LBB3_1823
	s_branch .LBB3_1824
.LBB3_3873:
	s_movk_i32 s4, 0x80
	v_cmp_eq_u16_sdwa s[12:13], v7, s4 src0_sel:BYTE_0 src1_sel:DWORD
	s_mov_b64 s[4:5], -1
                                        ; implicit-def: $sgpr10
	s_and_saveexec_b64 s[8:9], s[12:13]
; %bb.3874:
	s_mov_b32 s10, 0x7f800001
	s_xor_b64 s[4:5], exec, -1
; %bb.3875:
	s_or_b64 exec, exec, s[8:9]
	s_and_b64 s[4:5], s[4:5], exec
	s_or_saveexec_b64 s[6:7], s[6:7]
	v_mov_b32_e32 v2, s10
	s_xor_b64 exec, exec, s[6:7]
	s_cbranch_execz .LBB3_1826
.LBB3_3876:
	v_mov_b32_e32 v2, 0
	v_cmp_ne_u16_sdwa s[8:9], v7, v2 src0_sel:BYTE_0 src1_sel:DWORD
	s_andn2_b64 s[4:5], s[4:5], exec
	s_and_b64 s[8:9], s[8:9], exec
	s_or_b64 s[4:5], s[4:5], s[8:9]
	s_or_b64 exec, exec, s[6:7]
	s_and_saveexec_b64 s[6:7], s[4:5]
	s_cbranch_execnz .LBB3_1827
	s_branch .LBB3_1828
.LBB3_3877:
	s_movk_i32 s4, 0x80
	v_cmp_eq_u16_sdwa s[12:13], v3, s4 src0_sel:BYTE_0 src1_sel:DWORD
	s_mov_b64 s[4:5], -1
                                        ; implicit-def: $sgpr10
	s_and_saveexec_b64 s[8:9], s[12:13]
; %bb.3878:
	s_mov_b32 s10, 0x7f800001
	s_xor_b64 s[4:5], exec, -1
; %bb.3879:
	s_or_b64 exec, exec, s[8:9]
	s_and_b64 s[4:5], s[4:5], exec
	s_or_saveexec_b64 s[6:7], s[6:7]
	v_mov_b32_e32 v6, s10
	s_xor_b64 exec, exec, s[6:7]
	s_cbranch_execz .LBB3_1830
.LBB3_3880:
	v_mov_b32_e32 v6, 0
	v_cmp_ne_u16_sdwa s[8:9], v3, v6 src0_sel:BYTE_0 src1_sel:DWORD
	s_andn2_b64 s[4:5], s[4:5], exec
	s_and_b64 s[8:9], s[8:9], exec
	s_or_b64 s[4:5], s[4:5], s[8:9]
	s_or_b64 exec, exec, s[6:7]
	s_and_saveexec_b64 s[6:7], s[4:5]
	s_cbranch_execnz .LBB3_1831
	s_branch .LBB3_1832
.LBB3_3881:
	s_movk_i32 s4, 0x80
	v_cmp_eq_u16_sdwa s[12:13], v6, s4 src0_sel:BYTE_0 src1_sel:DWORD
	s_mov_b64 s[4:5], -1
                                        ; implicit-def: $sgpr10
	s_and_saveexec_b64 s[8:9], s[12:13]
; %bb.3882:
	s_mov_b32 s10, 0x7f800001
	s_xor_b64 s[4:5], exec, -1
; %bb.3883:
	s_or_b64 exec, exec, s[8:9]
	s_and_b64 s[4:5], s[4:5], exec
	s_or_saveexec_b64 s[6:7], s[6:7]
	v_mov_b32_e32 v2, s10
	s_xor_b64 exec, exec, s[6:7]
	s_cbranch_execz .LBB3_1834
.LBB3_3884:
	v_mov_b32_e32 v2, 0
	v_cmp_ne_u16_sdwa s[8:9], v6, v2 src0_sel:BYTE_0 src1_sel:DWORD
	s_andn2_b64 s[4:5], s[4:5], exec
	s_and_b64 s[8:9], s[8:9], exec
	s_or_b64 s[4:5], s[4:5], s[8:9]
	s_or_b64 exec, exec, s[6:7]
	s_and_saveexec_b64 s[6:7], s[4:5]
	s_cbranch_execnz .LBB3_1835
	s_branch .LBB3_1836
.LBB3_3885:
	s_movk_i32 s4, 0x80
	v_cmp_eq_u16_sdwa s[12:13], v6, s4 src0_sel:BYTE_0 src1_sel:DWORD
	s_mov_b64 s[4:5], -1
                                        ; implicit-def: $sgpr10
	s_and_saveexec_b64 s[8:9], s[12:13]
; %bb.3886:
	s_mov_b32 s10, 0x7f800001
	s_xor_b64 s[4:5], exec, -1
; %bb.3887:
	s_or_b64 exec, exec, s[8:9]
	s_and_b64 s[4:5], s[4:5], exec
	s_or_saveexec_b64 s[6:7], s[6:7]
	v_mov_b32_e32 v12, s10
	s_xor_b64 exec, exec, s[6:7]
	s_cbranch_execz .LBB3_1838
.LBB3_3888:
	v_mov_b32_e32 v12, 0
	v_cmp_ne_u16_sdwa s[8:9], v6, v12 src0_sel:BYTE_0 src1_sel:DWORD
	s_andn2_b64 s[4:5], s[4:5], exec
	s_and_b64 s[8:9], s[8:9], exec
	s_or_b64 s[4:5], s[4:5], s[8:9]
	s_or_b64 exec, exec, s[6:7]
	s_and_saveexec_b64 s[6:7], s[4:5]
	s_cbranch_execnz .LBB3_1839
	s_branch .LBB3_1840
.LBB3_3889:
	s_movk_i32 s4, 0x80
	v_cmp_eq_u16_e32 vcc, s4, v6
	s_mov_b64 s[4:5], -1
                                        ; implicit-def: $sgpr10
	s_and_saveexec_b64 s[8:9], vcc
; %bb.3890:
	s_mov_b32 s10, 0x7f800001
	s_xor_b64 s[4:5], exec, -1
; %bb.3891:
	s_or_b64 exec, exec, s[8:9]
	s_and_b64 s[4:5], s[4:5], exec
                                        ; implicit-def: $vgpr6
	s_or_saveexec_b64 s[6:7], s[6:7]
	v_mov_b32_e32 v2, s10
	s_xor_b64 exec, exec, s[6:7]
	s_cbranch_execz .LBB3_1842
.LBB3_3892:
	v_cmp_ne_u16_e32 vcc, 0, v6
	s_andn2_b64 s[4:5], s[4:5], exec
	s_and_b64 s[8:9], vcc, exec
	v_mov_b32_e32 v2, 0
	s_or_b64 s[4:5], s[4:5], s[8:9]
	s_or_b64 exec, exec, s[6:7]
	s_and_saveexec_b64 s[6:7], s[4:5]
	s_cbranch_execnz .LBB3_1843
	s_branch .LBB3_1844
.LBB3_3893:
	s_movk_i32 s4, 0x80
	v_cmp_eq_u16_e32 vcc, s4, v6
	s_mov_b64 s[4:5], -1
                                        ; implicit-def: $sgpr10
	s_and_saveexec_b64 s[8:9], vcc
; %bb.3894:
	s_mov_b32 s10, 0x7f800001
	s_xor_b64 s[4:5], exec, -1
; %bb.3895:
	s_or_b64 exec, exec, s[8:9]
	s_and_b64 s[4:5], s[4:5], exec
                                        ; implicit-def: $vgpr6
	s_or_saveexec_b64 s[6:7], s[6:7]
	v_mov_b32_e32 v12, s10
	s_xor_b64 exec, exec, s[6:7]
	s_cbranch_execz .LBB3_1846
.LBB3_3896:
	v_cmp_ne_u16_e32 vcc, 0, v6
	s_andn2_b64 s[4:5], s[4:5], exec
	s_and_b64 s[8:9], vcc, exec
	v_mov_b32_e32 v12, 0
	s_or_b64 s[4:5], s[4:5], s[8:9]
	s_or_b64 exec, exec, s[6:7]
	s_and_saveexec_b64 s[6:7], s[4:5]
	s_cbranch_execnz .LBB3_1847
	s_branch .LBB3_1848
.LBB3_3897:
	s_movk_i32 s4, 0x80
	v_cmp_eq_u16_sdwa s[12:13], v7, s4 src0_sel:BYTE_3 src1_sel:DWORD
	s_mov_b64 s[4:5], -1
                                        ; implicit-def: $sgpr10
	s_and_saveexec_b64 s[8:9], s[12:13]
; %bb.3898:
	s_mov_b32 s10, 0x7f800001
	s_xor_b64 s[4:5], exec, -1
; %bb.3899:
	s_or_b64 exec, exec, s[8:9]
	s_and_b64 s[4:5], s[4:5], exec
	s_or_saveexec_b64 s[6:7], s[6:7]
	v_mov_b32_e32 v2, s10
	s_xor_b64 exec, exec, s[6:7]
	s_cbranch_execz .LBB3_1850
.LBB3_3900:
	v_mov_b32_e32 v2, 0
	v_cmp_ne_u16_sdwa s[8:9], v7, v2 src0_sel:BYTE_3 src1_sel:DWORD
	s_andn2_b64 s[4:5], s[4:5], exec
	s_and_b64 s[8:9], s[8:9], exec
	s_or_b64 s[4:5], s[4:5], s[8:9]
	s_or_b64 exec, exec, s[6:7]
	s_and_saveexec_b64 s[6:7], s[4:5]
	s_cbranch_execnz .LBB3_1851
	s_branch .LBB3_1852
.LBB3_3901:
	s_movk_i32 s4, 0x80
	v_cmp_eq_u16_sdwa s[12:13], v3, s4 src0_sel:BYTE_3 src1_sel:DWORD
	s_mov_b64 s[4:5], -1
                                        ; implicit-def: $sgpr10
	s_and_saveexec_b64 s[8:9], s[12:13]
; %bb.3902:
	s_mov_b32 s10, 0x7f800001
	s_xor_b64 s[4:5], exec, -1
; %bb.3903:
	s_or_b64 exec, exec, s[8:9]
	s_and_b64 s[4:5], s[4:5], exec
	s_or_saveexec_b64 s[6:7], s[6:7]
	v_mov_b32_e32 v6, s10
	s_xor_b64 exec, exec, s[6:7]
	s_cbranch_execz .LBB3_1854
.LBB3_3904:
	v_mov_b32_e32 v6, 0
	v_cmp_ne_u16_sdwa s[8:9], v3, v6 src0_sel:BYTE_3 src1_sel:DWORD
	s_andn2_b64 s[4:5], s[4:5], exec
	s_and_b64 s[8:9], s[8:9], exec
	s_or_b64 s[4:5], s[4:5], s[8:9]
	s_or_b64 exec, exec, s[6:7]
	s_and_saveexec_b64 s[6:7], s[4:5]
	s_cbranch_execnz .LBB3_1855
	s_branch .LBB3_1856
.LBB3_3905:
	s_movk_i32 s4, 0x80
	v_cmp_eq_u16_sdwa s[12:13], v8, s4 src0_sel:BYTE_0 src1_sel:DWORD
	s_mov_b64 s[4:5], -1
                                        ; implicit-def: $sgpr10
	s_and_saveexec_b64 s[8:9], s[12:13]
; %bb.3906:
	s_mov_b32 s10, 0x7f800001
	s_xor_b64 s[4:5], exec, -1
; %bb.3907:
	s_or_b64 exec, exec, s[8:9]
	s_and_b64 s[4:5], s[4:5], exec
	s_or_saveexec_b64 s[6:7], s[6:7]
	v_mov_b32_e32 v2, s10
	s_xor_b64 exec, exec, s[6:7]
	s_cbranch_execz .LBB3_1858
.LBB3_3908:
	v_mov_b32_e32 v2, 0
	v_cmp_ne_u16_sdwa s[8:9], v8, v2 src0_sel:BYTE_0 src1_sel:DWORD
	s_andn2_b64 s[4:5], s[4:5], exec
	s_and_b64 s[8:9], s[8:9], exec
	s_or_b64 s[4:5], s[4:5], s[8:9]
	s_or_b64 exec, exec, s[6:7]
	s_and_saveexec_b64 s[6:7], s[4:5]
	s_cbranch_execnz .LBB3_1859
	s_branch .LBB3_1860
.LBB3_3909:
	s_movk_i32 s4, 0x80
	v_cmp_eq_u16_sdwa s[12:13], v4, s4 src0_sel:BYTE_0 src1_sel:DWORD
	s_mov_b64 s[4:5], -1
                                        ; implicit-def: $sgpr10
	s_and_saveexec_b64 s[8:9], s[12:13]
; %bb.3910:
	s_mov_b32 s10, 0x7f800001
	s_xor_b64 s[4:5], exec, -1
; %bb.3911:
	s_or_b64 exec, exec, s[8:9]
	s_and_b64 s[4:5], s[4:5], exec
	s_or_saveexec_b64 s[6:7], s[6:7]
	v_mov_b32_e32 v3, s10
	s_xor_b64 exec, exec, s[6:7]
	s_cbranch_execz .LBB3_1862
.LBB3_3912:
	v_mov_b32_e32 v3, 0
	v_cmp_ne_u16_sdwa s[8:9], v4, v3 src0_sel:BYTE_0 src1_sel:DWORD
	s_andn2_b64 s[4:5], s[4:5], exec
	s_and_b64 s[8:9], s[8:9], exec
	s_or_b64 s[4:5], s[4:5], s[8:9]
	s_or_b64 exec, exec, s[6:7]
	s_and_saveexec_b64 s[6:7], s[4:5]
	s_cbranch_execnz .LBB3_1863
	s_branch .LBB3_1864
.LBB3_3913:
	s_movk_i32 s4, 0x80
	v_cmp_eq_u16_sdwa s[12:13], v3, s4 src0_sel:BYTE_0 src1_sel:DWORD
	s_mov_b64 s[4:5], -1
                                        ; implicit-def: $sgpr10
	s_and_saveexec_b64 s[8:9], s[12:13]
; %bb.3914:
	s_mov_b32 s10, 0x7f800001
	s_xor_b64 s[4:5], exec, -1
; %bb.3915:
	s_or_b64 exec, exec, s[8:9]
	s_and_b64 s[4:5], s[4:5], exec
	s_or_saveexec_b64 s[6:7], s[6:7]
	v_mov_b32_e32 v2, s10
	s_xor_b64 exec, exec, s[6:7]
	s_cbranch_execz .LBB3_1866
.LBB3_3916:
	v_mov_b32_e32 v2, 0
	v_cmp_ne_u16_sdwa s[8:9], v3, v2 src0_sel:BYTE_0 src1_sel:DWORD
	s_andn2_b64 s[4:5], s[4:5], exec
	s_and_b64 s[8:9], s[8:9], exec
	s_or_b64 s[4:5], s[4:5], s[8:9]
	s_or_b64 exec, exec, s[6:7]
	s_and_saveexec_b64 s[6:7], s[4:5]
	s_cbranch_execnz .LBB3_1867
	s_branch .LBB3_1868
.LBB3_3917:
	s_movk_i32 s4, 0x80
	v_cmp_eq_u16_sdwa s[12:13], v3, s4 src0_sel:BYTE_0 src1_sel:DWORD
	s_mov_b64 s[4:5], -1
                                        ; implicit-def: $sgpr10
	s_and_saveexec_b64 s[8:9], s[12:13]
; %bb.3918:
	s_mov_b32 s10, 0x7f800001
	s_xor_b64 s[4:5], exec, -1
; %bb.3919:
	s_or_b64 exec, exec, s[8:9]
	s_and_b64 s[4:5], s[4:5], exec
	s_or_saveexec_b64 s[6:7], s[6:7]
	v_mov_b32_e32 v6, s10
	s_xor_b64 exec, exec, s[6:7]
	s_cbranch_execz .LBB3_1870
.LBB3_3920:
	v_mov_b32_e32 v6, 0
	v_cmp_ne_u16_sdwa s[8:9], v3, v6 src0_sel:BYTE_0 src1_sel:DWORD
	s_andn2_b64 s[4:5], s[4:5], exec
	s_and_b64 s[8:9], s[8:9], exec
	s_or_b64 s[4:5], s[4:5], s[8:9]
	s_or_b64 exec, exec, s[6:7]
	s_and_saveexec_b64 s[6:7], s[4:5]
	s_cbranch_execnz .LBB3_1871
	s_branch .LBB3_1872
.LBB3_3921:
	s_movk_i32 s4, 0x80
	v_cmp_eq_u16_e32 vcc, s4, v3
	s_mov_b64 s[4:5], -1
                                        ; implicit-def: $sgpr10
	s_and_saveexec_b64 s[8:9], vcc
; %bb.3922:
	s_mov_b32 s10, 0x7f800001
	s_xor_b64 s[4:5], exec, -1
; %bb.3923:
	s_or_b64 exec, exec, s[8:9]
	s_and_b64 s[4:5], s[4:5], exec
                                        ; implicit-def: $vgpr3
	s_or_saveexec_b64 s[6:7], s[6:7]
	v_mov_b32_e32 v2, s10
	s_xor_b64 exec, exec, s[6:7]
	s_cbranch_execz .LBB3_1874
.LBB3_3924:
	v_cmp_ne_u16_e32 vcc, 0, v3
	s_andn2_b64 s[4:5], s[4:5], exec
	s_and_b64 s[8:9], vcc, exec
	v_mov_b32_e32 v2, 0
	s_or_b64 s[4:5], s[4:5], s[8:9]
	s_or_b64 exec, exec, s[6:7]
	s_and_saveexec_b64 s[6:7], s[4:5]
	s_cbranch_execnz .LBB3_1875
	s_branch .LBB3_1876
.LBB3_3925:
	s_movk_i32 s4, 0x80
	v_cmp_eq_u16_e32 vcc, s4, v3
	s_mov_b64 s[4:5], -1
                                        ; implicit-def: $sgpr10
	s_and_saveexec_b64 s[8:9], vcc
; %bb.3926:
	s_mov_b32 s10, 0x7f800001
	s_xor_b64 s[4:5], exec, -1
; %bb.3927:
	s_or_b64 exec, exec, s[8:9]
	s_and_b64 s[4:5], s[4:5], exec
                                        ; implicit-def: $vgpr3
	s_or_saveexec_b64 s[6:7], s[6:7]
	v_mov_b32_e32 v6, s10
	s_xor_b64 exec, exec, s[6:7]
	s_cbranch_execz .LBB3_1878
.LBB3_3928:
	v_cmp_ne_u16_e32 vcc, 0, v3
	s_andn2_b64 s[4:5], s[4:5], exec
	s_and_b64 s[8:9], vcc, exec
	v_mov_b32_e32 v6, 0
	s_or_b64 s[4:5], s[4:5], s[8:9]
	s_or_b64 exec, exec, s[6:7]
	s_and_saveexec_b64 s[6:7], s[4:5]
	s_cbranch_execnz .LBB3_1879
	s_branch .LBB3_1880
.LBB3_3929:
	s_movk_i32 s4, 0x80
	v_cmp_eq_u16_sdwa s[12:13], v8, s4 src0_sel:BYTE_3 src1_sel:DWORD
	s_mov_b64 s[4:5], -1
                                        ; implicit-def: $sgpr10
	s_and_saveexec_b64 s[8:9], s[12:13]
; %bb.3930:
	s_mov_b32 s10, 0x7f800001
	s_xor_b64 s[4:5], exec, -1
; %bb.3931:
	s_or_b64 exec, exec, s[8:9]
	s_and_b64 s[4:5], s[4:5], exec
	s_or_saveexec_b64 s[6:7], s[6:7]
	v_mov_b32_e32 v2, s10
	s_xor_b64 exec, exec, s[6:7]
	s_cbranch_execz .LBB3_1882
.LBB3_3932:
	v_mov_b32_e32 v2, 0
	v_cmp_ne_u16_sdwa s[8:9], v8, v2 src0_sel:BYTE_3 src1_sel:DWORD
	s_andn2_b64 s[4:5], s[4:5], exec
	s_and_b64 s[8:9], s[8:9], exec
	s_or_b64 s[4:5], s[4:5], s[8:9]
	s_or_b64 exec, exec, s[6:7]
	s_and_saveexec_b64 s[6:7], s[4:5]
	s_cbranch_execnz .LBB3_1883
	s_branch .LBB3_1884
.LBB3_3933:
	s_movk_i32 s4, 0x80
	v_cmp_eq_u16_sdwa s[12:13], v4, s4 src0_sel:BYTE_3 src1_sel:DWORD
	s_mov_b64 s[4:5], -1
                                        ; implicit-def: $sgpr10
	s_and_saveexec_b64 s[8:9], s[12:13]
; %bb.3934:
	s_mov_b32 s10, 0x7f800001
	s_xor_b64 s[4:5], exec, -1
; %bb.3935:
	s_or_b64 exec, exec, s[8:9]
	s_and_b64 s[4:5], s[4:5], exec
	s_or_saveexec_b64 s[6:7], s[6:7]
	v_mov_b32_e32 v3, s10
	s_xor_b64 exec, exec, s[6:7]
	s_cbranch_execz .LBB3_1886
.LBB3_3936:
	v_mov_b32_e32 v3, 0
	v_cmp_ne_u16_sdwa s[8:9], v4, v3 src0_sel:BYTE_3 src1_sel:DWORD
	s_andn2_b64 s[4:5], s[4:5], exec
	s_and_b64 s[8:9], s[8:9], exec
	s_or_b64 s[4:5], s[4:5], s[8:9]
	s_or_b64 exec, exec, s[6:7]
	s_and_saveexec_b64 s[6:7], s[4:5]
	s_cbranch_execnz .LBB3_1887
	s_branch .LBB3_1888
.LBB3_3937:
	s_movk_i32 s4, 0x80
	v_cmp_eq_u16_sdwa s[12:13], v9, s4 src0_sel:BYTE_0 src1_sel:DWORD
	s_mov_b64 s[4:5], -1
                                        ; implicit-def: $sgpr10
	s_and_saveexec_b64 s[8:9], s[12:13]
; %bb.3938:
	s_mov_b32 s10, 0x7f800001
	s_xor_b64 s[4:5], exec, -1
; %bb.3939:
	s_or_b64 exec, exec, s[8:9]
	s_and_b64 s[4:5], s[4:5], exec
	s_or_saveexec_b64 s[6:7], s[6:7]
	v_mov_b32_e32 v2, s10
	s_xor_b64 exec, exec, s[6:7]
	s_cbranch_execz .LBB3_1890
.LBB3_3940:
	v_mov_b32_e32 v2, 0
	v_cmp_ne_u16_sdwa s[8:9], v9, v2 src0_sel:BYTE_0 src1_sel:DWORD
	s_andn2_b64 s[4:5], s[4:5], exec
	s_and_b64 s[8:9], s[8:9], exec
	s_or_b64 s[4:5], s[4:5], s[8:9]
	s_or_b64 exec, exec, s[6:7]
	s_and_saveexec_b64 s[6:7], s[4:5]
	s_cbranch_execnz .LBB3_1891
	s_branch .LBB3_1892
.LBB3_3941:
	s_movk_i32 s4, 0x80
	v_cmp_eq_u16_sdwa s[12:13], v5, s4 src0_sel:BYTE_0 src1_sel:DWORD
	s_mov_b64 s[4:5], -1
                                        ; implicit-def: $sgpr10
	s_and_saveexec_b64 s[8:9], s[12:13]
; %bb.3942:
	s_mov_b32 s10, 0x7f800001
	s_xor_b64 s[4:5], exec, -1
; %bb.3943:
	s_or_b64 exec, exec, s[8:9]
	s_and_b64 s[4:5], s[4:5], exec
	s_or_saveexec_b64 s[6:7], s[6:7]
	v_mov_b32_e32 v3, s10
	s_xor_b64 exec, exec, s[6:7]
	s_cbranch_execz .LBB3_1894
.LBB3_3944:
	v_mov_b32_e32 v3, 0
	v_cmp_ne_u16_sdwa s[8:9], v5, v3 src0_sel:BYTE_0 src1_sel:DWORD
	s_andn2_b64 s[4:5], s[4:5], exec
	s_and_b64 s[8:9], s[8:9], exec
	s_or_b64 s[4:5], s[4:5], s[8:9]
	s_or_b64 exec, exec, s[6:7]
	s_and_saveexec_b64 s[6:7], s[4:5]
	s_cbranch_execnz .LBB3_1895
	s_branch .LBB3_1896
.LBB3_3945:
	s_movk_i32 s4, 0x80
	v_cmp_eq_u16_sdwa s[12:13], v3, s4 src0_sel:BYTE_0 src1_sel:DWORD
	s_mov_b64 s[4:5], -1
                                        ; implicit-def: $sgpr10
	s_and_saveexec_b64 s[8:9], s[12:13]
; %bb.3946:
	s_mov_b32 s10, 0x7f800001
	s_xor_b64 s[4:5], exec, -1
; %bb.3947:
	s_or_b64 exec, exec, s[8:9]
	s_and_b64 s[4:5], s[4:5], exec
	s_or_saveexec_b64 s[6:7], s[6:7]
	v_mov_b32_e32 v2, s10
	s_xor_b64 exec, exec, s[6:7]
	s_cbranch_execz .LBB3_1898
.LBB3_3948:
	v_mov_b32_e32 v2, 0
	v_cmp_ne_u16_sdwa s[8:9], v3, v2 src0_sel:BYTE_0 src1_sel:DWORD
	s_andn2_b64 s[4:5], s[4:5], exec
	s_and_b64 s[8:9], s[8:9], exec
	s_or_b64 s[4:5], s[4:5], s[8:9]
	s_or_b64 exec, exec, s[6:7]
	s_and_saveexec_b64 s[6:7], s[4:5]
	s_cbranch_execnz .LBB3_1899
	s_branch .LBB3_1900
.LBB3_3949:
	s_movk_i32 s4, 0x80
	v_cmp_eq_u16_sdwa s[12:13], v3, s4 src0_sel:BYTE_0 src1_sel:DWORD
	s_mov_b64 s[4:5], -1
                                        ; implicit-def: $sgpr10
	s_and_saveexec_b64 s[8:9], s[12:13]
; %bb.3950:
	s_mov_b32 s10, 0x7f800001
	s_xor_b64 s[4:5], exec, -1
; %bb.3951:
	s_or_b64 exec, exec, s[8:9]
	s_and_b64 s[4:5], s[4:5], exec
	s_or_saveexec_b64 s[6:7], s[6:7]
	v_mov_b32_e32 v4, s10
	s_xor_b64 exec, exec, s[6:7]
	s_cbranch_execz .LBB3_1902
.LBB3_3952:
	v_mov_b32_e32 v4, 0
	v_cmp_ne_u16_sdwa s[8:9], v3, v4 src0_sel:BYTE_0 src1_sel:DWORD
	s_andn2_b64 s[4:5], s[4:5], exec
	s_and_b64 s[8:9], s[8:9], exec
	s_or_b64 s[4:5], s[4:5], s[8:9]
	s_or_b64 exec, exec, s[6:7]
	s_and_saveexec_b64 s[6:7], s[4:5]
	s_cbranch_execnz .LBB3_1903
	s_branch .LBB3_1904
.LBB3_3953:
	s_movk_i32 s4, 0x80
	v_cmp_eq_u16_e32 vcc, s4, v3
	s_mov_b64 s[4:5], -1
                                        ; implicit-def: $sgpr10
	s_and_saveexec_b64 s[8:9], vcc
; %bb.3954:
	s_mov_b32 s10, 0x7f800001
	s_xor_b64 s[4:5], exec, -1
; %bb.3955:
	s_or_b64 exec, exec, s[8:9]
	s_and_b64 s[4:5], s[4:5], exec
                                        ; implicit-def: $vgpr3
	s_or_saveexec_b64 s[6:7], s[6:7]
	v_mov_b32_e32 v2, s10
	s_xor_b64 exec, exec, s[6:7]
	s_cbranch_execz .LBB3_1906
.LBB3_3956:
	v_cmp_ne_u16_e32 vcc, 0, v3
	s_andn2_b64 s[4:5], s[4:5], exec
	s_and_b64 s[8:9], vcc, exec
	v_mov_b32_e32 v2, 0
	s_or_b64 s[4:5], s[4:5], s[8:9]
	s_or_b64 exec, exec, s[6:7]
	s_and_saveexec_b64 s[6:7], s[4:5]
	s_cbranch_execnz .LBB3_1907
	s_branch .LBB3_1908
.LBB3_3957:
	s_movk_i32 s4, 0x80
	v_cmp_eq_u16_e32 vcc, s4, v3
	s_mov_b64 s[4:5], -1
                                        ; implicit-def: $sgpr10
	s_and_saveexec_b64 s[8:9], vcc
; %bb.3958:
	s_mov_b32 s10, 0x7f800001
	s_xor_b64 s[4:5], exec, -1
; %bb.3959:
	s_or_b64 exec, exec, s[8:9]
	s_and_b64 s[4:5], s[4:5], exec
                                        ; implicit-def: $vgpr3
	s_or_saveexec_b64 s[6:7], s[6:7]
	v_mov_b32_e32 v4, s10
	s_xor_b64 exec, exec, s[6:7]
	s_cbranch_execz .LBB3_1910
.LBB3_3960:
	v_cmp_ne_u16_e32 vcc, 0, v3
	s_andn2_b64 s[4:5], s[4:5], exec
	s_and_b64 s[8:9], vcc, exec
	v_mov_b32_e32 v4, 0
	s_or_b64 s[4:5], s[4:5], s[8:9]
	s_or_b64 exec, exec, s[6:7]
	s_and_saveexec_b64 s[6:7], s[4:5]
	s_cbranch_execnz .LBB3_1911
	s_branch .LBB3_1912
.LBB3_3961:
	s_movk_i32 s4, 0x80
	v_cmp_eq_u16_sdwa s[12:13], v9, s4 src0_sel:BYTE_3 src1_sel:DWORD
	s_mov_b64 s[4:5], -1
                                        ; implicit-def: $sgpr10
	s_and_saveexec_b64 s[8:9], s[12:13]
; %bb.3962:
	s_mov_b32 s10, 0x7f800001
	s_xor_b64 s[4:5], exec, -1
; %bb.3963:
	s_or_b64 exec, exec, s[8:9]
	s_and_b64 s[4:5], s[4:5], exec
	s_or_saveexec_b64 s[6:7], s[6:7]
	v_mov_b32_e32 v2, s10
	s_xor_b64 exec, exec, s[6:7]
	s_cbranch_execz .LBB3_1914
.LBB3_3964:
	v_mov_b32_e32 v2, 0
	v_cmp_ne_u16_sdwa s[8:9], v9, v2 src0_sel:BYTE_3 src1_sel:DWORD
	s_andn2_b64 s[4:5], s[4:5], exec
	s_and_b64 s[8:9], s[8:9], exec
	s_or_b64 s[4:5], s[4:5], s[8:9]
	s_or_b64 exec, exec, s[6:7]
	s_and_saveexec_b64 s[6:7], s[4:5]
	s_cbranch_execnz .LBB3_1915
	s_branch .LBB3_1916
.LBB3_3965:
	s_movk_i32 s4, 0x80
	v_cmp_eq_u16_sdwa s[12:13], v5, s4 src0_sel:BYTE_3 src1_sel:DWORD
	s_mov_b64 s[4:5], -1
                                        ; implicit-def: $sgpr10
	s_and_saveexec_b64 s[8:9], s[12:13]
; %bb.3966:
	s_mov_b32 s10, 0x7f800001
	s_xor_b64 s[4:5], exec, -1
; %bb.3967:
	s_or_b64 exec, exec, s[8:9]
	s_and_b64 s[4:5], s[4:5], exec
	s_or_saveexec_b64 s[6:7], s[6:7]
	v_mov_b32_e32 v3, s10
	s_xor_b64 exec, exec, s[6:7]
	s_cbranch_execz .LBB3_1918
.LBB3_3968:
	v_mov_b32_e32 v3, 0
	v_cmp_ne_u16_sdwa s[8:9], v5, v3 src0_sel:BYTE_3 src1_sel:DWORD
	s_andn2_b64 s[4:5], s[4:5], exec
	s_and_b64 s[8:9], s[8:9], exec
	s_or_b64 s[4:5], s[4:5], s[8:9]
	s_or_b64 exec, exec, s[6:7]
	s_and_saveexec_b64 s[6:7], s[4:5]
	s_cbranch_execnz .LBB3_1919
	s_branch .LBB3_1920
.LBB3_3969:
	s_movk_i32 s4, 0x80
	v_cmp_eq_u16_sdwa s[12:13], v4, s4 src0_sel:BYTE_0 src1_sel:DWORD
	s_mov_b64 s[4:5], -1
                                        ; implicit-def: $sgpr10
	s_and_saveexec_b64 s[8:9], s[12:13]
; %bb.3970:
	s_mov_b32 s10, 0x7f800001
	s_xor_b64 s[4:5], exec, -1
; %bb.3971:
	s_or_b64 exec, exec, s[8:9]
	s_and_b64 s[4:5], s[4:5], exec
	s_or_saveexec_b64 s[6:7], s[6:7]
	v_mov_b32_e32 v10, s10
	s_xor_b64 exec, exec, s[6:7]
	s_cbranch_execz .LBB3_1922
.LBB3_3972:
	v_mov_b32_e32 v10, 0
	v_cmp_ne_u16_sdwa s[8:9], v4, v10 src0_sel:BYTE_0 src1_sel:DWORD
	s_andn2_b64 s[4:5], s[4:5], exec
	s_and_b64 s[8:9], s[8:9], exec
	s_or_b64 s[4:5], s[4:5], s[8:9]
	s_or_b64 exec, exec, s[6:7]
	s_and_saveexec_b64 s[6:7], s[4:5]
	s_cbranch_execnz .LBB3_1923
	s_branch .LBB3_1924
.LBB3_3973:
	s_movk_i32 s4, 0x80
	v_cmp_eq_u16_sdwa s[12:13], v0, s4 src0_sel:BYTE_0 src1_sel:DWORD
	s_mov_b64 s[4:5], -1
                                        ; implicit-def: $sgpr10
	s_and_saveexec_b64 s[8:9], s[12:13]
; %bb.3974:
	s_mov_b32 s10, 0x7f800001
	s_xor_b64 s[4:5], exec, -1
; %bb.3975:
	s_or_b64 exec, exec, s[8:9]
	s_and_b64 s[4:5], s[4:5], exec
	s_or_saveexec_b64 s[6:7], s[6:7]
	v_mov_b32_e32 v11, s10
	s_xor_b64 exec, exec, s[6:7]
	s_cbranch_execz .LBB3_1926
.LBB3_3976:
	v_mov_b32_e32 v11, 0
	v_cmp_ne_u16_sdwa s[8:9], v0, v11 src0_sel:BYTE_0 src1_sel:DWORD
	s_andn2_b64 s[4:5], s[4:5], exec
	s_and_b64 s[8:9], s[8:9], exec
	s_or_b64 s[4:5], s[4:5], s[8:9]
	s_or_b64 exec, exec, s[6:7]
	s_and_saveexec_b64 s[6:7], s[4:5]
	s_cbranch_execnz .LBB3_1927
	s_branch .LBB3_1928
.LBB3_3977:
	s_movk_i32 s4, 0x80
	v_cmp_eq_u16_sdwa s[12:13], v11, s4 src0_sel:BYTE_0 src1_sel:DWORD
	s_mov_b64 s[4:5], -1
                                        ; implicit-def: $sgpr10
	s_and_saveexec_b64 s[8:9], s[12:13]
; %bb.3978:
	s_mov_b32 s10, 0x7f800001
	s_xor_b64 s[4:5], exec, -1
; %bb.3979:
	s_or_b64 exec, exec, s[8:9]
	s_and_b64 s[4:5], s[4:5], exec
	s_or_saveexec_b64 s[6:7], s[6:7]
	v_mov_b32_e32 v10, s10
	s_xor_b64 exec, exec, s[6:7]
	s_cbranch_execz .LBB3_1930
.LBB3_3980:
	v_mov_b32_e32 v10, 0
	v_cmp_ne_u16_sdwa s[8:9], v11, v10 src0_sel:BYTE_0 src1_sel:DWORD
	s_andn2_b64 s[4:5], s[4:5], exec
	s_and_b64 s[8:9], s[8:9], exec
	s_or_b64 s[4:5], s[4:5], s[8:9]
	s_or_b64 exec, exec, s[6:7]
	s_and_saveexec_b64 s[6:7], s[4:5]
	s_cbranch_execnz .LBB3_1931
	s_branch .LBB3_1932
.LBB3_3981:
	s_movk_i32 s4, 0x80
	v_cmp_eq_u16_sdwa s[12:13], v11, s4 src0_sel:BYTE_0 src1_sel:DWORD
	s_mov_b64 s[4:5], -1
                                        ; implicit-def: $sgpr10
	s_and_saveexec_b64 s[8:9], s[12:13]
; %bb.3982:
	s_mov_b32 s10, 0x7f800001
	s_xor_b64 s[4:5], exec, -1
; %bb.3983:
	s_or_b64 exec, exec, s[8:9]
	s_and_b64 s[4:5], s[4:5], exec
	s_or_saveexec_b64 s[6:7], s[6:7]
	v_mov_b32_e32 v12, s10
	s_xor_b64 exec, exec, s[6:7]
	s_cbranch_execz .LBB3_1934
.LBB3_3984:
	v_mov_b32_e32 v12, 0
	v_cmp_ne_u16_sdwa s[8:9], v11, v12 src0_sel:BYTE_0 src1_sel:DWORD
	s_andn2_b64 s[4:5], s[4:5], exec
	s_and_b64 s[8:9], s[8:9], exec
	s_or_b64 s[4:5], s[4:5], s[8:9]
	s_or_b64 exec, exec, s[6:7]
	s_and_saveexec_b64 s[6:7], s[4:5]
	s_cbranch_execnz .LBB3_1935
	s_branch .LBB3_1936
.LBB3_3985:
	s_movk_i32 s4, 0x80
	v_cmp_eq_u16_e32 vcc, s4, v11
	s_mov_b64 s[4:5], -1
                                        ; implicit-def: $sgpr10
	s_and_saveexec_b64 s[8:9], vcc
; %bb.3986:
	s_mov_b32 s10, 0x7f800001
	s_xor_b64 s[4:5], exec, -1
; %bb.3987:
	s_or_b64 exec, exec, s[8:9]
	s_and_b64 s[4:5], s[4:5], exec
                                        ; implicit-def: $vgpr11
	s_or_saveexec_b64 s[6:7], s[6:7]
	v_mov_b32_e32 v10, s10
	s_xor_b64 exec, exec, s[6:7]
	s_cbranch_execz .LBB3_1938
.LBB3_3988:
	v_cmp_ne_u16_e32 vcc, 0, v11
	s_andn2_b64 s[4:5], s[4:5], exec
	s_and_b64 s[8:9], vcc, exec
	v_mov_b32_e32 v10, 0
	s_or_b64 s[4:5], s[4:5], s[8:9]
	s_or_b64 exec, exec, s[6:7]
	s_and_saveexec_b64 s[6:7], s[4:5]
	s_cbranch_execnz .LBB3_1939
	s_branch .LBB3_1940
.LBB3_3989:
	s_movk_i32 s4, 0x80
	v_cmp_eq_u16_e32 vcc, s4, v11
	s_mov_b64 s[4:5], -1
                                        ; implicit-def: $sgpr10
	s_and_saveexec_b64 s[8:9], vcc
; %bb.3990:
	s_mov_b32 s10, 0x7f800001
	s_xor_b64 s[4:5], exec, -1
; %bb.3991:
	s_or_b64 exec, exec, s[8:9]
	s_and_b64 s[4:5], s[4:5], exec
                                        ; implicit-def: $vgpr11
	s_or_saveexec_b64 s[6:7], s[6:7]
	v_mov_b32_e32 v12, s10
	s_xor_b64 exec, exec, s[6:7]
	s_cbranch_execz .LBB3_1942
.LBB3_3992:
	v_cmp_ne_u16_e32 vcc, 0, v11
	s_andn2_b64 s[4:5], s[4:5], exec
	s_and_b64 s[8:9], vcc, exec
	v_mov_b32_e32 v12, 0
	s_or_b64 s[4:5], s[4:5], s[8:9]
	s_or_b64 exec, exec, s[6:7]
	s_and_saveexec_b64 s[6:7], s[4:5]
	s_cbranch_execnz .LBB3_1943
	s_branch .LBB3_1944
.LBB3_3993:
	s_movk_i32 s4, 0x80
	v_cmp_eq_u16_sdwa s[12:13], v4, s4 src0_sel:BYTE_3 src1_sel:DWORD
	s_mov_b64 s[4:5], -1
                                        ; implicit-def: $sgpr10
	s_and_saveexec_b64 s[8:9], s[12:13]
; %bb.3994:
	s_mov_b32 s10, 0x7f800001
	s_xor_b64 s[4:5], exec, -1
; %bb.3995:
	s_or_b64 exec, exec, s[8:9]
	s_and_b64 s[4:5], s[4:5], exec
	s_or_saveexec_b64 s[6:7], s[6:7]
	v_mov_b32_e32 v10, s10
	s_xor_b64 exec, exec, s[6:7]
	s_cbranch_execz .LBB3_1946
.LBB3_3996:
	v_mov_b32_e32 v10, 0
	v_cmp_ne_u16_sdwa s[8:9], v4, v10 src0_sel:BYTE_3 src1_sel:DWORD
	s_andn2_b64 s[4:5], s[4:5], exec
	s_and_b64 s[8:9], s[8:9], exec
	s_or_b64 s[4:5], s[4:5], s[8:9]
	s_or_b64 exec, exec, s[6:7]
	s_and_saveexec_b64 s[6:7], s[4:5]
	s_cbranch_execnz .LBB3_1947
	s_branch .LBB3_1948
.LBB3_3997:
	s_movk_i32 s4, 0x80
	v_cmp_eq_u16_sdwa s[12:13], v0, s4 src0_sel:BYTE_3 src1_sel:DWORD
	s_mov_b64 s[4:5], -1
                                        ; implicit-def: $sgpr10
	s_and_saveexec_b64 s[8:9], s[12:13]
; %bb.3998:
	s_mov_b32 s10, 0x7f800001
	s_xor_b64 s[4:5], exec, -1
; %bb.3999:
	s_or_b64 exec, exec, s[8:9]
	s_and_b64 s[4:5], s[4:5], exec
	s_or_saveexec_b64 s[6:7], s[6:7]
	v_mov_b32_e32 v4, s10
	s_xor_b64 exec, exec, s[6:7]
	s_cbranch_execz .LBB3_1950
.LBB3_4000:
	v_mov_b32_e32 v4, 0
	v_cmp_ne_u16_sdwa s[8:9], v0, v4 src0_sel:BYTE_3 src1_sel:DWORD
	s_andn2_b64 s[4:5], s[4:5], exec
	s_and_b64 s[8:9], s[8:9], exec
	s_or_b64 s[4:5], s[4:5], s[8:9]
	s_or_b64 exec, exec, s[6:7]
	s_and_saveexec_b64 s[6:7], s[4:5]
	s_cbranch_execnz .LBB3_1951
	s_branch .LBB3_1952
.LBB3_4001:
	s_movk_i32 s4, 0x80
	v_cmp_eq_u16_sdwa s[12:13], v5, s4 src0_sel:BYTE_0 src1_sel:DWORD
	s_mov_b64 s[4:5], -1
                                        ; implicit-def: $sgpr10
	s_and_saveexec_b64 s[8:9], s[12:13]
; %bb.4002:
	s_mov_b32 s10, 0x7f800001
	s_xor_b64 s[4:5], exec, -1
; %bb.4003:
	s_or_b64 exec, exec, s[8:9]
	s_and_b64 s[4:5], s[4:5], exec
	s_or_saveexec_b64 s[6:7], s[6:7]
	v_mov_b32_e32 v0, s10
	s_xor_b64 exec, exec, s[6:7]
	s_cbranch_execz .LBB3_1954
.LBB3_4004:
	v_mov_b32_e32 v0, 0
	v_cmp_ne_u16_sdwa s[8:9], v5, v0 src0_sel:BYTE_0 src1_sel:DWORD
	s_andn2_b64 s[4:5], s[4:5], exec
	s_and_b64 s[8:9], s[8:9], exec
	s_or_b64 s[4:5], s[4:5], s[8:9]
	s_or_b64 exec, exec, s[6:7]
	s_and_saveexec_b64 s[6:7], s[4:5]
	s_cbranch_execnz .LBB3_1955
	s_branch .LBB3_1956
.LBB3_4005:
	s_movk_i32 s4, 0x80
	v_cmp_eq_u16_sdwa s[12:13], v1, s4 src0_sel:BYTE_0 src1_sel:DWORD
	s_mov_b64 s[4:5], -1
                                        ; implicit-def: $sgpr10
	s_and_saveexec_b64 s[8:9], s[12:13]
; %bb.4006:
	s_mov_b32 s10, 0x7f800001
	s_xor_b64 s[4:5], exec, -1
; %bb.4007:
	s_or_b64 exec, exec, s[8:9]
	s_and_b64 s[4:5], s[4:5], exec
	s_or_saveexec_b64 s[6:7], s[6:7]
	v_mov_b32_e32 v4, s10
	s_xor_b64 exec, exec, s[6:7]
	s_cbranch_execz .LBB3_1958
.LBB3_4008:
	v_mov_b32_e32 v4, 0
	v_cmp_ne_u16_sdwa s[8:9], v1, v4 src0_sel:BYTE_0 src1_sel:DWORD
	s_andn2_b64 s[4:5], s[4:5], exec
	s_and_b64 s[8:9], s[8:9], exec
	s_or_b64 s[4:5], s[4:5], s[8:9]
	s_or_b64 exec, exec, s[6:7]
	s_and_saveexec_b64 s[6:7], s[4:5]
	s_cbranch_execnz .LBB3_1959
	s_branch .LBB3_1960
.LBB3_4009:
	s_movk_i32 s4, 0x80
	v_cmp_eq_u16_sdwa s[12:13], v4, s4 src0_sel:BYTE_0 src1_sel:DWORD
	s_mov_b64 s[4:5], -1
                                        ; implicit-def: $sgpr10
	s_and_saveexec_b64 s[8:9], s[12:13]
; %bb.4010:
	s_mov_b32 s10, 0x7f800001
	s_xor_b64 s[4:5], exec, -1
; %bb.4011:
	s_or_b64 exec, exec, s[8:9]
	s_and_b64 s[4:5], s[4:5], exec
	s_or_saveexec_b64 s[6:7], s[6:7]
	v_mov_b32_e32 v0, s10
	s_xor_b64 exec, exec, s[6:7]
	s_cbranch_execz .LBB3_1962
.LBB3_4012:
	v_mov_b32_e32 v0, 0
	v_cmp_ne_u16_sdwa s[8:9], v4, v0 src0_sel:BYTE_0 src1_sel:DWORD
	s_andn2_b64 s[4:5], s[4:5], exec
	s_and_b64 s[8:9], s[8:9], exec
	s_or_b64 s[4:5], s[4:5], s[8:9]
	s_or_b64 exec, exec, s[6:7]
	s_and_saveexec_b64 s[6:7], s[4:5]
	s_cbranch_execnz .LBB3_1963
	s_branch .LBB3_1964
.LBB3_4013:
	s_movk_i32 s4, 0x80
	v_cmp_eq_u16_sdwa s[12:13], v4, s4 src0_sel:BYTE_0 src1_sel:DWORD
	s_mov_b64 s[4:5], -1
                                        ; implicit-def: $sgpr10
	s_and_saveexec_b64 s[8:9], s[12:13]
; %bb.4014:
	s_mov_b32 s10, 0x7f800001
	s_xor_b64 s[4:5], exec, -1
; %bb.4015:
	s_or_b64 exec, exec, s[8:9]
	s_and_b64 s[4:5], s[4:5], exec
	s_or_saveexec_b64 s[6:7], s[6:7]
	v_mov_b32_e32 v10, s10
	s_xor_b64 exec, exec, s[6:7]
	s_cbranch_execz .LBB3_1966
.LBB3_4016:
	v_mov_b32_e32 v10, 0
	v_cmp_ne_u16_sdwa s[8:9], v4, v10 src0_sel:BYTE_0 src1_sel:DWORD
	s_andn2_b64 s[4:5], s[4:5], exec
	s_and_b64 s[8:9], s[8:9], exec
	s_or_b64 s[4:5], s[4:5], s[8:9]
	s_or_b64 exec, exec, s[6:7]
	s_and_saveexec_b64 s[6:7], s[4:5]
	s_cbranch_execnz .LBB3_1967
	s_branch .LBB3_1968
.LBB3_4017:
	s_movk_i32 s4, 0x80
	v_cmp_eq_u16_e32 vcc, s4, v4
	s_mov_b64 s[4:5], -1
                                        ; implicit-def: $sgpr10
	s_and_saveexec_b64 s[8:9], vcc
; %bb.4018:
	s_mov_b32 s10, 0x7f800001
	s_xor_b64 s[4:5], exec, -1
; %bb.4019:
	s_or_b64 exec, exec, s[8:9]
	s_and_b64 s[4:5], s[4:5], exec
                                        ; implicit-def: $vgpr4
	s_or_saveexec_b64 s[6:7], s[6:7]
	v_mov_b32_e32 v0, s10
	s_xor_b64 exec, exec, s[6:7]
	s_cbranch_execz .LBB3_1970
.LBB3_4020:
	v_cmp_ne_u16_e32 vcc, 0, v4
	s_andn2_b64 s[4:5], s[4:5], exec
	s_and_b64 s[8:9], vcc, exec
	v_mov_b32_e32 v0, 0
	s_or_b64 s[4:5], s[4:5], s[8:9]
	s_or_b64 exec, exec, s[6:7]
	s_and_saveexec_b64 s[6:7], s[4:5]
	s_cbranch_execnz .LBB3_1971
	s_branch .LBB3_1972
.LBB3_4021:
	s_movk_i32 s4, 0x80
	v_cmp_eq_u16_e32 vcc, s4, v4
	s_mov_b64 s[4:5], -1
                                        ; implicit-def: $sgpr10
	s_and_saveexec_b64 s[8:9], vcc
; %bb.4022:
	s_mov_b32 s10, 0x7f800001
	s_xor_b64 s[4:5], exec, -1
; %bb.4023:
	s_or_b64 exec, exec, s[8:9]
	s_and_b64 s[4:5], s[4:5], exec
                                        ; implicit-def: $vgpr4
	s_or_saveexec_b64 s[6:7], s[6:7]
	v_mov_b32_e32 v10, s10
	s_xor_b64 exec, exec, s[6:7]
	s_cbranch_execz .LBB3_1974
.LBB3_4024:
	v_cmp_ne_u16_e32 vcc, 0, v4
	s_andn2_b64 s[4:5], s[4:5], exec
	s_and_b64 s[8:9], vcc, exec
	v_mov_b32_e32 v10, 0
	s_or_b64 s[4:5], s[4:5], s[8:9]
	s_or_b64 exec, exec, s[6:7]
	s_and_saveexec_b64 s[6:7], s[4:5]
	s_cbranch_execnz .LBB3_1975
	s_branch .LBB3_1976
.LBB3_4025:
	s_movk_i32 s4, 0x80
	v_cmp_eq_u16_sdwa s[12:13], v5, s4 src0_sel:BYTE_3 src1_sel:DWORD
	s_mov_b64 s[4:5], -1
                                        ; implicit-def: $sgpr10
	s_and_saveexec_b64 s[8:9], s[12:13]
; %bb.4026:
	s_mov_b32 s10, 0x7f800001
	s_xor_b64 s[4:5], exec, -1
; %bb.4027:
	s_or_b64 exec, exec, s[8:9]
	s_and_b64 s[4:5], s[4:5], exec
	s_or_saveexec_b64 s[6:7], s[6:7]
	v_mov_b32_e32 v0, s10
	s_xor_b64 exec, exec, s[6:7]
	s_cbranch_execz .LBB3_1978
.LBB3_4028:
	v_mov_b32_e32 v0, 0
	v_cmp_ne_u16_sdwa s[8:9], v5, v0 src0_sel:BYTE_3 src1_sel:DWORD
	s_andn2_b64 s[4:5], s[4:5], exec
	s_and_b64 s[8:9], s[8:9], exec
	s_or_b64 s[4:5], s[4:5], s[8:9]
	s_or_b64 exec, exec, s[6:7]
	s_and_saveexec_b64 s[6:7], s[4:5]
	s_cbranch_execnz .LBB3_1979
	s_branch .LBB3_1980
.LBB3_4029:
	s_movk_i32 s4, 0x80
	v_cmp_eq_u16_sdwa s[12:13], v1, s4 src0_sel:BYTE_3 src1_sel:DWORD
	s_mov_b64 s[4:5], -1
                                        ; implicit-def: $sgpr10
	s_and_saveexec_b64 s[8:9], s[12:13]
; %bb.4030:
	s_mov_b32 s10, 0x7f800001
	s_xor_b64 s[4:5], exec, -1
; %bb.4031:
	s_or_b64 exec, exec, s[8:9]
	s_and_b64 s[4:5], s[4:5], exec
	s_or_saveexec_b64 s[6:7], s[6:7]
	v_mov_b32_e32 v4, s10
	s_xor_b64 exec, exec, s[6:7]
	s_cbranch_execz .LBB3_1982
.LBB3_4032:
	v_mov_b32_e32 v4, 0
	v_cmp_ne_u16_sdwa s[8:9], v1, v4 src0_sel:BYTE_3 src1_sel:DWORD
	s_andn2_b64 s[4:5], s[4:5], exec
	s_and_b64 s[8:9], s[8:9], exec
	s_or_b64 s[4:5], s[4:5], s[8:9]
	s_or_b64 exec, exec, s[6:7]
	s_and_saveexec_b64 s[6:7], s[4:5]
	s_cbranch_execnz .LBB3_1983
	s_branch .LBB3_1984
.LBB3_4033:
	s_movk_i32 s4, 0x80
	v_cmp_eq_u16_sdwa s[12:13], v6, s4 src0_sel:BYTE_0 src1_sel:DWORD
	s_mov_b64 s[4:5], -1
                                        ; implicit-def: $sgpr10
	s_and_saveexec_b64 s[8:9], s[12:13]
; %bb.4034:
	s_mov_b32 s10, 0x7f800001
	s_xor_b64 s[4:5], exec, -1
; %bb.4035:
	s_or_b64 exec, exec, s[8:9]
	s_and_b64 s[4:5], s[4:5], exec
	s_or_saveexec_b64 s[6:7], s[6:7]
	v_mov_b32_e32 v0, s10
	s_xor_b64 exec, exec, s[6:7]
	s_cbranch_execz .LBB3_1986
.LBB3_4036:
	v_mov_b32_e32 v0, 0
	v_cmp_ne_u16_sdwa s[8:9], v6, v0 src0_sel:BYTE_0 src1_sel:DWORD
	s_andn2_b64 s[4:5], s[4:5], exec
	s_and_b64 s[8:9], s[8:9], exec
	s_or_b64 s[4:5], s[4:5], s[8:9]
	s_or_b64 exec, exec, s[6:7]
	s_and_saveexec_b64 s[6:7], s[4:5]
	s_cbranch_execnz .LBB3_1987
	s_branch .LBB3_1988
.LBB3_4037:
	s_movk_i32 s4, 0x80
	v_cmp_eq_u16_sdwa s[12:13], v2, s4 src0_sel:BYTE_0 src1_sel:DWORD
	s_mov_b64 s[4:5], -1
                                        ; implicit-def: $sgpr10
	s_and_saveexec_b64 s[8:9], s[12:13]
; %bb.4038:
	s_mov_b32 s10, 0x7f800001
	s_xor_b64 s[4:5], exec, -1
; %bb.4039:
	s_or_b64 exec, exec, s[8:9]
	s_and_b64 s[4:5], s[4:5], exec
	s_or_saveexec_b64 s[6:7], s[6:7]
	v_mov_b32_e32 v1, s10
	s_xor_b64 exec, exec, s[6:7]
	s_cbranch_execz .LBB3_1990
.LBB3_4040:
	v_mov_b32_e32 v1, 0
	v_cmp_ne_u16_sdwa s[8:9], v2, v1 src0_sel:BYTE_0 src1_sel:DWORD
	s_andn2_b64 s[4:5], s[4:5], exec
	s_and_b64 s[8:9], s[8:9], exec
	s_or_b64 s[4:5], s[4:5], s[8:9]
	s_or_b64 exec, exec, s[6:7]
	s_and_saveexec_b64 s[6:7], s[4:5]
	s_cbranch_execnz .LBB3_1991
	s_branch .LBB3_1992
.LBB3_4041:
	s_movk_i32 s4, 0x80
	v_cmp_eq_u16_sdwa s[12:13], v1, s4 src0_sel:BYTE_0 src1_sel:DWORD
	s_mov_b64 s[4:5], -1
                                        ; implicit-def: $sgpr10
	s_and_saveexec_b64 s[8:9], s[12:13]
; %bb.4042:
	s_mov_b32 s10, 0x7f800001
	s_xor_b64 s[4:5], exec, -1
; %bb.4043:
	s_or_b64 exec, exec, s[8:9]
	s_and_b64 s[4:5], s[4:5], exec
	s_or_saveexec_b64 s[6:7], s[6:7]
	v_mov_b32_e32 v0, s10
	s_xor_b64 exec, exec, s[6:7]
	s_cbranch_execz .LBB3_1994
.LBB3_4044:
	v_mov_b32_e32 v0, 0
	v_cmp_ne_u16_sdwa s[8:9], v1, v0 src0_sel:BYTE_0 src1_sel:DWORD
	s_andn2_b64 s[4:5], s[4:5], exec
	s_and_b64 s[8:9], s[8:9], exec
	s_or_b64 s[4:5], s[4:5], s[8:9]
	s_or_b64 exec, exec, s[6:7]
	s_and_saveexec_b64 s[6:7], s[4:5]
	s_cbranch_execnz .LBB3_1995
	s_branch .LBB3_1996
.LBB3_4045:
	s_movk_i32 s4, 0x80
	v_cmp_eq_u16_sdwa s[12:13], v1, s4 src0_sel:BYTE_0 src1_sel:DWORD
	s_mov_b64 s[4:5], -1
                                        ; implicit-def: $sgpr10
	s_and_saveexec_b64 s[8:9], s[12:13]
; %bb.4046:
	s_mov_b32 s10, 0x7f800001
	s_xor_b64 s[4:5], exec, -1
; %bb.4047:
	s_or_b64 exec, exec, s[8:9]
	s_and_b64 s[4:5], s[4:5], exec
	s_or_saveexec_b64 s[6:7], s[6:7]
	v_mov_b32_e32 v4, s10
	s_xor_b64 exec, exec, s[6:7]
	s_cbranch_execz .LBB3_1998
.LBB3_4048:
	v_mov_b32_e32 v4, 0
	v_cmp_ne_u16_sdwa s[8:9], v1, v4 src0_sel:BYTE_0 src1_sel:DWORD
	s_andn2_b64 s[4:5], s[4:5], exec
	s_and_b64 s[8:9], s[8:9], exec
	s_or_b64 s[4:5], s[4:5], s[8:9]
	s_or_b64 exec, exec, s[6:7]
	s_and_saveexec_b64 s[6:7], s[4:5]
	s_cbranch_execnz .LBB3_1999
	s_branch .LBB3_2000
.LBB3_4049:
	s_movk_i32 s4, 0x80
	v_cmp_eq_u16_e32 vcc, s4, v1
	s_mov_b64 s[4:5], -1
                                        ; implicit-def: $sgpr10
	s_and_saveexec_b64 s[8:9], vcc
; %bb.4050:
	s_mov_b32 s10, 0x7f800001
	s_xor_b64 s[4:5], exec, -1
; %bb.4051:
	s_or_b64 exec, exec, s[8:9]
	s_and_b64 s[4:5], s[4:5], exec
                                        ; implicit-def: $vgpr1
	s_or_saveexec_b64 s[6:7], s[6:7]
	v_mov_b32_e32 v0, s10
	s_xor_b64 exec, exec, s[6:7]
	s_cbranch_execz .LBB3_2002
.LBB3_4052:
	v_cmp_ne_u16_e32 vcc, 0, v1
	s_andn2_b64 s[4:5], s[4:5], exec
	s_and_b64 s[8:9], vcc, exec
	v_mov_b32_e32 v0, 0
	s_or_b64 s[4:5], s[4:5], s[8:9]
	s_or_b64 exec, exec, s[6:7]
	s_and_saveexec_b64 s[6:7], s[4:5]
	s_cbranch_execnz .LBB3_2003
	s_branch .LBB3_2004
.LBB3_4053:
	s_movk_i32 s4, 0x80
	v_cmp_eq_u16_e32 vcc, s4, v1
	s_mov_b64 s[4:5], -1
                                        ; implicit-def: $sgpr10
	s_and_saveexec_b64 s[8:9], vcc
; %bb.4054:
	s_mov_b32 s10, 0x7f800001
	s_xor_b64 s[4:5], exec, -1
; %bb.4055:
	s_or_b64 exec, exec, s[8:9]
	s_and_b64 s[4:5], s[4:5], exec
                                        ; implicit-def: $vgpr1
	s_or_saveexec_b64 s[6:7], s[6:7]
	v_mov_b32_e32 v4, s10
	s_xor_b64 exec, exec, s[6:7]
	s_cbranch_execz .LBB3_2006
.LBB3_4056:
	v_cmp_ne_u16_e32 vcc, 0, v1
	s_andn2_b64 s[4:5], s[4:5], exec
	s_and_b64 s[8:9], vcc, exec
	v_mov_b32_e32 v4, 0
	s_or_b64 s[4:5], s[4:5], s[8:9]
	s_or_b64 exec, exec, s[6:7]
	s_and_saveexec_b64 s[6:7], s[4:5]
	s_cbranch_execnz .LBB3_2007
	s_branch .LBB3_2008
.LBB3_4057:
	s_movk_i32 s4, 0x80
	v_cmp_eq_u16_sdwa s[12:13], v6, s4 src0_sel:BYTE_3 src1_sel:DWORD
	s_mov_b64 s[4:5], -1
                                        ; implicit-def: $sgpr10
	s_and_saveexec_b64 s[8:9], s[12:13]
; %bb.4058:
	s_mov_b32 s10, 0x7f800001
	s_xor_b64 s[4:5], exec, -1
; %bb.4059:
	s_or_b64 exec, exec, s[8:9]
	s_and_b64 s[4:5], s[4:5], exec
	s_or_saveexec_b64 s[6:7], s[6:7]
	v_mov_b32_e32 v0, s10
	s_xor_b64 exec, exec, s[6:7]
	s_cbranch_execz .LBB3_2010
.LBB3_4060:
	v_mov_b32_e32 v0, 0
	v_cmp_ne_u16_sdwa s[8:9], v6, v0 src0_sel:BYTE_3 src1_sel:DWORD
	s_andn2_b64 s[4:5], s[4:5], exec
	s_and_b64 s[8:9], s[8:9], exec
	s_or_b64 s[4:5], s[4:5], s[8:9]
	s_or_b64 exec, exec, s[6:7]
	s_and_saveexec_b64 s[6:7], s[4:5]
	s_cbranch_execnz .LBB3_2011
	s_branch .LBB3_2012
.LBB3_4061:
	s_movk_i32 s4, 0x80
	v_cmp_eq_u16_sdwa s[12:13], v2, s4 src0_sel:BYTE_3 src1_sel:DWORD
	s_mov_b64 s[4:5], -1
                                        ; implicit-def: $sgpr10
	s_and_saveexec_b64 s[8:9], s[12:13]
; %bb.4062:
	s_mov_b32 s10, 0x7f800001
	s_xor_b64 s[4:5], exec, -1
; %bb.4063:
	s_or_b64 exec, exec, s[8:9]
	s_and_b64 s[4:5], s[4:5], exec
	s_or_saveexec_b64 s[6:7], s[6:7]
	v_mov_b32_e32 v1, s10
	s_xor_b64 exec, exec, s[6:7]
	s_cbranch_execz .LBB3_2014
.LBB3_4064:
	v_mov_b32_e32 v1, 0
	v_cmp_ne_u16_sdwa s[8:9], v2, v1 src0_sel:BYTE_3 src1_sel:DWORD
	s_andn2_b64 s[4:5], s[4:5], exec
	s_and_b64 s[8:9], s[8:9], exec
	s_or_b64 s[4:5], s[4:5], s[8:9]
	s_or_b64 exec, exec, s[6:7]
	s_and_saveexec_b64 s[6:7], s[4:5]
	s_cbranch_execnz .LBB3_2015
	s_branch .LBB3_2016
.LBB3_4065:
	s_movk_i32 s4, 0x80
	v_cmp_eq_u16_sdwa s[12:13], v7, s4 src0_sel:BYTE_0 src1_sel:DWORD
	s_mov_b64 s[4:5], -1
                                        ; implicit-def: $sgpr10
	s_and_saveexec_b64 s[8:9], s[12:13]
; %bb.4066:
	s_mov_b32 s10, 0x7f800001
	s_xor_b64 s[4:5], exec, -1
; %bb.4067:
	s_or_b64 exec, exec, s[8:9]
	s_and_b64 s[4:5], s[4:5], exec
	s_or_saveexec_b64 s[6:7], s[6:7]
	v_mov_b32_e32 v0, s10
	s_xor_b64 exec, exec, s[6:7]
	s_cbranch_execz .LBB3_2018
.LBB3_4068:
	v_mov_b32_e32 v0, 0
	v_cmp_ne_u16_sdwa s[8:9], v7, v0 src0_sel:BYTE_0 src1_sel:DWORD
	s_andn2_b64 s[4:5], s[4:5], exec
	s_and_b64 s[8:9], s[8:9], exec
	s_or_b64 s[4:5], s[4:5], s[8:9]
	s_or_b64 exec, exec, s[6:7]
	s_and_saveexec_b64 s[6:7], s[4:5]
	s_cbranch_execnz .LBB3_2019
	s_branch .LBB3_2020
.LBB3_4069:
	s_movk_i32 s4, 0x80
	v_cmp_eq_u16_sdwa s[12:13], v3, s4 src0_sel:BYTE_0 src1_sel:DWORD
	s_mov_b64 s[4:5], -1
                                        ; implicit-def: $sgpr10
	s_and_saveexec_b64 s[8:9], s[12:13]
; %bb.4070:
	s_mov_b32 s10, 0x7f800001
	s_xor_b64 s[4:5], exec, -1
; %bb.4071:
	s_or_b64 exec, exec, s[8:9]
	s_and_b64 s[4:5], s[4:5], exec
	s_or_saveexec_b64 s[6:7], s[6:7]
	v_mov_b32_e32 v1, s10
	s_xor_b64 exec, exec, s[6:7]
	s_cbranch_execz .LBB3_2022
.LBB3_4072:
	v_mov_b32_e32 v1, 0
	v_cmp_ne_u16_sdwa s[8:9], v3, v1 src0_sel:BYTE_0 src1_sel:DWORD
	s_andn2_b64 s[4:5], s[4:5], exec
	s_and_b64 s[8:9], s[8:9], exec
	s_or_b64 s[4:5], s[4:5], s[8:9]
	s_or_b64 exec, exec, s[6:7]
	s_and_saveexec_b64 s[6:7], s[4:5]
	s_cbranch_execnz .LBB3_2023
	s_branch .LBB3_2024
.LBB3_4073:
	s_movk_i32 s4, 0x80
	v_cmp_eq_u16_sdwa s[12:13], v1, s4 src0_sel:BYTE_0 src1_sel:DWORD
	s_mov_b64 s[4:5], -1
                                        ; implicit-def: $sgpr10
	s_and_saveexec_b64 s[8:9], s[12:13]
; %bb.4074:
	s_mov_b32 s10, 0x7f800001
	s_xor_b64 s[4:5], exec, -1
; %bb.4075:
	s_or_b64 exec, exec, s[8:9]
	s_and_b64 s[4:5], s[4:5], exec
	s_or_saveexec_b64 s[6:7], s[6:7]
	v_mov_b32_e32 v0, s10
	s_xor_b64 exec, exec, s[6:7]
	s_cbranch_execz .LBB3_2026
.LBB3_4076:
	v_mov_b32_e32 v0, 0
	v_cmp_ne_u16_sdwa s[8:9], v1, v0 src0_sel:BYTE_0 src1_sel:DWORD
	s_andn2_b64 s[4:5], s[4:5], exec
	s_and_b64 s[8:9], s[8:9], exec
	s_or_b64 s[4:5], s[4:5], s[8:9]
	s_or_b64 exec, exec, s[6:7]
	s_and_saveexec_b64 s[6:7], s[4:5]
	s_cbranch_execnz .LBB3_2027
	s_branch .LBB3_2028
.LBB3_4077:
	s_movk_i32 s4, 0x80
	v_cmp_eq_u16_sdwa s[12:13], v1, s4 src0_sel:BYTE_0 src1_sel:DWORD
	s_mov_b64 s[4:5], -1
                                        ; implicit-def: $sgpr10
	s_and_saveexec_b64 s[8:9], s[12:13]
; %bb.4078:
	s_mov_b32 s10, 0x7f800001
	s_xor_b64 s[4:5], exec, -1
; %bb.4079:
	s_or_b64 exec, exec, s[8:9]
	s_and_b64 s[4:5], s[4:5], exec
	s_or_saveexec_b64 s[6:7], s[6:7]
	v_mov_b32_e32 v2, s10
	s_xor_b64 exec, exec, s[6:7]
	s_cbranch_execz .LBB3_2030
.LBB3_4080:
	v_mov_b32_e32 v2, 0
	v_cmp_ne_u16_sdwa s[8:9], v1, v2 src0_sel:BYTE_0 src1_sel:DWORD
	s_andn2_b64 s[4:5], s[4:5], exec
	s_and_b64 s[8:9], s[8:9], exec
	s_or_b64 s[4:5], s[4:5], s[8:9]
	s_or_b64 exec, exec, s[6:7]
	s_and_saveexec_b64 s[6:7], s[4:5]
	s_cbranch_execnz .LBB3_2031
	s_branch .LBB3_2032
.LBB3_4081:
	s_movk_i32 s4, 0x80
	v_cmp_eq_u16_e32 vcc, s4, v1
	s_mov_b64 s[4:5], -1
                                        ; implicit-def: $sgpr10
	s_and_saveexec_b64 s[8:9], vcc
; %bb.4082:
	s_mov_b32 s10, 0x7f800001
	s_xor_b64 s[4:5], exec, -1
; %bb.4083:
	s_or_b64 exec, exec, s[8:9]
	s_and_b64 s[4:5], s[4:5], exec
                                        ; implicit-def: $vgpr1
	s_or_saveexec_b64 s[6:7], s[6:7]
	v_mov_b32_e32 v0, s10
	s_xor_b64 exec, exec, s[6:7]
	s_cbranch_execz .LBB3_2034
.LBB3_4084:
	v_cmp_ne_u16_e32 vcc, 0, v1
	s_andn2_b64 s[4:5], s[4:5], exec
	s_and_b64 s[8:9], vcc, exec
	v_mov_b32_e32 v0, 0
	s_or_b64 s[4:5], s[4:5], s[8:9]
	s_or_b64 exec, exec, s[6:7]
	s_and_saveexec_b64 s[6:7], s[4:5]
	s_cbranch_execnz .LBB3_2035
	s_branch .LBB3_2036
.LBB3_4085:
	s_movk_i32 s4, 0x80
	v_cmp_eq_u16_e32 vcc, s4, v1
	s_mov_b64 s[4:5], -1
                                        ; implicit-def: $sgpr10
	s_and_saveexec_b64 s[8:9], vcc
; %bb.4086:
	s_mov_b32 s10, 0x7f800001
	s_xor_b64 s[4:5], exec, -1
; %bb.4087:
	s_or_b64 exec, exec, s[8:9]
	s_and_b64 s[4:5], s[4:5], exec
                                        ; implicit-def: $vgpr1
	s_or_saveexec_b64 s[6:7], s[6:7]
	v_mov_b32_e32 v2, s10
	s_xor_b64 exec, exec, s[6:7]
	s_cbranch_execz .LBB3_2038
.LBB3_4088:
	v_cmp_ne_u16_e32 vcc, 0, v1
	s_andn2_b64 s[4:5], s[4:5], exec
	s_and_b64 s[8:9], vcc, exec
	v_mov_b32_e32 v2, 0
	s_or_b64 s[4:5], s[4:5], s[8:9]
	s_or_b64 exec, exec, s[6:7]
	s_and_saveexec_b64 s[6:7], s[4:5]
	s_cbranch_execnz .LBB3_2039
	s_branch .LBB3_2040
.LBB3_4089:
	s_movk_i32 s4, 0x80
	v_cmp_eq_u16_sdwa s[12:13], v7, s4 src0_sel:BYTE_3 src1_sel:DWORD
	s_mov_b64 s[4:5], -1
                                        ; implicit-def: $sgpr10
	s_and_saveexec_b64 s[8:9], s[12:13]
; %bb.4090:
	s_mov_b32 s10, 0x7f800001
	s_xor_b64 s[4:5], exec, -1
; %bb.4091:
	s_or_b64 exec, exec, s[8:9]
	s_and_b64 s[4:5], s[4:5], exec
	s_or_saveexec_b64 s[6:7], s[6:7]
	v_mov_b32_e32 v0, s10
	s_xor_b64 exec, exec, s[6:7]
	s_cbranch_execz .LBB3_2042
.LBB3_4092:
	v_mov_b32_e32 v0, 0
	v_cmp_ne_u16_sdwa s[8:9], v7, v0 src0_sel:BYTE_3 src1_sel:DWORD
	s_andn2_b64 s[4:5], s[4:5], exec
	s_and_b64 s[8:9], s[8:9], exec
	s_or_b64 s[4:5], s[4:5], s[8:9]
	s_or_b64 exec, exec, s[6:7]
	s_and_saveexec_b64 s[6:7], s[4:5]
	s_cbranch_execnz .LBB3_2043
	s_branch .LBB3_2044
.LBB3_4093:
	s_movk_i32 s4, 0x80
	v_cmp_eq_u16_sdwa s[12:13], v3, s4 src0_sel:BYTE_3 src1_sel:DWORD
	s_mov_b64 s[4:5], -1
                                        ; implicit-def: $sgpr10
	s_and_saveexec_b64 s[8:9], s[12:13]
; %bb.4094:
	s_mov_b32 s10, 0x7f800001
	s_xor_b64 s[4:5], exec, -1
; %bb.4095:
	s_or_b64 exec, exec, s[8:9]
	s_and_b64 s[4:5], s[4:5], exec
	s_or_saveexec_b64 s[6:7], s[6:7]
	v_mov_b32_e32 v1, s10
	s_xor_b64 exec, exec, s[6:7]
	s_cbranch_execz .LBB3_2046
.LBB3_4096:
	v_mov_b32_e32 v1, 0
	v_cmp_ne_u16_sdwa s[8:9], v3, v1 src0_sel:BYTE_3 src1_sel:DWORD
	s_andn2_b64 s[4:5], s[4:5], exec
	s_and_b64 s[8:9], s[8:9], exec
	s_or_b64 s[4:5], s[4:5], s[8:9]
	s_or_b64 exec, exec, s[6:7]
	s_and_saveexec_b64 s[6:7], s[4:5]
	s_cbranch_execnz .LBB3_2047
	s_branch .LBB3_2048
.Lfunc_end3:
	.size	_ZNK2ck6detail7applierIiJLi0ELi1ELi2ELi3ELi4ELi5ELi6ELi7ELi8ELi9ELi10ELi11ELi12ELi13ELi14ELi15EEEclIZNKS_11static_fordINS_8SequenceIJLi4ELi4EEEENS5_IJLi0ELi1EEEEEclIZZZZNKS_31BlockwiseGemmXdlops_pipeline_v2ILNS_26BlockGemmPipelineSchedulerE1ELi256ENS_9f8_fnuz_tENS_7pk_i4_tESC_fNS_16TensorDescriptorINS_5TupleIJNS_5EmbedINSF_IJNS_17integral_constantIiLi8EEENSH_IiLi128EEENSH_IiLi16EEEEEENSF_IJSK_SJ_NSH_IiLi1EEEEEELb0EEENS_3XorINSF_IJSJ_SI_EEELb1EEENS_11PassThroughISK_EENS_7UnMergeINSF_IJSI_SM_EEELb0EEENSS_ISJ_EEST_NSS_ISI_EENS_21Merge_v3_division_modINSF_IJSJ_SM_EEEEEST_EEENSF_IJNS5_IJLi0EEEENS5_IJLi2ELi1EEEENS5_IJLi3EEEENS5_IJLi5EEEENS5_IJLi4EEEENS5_IJLi6EEEENS5_IJLi7EEEENS5_IJLi9ELi8EEEENS5_IJLi10EEEEEEENSF_IJNS5_IJLi1ELi2ELi3EEEENS5_IJLi4ELi5EEEES18_NS5_IJLi7ELi8EEEENS5_IJLi9EEEES1B_NS5_IJLi11EEEENS5_IJLi12EEEENS5_IJLi13EEEEEEENS5_IJLi11ELi12ELi13EEEENSH_IlLl16384EEEEENSE_INSF_IJNSG_INSF_IJSK_NSH_IiLi64EEESK_EEENSF_IJSK_NSH_IiLi256EEESM_EEELb0EEENSP_INSF_IJS1O_SK_EEELb1EEEST_NSU_INSF_IJSI_NSH_IiLi2EEEEEELb0EEENSS_IS1O_EEST_SY_NSZ_INSF_IJS1O_S1V_EEEEEST_EEES1C_S1K_S1L_S1M_EENSE_INSF_IJSO_SR_ST_SW_SX_ST_SY_S11_ST_NSZ_INSF_IJSI_SK_EEEEENSU_INSF_IJNSH_IiLi4EEES1V_SK_EEELb0EEEEEENSF_IJS13_S14_S15_S16_S17_S18_S19_S1A_S1B_NS5_IJLi11ELi13EEEES1I_EEENSF_IJS1D_S1E_S18_S1F_S1G_S1B_S1H_S1I_S1J_NS5_IJLi14EEEENS5_IJLi15ELi16ELi17EEEEEEENS5_IJLi15ELi16ELi17ELi14EEEES1M_EENSE_INSF_IJS1S_S1U_ST_S1X_S1Y_ST_SY_S20_ST_S24_S27_EEES2A_S2D_S2E_S1M_EELi16ELi16ELi128ELi128ELi128ELi16ELi16ELi4ELi4ELi16ELb0EE3RunILb1ELNS_10TailNumberE2ENSE_INSF_IJNSG_INSF_IJiiEEENSF_IJiSM_EEELb0EEENSU_IS2L_Lb0EEENSS_IiEEEEENSF_IJS13_NS5_IJLi2EEEENS5_IJLi1EEEEEEENSF_IJNS5_IJLi1ELi2EEEENS5_IJLi3ELi4EEEES16_EEENS5_IJLi3ELi5ELi4EEEElEES1N_NS_35ThreadGroupTensorSliceTransfer_v4r1INS_15ThisThreadBlockILi256EEENS_16tensor_operation12element_wise11PassThroughES34_LNS_25InMemoryDataOperationEnumE0ENS5_IJLi8ELi128ELi16EEEENS5_IJLi8ELi32ELi1EEEENS5_IJLi1ELi0ELi2EEEESC_SC_RKS2Y_KS1N_S38_NS5_IJLi0ELi1ELi2EEEELi2ELi2ELi16ELi16ELi1ELi1ELb0ELb1ELi2EiEENS_13DynamicBufferILNS_16AddressSpaceEnumE1EKSC_lLb1ELNS_22AmdBufferCoherenceEnumE0EiEENS3E_ILS3F_2ESC_S1M_Lb1ELS3H_0EiEENSF_IJiiiEEENSE_INSF_IJNSU_INSF_IJiiiiEEELb0EEENS_23Merge_v2_magic_divisionIS2L_EENSS_INSF_IJiEEEEES2P_EEENSF_IJS13_NS5_IJLi1ELi3EEEES2R_S17_EEENSF_IJNS5_IJLi1ELi2ELi3ELi4EEEES16_S18_S19_EEENS5_IJLi5ELi6ELi7EEEElEES22_NS2Z_IS31_S34_S34_LS35_0ES36_NS5_IJLi4ELi64ELi1EEEES38_SD_SD_RKS3X_KS22_S38_S3C_Li2ELi2ELi16ELi16ELi1ELi1ELb0ELb1ELi2EiEENS3E_ILS3F_1EKSD_lLb1ELS3H_0EiEENS3E_ILS3F_2ESD_S1M_Lb1ELS3H_0EiEES3K_NS_25StaticBufferTupleOfVectorILS3F_4EfLi16ELi4ELb1ELb0EEEEEvRKT1_RKT2_RT3_RKT4_RT5_RKT6_RKT7_RKT8_RT9_RKT10_RT11_RKT12_RT13_iENKUlT_E0_clISM_EEDaS56_ENKUlS56_E_clINSH_IiLi0EEEEEDaS56_ENKUlS56_E1_clIS5B_EEDaS56_EUlS56_E_EEvS56_EUlS56_E_EEvS56_, .Lfunc_end3-_ZNK2ck6detail7applierIiJLi0ELi1ELi2ELi3ELi4ELi5ELi6ELi7ELi8ELi9ELi10ELi11ELi12ELi13ELi14ELi15EEEclIZNKS_11static_fordINS_8SequenceIJLi4ELi4EEEENS5_IJLi0ELi1EEEEEclIZZZZNKS_31BlockwiseGemmXdlops_pipeline_v2ILNS_26BlockGemmPipelineSchedulerE1ELi256ENS_9f8_fnuz_tENS_7pk_i4_tESC_fNS_16TensorDescriptorINS_5TupleIJNS_5EmbedINSF_IJNS_17integral_constantIiLi8EEENSH_IiLi128EEENSH_IiLi16EEEEEENSF_IJSK_SJ_NSH_IiLi1EEEEEELb0EEENS_3XorINSF_IJSJ_SI_EEELb1EEENS_11PassThroughISK_EENS_7UnMergeINSF_IJSI_SM_EEELb0EEENSS_ISJ_EEST_NSS_ISI_EENS_21Merge_v3_division_modINSF_IJSJ_SM_EEEEEST_EEENSF_IJNS5_IJLi0EEEENS5_IJLi2ELi1EEEENS5_IJLi3EEEENS5_IJLi5EEEENS5_IJLi4EEEENS5_IJLi6EEEENS5_IJLi7EEEENS5_IJLi9ELi8EEEENS5_IJLi10EEEEEEENSF_IJNS5_IJLi1ELi2ELi3EEEENS5_IJLi4ELi5EEEES18_NS5_IJLi7ELi8EEEENS5_IJLi9EEEES1B_NS5_IJLi11EEEENS5_IJLi12EEEENS5_IJLi13EEEEEEENS5_IJLi11ELi12ELi13EEEENSH_IlLl16384EEEEENSE_INSF_IJNSG_INSF_IJSK_NSH_IiLi64EEESK_EEENSF_IJSK_NSH_IiLi256EEESM_EEELb0EEENSP_INSF_IJS1O_SK_EEELb1EEEST_NSU_INSF_IJSI_NSH_IiLi2EEEEEELb0EEENSS_IS1O_EEST_SY_NSZ_INSF_IJS1O_S1V_EEEEEST_EEES1C_S1K_S1L_S1M_EENSE_INSF_IJSO_SR_ST_SW_SX_ST_SY_S11_ST_NSZ_INSF_IJSI_SK_EEEEENSU_INSF_IJNSH_IiLi4EEES1V_SK_EEELb0EEEEEENSF_IJS13_S14_S15_S16_S17_S18_S19_S1A_S1B_NS5_IJLi11ELi13EEEES1I_EEENSF_IJS1D_S1E_S18_S1F_S1G_S1B_S1H_S1I_S1J_NS5_IJLi14EEEENS5_IJLi15ELi16ELi17EEEEEEENS5_IJLi15ELi16ELi17ELi14EEEES1M_EENSE_INSF_IJS1S_S1U_ST_S1X_S1Y_ST_SY_S20_ST_S24_S27_EEES2A_S2D_S2E_S1M_EELi16ELi16ELi128ELi128ELi128ELi16ELi16ELi4ELi4ELi16ELb0EE3RunILb1ELNS_10TailNumberE2ENSE_INSF_IJNSG_INSF_IJiiEEENSF_IJiSM_EEELb0EEENSU_IS2L_Lb0EEENSS_IiEEEEENSF_IJS13_NS5_IJLi2EEEENS5_IJLi1EEEEEEENSF_IJNS5_IJLi1ELi2EEEENS5_IJLi3ELi4EEEES16_EEENS5_IJLi3ELi5ELi4EEEElEES1N_NS_35ThreadGroupTensorSliceTransfer_v4r1INS_15ThisThreadBlockILi256EEENS_16tensor_operation12element_wise11PassThroughES34_LNS_25InMemoryDataOperationEnumE0ENS5_IJLi8ELi128ELi16EEEENS5_IJLi8ELi32ELi1EEEENS5_IJLi1ELi0ELi2EEEESC_SC_RKS2Y_KS1N_S38_NS5_IJLi0ELi1ELi2EEEELi2ELi2ELi16ELi16ELi1ELi1ELb0ELb1ELi2EiEENS_13DynamicBufferILNS_16AddressSpaceEnumE1EKSC_lLb1ELNS_22AmdBufferCoherenceEnumE0EiEENS3E_ILS3F_2ESC_S1M_Lb1ELS3H_0EiEENSF_IJiiiEEENSE_INSF_IJNSU_INSF_IJiiiiEEELb0EEENS_23Merge_v2_magic_divisionIS2L_EENSS_INSF_IJiEEEEES2P_EEENSF_IJS13_NS5_IJLi1ELi3EEEES2R_S17_EEENSF_IJNS5_IJLi1ELi2ELi3ELi4EEEES16_S18_S19_EEENS5_IJLi5ELi6ELi7EEEElEES22_NS2Z_IS31_S34_S34_LS35_0ES36_NS5_IJLi4ELi64ELi1EEEES38_SD_SD_RKS3X_KS22_S38_S3C_Li2ELi2ELi16ELi16ELi1ELi1ELb0ELb1ELi2EiEENS3E_ILS3F_1EKSD_lLb1ELS3H_0EiEENS3E_ILS3F_2ESD_S1M_Lb1ELS3H_0EiEES3K_NS_25StaticBufferTupleOfVectorILS3F_4EfLi16ELi4ELb1ELb0EEEEEvRKT1_RKT2_RT3_RKT4_RT5_RKT6_RKT7_RKT8_RT9_RKT10_RT11_RKT12_RT13_iENKUlT_E0_clISM_EEDaS56_ENKUlS56_E_clINSH_IiLi0EEEEEDaS56_ENKUlS56_E1_clIS5B_EEDaS56_EUlS56_E_EEvS56_EUlS56_E_EEvS56_
                                        ; -- End function
	.section	.AMDGPU.csdata,"",@progbits
; Function info:
; codeLenInByte = 134344
; NumSgprs: 36
; NumVgprs: 18
; NumAgprs: 4
; TotalNumVgprs: 24
; ScratchSize: 0
; MemoryBound: 1
	.text
	.p2align	2                               ; -- Begin function _ZNK2ck6detail7applierIiJLi0ELi1ELi2ELi3ELi4ELi5ELi6ELi7ELi8ELi9ELi10ELi11ELi12ELi13ELi14ELi15EEEclIZNKS_11static_fordINS_8SequenceIJLi4ELi4EEEENS5_IJLi0ELi1EEEEEclIZZZZNKS_31BlockwiseGemmXdlops_pipeline_v2ILNS_26BlockGemmPipelineSchedulerE1ELi256ENS_9f8_fnuz_tENS_7pk_i4_tESC_fNS_16TensorDescriptorINS_5TupleIJNS_5EmbedINSF_IJNS_17integral_constantIiLi8EEENSH_IiLi128EEENSH_IiLi16EEEEEENSF_IJSK_SJ_NSH_IiLi1EEEEEELb0EEENS_3XorINSF_IJSJ_SI_EEELb1EEENS_11PassThroughISK_EENS_7UnMergeINSF_IJSI_SM_EEELb0EEENSS_ISJ_EEST_NSS_ISI_EENS_21Merge_v3_division_modINSF_IJSJ_SM_EEEEEST_EEENSF_IJNS5_IJLi0EEEENS5_IJLi2ELi1EEEENS5_IJLi3EEEENS5_IJLi5EEEENS5_IJLi4EEEENS5_IJLi6EEEENS5_IJLi7EEEENS5_IJLi9ELi8EEEENS5_IJLi10EEEEEEENSF_IJNS5_IJLi1ELi2ELi3EEEENS5_IJLi4ELi5EEEES18_NS5_IJLi7ELi8EEEENS5_IJLi9EEEES1B_NS5_IJLi11EEEENS5_IJLi12EEEENS5_IJLi13EEEEEEENS5_IJLi11ELi12ELi13EEEENSH_IlLl16384EEEEENSE_INSF_IJNSG_INSF_IJSK_NSH_IiLi64EEESK_EEENSF_IJSK_NSH_IiLi256EEESM_EEELb0EEENSP_INSF_IJS1O_SK_EEELb1EEEST_NSU_INSF_IJSI_NSH_IiLi2EEEEEELb0EEENSS_IS1O_EEST_SY_NSZ_INSF_IJS1O_S1V_EEEEEST_EEES1C_S1K_S1L_S1M_EENSE_INSF_IJSO_SR_ST_SW_SX_ST_SY_S11_ST_NSZ_INSF_IJSI_SK_EEEEENSU_INSF_IJNSH_IiLi4EEES1V_SK_EEELb0EEEEEENSF_IJS13_S14_S15_S16_S17_S18_S19_S1A_S1B_NS5_IJLi11ELi13EEEES1I_EEENSF_IJS1D_S1E_S18_S1F_S1G_S1B_S1H_S1I_S1J_NS5_IJLi14EEEENS5_IJLi15ELi16ELi17EEEEEEENS5_IJLi15ELi16ELi17ELi14EEEES1M_EENSE_INSF_IJS1S_S1U_ST_S1X_S1Y_ST_SY_S20_ST_S24_S27_EEES2A_S2D_S2E_S1M_EELi16ELi16ELi128ELi128ELi128ELi16ELi16ELi4ELi4ELi16ELb0EE3RunILb1ELNS_10TailNumberE2ENSE_INSF_IJNSG_INSF_IJiiEEENSF_IJiSM_EEELb0EEENSU_IS2L_Lb0EEENSS_IiEEEEENSF_IJS13_NS5_IJLi2EEEENS5_IJLi1EEEEEEENSF_IJNS5_IJLi1ELi2EEEENS5_IJLi3ELi4EEEES16_EEENS5_IJLi3ELi5ELi4EEEElEES1N_NS_35ThreadGroupTensorSliceTransfer_v4r1INS_15ThisThreadBlockILi256EEENS_16tensor_operation12element_wise11PassThroughES34_LNS_25InMemoryDataOperationEnumE0ENS5_IJLi8ELi128ELi16EEEENS5_IJLi8ELi32ELi1EEEENS5_IJLi1ELi0ELi2EEEESC_SC_RKS2Y_KS1N_S38_NS5_IJLi0ELi1ELi2EEEELi2ELi2ELi16ELi16ELi1ELi1ELb0ELb1ELi2EiEENS_13DynamicBufferILNS_16AddressSpaceEnumE1EKSC_lLb1ELNS_22AmdBufferCoherenceEnumE0EiEENS3E_ILS3F_2ESC_S1M_Lb1ELS3H_0EiEENSF_IJiiiEEENSE_INSF_IJNSU_INSF_IJiiiiEEELb0EEENS_23Merge_v2_magic_divisionIS2L_EENSS_INSF_IJiEEEEES2P_EEENSF_IJS13_NS5_IJLi1ELi3EEEES2R_S17_EEENSF_IJNS5_IJLi1ELi2ELi3ELi4EEEES16_S18_S19_EEENS5_IJLi5ELi6ELi7EEEElEES22_NS2Z_IS31_S34_S34_LS35_0ES36_NS5_IJLi4ELi64ELi1EEEES38_SD_SD_RKS3X_KS22_S38_S3C_Li2ELi2ELi16ELi16ELi1ELi1ELb0ELb1ELi2EiEENS3E_ILS3F_1EKSD_lLb1ELS3H_0EiEENS3E_ILS3F_2ESD_S1M_Lb1ELS3H_0EiEES3K_NS_25StaticBufferTupleOfVectorILS3F_4EfLi16ELi4ELb1ELb0EEEEEvRKT1_RKT2_RT3_RKT4_RT5_RKT6_RKT7_RKT8_RT9_RKT10_RT11_RKT12_RT13_iENKUlT_E0_clISM_EEDaS56_ENKUlS56_E_clINSH_IiLi0EEEEEDaS56_ENKUlS56_E1_clISK_EEDaS56_EUlS56_E_EEvS56_EUlS56_E_EEvS56_
	.type	_ZNK2ck6detail7applierIiJLi0ELi1ELi2ELi3ELi4ELi5ELi6ELi7ELi8ELi9ELi10ELi11ELi12ELi13ELi14ELi15EEEclIZNKS_11static_fordINS_8SequenceIJLi4ELi4EEEENS5_IJLi0ELi1EEEEEclIZZZZNKS_31BlockwiseGemmXdlops_pipeline_v2ILNS_26BlockGemmPipelineSchedulerE1ELi256ENS_9f8_fnuz_tENS_7pk_i4_tESC_fNS_16TensorDescriptorINS_5TupleIJNS_5EmbedINSF_IJNS_17integral_constantIiLi8EEENSH_IiLi128EEENSH_IiLi16EEEEEENSF_IJSK_SJ_NSH_IiLi1EEEEEELb0EEENS_3XorINSF_IJSJ_SI_EEELb1EEENS_11PassThroughISK_EENS_7UnMergeINSF_IJSI_SM_EEELb0EEENSS_ISJ_EEST_NSS_ISI_EENS_21Merge_v3_division_modINSF_IJSJ_SM_EEEEEST_EEENSF_IJNS5_IJLi0EEEENS5_IJLi2ELi1EEEENS5_IJLi3EEEENS5_IJLi5EEEENS5_IJLi4EEEENS5_IJLi6EEEENS5_IJLi7EEEENS5_IJLi9ELi8EEEENS5_IJLi10EEEEEEENSF_IJNS5_IJLi1ELi2ELi3EEEENS5_IJLi4ELi5EEEES18_NS5_IJLi7ELi8EEEENS5_IJLi9EEEES1B_NS5_IJLi11EEEENS5_IJLi12EEEENS5_IJLi13EEEEEEENS5_IJLi11ELi12ELi13EEEENSH_IlLl16384EEEEENSE_INSF_IJNSG_INSF_IJSK_NSH_IiLi64EEESK_EEENSF_IJSK_NSH_IiLi256EEESM_EEELb0EEENSP_INSF_IJS1O_SK_EEELb1EEEST_NSU_INSF_IJSI_NSH_IiLi2EEEEEELb0EEENSS_IS1O_EEST_SY_NSZ_INSF_IJS1O_S1V_EEEEEST_EEES1C_S1K_S1L_S1M_EENSE_INSF_IJSO_SR_ST_SW_SX_ST_SY_S11_ST_NSZ_INSF_IJSI_SK_EEEEENSU_INSF_IJNSH_IiLi4EEES1V_SK_EEELb0EEEEEENSF_IJS13_S14_S15_S16_S17_S18_S19_S1A_S1B_NS5_IJLi11ELi13EEEES1I_EEENSF_IJS1D_S1E_S18_S1F_S1G_S1B_S1H_S1I_S1J_NS5_IJLi14EEEENS5_IJLi15ELi16ELi17EEEEEEENS5_IJLi15ELi16ELi17ELi14EEEES1M_EENSE_INSF_IJS1S_S1U_ST_S1X_S1Y_ST_SY_S20_ST_S24_S27_EEES2A_S2D_S2E_S1M_EELi16ELi16ELi128ELi128ELi128ELi16ELi16ELi4ELi4ELi16ELb0EE3RunILb1ELNS_10TailNumberE2ENSE_INSF_IJNSG_INSF_IJiiEEENSF_IJiSM_EEELb0EEENSU_IS2L_Lb0EEENSS_IiEEEEENSF_IJS13_NS5_IJLi2EEEENS5_IJLi1EEEEEEENSF_IJNS5_IJLi1ELi2EEEENS5_IJLi3ELi4EEEES16_EEENS5_IJLi3ELi5ELi4EEEElEES1N_NS_35ThreadGroupTensorSliceTransfer_v4r1INS_15ThisThreadBlockILi256EEENS_16tensor_operation12element_wise11PassThroughES34_LNS_25InMemoryDataOperationEnumE0ENS5_IJLi8ELi128ELi16EEEENS5_IJLi8ELi32ELi1EEEENS5_IJLi1ELi0ELi2EEEESC_SC_RKS2Y_KS1N_S38_NS5_IJLi0ELi1ELi2EEEELi2ELi2ELi16ELi16ELi1ELi1ELb0ELb1ELi2EiEENS_13DynamicBufferILNS_16AddressSpaceEnumE1EKSC_lLb1ELNS_22AmdBufferCoherenceEnumE0EiEENS3E_ILS3F_2ESC_S1M_Lb1ELS3H_0EiEENSF_IJiiiEEENSE_INSF_IJNSU_INSF_IJiiiiEEELb0EEENS_23Merge_v2_magic_divisionIS2L_EENSS_INSF_IJiEEEEES2P_EEENSF_IJS13_NS5_IJLi1ELi3EEEES2R_S17_EEENSF_IJNS5_IJLi1ELi2ELi3ELi4EEEES16_S18_S19_EEENS5_IJLi5ELi6ELi7EEEElEES22_NS2Z_IS31_S34_S34_LS35_0ES36_NS5_IJLi4ELi64ELi1EEEES38_SD_SD_RKS3X_KS22_S38_S3C_Li2ELi2ELi16ELi16ELi1ELi1ELb0ELb1ELi2EiEENS3E_ILS3F_1EKSD_lLb1ELS3H_0EiEENS3E_ILS3F_2ESD_S1M_Lb1ELS3H_0EiEES3K_NS_25StaticBufferTupleOfVectorILS3F_4EfLi16ELi4ELb1ELb0EEEEEvRKT1_RKT2_RT3_RKT4_RT5_RKT6_RKT7_RKT8_RT9_RKT10_RT11_RKT12_RT13_iENKUlT_E0_clISM_EEDaS56_ENKUlS56_E_clINSH_IiLi0EEEEEDaS56_ENKUlS56_E1_clISK_EEDaS56_EUlS56_E_EEvS56_EUlS56_E_EEvS56_,@function
_ZNK2ck6detail7applierIiJLi0ELi1ELi2ELi3ELi4ELi5ELi6ELi7ELi8ELi9ELi10ELi11ELi12ELi13ELi14ELi15EEEclIZNKS_11static_fordINS_8SequenceIJLi4ELi4EEEENS5_IJLi0ELi1EEEEEclIZZZZNKS_31BlockwiseGemmXdlops_pipeline_v2ILNS_26BlockGemmPipelineSchedulerE1ELi256ENS_9f8_fnuz_tENS_7pk_i4_tESC_fNS_16TensorDescriptorINS_5TupleIJNS_5EmbedINSF_IJNS_17integral_constantIiLi8EEENSH_IiLi128EEENSH_IiLi16EEEEEENSF_IJSK_SJ_NSH_IiLi1EEEEEELb0EEENS_3XorINSF_IJSJ_SI_EEELb1EEENS_11PassThroughISK_EENS_7UnMergeINSF_IJSI_SM_EEELb0EEENSS_ISJ_EEST_NSS_ISI_EENS_21Merge_v3_division_modINSF_IJSJ_SM_EEEEEST_EEENSF_IJNS5_IJLi0EEEENS5_IJLi2ELi1EEEENS5_IJLi3EEEENS5_IJLi5EEEENS5_IJLi4EEEENS5_IJLi6EEEENS5_IJLi7EEEENS5_IJLi9ELi8EEEENS5_IJLi10EEEEEEENSF_IJNS5_IJLi1ELi2ELi3EEEENS5_IJLi4ELi5EEEES18_NS5_IJLi7ELi8EEEENS5_IJLi9EEEES1B_NS5_IJLi11EEEENS5_IJLi12EEEENS5_IJLi13EEEEEEENS5_IJLi11ELi12ELi13EEEENSH_IlLl16384EEEEENSE_INSF_IJNSG_INSF_IJSK_NSH_IiLi64EEESK_EEENSF_IJSK_NSH_IiLi256EEESM_EEELb0EEENSP_INSF_IJS1O_SK_EEELb1EEEST_NSU_INSF_IJSI_NSH_IiLi2EEEEEELb0EEENSS_IS1O_EEST_SY_NSZ_INSF_IJS1O_S1V_EEEEEST_EEES1C_S1K_S1L_S1M_EENSE_INSF_IJSO_SR_ST_SW_SX_ST_SY_S11_ST_NSZ_INSF_IJSI_SK_EEEEENSU_INSF_IJNSH_IiLi4EEES1V_SK_EEELb0EEEEEENSF_IJS13_S14_S15_S16_S17_S18_S19_S1A_S1B_NS5_IJLi11ELi13EEEES1I_EEENSF_IJS1D_S1E_S18_S1F_S1G_S1B_S1H_S1I_S1J_NS5_IJLi14EEEENS5_IJLi15ELi16ELi17EEEEEEENS5_IJLi15ELi16ELi17ELi14EEEES1M_EENSE_INSF_IJS1S_S1U_ST_S1X_S1Y_ST_SY_S20_ST_S24_S27_EEES2A_S2D_S2E_S1M_EELi16ELi16ELi128ELi128ELi128ELi16ELi16ELi4ELi4ELi16ELb0EE3RunILb1ELNS_10TailNumberE2ENSE_INSF_IJNSG_INSF_IJiiEEENSF_IJiSM_EEELb0EEENSU_IS2L_Lb0EEENSS_IiEEEEENSF_IJS13_NS5_IJLi2EEEENS5_IJLi1EEEEEEENSF_IJNS5_IJLi1ELi2EEEENS5_IJLi3ELi4EEEES16_EEENS5_IJLi3ELi5ELi4EEEElEES1N_NS_35ThreadGroupTensorSliceTransfer_v4r1INS_15ThisThreadBlockILi256EEENS_16tensor_operation12element_wise11PassThroughES34_LNS_25InMemoryDataOperationEnumE0ENS5_IJLi8ELi128ELi16EEEENS5_IJLi8ELi32ELi1EEEENS5_IJLi1ELi0ELi2EEEESC_SC_RKS2Y_KS1N_S38_NS5_IJLi0ELi1ELi2EEEELi2ELi2ELi16ELi16ELi1ELi1ELb0ELb1ELi2EiEENS_13DynamicBufferILNS_16AddressSpaceEnumE1EKSC_lLb1ELNS_22AmdBufferCoherenceEnumE0EiEENS3E_ILS3F_2ESC_S1M_Lb1ELS3H_0EiEENSF_IJiiiEEENSE_INSF_IJNSU_INSF_IJiiiiEEELb0EEENS_23Merge_v2_magic_divisionIS2L_EENSS_INSF_IJiEEEEES2P_EEENSF_IJS13_NS5_IJLi1ELi3EEEES2R_S17_EEENSF_IJNS5_IJLi1ELi2ELi3ELi4EEEES16_S18_S19_EEENS5_IJLi5ELi6ELi7EEEElEES22_NS2Z_IS31_S34_S34_LS35_0ES36_NS5_IJLi4ELi64ELi1EEEES38_SD_SD_RKS3X_KS22_S38_S3C_Li2ELi2ELi16ELi16ELi1ELi1ELb0ELb1ELi2EiEENS3E_ILS3F_1EKSD_lLb1ELS3H_0EiEENS3E_ILS3F_2ESD_S1M_Lb1ELS3H_0EiEES3K_NS_25StaticBufferTupleOfVectorILS3F_4EfLi16ELi4ELb1ELb0EEEEEvRKT1_RKT2_RT3_RKT4_RT5_RKT6_RKT7_RKT8_RT9_RKT10_RT11_RKT12_RT13_iENKUlT_E0_clISM_EEDaS56_ENKUlS56_E_clINSH_IiLi0EEEEEDaS56_ENKUlS56_E1_clISK_EEDaS56_EUlS56_E_EEvS56_EUlS56_E_EEvS56_: ; @_ZNK2ck6detail7applierIiJLi0ELi1ELi2ELi3ELi4ELi5ELi6ELi7ELi8ELi9ELi10ELi11ELi12ELi13ELi14ELi15EEEclIZNKS_11static_fordINS_8SequenceIJLi4ELi4EEEENS5_IJLi0ELi1EEEEEclIZZZZNKS_31BlockwiseGemmXdlops_pipeline_v2ILNS_26BlockGemmPipelineSchedulerE1ELi256ENS_9f8_fnuz_tENS_7pk_i4_tESC_fNS_16TensorDescriptorINS_5TupleIJNS_5EmbedINSF_IJNS_17integral_constantIiLi8EEENSH_IiLi128EEENSH_IiLi16EEEEEENSF_IJSK_SJ_NSH_IiLi1EEEEEELb0EEENS_3XorINSF_IJSJ_SI_EEELb1EEENS_11PassThroughISK_EENS_7UnMergeINSF_IJSI_SM_EEELb0EEENSS_ISJ_EEST_NSS_ISI_EENS_21Merge_v3_division_modINSF_IJSJ_SM_EEEEEST_EEENSF_IJNS5_IJLi0EEEENS5_IJLi2ELi1EEEENS5_IJLi3EEEENS5_IJLi5EEEENS5_IJLi4EEEENS5_IJLi6EEEENS5_IJLi7EEEENS5_IJLi9ELi8EEEENS5_IJLi10EEEEEEENSF_IJNS5_IJLi1ELi2ELi3EEEENS5_IJLi4ELi5EEEES18_NS5_IJLi7ELi8EEEENS5_IJLi9EEEES1B_NS5_IJLi11EEEENS5_IJLi12EEEENS5_IJLi13EEEEEEENS5_IJLi11ELi12ELi13EEEENSH_IlLl16384EEEEENSE_INSF_IJNSG_INSF_IJSK_NSH_IiLi64EEESK_EEENSF_IJSK_NSH_IiLi256EEESM_EEELb0EEENSP_INSF_IJS1O_SK_EEELb1EEEST_NSU_INSF_IJSI_NSH_IiLi2EEEEEELb0EEENSS_IS1O_EEST_SY_NSZ_INSF_IJS1O_S1V_EEEEEST_EEES1C_S1K_S1L_S1M_EENSE_INSF_IJSO_SR_ST_SW_SX_ST_SY_S11_ST_NSZ_INSF_IJSI_SK_EEEEENSU_INSF_IJNSH_IiLi4EEES1V_SK_EEELb0EEEEEENSF_IJS13_S14_S15_S16_S17_S18_S19_S1A_S1B_NS5_IJLi11ELi13EEEES1I_EEENSF_IJS1D_S1E_S18_S1F_S1G_S1B_S1H_S1I_S1J_NS5_IJLi14EEEENS5_IJLi15ELi16ELi17EEEEEEENS5_IJLi15ELi16ELi17ELi14EEEES1M_EENSE_INSF_IJS1S_S1U_ST_S1X_S1Y_ST_SY_S20_ST_S24_S27_EEES2A_S2D_S2E_S1M_EELi16ELi16ELi128ELi128ELi128ELi16ELi16ELi4ELi4ELi16ELb0EE3RunILb1ELNS_10TailNumberE2ENSE_INSF_IJNSG_INSF_IJiiEEENSF_IJiSM_EEELb0EEENSU_IS2L_Lb0EEENSS_IiEEEEENSF_IJS13_NS5_IJLi2EEEENS5_IJLi1EEEEEEENSF_IJNS5_IJLi1ELi2EEEENS5_IJLi3ELi4EEEES16_EEENS5_IJLi3ELi5ELi4EEEElEES1N_NS_35ThreadGroupTensorSliceTransfer_v4r1INS_15ThisThreadBlockILi256EEENS_16tensor_operation12element_wise11PassThroughES34_LNS_25InMemoryDataOperationEnumE0ENS5_IJLi8ELi128ELi16EEEENS5_IJLi8ELi32ELi1EEEENS5_IJLi1ELi0ELi2EEEESC_SC_RKS2Y_KS1N_S38_NS5_IJLi0ELi1ELi2EEEELi2ELi2ELi16ELi16ELi1ELi1ELb0ELb1ELi2EiEENS_13DynamicBufferILNS_16AddressSpaceEnumE1EKSC_lLb1ELNS_22AmdBufferCoherenceEnumE0EiEENS3E_ILS3F_2ESC_S1M_Lb1ELS3H_0EiEENSF_IJiiiEEENSE_INSF_IJNSU_INSF_IJiiiiEEELb0EEENS_23Merge_v2_magic_divisionIS2L_EENSS_INSF_IJiEEEEES2P_EEENSF_IJS13_NS5_IJLi1ELi3EEEES2R_S17_EEENSF_IJNS5_IJLi1ELi2ELi3ELi4EEEES16_S18_S19_EEENS5_IJLi5ELi6ELi7EEEElEES22_NS2Z_IS31_S34_S34_LS35_0ES36_NS5_IJLi4ELi64ELi1EEEES38_SD_SD_RKS3X_KS22_S38_S3C_Li2ELi2ELi16ELi16ELi1ELi1ELb0ELb1ELi2EiEENS3E_ILS3F_1EKSD_lLb1ELS3H_0EiEENS3E_ILS3F_2ESD_S1M_Lb1ELS3H_0EiEES3K_NS_25StaticBufferTupleOfVectorILS3F_4EfLi16ELi4ELb1ELb0EEEEEvRKT1_RKT2_RT3_RKT4_RT5_RKT6_RKT7_RKT8_RT9_RKT10_RT11_RKT12_RT13_iENKUlT_E0_clISM_EEDaS56_ENKUlS56_E_clINSH_IiLi0EEEEEDaS56_ENKUlS56_E1_clISK_EEDaS56_EUlS56_E_EEvS56_EUlS56_E_EEvS56_
; %bb.0:
	s_waitcnt vmcnt(0) expcnt(0) lgkmcnt(0)
	flat_load_dwordx4 v[12:15], v[0:1] offset:8
	flat_load_dwordx2 v[10:11], v[0:1] offset:32
	s_movk_i32 s4, 0x7f
                                        ; implicit-def: $sgpr10
	s_waitcnt vmcnt(0) lgkmcnt(0)
	flat_load_dwordx4 v[6:9], v[12:13] offset:16
	flat_load_dwordx4 v[2:5], v[14:15] offset:16
	s_waitcnt vmcnt(0) lgkmcnt(0)
	v_cmp_gt_i16_sdwa s[6:7], v6, s4 src0_sel:BYTE_0 src1_sel:DWORD
	s_mov_b64 s[4:5], 0
	s_and_saveexec_b64 s[8:9], s[6:7]
	s_xor_b64 s[6:7], exec, s[8:9]
	s_cbranch_execnz .LBB4_2049
; %bb.1:
	s_or_saveexec_b64 s[6:7], s[6:7]
	v_mov_b32_e32 v12, s10
	s_xor_b64 exec, exec, s[6:7]
	s_cbranch_execnz .LBB4_2052
.LBB4_2:
	s_or_b64 exec, exec, s[6:7]
	s_and_saveexec_b64 s[6:7], s[4:5]
	s_cbranch_execz .LBB4_4
.LBB4_3:
	v_and_b32_e32 v12, 7, v6
	v_ffbh_u32_e32 v14, v12
	v_min_u32_e32 v14, 32, v14
	v_lshrrev_b16_e32 v13, 3, v6
	v_subrev_u32_e32 v15, 28, v14
	v_and_b32_e32 v13, 15, v13
	v_lshlrev_b32_e32 v15, v15, v6
	v_sub_u32_e32 v14, 29, v14
	v_and_b32_e32 v15, 7, v15
	v_cmp_eq_u16_e32 vcc, 0, v13
	v_cndmask_b32_e32 v12, v12, v15, vcc
	v_cndmask_b32_e32 v13, v13, v14, vcc
	v_lshlrev_b32_e32 v14, 24, v6
	v_mov_b32_e32 v15, 0x3b800000
	v_lshlrev_b32_e32 v12, 20, v12
	v_and_b32_e32 v14, 0x80000000, v14
	v_lshl_add_u32 v13, v13, 23, v15
	v_or3_b32 v12, v14, v13, v12
.LBB4_4:
	s_or_b64 exec, exec, s[6:7]
	s_movk_i32 s4, 0x7f
	v_cmp_gt_i16_sdwa s[6:7], v2, s4 src0_sel:BYTE_0 src1_sel:DWORD
	s_mov_b64 s[4:5], 0
                                        ; implicit-def: $sgpr10
	s_and_saveexec_b64 s[8:9], s[6:7]
	s_xor_b64 s[6:7], exec, s[8:9]
	s_cbranch_execnz .LBB4_2053
; %bb.5:
	s_or_saveexec_b64 s[6:7], s[6:7]
	v_mov_b32_e32 v13, s10
	s_xor_b64 exec, exec, s[6:7]
	s_cbranch_execnz .LBB4_2056
.LBB4_6:
	s_or_b64 exec, exec, s[6:7]
	s_and_saveexec_b64 s[6:7], s[4:5]
	s_cbranch_execz .LBB4_8
.LBB4_7:
	v_and_b32_e32 v13, 7, v2
	v_ffbh_u32_e32 v15, v13
	v_min_u32_e32 v15, 32, v15
	v_lshrrev_b16_e32 v14, 3, v2
	v_subrev_u32_e32 v16, 28, v15
	v_and_b32_e32 v14, 15, v14
	v_lshlrev_b32_e32 v16, v16, v2
	v_sub_u32_e32 v15, 29, v15
	v_and_b32_e32 v16, 7, v16
	v_cmp_eq_u16_e32 vcc, 0, v14
	v_cndmask_b32_e32 v13, v13, v16, vcc
	v_cndmask_b32_e32 v14, v14, v15, vcc
	v_lshlrev_b32_e32 v15, 24, v2
	v_mov_b32_e32 v16, 0x3b800000
	v_lshlrev_b32_e32 v13, 20, v13
	v_and_b32_e32 v15, 0x80000000, v15
	v_lshl_add_u32 v14, v14, 23, v16
	v_or3_b32 v13, v15, v14, v13
.LBB4_8:
	s_or_b64 exec, exec, s[6:7]
	flat_load_dwordx4 a[0:3], v[10:11]
	s_movk_i32 s4, 0x7f
                                        ; implicit-def: $sgpr10
	s_waitcnt vmcnt(0) lgkmcnt(0)
	v_mfma_f32_16x16x4f32 a[0:3], v12, v13, a[0:3]
	v_lshrrev_b32_e32 v13, 8, v6
	v_cmp_gt_i16_sdwa s[6:7], v13, s4 src0_sel:BYTE_0 src1_sel:DWORD
	s_mov_b64 s[4:5], 0
	s_and_saveexec_b64 s[8:9], s[6:7]
	s_xor_b64 s[6:7], exec, s[8:9]
	s_cbranch_execnz .LBB4_2057
; %bb.9:
	s_or_saveexec_b64 s[6:7], s[6:7]
	v_mov_b32_e32 v12, s10
	s_xor_b64 exec, exec, s[6:7]
	s_cbranch_execnz .LBB4_2060
.LBB4_10:
	s_or_b64 exec, exec, s[6:7]
	s_and_saveexec_b64 s[6:7], s[4:5]
	s_cbranch_execz .LBB4_12
.LBB4_11:
	v_bfe_u32 v12, v6, 8, 3
	v_ffbh_u32_e32 v15, v12
	v_min_u32_e32 v15, 32, v15
	v_lshrrev_b16_e32 v14, 3, v13
	v_subrev_u32_e32 v16, 28, v15
	v_and_b32_e32 v14, 15, v14
	v_lshlrev_b32_e32 v13, v16, v13
	v_sub_u32_e32 v15, 29, v15
	v_and_b32_e32 v13, 7, v13
	v_cmp_eq_u16_e32 vcc, 0, v14
	v_cndmask_b32_e32 v12, v12, v13, vcc
	v_cndmask_b32_e32 v13, v14, v15, vcc
	v_lshlrev_b32_e32 v14, 16, v6
	v_mov_b32_e32 v15, 0x3b800000
	v_lshlrev_b32_e32 v12, 20, v12
	v_and_b32_e32 v14, 0x80000000, v14
	v_lshl_add_u32 v13, v13, 23, v15
	v_or3_b32 v12, v14, v13, v12
.LBB4_12:
	s_or_b64 exec, exec, s[6:7]
	v_lshrrev_b32_e32 v13, 8, v2
	s_movk_i32 s4, 0x7f
	v_cmp_gt_i16_sdwa s[6:7], v13, s4 src0_sel:BYTE_0 src1_sel:DWORD
	s_mov_b64 s[4:5], 0
                                        ; implicit-def: $sgpr10
	s_and_saveexec_b64 s[8:9], s[6:7]
	s_xor_b64 s[6:7], exec, s[8:9]
	s_cbranch_execnz .LBB4_2061
; %bb.13:
	s_or_saveexec_b64 s[6:7], s[6:7]
	v_mov_b32_e32 v14, s10
	s_xor_b64 exec, exec, s[6:7]
	s_cbranch_execnz .LBB4_2064
.LBB4_14:
	s_or_b64 exec, exec, s[6:7]
	s_and_saveexec_b64 s[6:7], s[4:5]
	s_cbranch_execz .LBB4_16
.LBB4_15:
	v_bfe_u32 v14, v2, 8, 3
	v_ffbh_u32_e32 v16, v14
	v_min_u32_e32 v16, 32, v16
	v_lshrrev_b16_e32 v15, 3, v13
	v_subrev_u32_e32 v17, 28, v16
	v_and_b32_e32 v15, 15, v15
	v_lshlrev_b32_e32 v13, v17, v13
	v_sub_u32_e32 v16, 29, v16
	v_and_b32_e32 v13, 7, v13
	v_cmp_eq_u16_e32 vcc, 0, v15
	v_cndmask_b32_e32 v13, v14, v13, vcc
	v_cndmask_b32_e32 v14, v15, v16, vcc
	v_lshlrev_b32_e32 v15, 16, v2
	v_mov_b32_e32 v16, 0x3b800000
	v_lshlrev_b32_e32 v13, 20, v13
	v_and_b32_e32 v15, 0x80000000, v15
	v_lshl_add_u32 v14, v14, 23, v16
	v_or3_b32 v14, v15, v14, v13
.LBB4_16:
	s_or_b64 exec, exec, s[6:7]
	s_nop 0
	v_mfma_f32_16x16x4f32 a[0:3], v12, v14, a[0:3]
	s_movk_i32 s4, 0xff
	v_and_b32_sdwa v13, v6, s4 dst_sel:DWORD dst_unused:UNUSED_PAD src0_sel:WORD_1 src1_sel:DWORD
	s_movk_i32 s4, 0x7f
	v_cmp_lt_i16_e32 vcc, s4, v13
	s_mov_b64 s[4:5], 0
                                        ; implicit-def: $sgpr10
	s_and_saveexec_b64 s[6:7], vcc
	s_xor_b64 s[6:7], exec, s[6:7]
	s_cbranch_execnz .LBB4_2065
; %bb.17:
	s_or_saveexec_b64 s[6:7], s[6:7]
	v_mov_b32_e32 v12, s10
	s_xor_b64 exec, exec, s[6:7]
	s_cbranch_execnz .LBB4_2068
.LBB4_18:
	s_or_b64 exec, exec, s[6:7]
	s_and_saveexec_b64 s[6:7], s[4:5]
	s_cbranch_execz .LBB4_20
.LBB4_19:
	v_bfe_u32 v12, v6, 16, 3
	v_ffbh_u32_e32 v15, v12
	v_min_u32_e32 v15, 32, v15
	v_lshrrev_b32_e32 v13, 19, v6
	v_subrev_u32_e32 v16, 28, v15
	v_and_b32_e32 v13, 15, v13
	v_lshlrev_b32_sdwa v16, v16, v6 dst_sel:DWORD dst_unused:UNUSED_PAD src0_sel:DWORD src1_sel:WORD_1
	v_bfe_u32 v14, v6, 19, 4
	v_sub_u32_e32 v15, 29, v15
	v_and_b32_e32 v16, 7, v16
	v_cmp_eq_u16_e32 vcc, 0, v13
	v_cndmask_b32_e32 v12, v12, v16, vcc
	v_cndmask_b32_e32 v13, v14, v15, vcc
	v_lshlrev_b32_e32 v14, 8, v6
	v_mov_b32_e32 v15, 0x3b800000
	v_lshlrev_b32_e32 v12, 20, v12
	v_and_b32_e32 v14, 0x80000000, v14
	v_lshl_add_u32 v13, v13, 23, v15
	v_or3_b32 v12, v14, v13, v12
.LBB4_20:
	s_or_b64 exec, exec, s[6:7]
	s_movk_i32 s4, 0xff
	v_and_b32_sdwa v13, v2, s4 dst_sel:DWORD dst_unused:UNUSED_PAD src0_sel:WORD_1 src1_sel:DWORD
	s_movk_i32 s4, 0x7f
	v_cmp_lt_i16_e32 vcc, s4, v13
	s_mov_b64 s[4:5], 0
                                        ; implicit-def: $sgpr10
	s_and_saveexec_b64 s[6:7], vcc
	s_xor_b64 s[6:7], exec, s[6:7]
	s_cbranch_execnz .LBB4_2069
; %bb.21:
	s_or_saveexec_b64 s[6:7], s[6:7]
	v_mov_b32_e32 v14, s10
	s_xor_b64 exec, exec, s[6:7]
	s_cbranch_execnz .LBB4_2072
.LBB4_22:
	s_or_b64 exec, exec, s[6:7]
	s_and_saveexec_b64 s[6:7], s[4:5]
	s_cbranch_execz .LBB4_24
.LBB4_23:
	v_bfe_u32 v13, v2, 16, 3
	v_ffbh_u32_e32 v16, v13
	v_min_u32_e32 v16, 32, v16
	v_lshrrev_b32_e32 v14, 19, v2
	v_subrev_u32_e32 v17, 28, v16
	v_and_b32_e32 v14, 15, v14
	v_lshlrev_b32_sdwa v17, v17, v2 dst_sel:DWORD dst_unused:UNUSED_PAD src0_sel:DWORD src1_sel:WORD_1
	v_bfe_u32 v15, v2, 19, 4
	v_sub_u32_e32 v16, 29, v16
	v_and_b32_e32 v17, 7, v17
	v_cmp_eq_u16_e32 vcc, 0, v14
	v_cndmask_b32_e32 v13, v13, v17, vcc
	v_cndmask_b32_e32 v14, v15, v16, vcc
	v_lshlrev_b32_e32 v15, 8, v2
	v_mov_b32_e32 v16, 0x3b800000
	v_lshlrev_b32_e32 v13, 20, v13
	v_and_b32_e32 v15, 0x80000000, v15
	v_lshl_add_u32 v14, v14, 23, v16
	v_or3_b32 v14, v15, v14, v13
.LBB4_24:
	s_or_b64 exec, exec, s[6:7]
	s_nop 0
	v_mfma_f32_16x16x4f32 a[0:3], v12, v14, a[0:3]
	s_movk_i32 s4, 0x7f
	v_cmp_gt_i16_sdwa s[6:7], v6, s4 src0_sel:BYTE_3 src1_sel:DWORD
	s_mov_b64 s[4:5], 0
                                        ; implicit-def: $sgpr10
	s_and_saveexec_b64 s[8:9], s[6:7]
	s_xor_b64 s[6:7], exec, s[8:9]
	s_cbranch_execnz .LBB4_2073
; %bb.25:
	s_or_saveexec_b64 s[6:7], s[6:7]
	v_mov_b32_e32 v12, s10
	s_xor_b64 exec, exec, s[6:7]
	s_cbranch_execnz .LBB4_2076
.LBB4_26:
	s_or_b64 exec, exec, s[6:7]
	s_and_saveexec_b64 s[6:7], s[4:5]
	s_cbranch_execz .LBB4_28
.LBB4_27:
	v_bfe_u32 v12, v6, 24, 3
	v_ffbh_u32_e32 v16, v12
	v_min_u32_e32 v16, 32, v16
	v_lshrrev_b32_e32 v14, 27, v6
	v_subrev_u32_e32 v17, 28, v16
	v_and_b32_e32 v13, 0x80000000, v6
	v_and_b32_e32 v14, 15, v14
	v_bfe_u32 v15, v6, 27, 4
	v_lshlrev_b32_sdwa v6, v17, v6 dst_sel:DWORD dst_unused:UNUSED_PAD src0_sel:DWORD src1_sel:BYTE_3
	v_sub_u32_e32 v16, 29, v16
	v_and_b32_e32 v6, 7, v6
	v_cmp_eq_u16_e32 vcc, 0, v14
	v_cndmask_b32_e32 v6, v12, v6, vcc
	v_cndmask_b32_e32 v12, v15, v16, vcc
	v_mov_b32_e32 v14, 0x3b800000
	v_lshlrev_b32_e32 v6, 20, v6
	v_lshl_add_u32 v12, v12, 23, v14
	v_or3_b32 v12, v13, v12, v6
.LBB4_28:
	s_or_b64 exec, exec, s[6:7]
	s_movk_i32 s4, 0x7f
	v_cmp_gt_i16_sdwa s[6:7], v2, s4 src0_sel:BYTE_3 src1_sel:DWORD
	s_mov_b64 s[4:5], 0
                                        ; implicit-def: $sgpr10
	s_and_saveexec_b64 s[8:9], s[6:7]
	s_xor_b64 s[6:7], exec, s[8:9]
	s_cbranch_execnz .LBB4_2077
; %bb.29:
	s_or_saveexec_b64 s[6:7], s[6:7]
	v_mov_b32_e32 v6, s10
	s_xor_b64 exec, exec, s[6:7]
	s_cbranch_execnz .LBB4_2080
.LBB4_30:
	s_or_b64 exec, exec, s[6:7]
	s_and_saveexec_b64 s[6:7], s[4:5]
	s_cbranch_execz .LBB4_32
.LBB4_31:
	v_bfe_u32 v6, v2, 24, 3
	v_ffbh_u32_e32 v16, v6
	v_min_u32_e32 v16, 32, v16
	v_lshrrev_b32_e32 v14, 27, v2
	v_subrev_u32_e32 v17, 28, v16
	v_and_b32_e32 v13, 0x80000000, v2
	v_and_b32_e32 v14, 15, v14
	v_bfe_u32 v15, v2, 27, 4
	v_lshlrev_b32_sdwa v2, v17, v2 dst_sel:DWORD dst_unused:UNUSED_PAD src0_sel:DWORD src1_sel:BYTE_3
	v_sub_u32_e32 v16, 29, v16
	v_and_b32_e32 v2, 7, v2
	v_cmp_eq_u16_e32 vcc, 0, v14
	v_cndmask_b32_e32 v2, v6, v2, vcc
	v_cndmask_b32_e32 v6, v15, v16, vcc
	v_mov_b32_e32 v14, 0x3b800000
	v_lshlrev_b32_e32 v2, 20, v2
	v_lshl_add_u32 v6, v6, 23, v14
	v_or3_b32 v6, v13, v6, v2
.LBB4_32:
	s_or_b64 exec, exec, s[6:7]
	s_nop 0
	v_mfma_f32_16x16x4f32 a[0:3], v12, v6, a[0:3]
	s_movk_i32 s4, 0x7f
	v_cmp_gt_i16_sdwa s[6:7], v7, s4 src0_sel:BYTE_0 src1_sel:DWORD
	s_mov_b64 s[4:5], 0
                                        ; implicit-def: $sgpr10
	s_and_saveexec_b64 s[8:9], s[6:7]
	s_xor_b64 s[6:7], exec, s[8:9]
	s_cbranch_execnz .LBB4_2081
; %bb.33:
	s_or_saveexec_b64 s[6:7], s[6:7]
	v_mov_b32_e32 v2, s10
	s_xor_b64 exec, exec, s[6:7]
	s_cbranch_execnz .LBB4_2084
.LBB4_34:
	s_or_b64 exec, exec, s[6:7]
	s_and_saveexec_b64 s[6:7], s[4:5]
	s_cbranch_execz .LBB4_36
.LBB4_35:
	v_and_b32_e32 v2, 7, v7
	v_ffbh_u32_e32 v12, v2
	v_min_u32_e32 v12, 32, v12
	v_lshrrev_b16_e32 v6, 3, v7
	v_subrev_u32_e32 v13, 28, v12
	v_and_b32_e32 v6, 15, v6
	v_lshlrev_b32_e32 v13, v13, v7
	v_sub_u32_e32 v12, 29, v12
	v_and_b32_e32 v13, 7, v13
	v_cmp_eq_u16_e32 vcc, 0, v6
	v_cndmask_b32_e32 v2, v2, v13, vcc
	v_cndmask_b32_e32 v6, v6, v12, vcc
	v_lshlrev_b32_e32 v12, 24, v7
	v_mov_b32_e32 v13, 0x3b800000
	v_lshlrev_b32_e32 v2, 20, v2
	v_and_b32_e32 v12, 0x80000000, v12
	v_lshl_add_u32 v6, v6, 23, v13
	v_or3_b32 v2, v12, v6, v2
.LBB4_36:
	s_or_b64 exec, exec, s[6:7]
	s_movk_i32 s4, 0x7f
	v_cmp_gt_i16_sdwa s[6:7], v3, s4 src0_sel:BYTE_0 src1_sel:DWORD
	s_mov_b64 s[4:5], 0
                                        ; implicit-def: $sgpr10
	s_and_saveexec_b64 s[8:9], s[6:7]
	s_xor_b64 s[6:7], exec, s[8:9]
	s_cbranch_execnz .LBB4_2085
; %bb.37:
	s_or_saveexec_b64 s[6:7], s[6:7]
	v_mov_b32_e32 v6, s10
	s_xor_b64 exec, exec, s[6:7]
	s_cbranch_execnz .LBB4_2088
.LBB4_38:
	s_or_b64 exec, exec, s[6:7]
	s_and_saveexec_b64 s[6:7], s[4:5]
	s_cbranch_execz .LBB4_40
.LBB4_39:
	v_and_b32_e32 v6, 7, v3
	v_ffbh_u32_e32 v13, v6
	v_min_u32_e32 v13, 32, v13
	v_lshrrev_b16_e32 v12, 3, v3
	v_subrev_u32_e32 v14, 28, v13
	v_and_b32_e32 v12, 15, v12
	v_lshlrev_b32_e32 v14, v14, v3
	v_sub_u32_e32 v13, 29, v13
	v_and_b32_e32 v14, 7, v14
	v_cmp_eq_u16_e32 vcc, 0, v12
	v_cndmask_b32_e32 v6, v6, v14, vcc
	v_cndmask_b32_e32 v12, v12, v13, vcc
	v_lshlrev_b32_e32 v13, 24, v3
	v_mov_b32_e32 v14, 0x3b800000
	v_lshlrev_b32_e32 v6, 20, v6
	v_and_b32_e32 v13, 0x80000000, v13
	v_lshl_add_u32 v12, v12, 23, v14
	v_or3_b32 v6, v13, v12, v6
.LBB4_40:
	s_or_b64 exec, exec, s[6:7]
	s_nop 0
	v_mfma_f32_16x16x4f32 a[0:3], v2, v6, a[0:3]
	v_lshrrev_b32_e32 v6, 8, v7
	s_movk_i32 s4, 0x7f
	v_cmp_gt_i16_sdwa s[6:7], v6, s4 src0_sel:BYTE_0 src1_sel:DWORD
	s_mov_b64 s[4:5], 0
                                        ; implicit-def: $sgpr10
	s_and_saveexec_b64 s[8:9], s[6:7]
	s_xor_b64 s[6:7], exec, s[8:9]
	s_cbranch_execnz .LBB4_2089
; %bb.41:
	s_or_saveexec_b64 s[6:7], s[6:7]
	v_mov_b32_e32 v2, s10
	s_xor_b64 exec, exec, s[6:7]
	s_cbranch_execnz .LBB4_2092
.LBB4_42:
	s_or_b64 exec, exec, s[6:7]
	s_and_saveexec_b64 s[6:7], s[4:5]
	s_cbranch_execz .LBB4_44
.LBB4_43:
	v_bfe_u32 v2, v7, 8, 3
	v_ffbh_u32_e32 v13, v2
	v_min_u32_e32 v13, 32, v13
	v_lshrrev_b16_e32 v12, 3, v6
	v_subrev_u32_e32 v14, 28, v13
	v_and_b32_e32 v12, 15, v12
	v_lshlrev_b32_e32 v6, v14, v6
	v_sub_u32_e32 v13, 29, v13
	v_and_b32_e32 v6, 7, v6
	v_cmp_eq_u16_e32 vcc, 0, v12
	v_cndmask_b32_e32 v2, v2, v6, vcc
	v_cndmask_b32_e32 v6, v12, v13, vcc
	v_lshlrev_b32_e32 v12, 16, v7
	v_mov_b32_e32 v13, 0x3b800000
	v_lshlrev_b32_e32 v2, 20, v2
	v_and_b32_e32 v12, 0x80000000, v12
	v_lshl_add_u32 v6, v6, 23, v13
	v_or3_b32 v2, v12, v6, v2
.LBB4_44:
	s_or_b64 exec, exec, s[6:7]
	v_lshrrev_b32_e32 v6, 8, v3
	s_movk_i32 s4, 0x7f
	v_cmp_gt_i16_sdwa s[6:7], v6, s4 src0_sel:BYTE_0 src1_sel:DWORD
	s_mov_b64 s[4:5], 0
                                        ; implicit-def: $sgpr10
	s_and_saveexec_b64 s[8:9], s[6:7]
	s_xor_b64 s[6:7], exec, s[8:9]
	s_cbranch_execnz .LBB4_2093
; %bb.45:
	s_or_saveexec_b64 s[6:7], s[6:7]
	v_mov_b32_e32 v12, s10
	s_xor_b64 exec, exec, s[6:7]
	s_cbranch_execnz .LBB4_2096
.LBB4_46:
	s_or_b64 exec, exec, s[6:7]
	s_and_saveexec_b64 s[6:7], s[4:5]
	s_cbranch_execz .LBB4_48
.LBB4_47:
	v_bfe_u32 v12, v3, 8, 3
	v_ffbh_u32_e32 v14, v12
	v_min_u32_e32 v14, 32, v14
	v_lshrrev_b16_e32 v13, 3, v6
	v_subrev_u32_e32 v15, 28, v14
	v_and_b32_e32 v13, 15, v13
	v_lshlrev_b32_e32 v6, v15, v6
	v_sub_u32_e32 v14, 29, v14
	v_and_b32_e32 v6, 7, v6
	v_cmp_eq_u16_e32 vcc, 0, v13
	v_cndmask_b32_e32 v6, v12, v6, vcc
	v_cndmask_b32_e32 v12, v13, v14, vcc
	v_lshlrev_b32_e32 v13, 16, v3
	v_mov_b32_e32 v14, 0x3b800000
	v_lshlrev_b32_e32 v6, 20, v6
	v_and_b32_e32 v13, 0x80000000, v13
	v_lshl_add_u32 v12, v12, 23, v14
	v_or3_b32 v12, v13, v12, v6
.LBB4_48:
	s_or_b64 exec, exec, s[6:7]
	s_nop 0
	v_mfma_f32_16x16x4f32 a[0:3], v2, v12, a[0:3]
	s_movk_i32 s4, 0xff
	v_and_b32_sdwa v6, v7, s4 dst_sel:DWORD dst_unused:UNUSED_PAD src0_sel:WORD_1 src1_sel:DWORD
	s_movk_i32 s4, 0x7f
	v_cmp_lt_i16_e32 vcc, s4, v6
	s_mov_b64 s[4:5], 0
                                        ; implicit-def: $sgpr10
	s_and_saveexec_b64 s[6:7], vcc
	s_xor_b64 s[6:7], exec, s[6:7]
	s_cbranch_execnz .LBB4_2097
; %bb.49:
	s_or_saveexec_b64 s[6:7], s[6:7]
	v_mov_b32_e32 v2, s10
	s_xor_b64 exec, exec, s[6:7]
	s_cbranch_execnz .LBB4_2100
.LBB4_50:
	s_or_b64 exec, exec, s[6:7]
	s_and_saveexec_b64 s[6:7], s[4:5]
	s_cbranch_execz .LBB4_52
.LBB4_51:
	v_bfe_u32 v2, v7, 16, 3
	v_ffbh_u32_e32 v13, v2
	v_min_u32_e32 v13, 32, v13
	v_lshrrev_b32_e32 v6, 19, v7
	v_subrev_u32_e32 v14, 28, v13
	v_and_b32_e32 v6, 15, v6
	v_lshlrev_b32_sdwa v14, v14, v7 dst_sel:DWORD dst_unused:UNUSED_PAD src0_sel:DWORD src1_sel:WORD_1
	v_bfe_u32 v12, v7, 19, 4
	v_sub_u32_e32 v13, 29, v13
	v_and_b32_e32 v14, 7, v14
	v_cmp_eq_u16_e32 vcc, 0, v6
	v_cndmask_b32_e32 v2, v2, v14, vcc
	v_cndmask_b32_e32 v6, v12, v13, vcc
	v_lshlrev_b32_e32 v12, 8, v7
	v_mov_b32_e32 v13, 0x3b800000
	v_lshlrev_b32_e32 v2, 20, v2
	v_and_b32_e32 v12, 0x80000000, v12
	v_lshl_add_u32 v6, v6, 23, v13
	v_or3_b32 v2, v12, v6, v2
.LBB4_52:
	s_or_b64 exec, exec, s[6:7]
	s_movk_i32 s4, 0xff
	v_and_b32_sdwa v6, v3, s4 dst_sel:DWORD dst_unused:UNUSED_PAD src0_sel:WORD_1 src1_sel:DWORD
	s_movk_i32 s4, 0x7f
	v_cmp_lt_i16_e32 vcc, s4, v6
	s_mov_b64 s[4:5], 0
                                        ; implicit-def: $sgpr10
	s_and_saveexec_b64 s[6:7], vcc
	s_xor_b64 s[6:7], exec, s[6:7]
	s_cbranch_execnz .LBB4_2101
; %bb.53:
	s_or_saveexec_b64 s[6:7], s[6:7]
	v_mov_b32_e32 v12, s10
	s_xor_b64 exec, exec, s[6:7]
	s_cbranch_execnz .LBB4_2104
.LBB4_54:
	s_or_b64 exec, exec, s[6:7]
	s_and_saveexec_b64 s[6:7], s[4:5]
	s_cbranch_execz .LBB4_56
.LBB4_55:
	v_bfe_u32 v6, v3, 16, 3
	v_ffbh_u32_e32 v14, v6
	v_min_u32_e32 v14, 32, v14
	v_lshrrev_b32_e32 v12, 19, v3
	v_subrev_u32_e32 v15, 28, v14
	v_and_b32_e32 v12, 15, v12
	v_lshlrev_b32_sdwa v15, v15, v3 dst_sel:DWORD dst_unused:UNUSED_PAD src0_sel:DWORD src1_sel:WORD_1
	v_bfe_u32 v13, v3, 19, 4
	v_sub_u32_e32 v14, 29, v14
	v_and_b32_e32 v15, 7, v15
	v_cmp_eq_u16_e32 vcc, 0, v12
	v_cndmask_b32_e32 v6, v6, v15, vcc
	v_cndmask_b32_e32 v12, v13, v14, vcc
	v_lshlrev_b32_e32 v13, 8, v3
	v_mov_b32_e32 v14, 0x3b800000
	v_lshlrev_b32_e32 v6, 20, v6
	v_and_b32_e32 v13, 0x80000000, v13
	v_lshl_add_u32 v12, v12, 23, v14
	v_or3_b32 v12, v13, v12, v6
.LBB4_56:
	s_or_b64 exec, exec, s[6:7]
	s_nop 0
	v_mfma_f32_16x16x4f32 a[0:3], v2, v12, a[0:3]
	s_movk_i32 s4, 0x7f
	v_cmp_gt_i16_sdwa s[6:7], v7, s4 src0_sel:BYTE_3 src1_sel:DWORD
	s_mov_b64 s[4:5], 0
                                        ; implicit-def: $sgpr10
	s_and_saveexec_b64 s[8:9], s[6:7]
	s_xor_b64 s[6:7], exec, s[8:9]
	s_cbranch_execnz .LBB4_2105
; %bb.57:
	s_or_saveexec_b64 s[6:7], s[6:7]
	v_mov_b32_e32 v2, s10
	s_xor_b64 exec, exec, s[6:7]
	s_cbranch_execnz .LBB4_2108
.LBB4_58:
	s_or_b64 exec, exec, s[6:7]
	s_and_saveexec_b64 s[6:7], s[4:5]
	s_cbranch_execz .LBB4_60
.LBB4_59:
	v_bfe_u32 v2, v7, 24, 3
	v_ffbh_u32_e32 v14, v2
	v_min_u32_e32 v14, 32, v14
	v_lshrrev_b32_e32 v12, 27, v7
	v_subrev_u32_e32 v15, 28, v14
	v_and_b32_e32 v6, 0x80000000, v7
	v_and_b32_e32 v12, 15, v12
	v_bfe_u32 v13, v7, 27, 4
	v_lshlrev_b32_sdwa v7, v15, v7 dst_sel:DWORD dst_unused:UNUSED_PAD src0_sel:DWORD src1_sel:BYTE_3
	v_sub_u32_e32 v14, 29, v14
	v_and_b32_e32 v7, 7, v7
	v_cmp_eq_u16_e32 vcc, 0, v12
	v_cndmask_b32_e32 v2, v2, v7, vcc
	v_cndmask_b32_e32 v7, v13, v14, vcc
	v_mov_b32_e32 v12, 0x3b800000
	v_lshlrev_b32_e32 v2, 20, v2
	v_lshl_add_u32 v7, v7, 23, v12
	v_or3_b32 v2, v6, v7, v2
.LBB4_60:
	s_or_b64 exec, exec, s[6:7]
	s_movk_i32 s4, 0x7f
	v_cmp_gt_i16_sdwa s[6:7], v3, s4 src0_sel:BYTE_3 src1_sel:DWORD
	s_mov_b64 s[4:5], 0
                                        ; implicit-def: $sgpr10
	s_and_saveexec_b64 s[8:9], s[6:7]
	s_xor_b64 s[6:7], exec, s[8:9]
	s_cbranch_execnz .LBB4_2109
; %bb.61:
	s_or_saveexec_b64 s[6:7], s[6:7]
	v_mov_b32_e32 v6, s10
	s_xor_b64 exec, exec, s[6:7]
	s_cbranch_execnz .LBB4_2112
.LBB4_62:
	s_or_b64 exec, exec, s[6:7]
	s_and_saveexec_b64 s[6:7], s[4:5]
	s_cbranch_execz .LBB4_64
.LBB4_63:
	v_bfe_u32 v6, v3, 24, 3
	v_ffbh_u32_e32 v14, v6
	v_min_u32_e32 v14, 32, v14
	v_lshrrev_b32_e32 v12, 27, v3
	v_subrev_u32_e32 v15, 28, v14
	v_and_b32_e32 v7, 0x80000000, v3
	v_and_b32_e32 v12, 15, v12
	v_bfe_u32 v13, v3, 27, 4
	v_lshlrev_b32_sdwa v3, v15, v3 dst_sel:DWORD dst_unused:UNUSED_PAD src0_sel:DWORD src1_sel:BYTE_3
	v_sub_u32_e32 v14, 29, v14
	v_and_b32_e32 v3, 7, v3
	v_cmp_eq_u16_e32 vcc, 0, v12
	v_cndmask_b32_e32 v3, v6, v3, vcc
	v_cndmask_b32_e32 v6, v13, v14, vcc
	v_mov_b32_e32 v12, 0x3b800000
	v_lshlrev_b32_e32 v3, 20, v3
	v_lshl_add_u32 v6, v6, 23, v12
	v_or3_b32 v6, v7, v6, v3
.LBB4_64:
	s_or_b64 exec, exec, s[6:7]
	s_nop 0
	v_mfma_f32_16x16x4f32 a[0:3], v2, v6, a[0:3]
	s_movk_i32 s4, 0x7f
	v_cmp_gt_i16_sdwa s[6:7], v8, s4 src0_sel:BYTE_0 src1_sel:DWORD
	s_mov_b64 s[4:5], 0
                                        ; implicit-def: $sgpr10
	s_and_saveexec_b64 s[8:9], s[6:7]
	s_xor_b64 s[6:7], exec, s[8:9]
	s_cbranch_execnz .LBB4_2113
; %bb.65:
	s_or_saveexec_b64 s[6:7], s[6:7]
	v_mov_b32_e32 v2, s10
	s_xor_b64 exec, exec, s[6:7]
	s_cbranch_execnz .LBB4_2116
.LBB4_66:
	s_or_b64 exec, exec, s[6:7]
	s_and_saveexec_b64 s[6:7], s[4:5]
	s_cbranch_execz .LBB4_68
.LBB4_67:
	v_and_b32_e32 v2, 7, v8
	v_ffbh_u32_e32 v6, v2
	v_min_u32_e32 v6, 32, v6
	v_lshrrev_b16_e32 v3, 3, v8
	v_subrev_u32_e32 v7, 28, v6
	v_and_b32_e32 v3, 15, v3
	v_lshlrev_b32_e32 v7, v7, v8
	v_sub_u32_e32 v6, 29, v6
	v_and_b32_e32 v7, 7, v7
	v_cmp_eq_u16_e32 vcc, 0, v3
	v_cndmask_b32_e32 v2, v2, v7, vcc
	v_cndmask_b32_e32 v3, v3, v6, vcc
	v_lshlrev_b32_e32 v6, 24, v8
	v_mov_b32_e32 v7, 0x3b800000
	v_lshlrev_b32_e32 v2, 20, v2
	v_and_b32_e32 v6, 0x80000000, v6
	v_lshl_add_u32 v3, v3, 23, v7
	v_or3_b32 v2, v6, v3, v2
.LBB4_68:
	s_or_b64 exec, exec, s[6:7]
	s_movk_i32 s4, 0x7f
	v_cmp_gt_i16_sdwa s[6:7], v4, s4 src0_sel:BYTE_0 src1_sel:DWORD
	s_mov_b64 s[4:5], 0
                                        ; implicit-def: $sgpr10
	s_and_saveexec_b64 s[8:9], s[6:7]
	s_xor_b64 s[6:7], exec, s[8:9]
	s_cbranch_execnz .LBB4_2117
; %bb.69:
	s_or_saveexec_b64 s[6:7], s[6:7]
	v_mov_b32_e32 v3, s10
	s_xor_b64 exec, exec, s[6:7]
	s_cbranch_execnz .LBB4_2120
.LBB4_70:
	s_or_b64 exec, exec, s[6:7]
	s_and_saveexec_b64 s[6:7], s[4:5]
	s_cbranch_execz .LBB4_72
.LBB4_71:
	v_and_b32_e32 v3, 7, v4
	v_ffbh_u32_e32 v7, v3
	v_min_u32_e32 v7, 32, v7
	v_lshrrev_b16_e32 v6, 3, v4
	v_subrev_u32_e32 v12, 28, v7
	v_and_b32_e32 v6, 15, v6
	v_lshlrev_b32_e32 v12, v12, v4
	v_sub_u32_e32 v7, 29, v7
	v_and_b32_e32 v12, 7, v12
	v_cmp_eq_u16_e32 vcc, 0, v6
	v_cndmask_b32_e32 v3, v3, v12, vcc
	v_cndmask_b32_e32 v6, v6, v7, vcc
	v_lshlrev_b32_e32 v7, 24, v4
	v_mov_b32_e32 v12, 0x3b800000
	v_lshlrev_b32_e32 v3, 20, v3
	v_and_b32_e32 v7, 0x80000000, v7
	v_lshl_add_u32 v6, v6, 23, v12
	v_or3_b32 v3, v7, v6, v3
.LBB4_72:
	s_or_b64 exec, exec, s[6:7]
	s_nop 0
	v_mfma_f32_16x16x4f32 a[0:3], v2, v3, a[0:3]
	v_lshrrev_b32_e32 v3, 8, v8
	s_movk_i32 s4, 0x7f
	v_cmp_gt_i16_sdwa s[6:7], v3, s4 src0_sel:BYTE_0 src1_sel:DWORD
	s_mov_b64 s[4:5], 0
                                        ; implicit-def: $sgpr10
	s_and_saveexec_b64 s[8:9], s[6:7]
	s_xor_b64 s[6:7], exec, s[8:9]
	s_cbranch_execnz .LBB4_2121
; %bb.73:
	s_or_saveexec_b64 s[6:7], s[6:7]
	v_mov_b32_e32 v2, s10
	s_xor_b64 exec, exec, s[6:7]
	s_cbranch_execnz .LBB4_2124
.LBB4_74:
	s_or_b64 exec, exec, s[6:7]
	s_and_saveexec_b64 s[6:7], s[4:5]
	s_cbranch_execz .LBB4_76
.LBB4_75:
	v_bfe_u32 v2, v8, 8, 3
	v_ffbh_u32_e32 v7, v2
	v_min_u32_e32 v7, 32, v7
	v_lshrrev_b16_e32 v6, 3, v3
	v_subrev_u32_e32 v12, 28, v7
	v_and_b32_e32 v6, 15, v6
	v_lshlrev_b32_e32 v3, v12, v3
	v_sub_u32_e32 v7, 29, v7
	v_and_b32_e32 v3, 7, v3
	v_cmp_eq_u16_e32 vcc, 0, v6
	v_cndmask_b32_e32 v2, v2, v3, vcc
	v_cndmask_b32_e32 v3, v6, v7, vcc
	v_lshlrev_b32_e32 v6, 16, v8
	v_mov_b32_e32 v7, 0x3b800000
	v_lshlrev_b32_e32 v2, 20, v2
	v_and_b32_e32 v6, 0x80000000, v6
	v_lshl_add_u32 v3, v3, 23, v7
	v_or3_b32 v2, v6, v3, v2
.LBB4_76:
	s_or_b64 exec, exec, s[6:7]
	v_lshrrev_b32_e32 v3, 8, v4
	s_movk_i32 s4, 0x7f
	v_cmp_gt_i16_sdwa s[6:7], v3, s4 src0_sel:BYTE_0 src1_sel:DWORD
	s_mov_b64 s[4:5], 0
                                        ; implicit-def: $sgpr10
	s_and_saveexec_b64 s[8:9], s[6:7]
	s_xor_b64 s[6:7], exec, s[8:9]
	s_cbranch_execnz .LBB4_2125
; %bb.77:
	s_or_saveexec_b64 s[6:7], s[6:7]
	v_mov_b32_e32 v6, s10
	s_xor_b64 exec, exec, s[6:7]
	s_cbranch_execnz .LBB4_2128
.LBB4_78:
	s_or_b64 exec, exec, s[6:7]
	s_and_saveexec_b64 s[6:7], s[4:5]
	s_cbranch_execz .LBB4_80
.LBB4_79:
	v_bfe_u32 v6, v4, 8, 3
	v_ffbh_u32_e32 v12, v6
	v_min_u32_e32 v12, 32, v12
	v_lshrrev_b16_e32 v7, 3, v3
	v_subrev_u32_e32 v13, 28, v12
	v_and_b32_e32 v7, 15, v7
	v_lshlrev_b32_e32 v3, v13, v3
	v_sub_u32_e32 v12, 29, v12
	v_and_b32_e32 v3, 7, v3
	v_cmp_eq_u16_e32 vcc, 0, v7
	v_cndmask_b32_e32 v3, v6, v3, vcc
	v_cndmask_b32_e32 v6, v7, v12, vcc
	v_lshlrev_b32_e32 v7, 16, v4
	v_mov_b32_e32 v12, 0x3b800000
	v_lshlrev_b32_e32 v3, 20, v3
	v_and_b32_e32 v7, 0x80000000, v7
	v_lshl_add_u32 v6, v6, 23, v12
	v_or3_b32 v6, v7, v6, v3
.LBB4_80:
	s_or_b64 exec, exec, s[6:7]
	s_nop 0
	v_mfma_f32_16x16x4f32 a[0:3], v2, v6, a[0:3]
	s_movk_i32 s4, 0xff
	v_and_b32_sdwa v3, v8, s4 dst_sel:DWORD dst_unused:UNUSED_PAD src0_sel:WORD_1 src1_sel:DWORD
	s_movk_i32 s4, 0x7f
	v_cmp_lt_i16_e32 vcc, s4, v3
	s_mov_b64 s[4:5], 0
                                        ; implicit-def: $sgpr10
	s_and_saveexec_b64 s[6:7], vcc
	s_xor_b64 s[6:7], exec, s[6:7]
	s_cbranch_execnz .LBB4_2129
; %bb.81:
	s_or_saveexec_b64 s[6:7], s[6:7]
	v_mov_b32_e32 v2, s10
	s_xor_b64 exec, exec, s[6:7]
	s_cbranch_execnz .LBB4_2132
.LBB4_82:
	s_or_b64 exec, exec, s[6:7]
	s_and_saveexec_b64 s[6:7], s[4:5]
	s_cbranch_execz .LBB4_84
.LBB4_83:
	v_bfe_u32 v2, v8, 16, 3
	v_ffbh_u32_e32 v7, v2
	v_min_u32_e32 v7, 32, v7
	v_lshrrev_b32_e32 v3, 19, v8
	v_subrev_u32_e32 v12, 28, v7
	v_and_b32_e32 v3, 15, v3
	v_lshlrev_b32_sdwa v12, v12, v8 dst_sel:DWORD dst_unused:UNUSED_PAD src0_sel:DWORD src1_sel:WORD_1
	v_bfe_u32 v6, v8, 19, 4
	v_sub_u32_e32 v7, 29, v7
	v_and_b32_e32 v12, 7, v12
	v_cmp_eq_u16_e32 vcc, 0, v3
	v_cndmask_b32_e32 v2, v2, v12, vcc
	v_cndmask_b32_e32 v3, v6, v7, vcc
	v_lshlrev_b32_e32 v6, 8, v8
	v_mov_b32_e32 v7, 0x3b800000
	v_lshlrev_b32_e32 v2, 20, v2
	v_and_b32_e32 v6, 0x80000000, v6
	v_lshl_add_u32 v3, v3, 23, v7
	v_or3_b32 v2, v6, v3, v2
.LBB4_84:
	s_or_b64 exec, exec, s[6:7]
	s_movk_i32 s4, 0xff
	v_and_b32_sdwa v3, v4, s4 dst_sel:DWORD dst_unused:UNUSED_PAD src0_sel:WORD_1 src1_sel:DWORD
	s_movk_i32 s4, 0x7f
	v_cmp_lt_i16_e32 vcc, s4, v3
	s_mov_b64 s[4:5], 0
                                        ; implicit-def: $sgpr10
	s_and_saveexec_b64 s[6:7], vcc
	s_xor_b64 s[6:7], exec, s[6:7]
	s_cbranch_execnz .LBB4_2133
; %bb.85:
	s_or_saveexec_b64 s[6:7], s[6:7]
	v_mov_b32_e32 v6, s10
	s_xor_b64 exec, exec, s[6:7]
	s_cbranch_execnz .LBB4_2136
.LBB4_86:
	s_or_b64 exec, exec, s[6:7]
	s_and_saveexec_b64 s[6:7], s[4:5]
	s_cbranch_execz .LBB4_88
.LBB4_87:
	v_bfe_u32 v3, v4, 16, 3
	v_ffbh_u32_e32 v12, v3
	v_min_u32_e32 v12, 32, v12
	v_lshrrev_b32_e32 v6, 19, v4
	v_subrev_u32_e32 v13, 28, v12
	v_and_b32_e32 v6, 15, v6
	v_lshlrev_b32_sdwa v13, v13, v4 dst_sel:DWORD dst_unused:UNUSED_PAD src0_sel:DWORD src1_sel:WORD_1
	v_bfe_u32 v7, v4, 19, 4
	v_sub_u32_e32 v12, 29, v12
	v_and_b32_e32 v13, 7, v13
	v_cmp_eq_u16_e32 vcc, 0, v6
	v_cndmask_b32_e32 v3, v3, v13, vcc
	v_cndmask_b32_e32 v6, v7, v12, vcc
	v_lshlrev_b32_e32 v7, 8, v4
	v_mov_b32_e32 v12, 0x3b800000
	v_lshlrev_b32_e32 v3, 20, v3
	v_and_b32_e32 v7, 0x80000000, v7
	v_lshl_add_u32 v6, v6, 23, v12
	v_or3_b32 v6, v7, v6, v3
.LBB4_88:
	s_or_b64 exec, exec, s[6:7]
	s_nop 0
	v_mfma_f32_16x16x4f32 a[0:3], v2, v6, a[0:3]
	s_movk_i32 s4, 0x7f
	v_cmp_gt_i16_sdwa s[6:7], v8, s4 src0_sel:BYTE_3 src1_sel:DWORD
	s_mov_b64 s[4:5], 0
                                        ; implicit-def: $sgpr10
	s_and_saveexec_b64 s[8:9], s[6:7]
	s_xor_b64 s[6:7], exec, s[8:9]
	s_cbranch_execnz .LBB4_2137
; %bb.89:
	s_or_saveexec_b64 s[6:7], s[6:7]
	v_mov_b32_e32 v2, s10
	s_xor_b64 exec, exec, s[6:7]
	s_cbranch_execnz .LBB4_2140
.LBB4_90:
	s_or_b64 exec, exec, s[6:7]
	s_and_saveexec_b64 s[6:7], s[4:5]
	s_cbranch_execz .LBB4_92
.LBB4_91:
	v_bfe_u32 v2, v8, 24, 3
	v_ffbh_u32_e32 v12, v2
	v_min_u32_e32 v12, 32, v12
	v_lshrrev_b32_e32 v6, 27, v8
	v_subrev_u32_e32 v13, 28, v12
	v_and_b32_e32 v3, 0x80000000, v8
	v_and_b32_e32 v6, 15, v6
	v_bfe_u32 v7, v8, 27, 4
	v_lshlrev_b32_sdwa v8, v13, v8 dst_sel:DWORD dst_unused:UNUSED_PAD src0_sel:DWORD src1_sel:BYTE_3
	v_sub_u32_e32 v12, 29, v12
	v_and_b32_e32 v8, 7, v8
	v_cmp_eq_u16_e32 vcc, 0, v6
	v_cndmask_b32_e32 v2, v2, v8, vcc
	v_cndmask_b32_e32 v6, v7, v12, vcc
	v_mov_b32_e32 v7, 0x3b800000
	v_lshlrev_b32_e32 v2, 20, v2
	v_lshl_add_u32 v6, v6, 23, v7
	v_or3_b32 v2, v3, v6, v2
.LBB4_92:
	s_or_b64 exec, exec, s[6:7]
	s_movk_i32 s4, 0x7f
	v_cmp_gt_i16_sdwa s[6:7], v4, s4 src0_sel:BYTE_3 src1_sel:DWORD
	s_mov_b64 s[4:5], 0
                                        ; implicit-def: $sgpr10
	s_and_saveexec_b64 s[8:9], s[6:7]
	s_xor_b64 s[6:7], exec, s[8:9]
	s_cbranch_execnz .LBB4_2141
; %bb.93:
	s_or_saveexec_b64 s[6:7], s[6:7]
	v_mov_b32_e32 v3, s10
	s_xor_b64 exec, exec, s[6:7]
	s_cbranch_execnz .LBB4_2144
.LBB4_94:
	s_or_b64 exec, exec, s[6:7]
	s_and_saveexec_b64 s[6:7], s[4:5]
	s_cbranch_execz .LBB4_96
.LBB4_95:
	v_bfe_u32 v3, v4, 24, 3
	v_ffbh_u32_e32 v12, v3
	v_min_u32_e32 v12, 32, v12
	v_lshrrev_b32_e32 v7, 27, v4
	v_subrev_u32_e32 v13, 28, v12
	v_and_b32_e32 v6, 0x80000000, v4
	v_and_b32_e32 v7, 15, v7
	v_bfe_u32 v8, v4, 27, 4
	v_lshlrev_b32_sdwa v4, v13, v4 dst_sel:DWORD dst_unused:UNUSED_PAD src0_sel:DWORD src1_sel:BYTE_3
	v_sub_u32_e32 v12, 29, v12
	v_and_b32_e32 v4, 7, v4
	v_cmp_eq_u16_e32 vcc, 0, v7
	v_cndmask_b32_e32 v3, v3, v4, vcc
	v_cndmask_b32_e32 v4, v8, v12, vcc
	v_mov_b32_e32 v7, 0x3b800000
	v_lshlrev_b32_e32 v3, 20, v3
	v_lshl_add_u32 v4, v4, 23, v7
	v_or3_b32 v3, v6, v4, v3
.LBB4_96:
	s_or_b64 exec, exec, s[6:7]
	s_nop 0
	v_mfma_f32_16x16x4f32 a[0:3], v2, v3, a[0:3]
	s_movk_i32 s4, 0x7f
	v_cmp_gt_i16_sdwa s[6:7], v9, s4 src0_sel:BYTE_0 src1_sel:DWORD
	s_mov_b64 s[4:5], 0
                                        ; implicit-def: $sgpr10
	s_and_saveexec_b64 s[8:9], s[6:7]
	s_xor_b64 s[6:7], exec, s[8:9]
	s_cbranch_execnz .LBB4_2145
; %bb.97:
	s_or_saveexec_b64 s[6:7], s[6:7]
	v_mov_b32_e32 v2, s10
	s_xor_b64 exec, exec, s[6:7]
	s_cbranch_execnz .LBB4_2148
.LBB4_98:
	s_or_b64 exec, exec, s[6:7]
	s_and_saveexec_b64 s[6:7], s[4:5]
	s_cbranch_execz .LBB4_100
.LBB4_99:
	v_mov_b32_e32 v2, 8
	v_and_b32_e32 v3, 7, v9
	v_lshrrev_b32_sdwa v2, v2, v9 dst_sel:BYTE_1 dst_unused:UNUSED_PAD src0_sel:DWORD src1_sel:DWORD
	v_ffbh_u32_e32 v4, v3
	v_or_b32_sdwa v2, v9, v2 dst_sel:DWORD dst_unused:UNUSED_PAD src0_sel:BYTE_0 src1_sel:DWORD
	v_min_u32_e32 v4, 32, v4
	v_lshrrev_b16_e32 v2, 3, v2
	v_subrev_u32_e32 v6, 28, v4
	v_and_b32_e32 v2, 15, v2
	v_lshlrev_b32_e32 v6, v6, v9
	v_sub_u32_e32 v4, 29, v4
	v_and_b32_e32 v6, 7, v6
	v_cmp_eq_u16_e32 vcc, 0, v2
	v_cndmask_b32_e32 v3, v3, v6, vcc
	v_cndmask_b32_e32 v2, v2, v4, vcc
	v_lshlrev_b32_e32 v4, 24, v9
	v_mov_b32_e32 v6, 0x3b800000
	v_lshlrev_b32_e32 v3, 20, v3
	v_and_b32_e32 v4, 0x80000000, v4
	v_lshl_add_u32 v2, v2, 23, v6
	v_or3_b32 v2, v4, v2, v3
.LBB4_100:
	s_or_b64 exec, exec, s[6:7]
	s_movk_i32 s4, 0x7f
	v_cmp_gt_i16_sdwa s[6:7], v5, s4 src0_sel:BYTE_0 src1_sel:DWORD
	s_mov_b64 s[4:5], 0
                                        ; implicit-def: $sgpr10
	s_and_saveexec_b64 s[8:9], s[6:7]
	s_xor_b64 s[6:7], exec, s[8:9]
	s_cbranch_execnz .LBB4_2149
; %bb.101:
	s_or_saveexec_b64 s[6:7], s[6:7]
	v_mov_b32_e32 v3, s10
	s_xor_b64 exec, exec, s[6:7]
	s_cbranch_execnz .LBB4_2152
.LBB4_102:
	s_or_b64 exec, exec, s[6:7]
	s_and_saveexec_b64 s[6:7], s[4:5]
	s_cbranch_execz .LBB4_104
.LBB4_103:
	v_mov_b32_e32 v3, 8
	v_and_b32_e32 v4, 7, v5
	v_lshrrev_b32_sdwa v3, v3, v5 dst_sel:BYTE_1 dst_unused:UNUSED_PAD src0_sel:DWORD src1_sel:DWORD
	v_ffbh_u32_e32 v6, v4
	v_or_b32_sdwa v3, v5, v3 dst_sel:DWORD dst_unused:UNUSED_PAD src0_sel:BYTE_0 src1_sel:DWORD
	v_min_u32_e32 v6, 32, v6
	v_lshrrev_b16_e32 v3, 3, v3
	v_subrev_u32_e32 v7, 28, v6
	v_and_b32_e32 v3, 15, v3
	v_lshlrev_b32_e32 v7, v7, v5
	v_sub_u32_e32 v6, 29, v6
	v_and_b32_e32 v7, 7, v7
	v_cmp_eq_u16_e32 vcc, 0, v3
	v_cndmask_b32_e32 v4, v4, v7, vcc
	v_cndmask_b32_e32 v3, v3, v6, vcc
	v_lshlrev_b32_e32 v6, 24, v5
	v_mov_b32_e32 v7, 0x3b800000
	v_lshlrev_b32_e32 v4, 20, v4
	v_and_b32_e32 v6, 0x80000000, v6
	v_lshl_add_u32 v3, v3, 23, v7
	v_or3_b32 v3, v6, v3, v4
.LBB4_104:
	s_or_b64 exec, exec, s[6:7]
	s_nop 0
	v_mfma_f32_16x16x4f32 a[0:3], v2, v3, a[0:3]
	v_lshrrev_b32_e32 v3, 8, v9
	s_movk_i32 s4, 0x7f
	v_cmp_gt_i16_sdwa s[6:7], v3, s4 src0_sel:BYTE_0 src1_sel:DWORD
	s_mov_b64 s[4:5], 0
                                        ; implicit-def: $sgpr10
	s_and_saveexec_b64 s[8:9], s[6:7]
	s_xor_b64 s[6:7], exec, s[8:9]
	s_cbranch_execnz .LBB4_2153
; %bb.105:
	s_or_saveexec_b64 s[6:7], s[6:7]
	v_mov_b32_e32 v2, s10
	s_xor_b64 exec, exec, s[6:7]
	s_cbranch_execnz .LBB4_2156
.LBB4_106:
	s_or_b64 exec, exec, s[6:7]
	s_and_saveexec_b64 s[6:7], s[4:5]
	s_cbranch_execz .LBB4_108
.LBB4_107:
	v_bfe_u32 v2, v9, 8, 3
	v_ffbh_u32_e32 v6, v2
	v_min_u32_e32 v6, 32, v6
	v_lshrrev_b16_e32 v4, 3, v3
	v_subrev_u32_e32 v7, 28, v6
	v_and_b32_e32 v4, 15, v4
	v_lshlrev_b32_e32 v3, v7, v3
	v_sub_u32_e32 v6, 29, v6
	v_and_b32_e32 v3, 7, v3
	v_cmp_eq_u16_e32 vcc, 0, v4
	v_cndmask_b32_e32 v2, v2, v3, vcc
	v_cndmask_b32_e32 v3, v4, v6, vcc
	v_lshlrev_b32_e32 v4, 16, v9
	v_mov_b32_e32 v6, 0x3b800000
	v_lshlrev_b32_e32 v2, 20, v2
	v_and_b32_e32 v4, 0x80000000, v4
	v_lshl_add_u32 v3, v3, 23, v6
	v_or3_b32 v2, v4, v3, v2
.LBB4_108:
	s_or_b64 exec, exec, s[6:7]
	v_lshrrev_b32_e32 v3, 8, v5
	s_movk_i32 s4, 0x7f
	v_cmp_gt_i16_sdwa s[6:7], v3, s4 src0_sel:BYTE_0 src1_sel:DWORD
	s_mov_b64 s[4:5], 0
                                        ; implicit-def: $sgpr10
	s_and_saveexec_b64 s[8:9], s[6:7]
	s_xor_b64 s[6:7], exec, s[8:9]
	s_cbranch_execnz .LBB4_2157
; %bb.109:
	s_or_saveexec_b64 s[6:7], s[6:7]
	v_mov_b32_e32 v4, s10
	s_xor_b64 exec, exec, s[6:7]
	s_cbranch_execnz .LBB4_2160
.LBB4_110:
	s_or_b64 exec, exec, s[6:7]
	s_and_saveexec_b64 s[6:7], s[4:5]
	s_cbranch_execz .LBB4_112
.LBB4_111:
	v_bfe_u32 v4, v5, 8, 3
	v_ffbh_u32_e32 v7, v4
	v_min_u32_e32 v7, 32, v7
	v_lshrrev_b16_e32 v6, 3, v3
	v_subrev_u32_e32 v8, 28, v7
	v_and_b32_e32 v6, 15, v6
	v_lshlrev_b32_e32 v3, v8, v3
	v_sub_u32_e32 v7, 29, v7
	v_and_b32_e32 v3, 7, v3
	v_cmp_eq_u16_e32 vcc, 0, v6
	v_cndmask_b32_e32 v3, v4, v3, vcc
	v_cndmask_b32_e32 v4, v6, v7, vcc
	v_lshlrev_b32_e32 v6, 16, v5
	v_mov_b32_e32 v7, 0x3b800000
	v_lshlrev_b32_e32 v3, 20, v3
	v_and_b32_e32 v6, 0x80000000, v6
	v_lshl_add_u32 v4, v4, 23, v7
	v_or3_b32 v4, v6, v4, v3
.LBB4_112:
	s_or_b64 exec, exec, s[6:7]
	s_nop 0
	v_mfma_f32_16x16x4f32 a[0:3], v2, v4, a[0:3]
	s_movk_i32 s4, 0xff
	v_and_b32_sdwa v3, v9, s4 dst_sel:DWORD dst_unused:UNUSED_PAD src0_sel:WORD_1 src1_sel:DWORD
	s_movk_i32 s4, 0x7f
	v_cmp_lt_i16_e32 vcc, s4, v3
	s_mov_b64 s[4:5], 0
                                        ; implicit-def: $sgpr10
	s_and_saveexec_b64 s[6:7], vcc
	s_xor_b64 s[6:7], exec, s[6:7]
	s_cbranch_execnz .LBB4_2161
; %bb.113:
	s_or_saveexec_b64 s[6:7], s[6:7]
	v_mov_b32_e32 v2, s10
	s_xor_b64 exec, exec, s[6:7]
	s_cbranch_execnz .LBB4_2164
.LBB4_114:
	s_or_b64 exec, exec, s[6:7]
	s_and_saveexec_b64 s[6:7], s[4:5]
	s_cbranch_execz .LBB4_116
.LBB4_115:
	v_bfe_u32 v2, v9, 16, 3
	v_ffbh_u32_e32 v6, v2
	v_min_u32_e32 v6, 32, v6
	v_lshrrev_b32_e32 v3, 19, v9
	v_subrev_u32_e32 v7, 28, v6
	v_and_b32_e32 v3, 15, v3
	v_lshlrev_b32_sdwa v7, v7, v9 dst_sel:DWORD dst_unused:UNUSED_PAD src0_sel:DWORD src1_sel:WORD_1
	v_bfe_u32 v4, v9, 19, 4
	v_sub_u32_e32 v6, 29, v6
	v_and_b32_e32 v7, 7, v7
	v_cmp_eq_u16_e32 vcc, 0, v3
	v_cndmask_b32_e32 v2, v2, v7, vcc
	v_cndmask_b32_e32 v3, v4, v6, vcc
	v_lshlrev_b32_e32 v4, 8, v9
	v_mov_b32_e32 v6, 0x3b800000
	v_lshlrev_b32_e32 v2, 20, v2
	v_and_b32_e32 v4, 0x80000000, v4
	v_lshl_add_u32 v3, v3, 23, v6
	v_or3_b32 v2, v4, v3, v2
.LBB4_116:
	s_or_b64 exec, exec, s[6:7]
	s_movk_i32 s4, 0xff
	v_and_b32_sdwa v3, v5, s4 dst_sel:DWORD dst_unused:UNUSED_PAD src0_sel:WORD_1 src1_sel:DWORD
	s_movk_i32 s4, 0x7f
	v_cmp_lt_i16_e32 vcc, s4, v3
	s_mov_b64 s[4:5], 0
                                        ; implicit-def: $sgpr10
	s_and_saveexec_b64 s[6:7], vcc
	s_xor_b64 s[6:7], exec, s[6:7]
	s_cbranch_execnz .LBB4_2165
; %bb.117:
	s_or_saveexec_b64 s[6:7], s[6:7]
	v_mov_b32_e32 v4, s10
	s_xor_b64 exec, exec, s[6:7]
	s_cbranch_execnz .LBB4_2168
.LBB4_118:
	s_or_b64 exec, exec, s[6:7]
	s_and_saveexec_b64 s[6:7], s[4:5]
	s_cbranch_execz .LBB4_120
.LBB4_119:
	v_bfe_u32 v3, v5, 16, 3
	v_ffbh_u32_e32 v7, v3
	v_min_u32_e32 v7, 32, v7
	v_lshrrev_b32_e32 v4, 19, v5
	v_subrev_u32_e32 v8, 28, v7
	v_and_b32_e32 v4, 15, v4
	v_lshlrev_b32_sdwa v8, v8, v5 dst_sel:DWORD dst_unused:UNUSED_PAD src0_sel:DWORD src1_sel:WORD_1
	v_bfe_u32 v6, v5, 19, 4
	v_sub_u32_e32 v7, 29, v7
	v_and_b32_e32 v8, 7, v8
	v_cmp_eq_u16_e32 vcc, 0, v4
	v_cndmask_b32_e32 v3, v3, v8, vcc
	v_cndmask_b32_e32 v4, v6, v7, vcc
	v_lshlrev_b32_e32 v6, 8, v5
	v_mov_b32_e32 v7, 0x3b800000
	v_lshlrev_b32_e32 v3, 20, v3
	v_and_b32_e32 v6, 0x80000000, v6
	v_lshl_add_u32 v4, v4, 23, v7
	v_or3_b32 v4, v6, v4, v3
.LBB4_120:
	s_or_b64 exec, exec, s[6:7]
	s_nop 0
	v_mfma_f32_16x16x4f32 a[0:3], v2, v4, a[0:3]
	s_movk_i32 s4, 0x7f
	v_cmp_gt_i16_sdwa s[6:7], v9, s4 src0_sel:BYTE_3 src1_sel:DWORD
	s_mov_b64 s[4:5], 0
                                        ; implicit-def: $sgpr10
	s_and_saveexec_b64 s[8:9], s[6:7]
	s_xor_b64 s[6:7], exec, s[8:9]
	s_cbranch_execnz .LBB4_2169
; %bb.121:
	s_or_saveexec_b64 s[6:7], s[6:7]
	v_mov_b32_e32 v2, s10
	s_xor_b64 exec, exec, s[6:7]
	s_cbranch_execnz .LBB4_2172
.LBB4_122:
	s_or_b64 exec, exec, s[6:7]
	s_and_saveexec_b64 s[6:7], s[4:5]
	s_cbranch_execz .LBB4_124
.LBB4_123:
	v_bfe_u32 v2, v9, 24, 3
	v_ffbh_u32_e32 v7, v2
	v_min_u32_e32 v7, 32, v7
	v_lshrrev_b32_e32 v4, 27, v9
	v_subrev_u32_e32 v8, 28, v7
	v_and_b32_e32 v4, 15, v4
	v_lshlrev_b32_sdwa v8, v8, v9 dst_sel:DWORD dst_unused:UNUSED_PAD src0_sel:DWORD src1_sel:BYTE_3
	v_bfe_u32 v6, v9, 27, 4
	v_sub_u32_e32 v7, 29, v7
	v_and_b32_e32 v8, 7, v8
	v_cmp_eq_u16_e32 vcc, 0, v4
	v_cndmask_b32_e32 v2, v2, v8, vcc
	v_cndmask_b32_e32 v4, v6, v7, vcc
	v_mov_b32_e32 v6, 0x3b800000
	v_and_b32_e32 v3, 0x80000000, v9
	v_lshlrev_b32_e32 v2, 20, v2
	v_lshl_add_u32 v4, v4, 23, v6
	v_or3_b32 v2, v3, v4, v2
.LBB4_124:
	s_or_b64 exec, exec, s[6:7]
	s_movk_i32 s4, 0x7f
	v_cmp_gt_i16_sdwa s[6:7], v5, s4 src0_sel:BYTE_3 src1_sel:DWORD
	s_mov_b64 s[4:5], 0
                                        ; implicit-def: $sgpr10
	s_and_saveexec_b64 s[8:9], s[6:7]
	s_xor_b64 s[6:7], exec, s[8:9]
	s_cbranch_execnz .LBB4_2173
; %bb.125:
	s_or_saveexec_b64 s[6:7], s[6:7]
	v_mov_b32_e32 v3, s10
	s_xor_b64 exec, exec, s[6:7]
	s_cbranch_execnz .LBB4_2176
.LBB4_126:
	s_or_b64 exec, exec, s[6:7]
	s_and_saveexec_b64 s[6:7], s[4:5]
	s_cbranch_execz .LBB4_128
.LBB4_127:
	v_bfe_u32 v3, v5, 24, 3
	v_ffbh_u32_e32 v8, v3
	v_min_u32_e32 v8, 32, v8
	v_lshrrev_b32_e32 v6, 27, v5
	v_subrev_u32_e32 v9, 28, v8
	v_and_b32_e32 v4, 0x80000000, v5
	v_and_b32_e32 v6, 15, v6
	v_bfe_u32 v7, v5, 27, 4
	v_lshlrev_b32_sdwa v5, v9, v5 dst_sel:DWORD dst_unused:UNUSED_PAD src0_sel:DWORD src1_sel:BYTE_3
	v_sub_u32_e32 v8, 29, v8
	v_and_b32_e32 v5, 7, v5
	v_cmp_eq_u16_e32 vcc, 0, v6
	v_cndmask_b32_e32 v3, v3, v5, vcc
	v_cndmask_b32_e32 v5, v7, v8, vcc
	v_mov_b32_e32 v6, 0x3b800000
	v_lshlrev_b32_e32 v3, 20, v3
	v_lshl_add_u32 v5, v5, 23, v6
	v_or3_b32 v3, v4, v5, v3
.LBB4_128:
	s_or_b64 exec, exec, s[6:7]
	s_nop 0
	v_mfma_f32_16x16x4f32 a[0:3], v2, v3, a[0:3]
	s_movk_i32 s4, 0x7f
                                        ; implicit-def: $sgpr10
	s_nop 7
	s_nop 1
	flat_store_dwordx4 v[10:11], a[0:3]
	flat_load_dwordx4 v[12:15], v[0:1] offset:8
	s_nop 0
	flat_load_dwordx2 v[10:11], v[0:1] offset:32
	s_waitcnt vmcnt(0) lgkmcnt(0)
	flat_load_dwordx4 v[6:9], v[12:13] offset:16
	flat_load_dwordx4 v[2:5], v[14:15] offset:48
	s_waitcnt vmcnt(0) lgkmcnt(0)
	v_cmp_gt_i16_sdwa s[6:7], v6, s4 src0_sel:BYTE_0 src1_sel:DWORD
	s_mov_b64 s[4:5], 0
	s_and_saveexec_b64 s[8:9], s[6:7]
	s_xor_b64 s[6:7], exec, s[8:9]
	s_cbranch_execnz .LBB4_2177
; %bb.129:
	s_or_saveexec_b64 s[6:7], s[6:7]
	v_mov_b32_e32 v12, s10
	s_xor_b64 exec, exec, s[6:7]
	s_cbranch_execnz .LBB4_2180
.LBB4_130:
	s_or_b64 exec, exec, s[6:7]
	s_and_saveexec_b64 s[6:7], s[4:5]
	s_cbranch_execz .LBB4_132
.LBB4_131:
	v_and_b32_e32 v12, 7, v6
	v_ffbh_u32_e32 v14, v12
	v_min_u32_e32 v14, 32, v14
	v_lshrrev_b16_e32 v13, 3, v6
	v_subrev_u32_e32 v15, 28, v14
	v_and_b32_e32 v13, 15, v13
	v_lshlrev_b32_e32 v15, v15, v6
	v_sub_u32_e32 v14, 29, v14
	v_and_b32_e32 v15, 7, v15
	v_cmp_eq_u16_e32 vcc, 0, v13
	v_cndmask_b32_e32 v12, v12, v15, vcc
	v_cndmask_b32_e32 v13, v13, v14, vcc
	v_lshlrev_b32_e32 v14, 24, v6
	v_mov_b32_e32 v15, 0x3b800000
	v_lshlrev_b32_e32 v12, 20, v12
	v_and_b32_e32 v14, 0x80000000, v14
	v_lshl_add_u32 v13, v13, 23, v15
	v_or3_b32 v12, v14, v13, v12
.LBB4_132:
	s_or_b64 exec, exec, s[6:7]
	s_movk_i32 s4, 0x7f
	v_cmp_gt_i16_sdwa s[6:7], v2, s4 src0_sel:BYTE_0 src1_sel:DWORD
	s_mov_b64 s[4:5], 0
                                        ; implicit-def: $sgpr10
	s_and_saveexec_b64 s[8:9], s[6:7]
	s_xor_b64 s[6:7], exec, s[8:9]
	s_cbranch_execnz .LBB4_2181
; %bb.133:
	s_or_saveexec_b64 s[6:7], s[6:7]
	v_mov_b32_e32 v13, s10
	s_xor_b64 exec, exec, s[6:7]
	s_cbranch_execnz .LBB4_2184
.LBB4_134:
	s_or_b64 exec, exec, s[6:7]
	s_and_saveexec_b64 s[6:7], s[4:5]
	s_cbranch_execz .LBB4_136
.LBB4_135:
	v_and_b32_e32 v13, 7, v2
	v_ffbh_u32_e32 v15, v13
	v_min_u32_e32 v15, 32, v15
	v_lshrrev_b16_e32 v14, 3, v2
	v_subrev_u32_e32 v16, 28, v15
	v_and_b32_e32 v14, 15, v14
	v_lshlrev_b32_e32 v16, v16, v2
	v_sub_u32_e32 v15, 29, v15
	v_and_b32_e32 v16, 7, v16
	v_cmp_eq_u16_e32 vcc, 0, v14
	v_cndmask_b32_e32 v13, v13, v16, vcc
	v_cndmask_b32_e32 v14, v14, v15, vcc
	v_lshlrev_b32_e32 v15, 24, v2
	v_mov_b32_e32 v16, 0x3b800000
	v_lshlrev_b32_e32 v13, 20, v13
	v_and_b32_e32 v15, 0x80000000, v15
	v_lshl_add_u32 v14, v14, 23, v16
	v_or3_b32 v13, v15, v14, v13
.LBB4_136:
	s_or_b64 exec, exec, s[6:7]
	flat_load_dwordx4 a[0:3], v[10:11] offset:16
	s_movk_i32 s4, 0x7f
                                        ; implicit-def: $sgpr10
	s_waitcnt vmcnt(0) lgkmcnt(0)
	v_mfma_f32_16x16x4f32 a[0:3], v12, v13, a[0:3]
	v_lshrrev_b32_e32 v13, 8, v6
	v_cmp_gt_i16_sdwa s[6:7], v13, s4 src0_sel:BYTE_0 src1_sel:DWORD
	s_mov_b64 s[4:5], 0
	s_and_saveexec_b64 s[8:9], s[6:7]
	s_xor_b64 s[6:7], exec, s[8:9]
	s_cbranch_execnz .LBB4_2185
; %bb.137:
	s_or_saveexec_b64 s[6:7], s[6:7]
	v_mov_b32_e32 v12, s10
	s_xor_b64 exec, exec, s[6:7]
	s_cbranch_execnz .LBB4_2188
.LBB4_138:
	s_or_b64 exec, exec, s[6:7]
	s_and_saveexec_b64 s[6:7], s[4:5]
	s_cbranch_execz .LBB4_140
.LBB4_139:
	v_bfe_u32 v12, v6, 8, 3
	v_ffbh_u32_e32 v15, v12
	v_min_u32_e32 v15, 32, v15
	v_lshrrev_b16_e32 v14, 3, v13
	v_subrev_u32_e32 v16, 28, v15
	v_and_b32_e32 v14, 15, v14
	v_lshlrev_b32_e32 v13, v16, v13
	v_sub_u32_e32 v15, 29, v15
	v_and_b32_e32 v13, 7, v13
	v_cmp_eq_u16_e32 vcc, 0, v14
	v_cndmask_b32_e32 v12, v12, v13, vcc
	v_cndmask_b32_e32 v13, v14, v15, vcc
	v_lshlrev_b32_e32 v14, 16, v6
	v_mov_b32_e32 v15, 0x3b800000
	v_lshlrev_b32_e32 v12, 20, v12
	v_and_b32_e32 v14, 0x80000000, v14
	v_lshl_add_u32 v13, v13, 23, v15
	v_or3_b32 v12, v14, v13, v12
.LBB4_140:
	s_or_b64 exec, exec, s[6:7]
	v_lshrrev_b32_e32 v13, 8, v2
	s_movk_i32 s4, 0x7f
	v_cmp_gt_i16_sdwa s[6:7], v13, s4 src0_sel:BYTE_0 src1_sel:DWORD
	s_mov_b64 s[4:5], 0
                                        ; implicit-def: $sgpr10
	s_and_saveexec_b64 s[8:9], s[6:7]
	s_xor_b64 s[6:7], exec, s[8:9]
	s_cbranch_execnz .LBB4_2189
; %bb.141:
	s_or_saveexec_b64 s[6:7], s[6:7]
	v_mov_b32_e32 v14, s10
	s_xor_b64 exec, exec, s[6:7]
	s_cbranch_execnz .LBB4_2192
.LBB4_142:
	s_or_b64 exec, exec, s[6:7]
	s_and_saveexec_b64 s[6:7], s[4:5]
	s_cbranch_execz .LBB4_144
.LBB4_143:
	v_bfe_u32 v14, v2, 8, 3
	v_ffbh_u32_e32 v16, v14
	v_min_u32_e32 v16, 32, v16
	v_lshrrev_b16_e32 v15, 3, v13
	v_subrev_u32_e32 v17, 28, v16
	v_and_b32_e32 v15, 15, v15
	v_lshlrev_b32_e32 v13, v17, v13
	v_sub_u32_e32 v16, 29, v16
	v_and_b32_e32 v13, 7, v13
	v_cmp_eq_u16_e32 vcc, 0, v15
	v_cndmask_b32_e32 v13, v14, v13, vcc
	v_cndmask_b32_e32 v14, v15, v16, vcc
	v_lshlrev_b32_e32 v15, 16, v2
	v_mov_b32_e32 v16, 0x3b800000
	v_lshlrev_b32_e32 v13, 20, v13
	v_and_b32_e32 v15, 0x80000000, v15
	v_lshl_add_u32 v14, v14, 23, v16
	v_or3_b32 v14, v15, v14, v13
.LBB4_144:
	s_or_b64 exec, exec, s[6:7]
	s_nop 0
	v_mfma_f32_16x16x4f32 a[0:3], v12, v14, a[0:3]
	s_movk_i32 s4, 0xff
	v_and_b32_sdwa v13, v6, s4 dst_sel:DWORD dst_unused:UNUSED_PAD src0_sel:WORD_1 src1_sel:DWORD
	s_movk_i32 s4, 0x7f
	v_cmp_lt_i16_e32 vcc, s4, v13
	s_mov_b64 s[4:5], 0
                                        ; implicit-def: $sgpr10
	s_and_saveexec_b64 s[6:7], vcc
	s_xor_b64 s[6:7], exec, s[6:7]
	s_cbranch_execnz .LBB4_2193
; %bb.145:
	s_or_saveexec_b64 s[6:7], s[6:7]
	v_mov_b32_e32 v12, s10
	s_xor_b64 exec, exec, s[6:7]
	s_cbranch_execnz .LBB4_2196
.LBB4_146:
	s_or_b64 exec, exec, s[6:7]
	s_and_saveexec_b64 s[6:7], s[4:5]
	s_cbranch_execz .LBB4_148
.LBB4_147:
	v_bfe_u32 v12, v6, 16, 3
	v_ffbh_u32_e32 v15, v12
	v_min_u32_e32 v15, 32, v15
	v_lshrrev_b32_e32 v13, 19, v6
	v_subrev_u32_e32 v16, 28, v15
	v_and_b32_e32 v13, 15, v13
	v_lshlrev_b32_sdwa v16, v16, v6 dst_sel:DWORD dst_unused:UNUSED_PAD src0_sel:DWORD src1_sel:WORD_1
	v_bfe_u32 v14, v6, 19, 4
	v_sub_u32_e32 v15, 29, v15
	v_and_b32_e32 v16, 7, v16
	v_cmp_eq_u16_e32 vcc, 0, v13
	v_cndmask_b32_e32 v12, v12, v16, vcc
	v_cndmask_b32_e32 v13, v14, v15, vcc
	v_lshlrev_b32_e32 v14, 8, v6
	v_mov_b32_e32 v15, 0x3b800000
	v_lshlrev_b32_e32 v12, 20, v12
	v_and_b32_e32 v14, 0x80000000, v14
	v_lshl_add_u32 v13, v13, 23, v15
	v_or3_b32 v12, v14, v13, v12
.LBB4_148:
	s_or_b64 exec, exec, s[6:7]
	s_movk_i32 s4, 0xff
	v_and_b32_sdwa v13, v2, s4 dst_sel:DWORD dst_unused:UNUSED_PAD src0_sel:WORD_1 src1_sel:DWORD
	s_movk_i32 s4, 0x7f
	v_cmp_lt_i16_e32 vcc, s4, v13
	s_mov_b64 s[4:5], 0
                                        ; implicit-def: $sgpr10
	s_and_saveexec_b64 s[6:7], vcc
	s_xor_b64 s[6:7], exec, s[6:7]
	s_cbranch_execnz .LBB4_2197
; %bb.149:
	s_or_saveexec_b64 s[6:7], s[6:7]
	v_mov_b32_e32 v14, s10
	s_xor_b64 exec, exec, s[6:7]
	s_cbranch_execnz .LBB4_2200
.LBB4_150:
	s_or_b64 exec, exec, s[6:7]
	s_and_saveexec_b64 s[6:7], s[4:5]
	s_cbranch_execz .LBB4_152
.LBB4_151:
	v_bfe_u32 v13, v2, 16, 3
	v_ffbh_u32_e32 v16, v13
	v_min_u32_e32 v16, 32, v16
	v_lshrrev_b32_e32 v14, 19, v2
	v_subrev_u32_e32 v17, 28, v16
	v_and_b32_e32 v14, 15, v14
	v_lshlrev_b32_sdwa v17, v17, v2 dst_sel:DWORD dst_unused:UNUSED_PAD src0_sel:DWORD src1_sel:WORD_1
	v_bfe_u32 v15, v2, 19, 4
	v_sub_u32_e32 v16, 29, v16
	v_and_b32_e32 v17, 7, v17
	v_cmp_eq_u16_e32 vcc, 0, v14
	v_cndmask_b32_e32 v13, v13, v17, vcc
	v_cndmask_b32_e32 v14, v15, v16, vcc
	v_lshlrev_b32_e32 v15, 8, v2
	v_mov_b32_e32 v16, 0x3b800000
	v_lshlrev_b32_e32 v13, 20, v13
	v_and_b32_e32 v15, 0x80000000, v15
	v_lshl_add_u32 v14, v14, 23, v16
	v_or3_b32 v14, v15, v14, v13
.LBB4_152:
	s_or_b64 exec, exec, s[6:7]
	s_nop 0
	v_mfma_f32_16x16x4f32 a[0:3], v12, v14, a[0:3]
	s_movk_i32 s4, 0x7f
	v_cmp_gt_i16_sdwa s[6:7], v6, s4 src0_sel:BYTE_3 src1_sel:DWORD
	s_mov_b64 s[4:5], 0
                                        ; implicit-def: $sgpr10
	s_and_saveexec_b64 s[8:9], s[6:7]
	s_xor_b64 s[6:7], exec, s[8:9]
	s_cbranch_execnz .LBB4_2201
; %bb.153:
	s_or_saveexec_b64 s[6:7], s[6:7]
	v_mov_b32_e32 v12, s10
	s_xor_b64 exec, exec, s[6:7]
	s_cbranch_execnz .LBB4_2204
.LBB4_154:
	s_or_b64 exec, exec, s[6:7]
	s_and_saveexec_b64 s[6:7], s[4:5]
	s_cbranch_execz .LBB4_156
.LBB4_155:
	v_bfe_u32 v12, v6, 24, 3
	v_ffbh_u32_e32 v16, v12
	v_min_u32_e32 v16, 32, v16
	v_lshrrev_b32_e32 v14, 27, v6
	v_subrev_u32_e32 v17, 28, v16
	v_and_b32_e32 v13, 0x80000000, v6
	v_and_b32_e32 v14, 15, v14
	v_bfe_u32 v15, v6, 27, 4
	v_lshlrev_b32_sdwa v6, v17, v6 dst_sel:DWORD dst_unused:UNUSED_PAD src0_sel:DWORD src1_sel:BYTE_3
	v_sub_u32_e32 v16, 29, v16
	v_and_b32_e32 v6, 7, v6
	v_cmp_eq_u16_e32 vcc, 0, v14
	v_cndmask_b32_e32 v6, v12, v6, vcc
	v_cndmask_b32_e32 v12, v15, v16, vcc
	v_mov_b32_e32 v14, 0x3b800000
	v_lshlrev_b32_e32 v6, 20, v6
	v_lshl_add_u32 v12, v12, 23, v14
	v_or3_b32 v12, v13, v12, v6
.LBB4_156:
	s_or_b64 exec, exec, s[6:7]
	s_movk_i32 s4, 0x7f
	v_cmp_gt_i16_sdwa s[6:7], v2, s4 src0_sel:BYTE_3 src1_sel:DWORD
	s_mov_b64 s[4:5], 0
                                        ; implicit-def: $sgpr10
	s_and_saveexec_b64 s[8:9], s[6:7]
	s_xor_b64 s[6:7], exec, s[8:9]
	s_cbranch_execnz .LBB4_2205
; %bb.157:
	s_or_saveexec_b64 s[6:7], s[6:7]
	v_mov_b32_e32 v6, s10
	s_xor_b64 exec, exec, s[6:7]
	s_cbranch_execnz .LBB4_2208
.LBB4_158:
	s_or_b64 exec, exec, s[6:7]
	s_and_saveexec_b64 s[6:7], s[4:5]
	s_cbranch_execz .LBB4_160
.LBB4_159:
	v_bfe_u32 v6, v2, 24, 3
	v_ffbh_u32_e32 v16, v6
	v_min_u32_e32 v16, 32, v16
	v_lshrrev_b32_e32 v14, 27, v2
	v_subrev_u32_e32 v17, 28, v16
	v_and_b32_e32 v13, 0x80000000, v2
	v_and_b32_e32 v14, 15, v14
	v_bfe_u32 v15, v2, 27, 4
	v_lshlrev_b32_sdwa v2, v17, v2 dst_sel:DWORD dst_unused:UNUSED_PAD src0_sel:DWORD src1_sel:BYTE_3
	v_sub_u32_e32 v16, 29, v16
	v_and_b32_e32 v2, 7, v2
	v_cmp_eq_u16_e32 vcc, 0, v14
	v_cndmask_b32_e32 v2, v6, v2, vcc
	v_cndmask_b32_e32 v6, v15, v16, vcc
	v_mov_b32_e32 v14, 0x3b800000
	v_lshlrev_b32_e32 v2, 20, v2
	v_lshl_add_u32 v6, v6, 23, v14
	v_or3_b32 v6, v13, v6, v2
.LBB4_160:
	s_or_b64 exec, exec, s[6:7]
	s_nop 0
	v_mfma_f32_16x16x4f32 a[0:3], v12, v6, a[0:3]
	s_movk_i32 s4, 0x7f
	v_cmp_gt_i16_sdwa s[6:7], v7, s4 src0_sel:BYTE_0 src1_sel:DWORD
	s_mov_b64 s[4:5], 0
                                        ; implicit-def: $sgpr10
	s_and_saveexec_b64 s[8:9], s[6:7]
	s_xor_b64 s[6:7], exec, s[8:9]
	s_cbranch_execnz .LBB4_2209
; %bb.161:
	s_or_saveexec_b64 s[6:7], s[6:7]
	v_mov_b32_e32 v2, s10
	s_xor_b64 exec, exec, s[6:7]
	s_cbranch_execnz .LBB4_2212
.LBB4_162:
	s_or_b64 exec, exec, s[6:7]
	s_and_saveexec_b64 s[6:7], s[4:5]
	s_cbranch_execz .LBB4_164
.LBB4_163:
	v_and_b32_e32 v2, 7, v7
	v_ffbh_u32_e32 v12, v2
	v_min_u32_e32 v12, 32, v12
	v_lshrrev_b16_e32 v6, 3, v7
	v_subrev_u32_e32 v13, 28, v12
	v_and_b32_e32 v6, 15, v6
	v_lshlrev_b32_e32 v13, v13, v7
	v_sub_u32_e32 v12, 29, v12
	v_and_b32_e32 v13, 7, v13
	v_cmp_eq_u16_e32 vcc, 0, v6
	v_cndmask_b32_e32 v2, v2, v13, vcc
	v_cndmask_b32_e32 v6, v6, v12, vcc
	v_lshlrev_b32_e32 v12, 24, v7
	v_mov_b32_e32 v13, 0x3b800000
	v_lshlrev_b32_e32 v2, 20, v2
	v_and_b32_e32 v12, 0x80000000, v12
	v_lshl_add_u32 v6, v6, 23, v13
	v_or3_b32 v2, v12, v6, v2
.LBB4_164:
	s_or_b64 exec, exec, s[6:7]
	s_movk_i32 s4, 0x7f
	v_cmp_gt_i16_sdwa s[6:7], v3, s4 src0_sel:BYTE_0 src1_sel:DWORD
	s_mov_b64 s[4:5], 0
                                        ; implicit-def: $sgpr10
	s_and_saveexec_b64 s[8:9], s[6:7]
	s_xor_b64 s[6:7], exec, s[8:9]
	s_cbranch_execnz .LBB4_2213
; %bb.165:
	s_or_saveexec_b64 s[6:7], s[6:7]
	v_mov_b32_e32 v6, s10
	s_xor_b64 exec, exec, s[6:7]
	s_cbranch_execnz .LBB4_2216
.LBB4_166:
	s_or_b64 exec, exec, s[6:7]
	s_and_saveexec_b64 s[6:7], s[4:5]
	s_cbranch_execz .LBB4_168
.LBB4_167:
	v_and_b32_e32 v6, 7, v3
	v_ffbh_u32_e32 v13, v6
	v_min_u32_e32 v13, 32, v13
	v_lshrrev_b16_e32 v12, 3, v3
	v_subrev_u32_e32 v14, 28, v13
	v_and_b32_e32 v12, 15, v12
	v_lshlrev_b32_e32 v14, v14, v3
	v_sub_u32_e32 v13, 29, v13
	v_and_b32_e32 v14, 7, v14
	v_cmp_eq_u16_e32 vcc, 0, v12
	v_cndmask_b32_e32 v6, v6, v14, vcc
	v_cndmask_b32_e32 v12, v12, v13, vcc
	v_lshlrev_b32_e32 v13, 24, v3
	v_mov_b32_e32 v14, 0x3b800000
	v_lshlrev_b32_e32 v6, 20, v6
	v_and_b32_e32 v13, 0x80000000, v13
	v_lshl_add_u32 v12, v12, 23, v14
	v_or3_b32 v6, v13, v12, v6
.LBB4_168:
	s_or_b64 exec, exec, s[6:7]
	s_nop 0
	v_mfma_f32_16x16x4f32 a[0:3], v2, v6, a[0:3]
	v_lshrrev_b32_e32 v6, 8, v7
	s_movk_i32 s4, 0x7f
	v_cmp_gt_i16_sdwa s[6:7], v6, s4 src0_sel:BYTE_0 src1_sel:DWORD
	s_mov_b64 s[4:5], 0
                                        ; implicit-def: $sgpr10
	s_and_saveexec_b64 s[8:9], s[6:7]
	s_xor_b64 s[6:7], exec, s[8:9]
	s_cbranch_execnz .LBB4_2217
; %bb.169:
	s_or_saveexec_b64 s[6:7], s[6:7]
	v_mov_b32_e32 v2, s10
	s_xor_b64 exec, exec, s[6:7]
	s_cbranch_execnz .LBB4_2220
.LBB4_170:
	s_or_b64 exec, exec, s[6:7]
	s_and_saveexec_b64 s[6:7], s[4:5]
	s_cbranch_execz .LBB4_172
.LBB4_171:
	v_bfe_u32 v2, v7, 8, 3
	v_ffbh_u32_e32 v13, v2
	v_min_u32_e32 v13, 32, v13
	v_lshrrev_b16_e32 v12, 3, v6
	v_subrev_u32_e32 v14, 28, v13
	v_and_b32_e32 v12, 15, v12
	v_lshlrev_b32_e32 v6, v14, v6
	v_sub_u32_e32 v13, 29, v13
	v_and_b32_e32 v6, 7, v6
	v_cmp_eq_u16_e32 vcc, 0, v12
	v_cndmask_b32_e32 v2, v2, v6, vcc
	v_cndmask_b32_e32 v6, v12, v13, vcc
	v_lshlrev_b32_e32 v12, 16, v7
	v_mov_b32_e32 v13, 0x3b800000
	v_lshlrev_b32_e32 v2, 20, v2
	v_and_b32_e32 v12, 0x80000000, v12
	v_lshl_add_u32 v6, v6, 23, v13
	v_or3_b32 v2, v12, v6, v2
.LBB4_172:
	s_or_b64 exec, exec, s[6:7]
	v_lshrrev_b32_e32 v6, 8, v3
	s_movk_i32 s4, 0x7f
	v_cmp_gt_i16_sdwa s[6:7], v6, s4 src0_sel:BYTE_0 src1_sel:DWORD
	s_mov_b64 s[4:5], 0
                                        ; implicit-def: $sgpr10
	s_and_saveexec_b64 s[8:9], s[6:7]
	s_xor_b64 s[6:7], exec, s[8:9]
	s_cbranch_execnz .LBB4_2221
; %bb.173:
	s_or_saveexec_b64 s[6:7], s[6:7]
	v_mov_b32_e32 v12, s10
	s_xor_b64 exec, exec, s[6:7]
	s_cbranch_execnz .LBB4_2224
.LBB4_174:
	s_or_b64 exec, exec, s[6:7]
	s_and_saveexec_b64 s[6:7], s[4:5]
	s_cbranch_execz .LBB4_176
.LBB4_175:
	v_bfe_u32 v12, v3, 8, 3
	v_ffbh_u32_e32 v14, v12
	v_min_u32_e32 v14, 32, v14
	v_lshrrev_b16_e32 v13, 3, v6
	v_subrev_u32_e32 v15, 28, v14
	v_and_b32_e32 v13, 15, v13
	v_lshlrev_b32_e32 v6, v15, v6
	v_sub_u32_e32 v14, 29, v14
	v_and_b32_e32 v6, 7, v6
	v_cmp_eq_u16_e32 vcc, 0, v13
	v_cndmask_b32_e32 v6, v12, v6, vcc
	v_cndmask_b32_e32 v12, v13, v14, vcc
	v_lshlrev_b32_e32 v13, 16, v3
	v_mov_b32_e32 v14, 0x3b800000
	v_lshlrev_b32_e32 v6, 20, v6
	v_and_b32_e32 v13, 0x80000000, v13
	v_lshl_add_u32 v12, v12, 23, v14
	v_or3_b32 v12, v13, v12, v6
.LBB4_176:
	s_or_b64 exec, exec, s[6:7]
	s_nop 0
	v_mfma_f32_16x16x4f32 a[0:3], v2, v12, a[0:3]
	s_movk_i32 s4, 0xff
	v_and_b32_sdwa v6, v7, s4 dst_sel:DWORD dst_unused:UNUSED_PAD src0_sel:WORD_1 src1_sel:DWORD
	s_movk_i32 s4, 0x7f
	v_cmp_lt_i16_e32 vcc, s4, v6
	s_mov_b64 s[4:5], 0
                                        ; implicit-def: $sgpr10
	s_and_saveexec_b64 s[6:7], vcc
	s_xor_b64 s[6:7], exec, s[6:7]
	s_cbranch_execnz .LBB4_2225
; %bb.177:
	s_or_saveexec_b64 s[6:7], s[6:7]
	v_mov_b32_e32 v2, s10
	s_xor_b64 exec, exec, s[6:7]
	s_cbranch_execnz .LBB4_2228
.LBB4_178:
	s_or_b64 exec, exec, s[6:7]
	s_and_saveexec_b64 s[6:7], s[4:5]
	s_cbranch_execz .LBB4_180
.LBB4_179:
	v_bfe_u32 v2, v7, 16, 3
	v_ffbh_u32_e32 v13, v2
	v_min_u32_e32 v13, 32, v13
	v_lshrrev_b32_e32 v6, 19, v7
	v_subrev_u32_e32 v14, 28, v13
	v_and_b32_e32 v6, 15, v6
	v_lshlrev_b32_sdwa v14, v14, v7 dst_sel:DWORD dst_unused:UNUSED_PAD src0_sel:DWORD src1_sel:WORD_1
	v_bfe_u32 v12, v7, 19, 4
	v_sub_u32_e32 v13, 29, v13
	v_and_b32_e32 v14, 7, v14
	v_cmp_eq_u16_e32 vcc, 0, v6
	v_cndmask_b32_e32 v2, v2, v14, vcc
	v_cndmask_b32_e32 v6, v12, v13, vcc
	v_lshlrev_b32_e32 v12, 8, v7
	v_mov_b32_e32 v13, 0x3b800000
	v_lshlrev_b32_e32 v2, 20, v2
	v_and_b32_e32 v12, 0x80000000, v12
	v_lshl_add_u32 v6, v6, 23, v13
	v_or3_b32 v2, v12, v6, v2
.LBB4_180:
	s_or_b64 exec, exec, s[6:7]
	s_movk_i32 s4, 0xff
	v_and_b32_sdwa v6, v3, s4 dst_sel:DWORD dst_unused:UNUSED_PAD src0_sel:WORD_1 src1_sel:DWORD
	s_movk_i32 s4, 0x7f
	v_cmp_lt_i16_e32 vcc, s4, v6
	s_mov_b64 s[4:5], 0
                                        ; implicit-def: $sgpr10
	s_and_saveexec_b64 s[6:7], vcc
	s_xor_b64 s[6:7], exec, s[6:7]
	s_cbranch_execnz .LBB4_2229
; %bb.181:
	s_or_saveexec_b64 s[6:7], s[6:7]
	v_mov_b32_e32 v12, s10
	s_xor_b64 exec, exec, s[6:7]
	s_cbranch_execnz .LBB4_2232
.LBB4_182:
	s_or_b64 exec, exec, s[6:7]
	s_and_saveexec_b64 s[6:7], s[4:5]
	s_cbranch_execz .LBB4_184
.LBB4_183:
	v_bfe_u32 v6, v3, 16, 3
	v_ffbh_u32_e32 v14, v6
	v_min_u32_e32 v14, 32, v14
	v_lshrrev_b32_e32 v12, 19, v3
	v_subrev_u32_e32 v15, 28, v14
	v_and_b32_e32 v12, 15, v12
	v_lshlrev_b32_sdwa v15, v15, v3 dst_sel:DWORD dst_unused:UNUSED_PAD src0_sel:DWORD src1_sel:WORD_1
	v_bfe_u32 v13, v3, 19, 4
	v_sub_u32_e32 v14, 29, v14
	v_and_b32_e32 v15, 7, v15
	v_cmp_eq_u16_e32 vcc, 0, v12
	v_cndmask_b32_e32 v6, v6, v15, vcc
	v_cndmask_b32_e32 v12, v13, v14, vcc
	v_lshlrev_b32_e32 v13, 8, v3
	v_mov_b32_e32 v14, 0x3b800000
	v_lshlrev_b32_e32 v6, 20, v6
	v_and_b32_e32 v13, 0x80000000, v13
	v_lshl_add_u32 v12, v12, 23, v14
	v_or3_b32 v12, v13, v12, v6
.LBB4_184:
	s_or_b64 exec, exec, s[6:7]
	s_nop 0
	v_mfma_f32_16x16x4f32 a[0:3], v2, v12, a[0:3]
	s_movk_i32 s4, 0x7f
	v_cmp_gt_i16_sdwa s[6:7], v7, s4 src0_sel:BYTE_3 src1_sel:DWORD
	s_mov_b64 s[4:5], 0
                                        ; implicit-def: $sgpr10
	s_and_saveexec_b64 s[8:9], s[6:7]
	s_xor_b64 s[6:7], exec, s[8:9]
	s_cbranch_execnz .LBB4_2233
; %bb.185:
	s_or_saveexec_b64 s[6:7], s[6:7]
	v_mov_b32_e32 v2, s10
	s_xor_b64 exec, exec, s[6:7]
	s_cbranch_execnz .LBB4_2236
.LBB4_186:
	s_or_b64 exec, exec, s[6:7]
	s_and_saveexec_b64 s[6:7], s[4:5]
	s_cbranch_execz .LBB4_188
.LBB4_187:
	v_bfe_u32 v2, v7, 24, 3
	v_ffbh_u32_e32 v14, v2
	v_min_u32_e32 v14, 32, v14
	v_lshrrev_b32_e32 v12, 27, v7
	v_subrev_u32_e32 v15, 28, v14
	v_and_b32_e32 v6, 0x80000000, v7
	v_and_b32_e32 v12, 15, v12
	v_bfe_u32 v13, v7, 27, 4
	v_lshlrev_b32_sdwa v7, v15, v7 dst_sel:DWORD dst_unused:UNUSED_PAD src0_sel:DWORD src1_sel:BYTE_3
	v_sub_u32_e32 v14, 29, v14
	v_and_b32_e32 v7, 7, v7
	v_cmp_eq_u16_e32 vcc, 0, v12
	v_cndmask_b32_e32 v2, v2, v7, vcc
	v_cndmask_b32_e32 v7, v13, v14, vcc
	v_mov_b32_e32 v12, 0x3b800000
	v_lshlrev_b32_e32 v2, 20, v2
	v_lshl_add_u32 v7, v7, 23, v12
	v_or3_b32 v2, v6, v7, v2
.LBB4_188:
	s_or_b64 exec, exec, s[6:7]
	s_movk_i32 s4, 0x7f
	v_cmp_gt_i16_sdwa s[6:7], v3, s4 src0_sel:BYTE_3 src1_sel:DWORD
	s_mov_b64 s[4:5], 0
                                        ; implicit-def: $sgpr10
	s_and_saveexec_b64 s[8:9], s[6:7]
	s_xor_b64 s[6:7], exec, s[8:9]
	s_cbranch_execnz .LBB4_2237
; %bb.189:
	s_or_saveexec_b64 s[6:7], s[6:7]
	v_mov_b32_e32 v6, s10
	s_xor_b64 exec, exec, s[6:7]
	s_cbranch_execnz .LBB4_2240
.LBB4_190:
	s_or_b64 exec, exec, s[6:7]
	s_and_saveexec_b64 s[6:7], s[4:5]
	s_cbranch_execz .LBB4_192
.LBB4_191:
	v_bfe_u32 v6, v3, 24, 3
	v_ffbh_u32_e32 v14, v6
	v_min_u32_e32 v14, 32, v14
	v_lshrrev_b32_e32 v12, 27, v3
	v_subrev_u32_e32 v15, 28, v14
	v_and_b32_e32 v7, 0x80000000, v3
	v_and_b32_e32 v12, 15, v12
	v_bfe_u32 v13, v3, 27, 4
	v_lshlrev_b32_sdwa v3, v15, v3 dst_sel:DWORD dst_unused:UNUSED_PAD src0_sel:DWORD src1_sel:BYTE_3
	v_sub_u32_e32 v14, 29, v14
	v_and_b32_e32 v3, 7, v3
	v_cmp_eq_u16_e32 vcc, 0, v12
	v_cndmask_b32_e32 v3, v6, v3, vcc
	v_cndmask_b32_e32 v6, v13, v14, vcc
	v_mov_b32_e32 v12, 0x3b800000
	v_lshlrev_b32_e32 v3, 20, v3
	v_lshl_add_u32 v6, v6, 23, v12
	v_or3_b32 v6, v7, v6, v3
.LBB4_192:
	s_or_b64 exec, exec, s[6:7]
	s_nop 0
	v_mfma_f32_16x16x4f32 a[0:3], v2, v6, a[0:3]
	s_movk_i32 s4, 0x7f
	v_cmp_gt_i16_sdwa s[6:7], v8, s4 src0_sel:BYTE_0 src1_sel:DWORD
	s_mov_b64 s[4:5], 0
                                        ; implicit-def: $sgpr10
	s_and_saveexec_b64 s[8:9], s[6:7]
	s_xor_b64 s[6:7], exec, s[8:9]
	s_cbranch_execnz .LBB4_2241
; %bb.193:
	s_or_saveexec_b64 s[6:7], s[6:7]
	v_mov_b32_e32 v2, s10
	s_xor_b64 exec, exec, s[6:7]
	s_cbranch_execnz .LBB4_2244
.LBB4_194:
	s_or_b64 exec, exec, s[6:7]
	s_and_saveexec_b64 s[6:7], s[4:5]
	s_cbranch_execz .LBB4_196
.LBB4_195:
	v_and_b32_e32 v2, 7, v8
	v_ffbh_u32_e32 v6, v2
	v_min_u32_e32 v6, 32, v6
	v_lshrrev_b16_e32 v3, 3, v8
	v_subrev_u32_e32 v7, 28, v6
	v_and_b32_e32 v3, 15, v3
	v_lshlrev_b32_e32 v7, v7, v8
	v_sub_u32_e32 v6, 29, v6
	v_and_b32_e32 v7, 7, v7
	v_cmp_eq_u16_e32 vcc, 0, v3
	v_cndmask_b32_e32 v2, v2, v7, vcc
	v_cndmask_b32_e32 v3, v3, v6, vcc
	v_lshlrev_b32_e32 v6, 24, v8
	v_mov_b32_e32 v7, 0x3b800000
	v_lshlrev_b32_e32 v2, 20, v2
	v_and_b32_e32 v6, 0x80000000, v6
	v_lshl_add_u32 v3, v3, 23, v7
	v_or3_b32 v2, v6, v3, v2
.LBB4_196:
	s_or_b64 exec, exec, s[6:7]
	s_movk_i32 s4, 0x7f
	v_cmp_gt_i16_sdwa s[6:7], v4, s4 src0_sel:BYTE_0 src1_sel:DWORD
	s_mov_b64 s[4:5], 0
                                        ; implicit-def: $sgpr10
	s_and_saveexec_b64 s[8:9], s[6:7]
	s_xor_b64 s[6:7], exec, s[8:9]
	s_cbranch_execnz .LBB4_2245
; %bb.197:
	s_or_saveexec_b64 s[6:7], s[6:7]
	v_mov_b32_e32 v3, s10
	s_xor_b64 exec, exec, s[6:7]
	s_cbranch_execnz .LBB4_2248
.LBB4_198:
	s_or_b64 exec, exec, s[6:7]
	s_and_saveexec_b64 s[6:7], s[4:5]
	s_cbranch_execz .LBB4_200
.LBB4_199:
	v_and_b32_e32 v3, 7, v4
	v_ffbh_u32_e32 v7, v3
	v_min_u32_e32 v7, 32, v7
	v_lshrrev_b16_e32 v6, 3, v4
	v_subrev_u32_e32 v12, 28, v7
	v_and_b32_e32 v6, 15, v6
	v_lshlrev_b32_e32 v12, v12, v4
	v_sub_u32_e32 v7, 29, v7
	v_and_b32_e32 v12, 7, v12
	v_cmp_eq_u16_e32 vcc, 0, v6
	v_cndmask_b32_e32 v3, v3, v12, vcc
	v_cndmask_b32_e32 v6, v6, v7, vcc
	v_lshlrev_b32_e32 v7, 24, v4
	v_mov_b32_e32 v12, 0x3b800000
	v_lshlrev_b32_e32 v3, 20, v3
	v_and_b32_e32 v7, 0x80000000, v7
	v_lshl_add_u32 v6, v6, 23, v12
	v_or3_b32 v3, v7, v6, v3
.LBB4_200:
	s_or_b64 exec, exec, s[6:7]
	s_nop 0
	v_mfma_f32_16x16x4f32 a[0:3], v2, v3, a[0:3]
	v_lshrrev_b32_e32 v3, 8, v8
	s_movk_i32 s4, 0x7f
	v_cmp_gt_i16_sdwa s[6:7], v3, s4 src0_sel:BYTE_0 src1_sel:DWORD
	s_mov_b64 s[4:5], 0
                                        ; implicit-def: $sgpr10
	s_and_saveexec_b64 s[8:9], s[6:7]
	s_xor_b64 s[6:7], exec, s[8:9]
	s_cbranch_execnz .LBB4_2249
; %bb.201:
	s_or_saveexec_b64 s[6:7], s[6:7]
	v_mov_b32_e32 v2, s10
	s_xor_b64 exec, exec, s[6:7]
	s_cbranch_execnz .LBB4_2252
.LBB4_202:
	s_or_b64 exec, exec, s[6:7]
	s_and_saveexec_b64 s[6:7], s[4:5]
	s_cbranch_execz .LBB4_204
.LBB4_203:
	v_bfe_u32 v2, v8, 8, 3
	v_ffbh_u32_e32 v7, v2
	v_min_u32_e32 v7, 32, v7
	v_lshrrev_b16_e32 v6, 3, v3
	v_subrev_u32_e32 v12, 28, v7
	v_and_b32_e32 v6, 15, v6
	v_lshlrev_b32_e32 v3, v12, v3
	v_sub_u32_e32 v7, 29, v7
	v_and_b32_e32 v3, 7, v3
	v_cmp_eq_u16_e32 vcc, 0, v6
	v_cndmask_b32_e32 v2, v2, v3, vcc
	v_cndmask_b32_e32 v3, v6, v7, vcc
	v_lshlrev_b32_e32 v6, 16, v8
	v_mov_b32_e32 v7, 0x3b800000
	v_lshlrev_b32_e32 v2, 20, v2
	v_and_b32_e32 v6, 0x80000000, v6
	v_lshl_add_u32 v3, v3, 23, v7
	v_or3_b32 v2, v6, v3, v2
.LBB4_204:
	s_or_b64 exec, exec, s[6:7]
	v_lshrrev_b32_e32 v3, 8, v4
	s_movk_i32 s4, 0x7f
	v_cmp_gt_i16_sdwa s[6:7], v3, s4 src0_sel:BYTE_0 src1_sel:DWORD
	s_mov_b64 s[4:5], 0
                                        ; implicit-def: $sgpr10
	s_and_saveexec_b64 s[8:9], s[6:7]
	s_xor_b64 s[6:7], exec, s[8:9]
	s_cbranch_execnz .LBB4_2253
; %bb.205:
	s_or_saveexec_b64 s[6:7], s[6:7]
	v_mov_b32_e32 v6, s10
	s_xor_b64 exec, exec, s[6:7]
	s_cbranch_execnz .LBB4_2256
.LBB4_206:
	s_or_b64 exec, exec, s[6:7]
	s_and_saveexec_b64 s[6:7], s[4:5]
	s_cbranch_execz .LBB4_208
.LBB4_207:
	v_bfe_u32 v6, v4, 8, 3
	v_ffbh_u32_e32 v12, v6
	v_min_u32_e32 v12, 32, v12
	v_lshrrev_b16_e32 v7, 3, v3
	v_subrev_u32_e32 v13, 28, v12
	v_and_b32_e32 v7, 15, v7
	v_lshlrev_b32_e32 v3, v13, v3
	v_sub_u32_e32 v12, 29, v12
	v_and_b32_e32 v3, 7, v3
	v_cmp_eq_u16_e32 vcc, 0, v7
	v_cndmask_b32_e32 v3, v6, v3, vcc
	v_cndmask_b32_e32 v6, v7, v12, vcc
	v_lshlrev_b32_e32 v7, 16, v4
	v_mov_b32_e32 v12, 0x3b800000
	v_lshlrev_b32_e32 v3, 20, v3
	v_and_b32_e32 v7, 0x80000000, v7
	v_lshl_add_u32 v6, v6, 23, v12
	v_or3_b32 v6, v7, v6, v3
.LBB4_208:
	s_or_b64 exec, exec, s[6:7]
	s_nop 0
	v_mfma_f32_16x16x4f32 a[0:3], v2, v6, a[0:3]
	s_movk_i32 s4, 0xff
	v_and_b32_sdwa v3, v8, s4 dst_sel:DWORD dst_unused:UNUSED_PAD src0_sel:WORD_1 src1_sel:DWORD
	s_movk_i32 s4, 0x7f
	v_cmp_lt_i16_e32 vcc, s4, v3
	s_mov_b64 s[4:5], 0
                                        ; implicit-def: $sgpr10
	s_and_saveexec_b64 s[6:7], vcc
	s_xor_b64 s[6:7], exec, s[6:7]
	s_cbranch_execnz .LBB4_2257
; %bb.209:
	s_or_saveexec_b64 s[6:7], s[6:7]
	v_mov_b32_e32 v2, s10
	s_xor_b64 exec, exec, s[6:7]
	s_cbranch_execnz .LBB4_2260
.LBB4_210:
	s_or_b64 exec, exec, s[6:7]
	s_and_saveexec_b64 s[6:7], s[4:5]
	s_cbranch_execz .LBB4_212
.LBB4_211:
	v_bfe_u32 v2, v8, 16, 3
	v_ffbh_u32_e32 v7, v2
	v_min_u32_e32 v7, 32, v7
	v_lshrrev_b32_e32 v3, 19, v8
	v_subrev_u32_e32 v12, 28, v7
	v_and_b32_e32 v3, 15, v3
	v_lshlrev_b32_sdwa v12, v12, v8 dst_sel:DWORD dst_unused:UNUSED_PAD src0_sel:DWORD src1_sel:WORD_1
	v_bfe_u32 v6, v8, 19, 4
	v_sub_u32_e32 v7, 29, v7
	v_and_b32_e32 v12, 7, v12
	v_cmp_eq_u16_e32 vcc, 0, v3
	v_cndmask_b32_e32 v2, v2, v12, vcc
	v_cndmask_b32_e32 v3, v6, v7, vcc
	v_lshlrev_b32_e32 v6, 8, v8
	v_mov_b32_e32 v7, 0x3b800000
	v_lshlrev_b32_e32 v2, 20, v2
	v_and_b32_e32 v6, 0x80000000, v6
	v_lshl_add_u32 v3, v3, 23, v7
	v_or3_b32 v2, v6, v3, v2
.LBB4_212:
	s_or_b64 exec, exec, s[6:7]
	s_movk_i32 s4, 0xff
	v_and_b32_sdwa v3, v4, s4 dst_sel:DWORD dst_unused:UNUSED_PAD src0_sel:WORD_1 src1_sel:DWORD
	s_movk_i32 s4, 0x7f
	v_cmp_lt_i16_e32 vcc, s4, v3
	s_mov_b64 s[4:5], 0
                                        ; implicit-def: $sgpr10
	s_and_saveexec_b64 s[6:7], vcc
	s_xor_b64 s[6:7], exec, s[6:7]
	s_cbranch_execnz .LBB4_2261
; %bb.213:
	s_or_saveexec_b64 s[6:7], s[6:7]
	v_mov_b32_e32 v6, s10
	s_xor_b64 exec, exec, s[6:7]
	s_cbranch_execnz .LBB4_2264
.LBB4_214:
	s_or_b64 exec, exec, s[6:7]
	s_and_saveexec_b64 s[6:7], s[4:5]
	s_cbranch_execz .LBB4_216
.LBB4_215:
	v_bfe_u32 v3, v4, 16, 3
	v_ffbh_u32_e32 v12, v3
	v_min_u32_e32 v12, 32, v12
	v_lshrrev_b32_e32 v6, 19, v4
	v_subrev_u32_e32 v13, 28, v12
	v_and_b32_e32 v6, 15, v6
	v_lshlrev_b32_sdwa v13, v13, v4 dst_sel:DWORD dst_unused:UNUSED_PAD src0_sel:DWORD src1_sel:WORD_1
	v_bfe_u32 v7, v4, 19, 4
	v_sub_u32_e32 v12, 29, v12
	v_and_b32_e32 v13, 7, v13
	v_cmp_eq_u16_e32 vcc, 0, v6
	v_cndmask_b32_e32 v3, v3, v13, vcc
	v_cndmask_b32_e32 v6, v7, v12, vcc
	v_lshlrev_b32_e32 v7, 8, v4
	v_mov_b32_e32 v12, 0x3b800000
	v_lshlrev_b32_e32 v3, 20, v3
	v_and_b32_e32 v7, 0x80000000, v7
	v_lshl_add_u32 v6, v6, 23, v12
	v_or3_b32 v6, v7, v6, v3
.LBB4_216:
	s_or_b64 exec, exec, s[6:7]
	s_nop 0
	v_mfma_f32_16x16x4f32 a[0:3], v2, v6, a[0:3]
	s_movk_i32 s4, 0x7f
	v_cmp_gt_i16_sdwa s[6:7], v8, s4 src0_sel:BYTE_3 src1_sel:DWORD
	s_mov_b64 s[4:5], 0
                                        ; implicit-def: $sgpr10
	s_and_saveexec_b64 s[8:9], s[6:7]
	s_xor_b64 s[6:7], exec, s[8:9]
	s_cbranch_execnz .LBB4_2265
; %bb.217:
	s_or_saveexec_b64 s[6:7], s[6:7]
	v_mov_b32_e32 v2, s10
	s_xor_b64 exec, exec, s[6:7]
	s_cbranch_execnz .LBB4_2268
.LBB4_218:
	s_or_b64 exec, exec, s[6:7]
	s_and_saveexec_b64 s[6:7], s[4:5]
	s_cbranch_execz .LBB4_220
.LBB4_219:
	v_bfe_u32 v2, v8, 24, 3
	v_ffbh_u32_e32 v12, v2
	v_min_u32_e32 v12, 32, v12
	v_lshrrev_b32_e32 v6, 27, v8
	v_subrev_u32_e32 v13, 28, v12
	v_and_b32_e32 v3, 0x80000000, v8
	v_and_b32_e32 v6, 15, v6
	v_bfe_u32 v7, v8, 27, 4
	v_lshlrev_b32_sdwa v8, v13, v8 dst_sel:DWORD dst_unused:UNUSED_PAD src0_sel:DWORD src1_sel:BYTE_3
	v_sub_u32_e32 v12, 29, v12
	v_and_b32_e32 v8, 7, v8
	v_cmp_eq_u16_e32 vcc, 0, v6
	v_cndmask_b32_e32 v2, v2, v8, vcc
	v_cndmask_b32_e32 v6, v7, v12, vcc
	v_mov_b32_e32 v7, 0x3b800000
	v_lshlrev_b32_e32 v2, 20, v2
	v_lshl_add_u32 v6, v6, 23, v7
	v_or3_b32 v2, v3, v6, v2
.LBB4_220:
	s_or_b64 exec, exec, s[6:7]
	s_movk_i32 s4, 0x7f
	v_cmp_gt_i16_sdwa s[6:7], v4, s4 src0_sel:BYTE_3 src1_sel:DWORD
	s_mov_b64 s[4:5], 0
                                        ; implicit-def: $sgpr10
	s_and_saveexec_b64 s[8:9], s[6:7]
	s_xor_b64 s[6:7], exec, s[8:9]
	s_cbranch_execnz .LBB4_2269
; %bb.221:
	s_or_saveexec_b64 s[6:7], s[6:7]
	v_mov_b32_e32 v3, s10
	s_xor_b64 exec, exec, s[6:7]
	s_cbranch_execnz .LBB4_2272
.LBB4_222:
	s_or_b64 exec, exec, s[6:7]
	s_and_saveexec_b64 s[6:7], s[4:5]
	s_cbranch_execz .LBB4_224
.LBB4_223:
	v_bfe_u32 v3, v4, 24, 3
	v_ffbh_u32_e32 v12, v3
	v_min_u32_e32 v12, 32, v12
	v_lshrrev_b32_e32 v7, 27, v4
	v_subrev_u32_e32 v13, 28, v12
	v_and_b32_e32 v6, 0x80000000, v4
	v_and_b32_e32 v7, 15, v7
	v_bfe_u32 v8, v4, 27, 4
	v_lshlrev_b32_sdwa v4, v13, v4 dst_sel:DWORD dst_unused:UNUSED_PAD src0_sel:DWORD src1_sel:BYTE_3
	v_sub_u32_e32 v12, 29, v12
	v_and_b32_e32 v4, 7, v4
	v_cmp_eq_u16_e32 vcc, 0, v7
	v_cndmask_b32_e32 v3, v3, v4, vcc
	v_cndmask_b32_e32 v4, v8, v12, vcc
	v_mov_b32_e32 v7, 0x3b800000
	v_lshlrev_b32_e32 v3, 20, v3
	v_lshl_add_u32 v4, v4, 23, v7
	v_or3_b32 v3, v6, v4, v3
.LBB4_224:
	s_or_b64 exec, exec, s[6:7]
	s_nop 0
	v_mfma_f32_16x16x4f32 a[0:3], v2, v3, a[0:3]
	s_movk_i32 s4, 0x7f
	v_cmp_gt_i16_sdwa s[6:7], v9, s4 src0_sel:BYTE_0 src1_sel:DWORD
	s_mov_b64 s[4:5], 0
                                        ; implicit-def: $sgpr10
	s_and_saveexec_b64 s[8:9], s[6:7]
	s_xor_b64 s[6:7], exec, s[8:9]
	s_cbranch_execnz .LBB4_2273
; %bb.225:
	s_or_saveexec_b64 s[6:7], s[6:7]
	v_mov_b32_e32 v2, s10
	s_xor_b64 exec, exec, s[6:7]
	s_cbranch_execnz .LBB4_2276
.LBB4_226:
	s_or_b64 exec, exec, s[6:7]
	s_and_saveexec_b64 s[6:7], s[4:5]
	s_cbranch_execz .LBB4_228
.LBB4_227:
	v_mov_b32_e32 v2, 8
	v_and_b32_e32 v3, 7, v9
	v_lshrrev_b32_sdwa v2, v2, v9 dst_sel:BYTE_1 dst_unused:UNUSED_PAD src0_sel:DWORD src1_sel:DWORD
	v_ffbh_u32_e32 v4, v3
	v_or_b32_sdwa v2, v9, v2 dst_sel:DWORD dst_unused:UNUSED_PAD src0_sel:BYTE_0 src1_sel:DWORD
	v_min_u32_e32 v4, 32, v4
	v_lshrrev_b16_e32 v2, 3, v2
	v_subrev_u32_e32 v6, 28, v4
	v_and_b32_e32 v2, 15, v2
	v_lshlrev_b32_e32 v6, v6, v9
	v_sub_u32_e32 v4, 29, v4
	v_and_b32_e32 v6, 7, v6
	v_cmp_eq_u16_e32 vcc, 0, v2
	v_cndmask_b32_e32 v3, v3, v6, vcc
	v_cndmask_b32_e32 v2, v2, v4, vcc
	v_lshlrev_b32_e32 v4, 24, v9
	v_mov_b32_e32 v6, 0x3b800000
	v_lshlrev_b32_e32 v3, 20, v3
	v_and_b32_e32 v4, 0x80000000, v4
	v_lshl_add_u32 v2, v2, 23, v6
	v_or3_b32 v2, v4, v2, v3
.LBB4_228:
	s_or_b64 exec, exec, s[6:7]
	s_movk_i32 s4, 0x7f
	v_cmp_gt_i16_sdwa s[6:7], v5, s4 src0_sel:BYTE_0 src1_sel:DWORD
	s_mov_b64 s[4:5], 0
                                        ; implicit-def: $sgpr10
	s_and_saveexec_b64 s[8:9], s[6:7]
	s_xor_b64 s[6:7], exec, s[8:9]
	s_cbranch_execnz .LBB4_2277
; %bb.229:
	s_or_saveexec_b64 s[6:7], s[6:7]
	v_mov_b32_e32 v3, s10
	s_xor_b64 exec, exec, s[6:7]
	s_cbranch_execnz .LBB4_2280
.LBB4_230:
	s_or_b64 exec, exec, s[6:7]
	s_and_saveexec_b64 s[6:7], s[4:5]
	s_cbranch_execz .LBB4_232
.LBB4_231:
	v_mov_b32_e32 v3, 8
	v_and_b32_e32 v4, 7, v5
	v_lshrrev_b32_sdwa v3, v3, v5 dst_sel:BYTE_1 dst_unused:UNUSED_PAD src0_sel:DWORD src1_sel:DWORD
	v_ffbh_u32_e32 v6, v4
	v_or_b32_sdwa v3, v5, v3 dst_sel:DWORD dst_unused:UNUSED_PAD src0_sel:BYTE_0 src1_sel:DWORD
	v_min_u32_e32 v6, 32, v6
	v_lshrrev_b16_e32 v3, 3, v3
	v_subrev_u32_e32 v7, 28, v6
	v_and_b32_e32 v3, 15, v3
	v_lshlrev_b32_e32 v7, v7, v5
	v_sub_u32_e32 v6, 29, v6
	v_and_b32_e32 v7, 7, v7
	v_cmp_eq_u16_e32 vcc, 0, v3
	v_cndmask_b32_e32 v4, v4, v7, vcc
	v_cndmask_b32_e32 v3, v3, v6, vcc
	v_lshlrev_b32_e32 v6, 24, v5
	v_mov_b32_e32 v7, 0x3b800000
	v_lshlrev_b32_e32 v4, 20, v4
	v_and_b32_e32 v6, 0x80000000, v6
	v_lshl_add_u32 v3, v3, 23, v7
	v_or3_b32 v3, v6, v3, v4
.LBB4_232:
	s_or_b64 exec, exec, s[6:7]
	s_nop 0
	v_mfma_f32_16x16x4f32 a[0:3], v2, v3, a[0:3]
	v_lshrrev_b32_e32 v3, 8, v9
	s_movk_i32 s4, 0x7f
	v_cmp_gt_i16_sdwa s[6:7], v3, s4 src0_sel:BYTE_0 src1_sel:DWORD
	s_mov_b64 s[4:5], 0
                                        ; implicit-def: $sgpr10
	s_and_saveexec_b64 s[8:9], s[6:7]
	s_xor_b64 s[6:7], exec, s[8:9]
	s_cbranch_execnz .LBB4_2281
; %bb.233:
	s_or_saveexec_b64 s[6:7], s[6:7]
	v_mov_b32_e32 v2, s10
	s_xor_b64 exec, exec, s[6:7]
	s_cbranch_execnz .LBB4_2284
.LBB4_234:
	s_or_b64 exec, exec, s[6:7]
	s_and_saveexec_b64 s[6:7], s[4:5]
	s_cbranch_execz .LBB4_236
.LBB4_235:
	v_bfe_u32 v2, v9, 8, 3
	v_ffbh_u32_e32 v6, v2
	v_min_u32_e32 v6, 32, v6
	v_lshrrev_b16_e32 v4, 3, v3
	v_subrev_u32_e32 v7, 28, v6
	v_and_b32_e32 v4, 15, v4
	v_lshlrev_b32_e32 v3, v7, v3
	v_sub_u32_e32 v6, 29, v6
	v_and_b32_e32 v3, 7, v3
	v_cmp_eq_u16_e32 vcc, 0, v4
	v_cndmask_b32_e32 v2, v2, v3, vcc
	v_cndmask_b32_e32 v3, v4, v6, vcc
	v_lshlrev_b32_e32 v4, 16, v9
	v_mov_b32_e32 v6, 0x3b800000
	v_lshlrev_b32_e32 v2, 20, v2
	v_and_b32_e32 v4, 0x80000000, v4
	v_lshl_add_u32 v3, v3, 23, v6
	v_or3_b32 v2, v4, v3, v2
.LBB4_236:
	s_or_b64 exec, exec, s[6:7]
	v_lshrrev_b32_e32 v3, 8, v5
	s_movk_i32 s4, 0x7f
	v_cmp_gt_i16_sdwa s[6:7], v3, s4 src0_sel:BYTE_0 src1_sel:DWORD
	s_mov_b64 s[4:5], 0
                                        ; implicit-def: $sgpr10
	s_and_saveexec_b64 s[8:9], s[6:7]
	s_xor_b64 s[6:7], exec, s[8:9]
	s_cbranch_execnz .LBB4_2285
; %bb.237:
	s_or_saveexec_b64 s[6:7], s[6:7]
	v_mov_b32_e32 v4, s10
	s_xor_b64 exec, exec, s[6:7]
	s_cbranch_execnz .LBB4_2288
.LBB4_238:
	s_or_b64 exec, exec, s[6:7]
	s_and_saveexec_b64 s[6:7], s[4:5]
	s_cbranch_execz .LBB4_240
.LBB4_239:
	v_bfe_u32 v4, v5, 8, 3
	v_ffbh_u32_e32 v7, v4
	v_min_u32_e32 v7, 32, v7
	v_lshrrev_b16_e32 v6, 3, v3
	v_subrev_u32_e32 v8, 28, v7
	v_and_b32_e32 v6, 15, v6
	v_lshlrev_b32_e32 v3, v8, v3
	v_sub_u32_e32 v7, 29, v7
	v_and_b32_e32 v3, 7, v3
	v_cmp_eq_u16_e32 vcc, 0, v6
	v_cndmask_b32_e32 v3, v4, v3, vcc
	v_cndmask_b32_e32 v4, v6, v7, vcc
	v_lshlrev_b32_e32 v6, 16, v5
	v_mov_b32_e32 v7, 0x3b800000
	v_lshlrev_b32_e32 v3, 20, v3
	v_and_b32_e32 v6, 0x80000000, v6
	v_lshl_add_u32 v4, v4, 23, v7
	v_or3_b32 v4, v6, v4, v3
.LBB4_240:
	s_or_b64 exec, exec, s[6:7]
	s_nop 0
	v_mfma_f32_16x16x4f32 a[0:3], v2, v4, a[0:3]
	s_movk_i32 s4, 0xff
	v_and_b32_sdwa v3, v9, s4 dst_sel:DWORD dst_unused:UNUSED_PAD src0_sel:WORD_1 src1_sel:DWORD
	s_movk_i32 s4, 0x7f
	v_cmp_lt_i16_e32 vcc, s4, v3
	s_mov_b64 s[4:5], 0
                                        ; implicit-def: $sgpr10
	s_and_saveexec_b64 s[6:7], vcc
	s_xor_b64 s[6:7], exec, s[6:7]
	s_cbranch_execnz .LBB4_2289
; %bb.241:
	s_or_saveexec_b64 s[6:7], s[6:7]
	v_mov_b32_e32 v2, s10
	s_xor_b64 exec, exec, s[6:7]
	s_cbranch_execnz .LBB4_2292
.LBB4_242:
	s_or_b64 exec, exec, s[6:7]
	s_and_saveexec_b64 s[6:7], s[4:5]
	s_cbranch_execz .LBB4_244
.LBB4_243:
	v_bfe_u32 v2, v9, 16, 3
	v_ffbh_u32_e32 v6, v2
	v_min_u32_e32 v6, 32, v6
	v_lshrrev_b32_e32 v3, 19, v9
	v_subrev_u32_e32 v7, 28, v6
	v_and_b32_e32 v3, 15, v3
	v_lshlrev_b32_sdwa v7, v7, v9 dst_sel:DWORD dst_unused:UNUSED_PAD src0_sel:DWORD src1_sel:WORD_1
	v_bfe_u32 v4, v9, 19, 4
	v_sub_u32_e32 v6, 29, v6
	v_and_b32_e32 v7, 7, v7
	v_cmp_eq_u16_e32 vcc, 0, v3
	v_cndmask_b32_e32 v2, v2, v7, vcc
	v_cndmask_b32_e32 v3, v4, v6, vcc
	v_lshlrev_b32_e32 v4, 8, v9
	v_mov_b32_e32 v6, 0x3b800000
	v_lshlrev_b32_e32 v2, 20, v2
	v_and_b32_e32 v4, 0x80000000, v4
	v_lshl_add_u32 v3, v3, 23, v6
	v_or3_b32 v2, v4, v3, v2
.LBB4_244:
	s_or_b64 exec, exec, s[6:7]
	s_movk_i32 s4, 0xff
	v_and_b32_sdwa v3, v5, s4 dst_sel:DWORD dst_unused:UNUSED_PAD src0_sel:WORD_1 src1_sel:DWORD
	s_movk_i32 s4, 0x7f
	v_cmp_lt_i16_e32 vcc, s4, v3
	s_mov_b64 s[4:5], 0
                                        ; implicit-def: $sgpr10
	s_and_saveexec_b64 s[6:7], vcc
	s_xor_b64 s[6:7], exec, s[6:7]
	s_cbranch_execnz .LBB4_2293
; %bb.245:
	s_or_saveexec_b64 s[6:7], s[6:7]
	v_mov_b32_e32 v4, s10
	s_xor_b64 exec, exec, s[6:7]
	s_cbranch_execnz .LBB4_2296
.LBB4_246:
	s_or_b64 exec, exec, s[6:7]
	s_and_saveexec_b64 s[6:7], s[4:5]
	s_cbranch_execz .LBB4_248
.LBB4_247:
	v_bfe_u32 v3, v5, 16, 3
	v_ffbh_u32_e32 v7, v3
	v_min_u32_e32 v7, 32, v7
	v_lshrrev_b32_e32 v4, 19, v5
	v_subrev_u32_e32 v8, 28, v7
	v_and_b32_e32 v4, 15, v4
	v_lshlrev_b32_sdwa v8, v8, v5 dst_sel:DWORD dst_unused:UNUSED_PAD src0_sel:DWORD src1_sel:WORD_1
	v_bfe_u32 v6, v5, 19, 4
	v_sub_u32_e32 v7, 29, v7
	v_and_b32_e32 v8, 7, v8
	v_cmp_eq_u16_e32 vcc, 0, v4
	v_cndmask_b32_e32 v3, v3, v8, vcc
	v_cndmask_b32_e32 v4, v6, v7, vcc
	v_lshlrev_b32_e32 v6, 8, v5
	v_mov_b32_e32 v7, 0x3b800000
	v_lshlrev_b32_e32 v3, 20, v3
	v_and_b32_e32 v6, 0x80000000, v6
	v_lshl_add_u32 v4, v4, 23, v7
	v_or3_b32 v4, v6, v4, v3
.LBB4_248:
	s_or_b64 exec, exec, s[6:7]
	s_nop 0
	v_mfma_f32_16x16x4f32 a[0:3], v2, v4, a[0:3]
	s_movk_i32 s4, 0x7f
	v_cmp_gt_i16_sdwa s[6:7], v9, s4 src0_sel:BYTE_3 src1_sel:DWORD
	s_mov_b64 s[4:5], 0
                                        ; implicit-def: $sgpr10
	s_and_saveexec_b64 s[8:9], s[6:7]
	s_xor_b64 s[6:7], exec, s[8:9]
	s_cbranch_execnz .LBB4_2297
; %bb.249:
	s_or_saveexec_b64 s[6:7], s[6:7]
	v_mov_b32_e32 v2, s10
	s_xor_b64 exec, exec, s[6:7]
	s_cbranch_execnz .LBB4_2300
.LBB4_250:
	s_or_b64 exec, exec, s[6:7]
	s_and_saveexec_b64 s[6:7], s[4:5]
	s_cbranch_execz .LBB4_252
.LBB4_251:
	v_bfe_u32 v2, v9, 24, 3
	v_ffbh_u32_e32 v7, v2
	v_min_u32_e32 v7, 32, v7
	v_lshrrev_b32_e32 v4, 27, v9
	v_subrev_u32_e32 v8, 28, v7
	v_and_b32_e32 v4, 15, v4
	v_lshlrev_b32_sdwa v8, v8, v9 dst_sel:DWORD dst_unused:UNUSED_PAD src0_sel:DWORD src1_sel:BYTE_3
	v_bfe_u32 v6, v9, 27, 4
	v_sub_u32_e32 v7, 29, v7
	v_and_b32_e32 v8, 7, v8
	v_cmp_eq_u16_e32 vcc, 0, v4
	v_cndmask_b32_e32 v2, v2, v8, vcc
	v_cndmask_b32_e32 v4, v6, v7, vcc
	v_mov_b32_e32 v6, 0x3b800000
	v_and_b32_e32 v3, 0x80000000, v9
	v_lshlrev_b32_e32 v2, 20, v2
	v_lshl_add_u32 v4, v4, 23, v6
	v_or3_b32 v2, v3, v4, v2
.LBB4_252:
	s_or_b64 exec, exec, s[6:7]
	s_movk_i32 s4, 0x7f
	v_cmp_gt_i16_sdwa s[6:7], v5, s4 src0_sel:BYTE_3 src1_sel:DWORD
	s_mov_b64 s[4:5], 0
                                        ; implicit-def: $sgpr10
	s_and_saveexec_b64 s[8:9], s[6:7]
	s_xor_b64 s[6:7], exec, s[8:9]
	s_cbranch_execnz .LBB4_2301
; %bb.253:
	s_or_saveexec_b64 s[6:7], s[6:7]
	v_mov_b32_e32 v3, s10
	s_xor_b64 exec, exec, s[6:7]
	s_cbranch_execnz .LBB4_2304
.LBB4_254:
	s_or_b64 exec, exec, s[6:7]
	s_and_saveexec_b64 s[6:7], s[4:5]
	s_cbranch_execz .LBB4_256
.LBB4_255:
	v_bfe_u32 v3, v5, 24, 3
	v_ffbh_u32_e32 v8, v3
	v_min_u32_e32 v8, 32, v8
	v_lshrrev_b32_e32 v6, 27, v5
	v_subrev_u32_e32 v9, 28, v8
	v_and_b32_e32 v4, 0x80000000, v5
	v_and_b32_e32 v6, 15, v6
	v_bfe_u32 v7, v5, 27, 4
	v_lshlrev_b32_sdwa v5, v9, v5 dst_sel:DWORD dst_unused:UNUSED_PAD src0_sel:DWORD src1_sel:BYTE_3
	v_sub_u32_e32 v8, 29, v8
	v_and_b32_e32 v5, 7, v5
	v_cmp_eq_u16_e32 vcc, 0, v6
	v_cndmask_b32_e32 v3, v3, v5, vcc
	v_cndmask_b32_e32 v5, v7, v8, vcc
	v_mov_b32_e32 v6, 0x3b800000
	v_lshlrev_b32_e32 v3, 20, v3
	v_lshl_add_u32 v5, v5, 23, v6
	v_or3_b32 v3, v4, v5, v3
.LBB4_256:
	s_or_b64 exec, exec, s[6:7]
	s_nop 0
	v_mfma_f32_16x16x4f32 a[0:3], v2, v3, a[0:3]
	s_movk_i32 s4, 0x7f
                                        ; implicit-def: $sgpr10
	s_nop 7
	s_nop 1
	flat_store_dwordx4 v[10:11], a[0:3] offset:16
	flat_load_dwordx4 v[12:15], v[0:1] offset:8
	s_nop 0
	flat_load_dwordx2 v[10:11], v[0:1] offset:32
	s_waitcnt vmcnt(0) lgkmcnt(0)
	flat_load_dwordx4 v[6:9], v[12:13] offset:16
	flat_load_dwordx4 v[2:5], v[14:15] offset:80
	s_waitcnt vmcnt(0) lgkmcnt(0)
	v_cmp_gt_i16_sdwa s[6:7], v6, s4 src0_sel:BYTE_0 src1_sel:DWORD
	s_mov_b64 s[4:5], 0
	s_and_saveexec_b64 s[8:9], s[6:7]
	s_xor_b64 s[6:7], exec, s[8:9]
	s_cbranch_execnz .LBB4_2305
; %bb.257:
	s_or_saveexec_b64 s[6:7], s[6:7]
	v_mov_b32_e32 v12, s10
	s_xor_b64 exec, exec, s[6:7]
	s_cbranch_execnz .LBB4_2308
.LBB4_258:
	s_or_b64 exec, exec, s[6:7]
	s_and_saveexec_b64 s[6:7], s[4:5]
	s_cbranch_execz .LBB4_260
.LBB4_259:
	v_and_b32_e32 v12, 7, v6
	v_ffbh_u32_e32 v14, v12
	v_min_u32_e32 v14, 32, v14
	v_lshrrev_b16_e32 v13, 3, v6
	v_subrev_u32_e32 v15, 28, v14
	v_and_b32_e32 v13, 15, v13
	v_lshlrev_b32_e32 v15, v15, v6
	v_sub_u32_e32 v14, 29, v14
	v_and_b32_e32 v15, 7, v15
	v_cmp_eq_u16_e32 vcc, 0, v13
	v_cndmask_b32_e32 v12, v12, v15, vcc
	v_cndmask_b32_e32 v13, v13, v14, vcc
	v_lshlrev_b32_e32 v14, 24, v6
	v_mov_b32_e32 v15, 0x3b800000
	v_lshlrev_b32_e32 v12, 20, v12
	v_and_b32_e32 v14, 0x80000000, v14
	v_lshl_add_u32 v13, v13, 23, v15
	v_or3_b32 v12, v14, v13, v12
.LBB4_260:
	s_or_b64 exec, exec, s[6:7]
	s_movk_i32 s4, 0x7f
	v_cmp_gt_i16_sdwa s[6:7], v2, s4 src0_sel:BYTE_0 src1_sel:DWORD
	s_mov_b64 s[4:5], 0
                                        ; implicit-def: $sgpr10
	s_and_saveexec_b64 s[8:9], s[6:7]
	s_xor_b64 s[6:7], exec, s[8:9]
	s_cbranch_execnz .LBB4_2309
; %bb.261:
	s_or_saveexec_b64 s[6:7], s[6:7]
	v_mov_b32_e32 v13, s10
	s_xor_b64 exec, exec, s[6:7]
	s_cbranch_execnz .LBB4_2312
.LBB4_262:
	s_or_b64 exec, exec, s[6:7]
	s_and_saveexec_b64 s[6:7], s[4:5]
	s_cbranch_execz .LBB4_264
.LBB4_263:
	v_and_b32_e32 v13, 7, v2
	v_ffbh_u32_e32 v15, v13
	v_min_u32_e32 v15, 32, v15
	v_lshrrev_b16_e32 v14, 3, v2
	v_subrev_u32_e32 v16, 28, v15
	v_and_b32_e32 v14, 15, v14
	v_lshlrev_b32_e32 v16, v16, v2
	v_sub_u32_e32 v15, 29, v15
	v_and_b32_e32 v16, 7, v16
	v_cmp_eq_u16_e32 vcc, 0, v14
	v_cndmask_b32_e32 v13, v13, v16, vcc
	v_cndmask_b32_e32 v14, v14, v15, vcc
	v_lshlrev_b32_e32 v15, 24, v2
	v_mov_b32_e32 v16, 0x3b800000
	v_lshlrev_b32_e32 v13, 20, v13
	v_and_b32_e32 v15, 0x80000000, v15
	v_lshl_add_u32 v14, v14, 23, v16
	v_or3_b32 v13, v15, v14, v13
.LBB4_264:
	s_or_b64 exec, exec, s[6:7]
	flat_load_dwordx4 a[0:3], v[10:11] offset:32
	s_movk_i32 s4, 0x7f
                                        ; implicit-def: $sgpr10
	s_waitcnt vmcnt(0) lgkmcnt(0)
	v_mfma_f32_16x16x4f32 a[0:3], v12, v13, a[0:3]
	v_lshrrev_b32_e32 v13, 8, v6
	v_cmp_gt_i16_sdwa s[6:7], v13, s4 src0_sel:BYTE_0 src1_sel:DWORD
	s_mov_b64 s[4:5], 0
	s_and_saveexec_b64 s[8:9], s[6:7]
	s_xor_b64 s[6:7], exec, s[8:9]
	s_cbranch_execnz .LBB4_2313
; %bb.265:
	s_or_saveexec_b64 s[6:7], s[6:7]
	v_mov_b32_e32 v12, s10
	s_xor_b64 exec, exec, s[6:7]
	s_cbranch_execnz .LBB4_2316
.LBB4_266:
	s_or_b64 exec, exec, s[6:7]
	s_and_saveexec_b64 s[6:7], s[4:5]
	s_cbranch_execz .LBB4_268
.LBB4_267:
	v_bfe_u32 v12, v6, 8, 3
	v_ffbh_u32_e32 v15, v12
	v_min_u32_e32 v15, 32, v15
	v_lshrrev_b16_e32 v14, 3, v13
	v_subrev_u32_e32 v16, 28, v15
	v_and_b32_e32 v14, 15, v14
	v_lshlrev_b32_e32 v13, v16, v13
	v_sub_u32_e32 v15, 29, v15
	v_and_b32_e32 v13, 7, v13
	v_cmp_eq_u16_e32 vcc, 0, v14
	v_cndmask_b32_e32 v12, v12, v13, vcc
	v_cndmask_b32_e32 v13, v14, v15, vcc
	v_lshlrev_b32_e32 v14, 16, v6
	v_mov_b32_e32 v15, 0x3b800000
	v_lshlrev_b32_e32 v12, 20, v12
	v_and_b32_e32 v14, 0x80000000, v14
	v_lshl_add_u32 v13, v13, 23, v15
	v_or3_b32 v12, v14, v13, v12
.LBB4_268:
	s_or_b64 exec, exec, s[6:7]
	v_lshrrev_b32_e32 v13, 8, v2
	s_movk_i32 s4, 0x7f
	v_cmp_gt_i16_sdwa s[6:7], v13, s4 src0_sel:BYTE_0 src1_sel:DWORD
	s_mov_b64 s[4:5], 0
                                        ; implicit-def: $sgpr10
	s_and_saveexec_b64 s[8:9], s[6:7]
	s_xor_b64 s[6:7], exec, s[8:9]
	s_cbranch_execnz .LBB4_2317
; %bb.269:
	s_or_saveexec_b64 s[6:7], s[6:7]
	v_mov_b32_e32 v14, s10
	s_xor_b64 exec, exec, s[6:7]
	s_cbranch_execnz .LBB4_2320
.LBB4_270:
	s_or_b64 exec, exec, s[6:7]
	s_and_saveexec_b64 s[6:7], s[4:5]
	s_cbranch_execz .LBB4_272
.LBB4_271:
	v_bfe_u32 v14, v2, 8, 3
	v_ffbh_u32_e32 v16, v14
	v_min_u32_e32 v16, 32, v16
	v_lshrrev_b16_e32 v15, 3, v13
	v_subrev_u32_e32 v17, 28, v16
	v_and_b32_e32 v15, 15, v15
	v_lshlrev_b32_e32 v13, v17, v13
	v_sub_u32_e32 v16, 29, v16
	v_and_b32_e32 v13, 7, v13
	v_cmp_eq_u16_e32 vcc, 0, v15
	v_cndmask_b32_e32 v13, v14, v13, vcc
	v_cndmask_b32_e32 v14, v15, v16, vcc
	v_lshlrev_b32_e32 v15, 16, v2
	v_mov_b32_e32 v16, 0x3b800000
	v_lshlrev_b32_e32 v13, 20, v13
	v_and_b32_e32 v15, 0x80000000, v15
	v_lshl_add_u32 v14, v14, 23, v16
	v_or3_b32 v14, v15, v14, v13
.LBB4_272:
	s_or_b64 exec, exec, s[6:7]
	s_nop 0
	v_mfma_f32_16x16x4f32 a[0:3], v12, v14, a[0:3]
	s_movk_i32 s4, 0xff
	v_and_b32_sdwa v13, v6, s4 dst_sel:DWORD dst_unused:UNUSED_PAD src0_sel:WORD_1 src1_sel:DWORD
	s_movk_i32 s4, 0x7f
	v_cmp_lt_i16_e32 vcc, s4, v13
	s_mov_b64 s[4:5], 0
                                        ; implicit-def: $sgpr10
	s_and_saveexec_b64 s[6:7], vcc
	s_xor_b64 s[6:7], exec, s[6:7]
	s_cbranch_execnz .LBB4_2321
; %bb.273:
	s_or_saveexec_b64 s[6:7], s[6:7]
	v_mov_b32_e32 v12, s10
	s_xor_b64 exec, exec, s[6:7]
	s_cbranch_execnz .LBB4_2324
.LBB4_274:
	s_or_b64 exec, exec, s[6:7]
	s_and_saveexec_b64 s[6:7], s[4:5]
	s_cbranch_execz .LBB4_276
.LBB4_275:
	v_bfe_u32 v12, v6, 16, 3
	v_ffbh_u32_e32 v15, v12
	v_min_u32_e32 v15, 32, v15
	v_lshrrev_b32_e32 v13, 19, v6
	v_subrev_u32_e32 v16, 28, v15
	v_and_b32_e32 v13, 15, v13
	v_lshlrev_b32_sdwa v16, v16, v6 dst_sel:DWORD dst_unused:UNUSED_PAD src0_sel:DWORD src1_sel:WORD_1
	v_bfe_u32 v14, v6, 19, 4
	v_sub_u32_e32 v15, 29, v15
	v_and_b32_e32 v16, 7, v16
	v_cmp_eq_u16_e32 vcc, 0, v13
	v_cndmask_b32_e32 v12, v12, v16, vcc
	v_cndmask_b32_e32 v13, v14, v15, vcc
	v_lshlrev_b32_e32 v14, 8, v6
	v_mov_b32_e32 v15, 0x3b800000
	v_lshlrev_b32_e32 v12, 20, v12
	v_and_b32_e32 v14, 0x80000000, v14
	v_lshl_add_u32 v13, v13, 23, v15
	v_or3_b32 v12, v14, v13, v12
.LBB4_276:
	s_or_b64 exec, exec, s[6:7]
	s_movk_i32 s4, 0xff
	v_and_b32_sdwa v13, v2, s4 dst_sel:DWORD dst_unused:UNUSED_PAD src0_sel:WORD_1 src1_sel:DWORD
	s_movk_i32 s4, 0x7f
	v_cmp_lt_i16_e32 vcc, s4, v13
	s_mov_b64 s[4:5], 0
                                        ; implicit-def: $sgpr10
	s_and_saveexec_b64 s[6:7], vcc
	s_xor_b64 s[6:7], exec, s[6:7]
	s_cbranch_execnz .LBB4_2325
; %bb.277:
	s_or_saveexec_b64 s[6:7], s[6:7]
	v_mov_b32_e32 v14, s10
	s_xor_b64 exec, exec, s[6:7]
	s_cbranch_execnz .LBB4_2328
.LBB4_278:
	s_or_b64 exec, exec, s[6:7]
	s_and_saveexec_b64 s[6:7], s[4:5]
	s_cbranch_execz .LBB4_280
.LBB4_279:
	v_bfe_u32 v13, v2, 16, 3
	v_ffbh_u32_e32 v16, v13
	v_min_u32_e32 v16, 32, v16
	v_lshrrev_b32_e32 v14, 19, v2
	v_subrev_u32_e32 v17, 28, v16
	v_and_b32_e32 v14, 15, v14
	v_lshlrev_b32_sdwa v17, v17, v2 dst_sel:DWORD dst_unused:UNUSED_PAD src0_sel:DWORD src1_sel:WORD_1
	v_bfe_u32 v15, v2, 19, 4
	v_sub_u32_e32 v16, 29, v16
	v_and_b32_e32 v17, 7, v17
	v_cmp_eq_u16_e32 vcc, 0, v14
	v_cndmask_b32_e32 v13, v13, v17, vcc
	v_cndmask_b32_e32 v14, v15, v16, vcc
	v_lshlrev_b32_e32 v15, 8, v2
	v_mov_b32_e32 v16, 0x3b800000
	v_lshlrev_b32_e32 v13, 20, v13
	v_and_b32_e32 v15, 0x80000000, v15
	v_lshl_add_u32 v14, v14, 23, v16
	v_or3_b32 v14, v15, v14, v13
.LBB4_280:
	s_or_b64 exec, exec, s[6:7]
	s_nop 0
	v_mfma_f32_16x16x4f32 a[0:3], v12, v14, a[0:3]
	s_movk_i32 s4, 0x7f
	v_cmp_gt_i16_sdwa s[6:7], v6, s4 src0_sel:BYTE_3 src1_sel:DWORD
	s_mov_b64 s[4:5], 0
                                        ; implicit-def: $sgpr10
	s_and_saveexec_b64 s[8:9], s[6:7]
	s_xor_b64 s[6:7], exec, s[8:9]
	s_cbranch_execnz .LBB4_2329
; %bb.281:
	s_or_saveexec_b64 s[6:7], s[6:7]
	v_mov_b32_e32 v12, s10
	s_xor_b64 exec, exec, s[6:7]
	s_cbranch_execnz .LBB4_2332
.LBB4_282:
	s_or_b64 exec, exec, s[6:7]
	s_and_saveexec_b64 s[6:7], s[4:5]
	s_cbranch_execz .LBB4_284
.LBB4_283:
	v_bfe_u32 v12, v6, 24, 3
	v_ffbh_u32_e32 v16, v12
	v_min_u32_e32 v16, 32, v16
	v_lshrrev_b32_e32 v14, 27, v6
	v_subrev_u32_e32 v17, 28, v16
	v_and_b32_e32 v13, 0x80000000, v6
	v_and_b32_e32 v14, 15, v14
	v_bfe_u32 v15, v6, 27, 4
	v_lshlrev_b32_sdwa v6, v17, v6 dst_sel:DWORD dst_unused:UNUSED_PAD src0_sel:DWORD src1_sel:BYTE_3
	v_sub_u32_e32 v16, 29, v16
	v_and_b32_e32 v6, 7, v6
	v_cmp_eq_u16_e32 vcc, 0, v14
	v_cndmask_b32_e32 v6, v12, v6, vcc
	v_cndmask_b32_e32 v12, v15, v16, vcc
	v_mov_b32_e32 v14, 0x3b800000
	v_lshlrev_b32_e32 v6, 20, v6
	v_lshl_add_u32 v12, v12, 23, v14
	v_or3_b32 v12, v13, v12, v6
.LBB4_284:
	s_or_b64 exec, exec, s[6:7]
	s_movk_i32 s4, 0x7f
	v_cmp_gt_i16_sdwa s[6:7], v2, s4 src0_sel:BYTE_3 src1_sel:DWORD
	s_mov_b64 s[4:5], 0
                                        ; implicit-def: $sgpr10
	s_and_saveexec_b64 s[8:9], s[6:7]
	s_xor_b64 s[6:7], exec, s[8:9]
	s_cbranch_execnz .LBB4_2333
; %bb.285:
	s_or_saveexec_b64 s[6:7], s[6:7]
	v_mov_b32_e32 v6, s10
	s_xor_b64 exec, exec, s[6:7]
	s_cbranch_execnz .LBB4_2336
.LBB4_286:
	s_or_b64 exec, exec, s[6:7]
	s_and_saveexec_b64 s[6:7], s[4:5]
	s_cbranch_execz .LBB4_288
.LBB4_287:
	v_bfe_u32 v6, v2, 24, 3
	v_ffbh_u32_e32 v16, v6
	v_min_u32_e32 v16, 32, v16
	v_lshrrev_b32_e32 v14, 27, v2
	v_subrev_u32_e32 v17, 28, v16
	v_and_b32_e32 v13, 0x80000000, v2
	v_and_b32_e32 v14, 15, v14
	v_bfe_u32 v15, v2, 27, 4
	v_lshlrev_b32_sdwa v2, v17, v2 dst_sel:DWORD dst_unused:UNUSED_PAD src0_sel:DWORD src1_sel:BYTE_3
	v_sub_u32_e32 v16, 29, v16
	v_and_b32_e32 v2, 7, v2
	v_cmp_eq_u16_e32 vcc, 0, v14
	v_cndmask_b32_e32 v2, v6, v2, vcc
	v_cndmask_b32_e32 v6, v15, v16, vcc
	v_mov_b32_e32 v14, 0x3b800000
	v_lshlrev_b32_e32 v2, 20, v2
	v_lshl_add_u32 v6, v6, 23, v14
	v_or3_b32 v6, v13, v6, v2
.LBB4_288:
	s_or_b64 exec, exec, s[6:7]
	s_nop 0
	v_mfma_f32_16x16x4f32 a[0:3], v12, v6, a[0:3]
	s_movk_i32 s4, 0x7f
	v_cmp_gt_i16_sdwa s[6:7], v7, s4 src0_sel:BYTE_0 src1_sel:DWORD
	s_mov_b64 s[4:5], 0
                                        ; implicit-def: $sgpr10
	s_and_saveexec_b64 s[8:9], s[6:7]
	s_xor_b64 s[6:7], exec, s[8:9]
	s_cbranch_execnz .LBB4_2337
; %bb.289:
	s_or_saveexec_b64 s[6:7], s[6:7]
	v_mov_b32_e32 v2, s10
	s_xor_b64 exec, exec, s[6:7]
	s_cbranch_execnz .LBB4_2340
.LBB4_290:
	s_or_b64 exec, exec, s[6:7]
	s_and_saveexec_b64 s[6:7], s[4:5]
	s_cbranch_execz .LBB4_292
.LBB4_291:
	v_and_b32_e32 v2, 7, v7
	v_ffbh_u32_e32 v12, v2
	v_min_u32_e32 v12, 32, v12
	v_lshrrev_b16_e32 v6, 3, v7
	v_subrev_u32_e32 v13, 28, v12
	v_and_b32_e32 v6, 15, v6
	v_lshlrev_b32_e32 v13, v13, v7
	v_sub_u32_e32 v12, 29, v12
	v_and_b32_e32 v13, 7, v13
	v_cmp_eq_u16_e32 vcc, 0, v6
	v_cndmask_b32_e32 v2, v2, v13, vcc
	v_cndmask_b32_e32 v6, v6, v12, vcc
	v_lshlrev_b32_e32 v12, 24, v7
	v_mov_b32_e32 v13, 0x3b800000
	v_lshlrev_b32_e32 v2, 20, v2
	v_and_b32_e32 v12, 0x80000000, v12
	v_lshl_add_u32 v6, v6, 23, v13
	v_or3_b32 v2, v12, v6, v2
.LBB4_292:
	s_or_b64 exec, exec, s[6:7]
	s_movk_i32 s4, 0x7f
	v_cmp_gt_i16_sdwa s[6:7], v3, s4 src0_sel:BYTE_0 src1_sel:DWORD
	s_mov_b64 s[4:5], 0
                                        ; implicit-def: $sgpr10
	s_and_saveexec_b64 s[8:9], s[6:7]
	s_xor_b64 s[6:7], exec, s[8:9]
	s_cbranch_execnz .LBB4_2341
; %bb.293:
	s_or_saveexec_b64 s[6:7], s[6:7]
	v_mov_b32_e32 v6, s10
	s_xor_b64 exec, exec, s[6:7]
	s_cbranch_execnz .LBB4_2344
.LBB4_294:
	s_or_b64 exec, exec, s[6:7]
	s_and_saveexec_b64 s[6:7], s[4:5]
	s_cbranch_execz .LBB4_296
.LBB4_295:
	v_and_b32_e32 v6, 7, v3
	v_ffbh_u32_e32 v13, v6
	v_min_u32_e32 v13, 32, v13
	v_lshrrev_b16_e32 v12, 3, v3
	v_subrev_u32_e32 v14, 28, v13
	v_and_b32_e32 v12, 15, v12
	v_lshlrev_b32_e32 v14, v14, v3
	v_sub_u32_e32 v13, 29, v13
	v_and_b32_e32 v14, 7, v14
	v_cmp_eq_u16_e32 vcc, 0, v12
	v_cndmask_b32_e32 v6, v6, v14, vcc
	v_cndmask_b32_e32 v12, v12, v13, vcc
	v_lshlrev_b32_e32 v13, 24, v3
	v_mov_b32_e32 v14, 0x3b800000
	v_lshlrev_b32_e32 v6, 20, v6
	v_and_b32_e32 v13, 0x80000000, v13
	v_lshl_add_u32 v12, v12, 23, v14
	v_or3_b32 v6, v13, v12, v6
.LBB4_296:
	s_or_b64 exec, exec, s[6:7]
	s_nop 0
	v_mfma_f32_16x16x4f32 a[0:3], v2, v6, a[0:3]
	v_lshrrev_b32_e32 v6, 8, v7
	s_movk_i32 s4, 0x7f
	v_cmp_gt_i16_sdwa s[6:7], v6, s4 src0_sel:BYTE_0 src1_sel:DWORD
	s_mov_b64 s[4:5], 0
                                        ; implicit-def: $sgpr10
	s_and_saveexec_b64 s[8:9], s[6:7]
	s_xor_b64 s[6:7], exec, s[8:9]
	s_cbranch_execnz .LBB4_2345
; %bb.297:
	s_or_saveexec_b64 s[6:7], s[6:7]
	v_mov_b32_e32 v2, s10
	s_xor_b64 exec, exec, s[6:7]
	s_cbranch_execnz .LBB4_2348
.LBB4_298:
	s_or_b64 exec, exec, s[6:7]
	s_and_saveexec_b64 s[6:7], s[4:5]
	s_cbranch_execz .LBB4_300
.LBB4_299:
	v_bfe_u32 v2, v7, 8, 3
	v_ffbh_u32_e32 v13, v2
	v_min_u32_e32 v13, 32, v13
	v_lshrrev_b16_e32 v12, 3, v6
	v_subrev_u32_e32 v14, 28, v13
	v_and_b32_e32 v12, 15, v12
	v_lshlrev_b32_e32 v6, v14, v6
	v_sub_u32_e32 v13, 29, v13
	v_and_b32_e32 v6, 7, v6
	v_cmp_eq_u16_e32 vcc, 0, v12
	v_cndmask_b32_e32 v2, v2, v6, vcc
	v_cndmask_b32_e32 v6, v12, v13, vcc
	v_lshlrev_b32_e32 v12, 16, v7
	v_mov_b32_e32 v13, 0x3b800000
	v_lshlrev_b32_e32 v2, 20, v2
	v_and_b32_e32 v12, 0x80000000, v12
	v_lshl_add_u32 v6, v6, 23, v13
	v_or3_b32 v2, v12, v6, v2
.LBB4_300:
	s_or_b64 exec, exec, s[6:7]
	v_lshrrev_b32_e32 v6, 8, v3
	s_movk_i32 s4, 0x7f
	v_cmp_gt_i16_sdwa s[6:7], v6, s4 src0_sel:BYTE_0 src1_sel:DWORD
	s_mov_b64 s[4:5], 0
                                        ; implicit-def: $sgpr10
	s_and_saveexec_b64 s[8:9], s[6:7]
	s_xor_b64 s[6:7], exec, s[8:9]
	s_cbranch_execnz .LBB4_2349
; %bb.301:
	s_or_saveexec_b64 s[6:7], s[6:7]
	v_mov_b32_e32 v12, s10
	s_xor_b64 exec, exec, s[6:7]
	s_cbranch_execnz .LBB4_2352
.LBB4_302:
	s_or_b64 exec, exec, s[6:7]
	s_and_saveexec_b64 s[6:7], s[4:5]
	s_cbranch_execz .LBB4_304
.LBB4_303:
	v_bfe_u32 v12, v3, 8, 3
	v_ffbh_u32_e32 v14, v12
	v_min_u32_e32 v14, 32, v14
	v_lshrrev_b16_e32 v13, 3, v6
	v_subrev_u32_e32 v15, 28, v14
	v_and_b32_e32 v13, 15, v13
	v_lshlrev_b32_e32 v6, v15, v6
	v_sub_u32_e32 v14, 29, v14
	v_and_b32_e32 v6, 7, v6
	v_cmp_eq_u16_e32 vcc, 0, v13
	v_cndmask_b32_e32 v6, v12, v6, vcc
	v_cndmask_b32_e32 v12, v13, v14, vcc
	v_lshlrev_b32_e32 v13, 16, v3
	v_mov_b32_e32 v14, 0x3b800000
	v_lshlrev_b32_e32 v6, 20, v6
	v_and_b32_e32 v13, 0x80000000, v13
	v_lshl_add_u32 v12, v12, 23, v14
	v_or3_b32 v12, v13, v12, v6
.LBB4_304:
	s_or_b64 exec, exec, s[6:7]
	s_nop 0
	v_mfma_f32_16x16x4f32 a[0:3], v2, v12, a[0:3]
	s_movk_i32 s4, 0xff
	v_and_b32_sdwa v6, v7, s4 dst_sel:DWORD dst_unused:UNUSED_PAD src0_sel:WORD_1 src1_sel:DWORD
	s_movk_i32 s4, 0x7f
	v_cmp_lt_i16_e32 vcc, s4, v6
	s_mov_b64 s[4:5], 0
                                        ; implicit-def: $sgpr10
	s_and_saveexec_b64 s[6:7], vcc
	s_xor_b64 s[6:7], exec, s[6:7]
	s_cbranch_execnz .LBB4_2353
; %bb.305:
	s_or_saveexec_b64 s[6:7], s[6:7]
	v_mov_b32_e32 v2, s10
	s_xor_b64 exec, exec, s[6:7]
	s_cbranch_execnz .LBB4_2356
.LBB4_306:
	s_or_b64 exec, exec, s[6:7]
	s_and_saveexec_b64 s[6:7], s[4:5]
	s_cbranch_execz .LBB4_308
.LBB4_307:
	v_bfe_u32 v2, v7, 16, 3
	v_ffbh_u32_e32 v13, v2
	v_min_u32_e32 v13, 32, v13
	v_lshrrev_b32_e32 v6, 19, v7
	v_subrev_u32_e32 v14, 28, v13
	v_and_b32_e32 v6, 15, v6
	v_lshlrev_b32_sdwa v14, v14, v7 dst_sel:DWORD dst_unused:UNUSED_PAD src0_sel:DWORD src1_sel:WORD_1
	v_bfe_u32 v12, v7, 19, 4
	v_sub_u32_e32 v13, 29, v13
	v_and_b32_e32 v14, 7, v14
	v_cmp_eq_u16_e32 vcc, 0, v6
	v_cndmask_b32_e32 v2, v2, v14, vcc
	v_cndmask_b32_e32 v6, v12, v13, vcc
	v_lshlrev_b32_e32 v12, 8, v7
	v_mov_b32_e32 v13, 0x3b800000
	v_lshlrev_b32_e32 v2, 20, v2
	v_and_b32_e32 v12, 0x80000000, v12
	v_lshl_add_u32 v6, v6, 23, v13
	v_or3_b32 v2, v12, v6, v2
.LBB4_308:
	s_or_b64 exec, exec, s[6:7]
	s_movk_i32 s4, 0xff
	v_and_b32_sdwa v6, v3, s4 dst_sel:DWORD dst_unused:UNUSED_PAD src0_sel:WORD_1 src1_sel:DWORD
	s_movk_i32 s4, 0x7f
	v_cmp_lt_i16_e32 vcc, s4, v6
	s_mov_b64 s[4:5], 0
                                        ; implicit-def: $sgpr10
	s_and_saveexec_b64 s[6:7], vcc
	s_xor_b64 s[6:7], exec, s[6:7]
	s_cbranch_execnz .LBB4_2357
; %bb.309:
	s_or_saveexec_b64 s[6:7], s[6:7]
	v_mov_b32_e32 v12, s10
	s_xor_b64 exec, exec, s[6:7]
	s_cbranch_execnz .LBB4_2360
.LBB4_310:
	s_or_b64 exec, exec, s[6:7]
	s_and_saveexec_b64 s[6:7], s[4:5]
	s_cbranch_execz .LBB4_312
.LBB4_311:
	v_bfe_u32 v6, v3, 16, 3
	v_ffbh_u32_e32 v14, v6
	v_min_u32_e32 v14, 32, v14
	v_lshrrev_b32_e32 v12, 19, v3
	v_subrev_u32_e32 v15, 28, v14
	v_and_b32_e32 v12, 15, v12
	v_lshlrev_b32_sdwa v15, v15, v3 dst_sel:DWORD dst_unused:UNUSED_PAD src0_sel:DWORD src1_sel:WORD_1
	v_bfe_u32 v13, v3, 19, 4
	v_sub_u32_e32 v14, 29, v14
	v_and_b32_e32 v15, 7, v15
	v_cmp_eq_u16_e32 vcc, 0, v12
	v_cndmask_b32_e32 v6, v6, v15, vcc
	v_cndmask_b32_e32 v12, v13, v14, vcc
	v_lshlrev_b32_e32 v13, 8, v3
	v_mov_b32_e32 v14, 0x3b800000
	v_lshlrev_b32_e32 v6, 20, v6
	v_and_b32_e32 v13, 0x80000000, v13
	v_lshl_add_u32 v12, v12, 23, v14
	v_or3_b32 v12, v13, v12, v6
.LBB4_312:
	s_or_b64 exec, exec, s[6:7]
	s_nop 0
	v_mfma_f32_16x16x4f32 a[0:3], v2, v12, a[0:3]
	s_movk_i32 s4, 0x7f
	v_cmp_gt_i16_sdwa s[6:7], v7, s4 src0_sel:BYTE_3 src1_sel:DWORD
	s_mov_b64 s[4:5], 0
                                        ; implicit-def: $sgpr10
	s_and_saveexec_b64 s[8:9], s[6:7]
	s_xor_b64 s[6:7], exec, s[8:9]
	s_cbranch_execnz .LBB4_2361
; %bb.313:
	s_or_saveexec_b64 s[6:7], s[6:7]
	v_mov_b32_e32 v2, s10
	s_xor_b64 exec, exec, s[6:7]
	s_cbranch_execnz .LBB4_2364
.LBB4_314:
	s_or_b64 exec, exec, s[6:7]
	s_and_saveexec_b64 s[6:7], s[4:5]
	s_cbranch_execz .LBB4_316
.LBB4_315:
	v_bfe_u32 v2, v7, 24, 3
	v_ffbh_u32_e32 v14, v2
	v_min_u32_e32 v14, 32, v14
	v_lshrrev_b32_e32 v12, 27, v7
	v_subrev_u32_e32 v15, 28, v14
	v_and_b32_e32 v6, 0x80000000, v7
	v_and_b32_e32 v12, 15, v12
	v_bfe_u32 v13, v7, 27, 4
	v_lshlrev_b32_sdwa v7, v15, v7 dst_sel:DWORD dst_unused:UNUSED_PAD src0_sel:DWORD src1_sel:BYTE_3
	v_sub_u32_e32 v14, 29, v14
	v_and_b32_e32 v7, 7, v7
	v_cmp_eq_u16_e32 vcc, 0, v12
	v_cndmask_b32_e32 v2, v2, v7, vcc
	v_cndmask_b32_e32 v7, v13, v14, vcc
	v_mov_b32_e32 v12, 0x3b800000
	v_lshlrev_b32_e32 v2, 20, v2
	v_lshl_add_u32 v7, v7, 23, v12
	v_or3_b32 v2, v6, v7, v2
.LBB4_316:
	s_or_b64 exec, exec, s[6:7]
	s_movk_i32 s4, 0x7f
	v_cmp_gt_i16_sdwa s[6:7], v3, s4 src0_sel:BYTE_3 src1_sel:DWORD
	s_mov_b64 s[4:5], 0
                                        ; implicit-def: $sgpr10
	s_and_saveexec_b64 s[8:9], s[6:7]
	s_xor_b64 s[6:7], exec, s[8:9]
	s_cbranch_execnz .LBB4_2365
; %bb.317:
	s_or_saveexec_b64 s[6:7], s[6:7]
	v_mov_b32_e32 v6, s10
	s_xor_b64 exec, exec, s[6:7]
	s_cbranch_execnz .LBB4_2368
.LBB4_318:
	s_or_b64 exec, exec, s[6:7]
	s_and_saveexec_b64 s[6:7], s[4:5]
	s_cbranch_execz .LBB4_320
.LBB4_319:
	v_bfe_u32 v6, v3, 24, 3
	v_ffbh_u32_e32 v14, v6
	v_min_u32_e32 v14, 32, v14
	v_lshrrev_b32_e32 v12, 27, v3
	v_subrev_u32_e32 v15, 28, v14
	v_and_b32_e32 v7, 0x80000000, v3
	v_and_b32_e32 v12, 15, v12
	v_bfe_u32 v13, v3, 27, 4
	v_lshlrev_b32_sdwa v3, v15, v3 dst_sel:DWORD dst_unused:UNUSED_PAD src0_sel:DWORD src1_sel:BYTE_3
	v_sub_u32_e32 v14, 29, v14
	v_and_b32_e32 v3, 7, v3
	v_cmp_eq_u16_e32 vcc, 0, v12
	v_cndmask_b32_e32 v3, v6, v3, vcc
	v_cndmask_b32_e32 v6, v13, v14, vcc
	v_mov_b32_e32 v12, 0x3b800000
	v_lshlrev_b32_e32 v3, 20, v3
	v_lshl_add_u32 v6, v6, 23, v12
	v_or3_b32 v6, v7, v6, v3
.LBB4_320:
	s_or_b64 exec, exec, s[6:7]
	s_nop 0
	v_mfma_f32_16x16x4f32 a[0:3], v2, v6, a[0:3]
	s_movk_i32 s4, 0x7f
	v_cmp_gt_i16_sdwa s[6:7], v8, s4 src0_sel:BYTE_0 src1_sel:DWORD
	s_mov_b64 s[4:5], 0
                                        ; implicit-def: $sgpr10
	s_and_saveexec_b64 s[8:9], s[6:7]
	s_xor_b64 s[6:7], exec, s[8:9]
	s_cbranch_execnz .LBB4_2369
; %bb.321:
	s_or_saveexec_b64 s[6:7], s[6:7]
	v_mov_b32_e32 v2, s10
	s_xor_b64 exec, exec, s[6:7]
	s_cbranch_execnz .LBB4_2372
.LBB4_322:
	s_or_b64 exec, exec, s[6:7]
	s_and_saveexec_b64 s[6:7], s[4:5]
	s_cbranch_execz .LBB4_324
.LBB4_323:
	v_and_b32_e32 v2, 7, v8
	v_ffbh_u32_e32 v6, v2
	v_min_u32_e32 v6, 32, v6
	v_lshrrev_b16_e32 v3, 3, v8
	v_subrev_u32_e32 v7, 28, v6
	v_and_b32_e32 v3, 15, v3
	v_lshlrev_b32_e32 v7, v7, v8
	v_sub_u32_e32 v6, 29, v6
	v_and_b32_e32 v7, 7, v7
	v_cmp_eq_u16_e32 vcc, 0, v3
	v_cndmask_b32_e32 v2, v2, v7, vcc
	v_cndmask_b32_e32 v3, v3, v6, vcc
	v_lshlrev_b32_e32 v6, 24, v8
	v_mov_b32_e32 v7, 0x3b800000
	v_lshlrev_b32_e32 v2, 20, v2
	v_and_b32_e32 v6, 0x80000000, v6
	v_lshl_add_u32 v3, v3, 23, v7
	v_or3_b32 v2, v6, v3, v2
.LBB4_324:
	s_or_b64 exec, exec, s[6:7]
	s_movk_i32 s4, 0x7f
	v_cmp_gt_i16_sdwa s[6:7], v4, s4 src0_sel:BYTE_0 src1_sel:DWORD
	s_mov_b64 s[4:5], 0
                                        ; implicit-def: $sgpr10
	s_and_saveexec_b64 s[8:9], s[6:7]
	s_xor_b64 s[6:7], exec, s[8:9]
	s_cbranch_execnz .LBB4_2373
; %bb.325:
	s_or_saveexec_b64 s[6:7], s[6:7]
	v_mov_b32_e32 v3, s10
	s_xor_b64 exec, exec, s[6:7]
	s_cbranch_execnz .LBB4_2376
.LBB4_326:
	s_or_b64 exec, exec, s[6:7]
	s_and_saveexec_b64 s[6:7], s[4:5]
	s_cbranch_execz .LBB4_328
.LBB4_327:
	v_and_b32_e32 v3, 7, v4
	v_ffbh_u32_e32 v7, v3
	v_min_u32_e32 v7, 32, v7
	v_lshrrev_b16_e32 v6, 3, v4
	v_subrev_u32_e32 v12, 28, v7
	v_and_b32_e32 v6, 15, v6
	v_lshlrev_b32_e32 v12, v12, v4
	v_sub_u32_e32 v7, 29, v7
	v_and_b32_e32 v12, 7, v12
	v_cmp_eq_u16_e32 vcc, 0, v6
	v_cndmask_b32_e32 v3, v3, v12, vcc
	v_cndmask_b32_e32 v6, v6, v7, vcc
	v_lshlrev_b32_e32 v7, 24, v4
	v_mov_b32_e32 v12, 0x3b800000
	v_lshlrev_b32_e32 v3, 20, v3
	v_and_b32_e32 v7, 0x80000000, v7
	v_lshl_add_u32 v6, v6, 23, v12
	v_or3_b32 v3, v7, v6, v3
.LBB4_328:
	s_or_b64 exec, exec, s[6:7]
	s_nop 0
	v_mfma_f32_16x16x4f32 a[0:3], v2, v3, a[0:3]
	v_lshrrev_b32_e32 v3, 8, v8
	s_movk_i32 s4, 0x7f
	v_cmp_gt_i16_sdwa s[6:7], v3, s4 src0_sel:BYTE_0 src1_sel:DWORD
	s_mov_b64 s[4:5], 0
                                        ; implicit-def: $sgpr10
	s_and_saveexec_b64 s[8:9], s[6:7]
	s_xor_b64 s[6:7], exec, s[8:9]
	s_cbranch_execnz .LBB4_2377
; %bb.329:
	s_or_saveexec_b64 s[6:7], s[6:7]
	v_mov_b32_e32 v2, s10
	s_xor_b64 exec, exec, s[6:7]
	s_cbranch_execnz .LBB4_2380
.LBB4_330:
	s_or_b64 exec, exec, s[6:7]
	s_and_saveexec_b64 s[6:7], s[4:5]
	s_cbranch_execz .LBB4_332
.LBB4_331:
	v_bfe_u32 v2, v8, 8, 3
	v_ffbh_u32_e32 v7, v2
	v_min_u32_e32 v7, 32, v7
	v_lshrrev_b16_e32 v6, 3, v3
	v_subrev_u32_e32 v12, 28, v7
	v_and_b32_e32 v6, 15, v6
	v_lshlrev_b32_e32 v3, v12, v3
	v_sub_u32_e32 v7, 29, v7
	v_and_b32_e32 v3, 7, v3
	v_cmp_eq_u16_e32 vcc, 0, v6
	v_cndmask_b32_e32 v2, v2, v3, vcc
	v_cndmask_b32_e32 v3, v6, v7, vcc
	v_lshlrev_b32_e32 v6, 16, v8
	v_mov_b32_e32 v7, 0x3b800000
	v_lshlrev_b32_e32 v2, 20, v2
	v_and_b32_e32 v6, 0x80000000, v6
	v_lshl_add_u32 v3, v3, 23, v7
	v_or3_b32 v2, v6, v3, v2
.LBB4_332:
	s_or_b64 exec, exec, s[6:7]
	v_lshrrev_b32_e32 v3, 8, v4
	s_movk_i32 s4, 0x7f
	v_cmp_gt_i16_sdwa s[6:7], v3, s4 src0_sel:BYTE_0 src1_sel:DWORD
	s_mov_b64 s[4:5], 0
                                        ; implicit-def: $sgpr10
	s_and_saveexec_b64 s[8:9], s[6:7]
	s_xor_b64 s[6:7], exec, s[8:9]
	s_cbranch_execnz .LBB4_2381
; %bb.333:
	s_or_saveexec_b64 s[6:7], s[6:7]
	v_mov_b32_e32 v6, s10
	s_xor_b64 exec, exec, s[6:7]
	s_cbranch_execnz .LBB4_2384
.LBB4_334:
	s_or_b64 exec, exec, s[6:7]
	s_and_saveexec_b64 s[6:7], s[4:5]
	s_cbranch_execz .LBB4_336
.LBB4_335:
	v_bfe_u32 v6, v4, 8, 3
	v_ffbh_u32_e32 v12, v6
	v_min_u32_e32 v12, 32, v12
	v_lshrrev_b16_e32 v7, 3, v3
	v_subrev_u32_e32 v13, 28, v12
	v_and_b32_e32 v7, 15, v7
	v_lshlrev_b32_e32 v3, v13, v3
	v_sub_u32_e32 v12, 29, v12
	v_and_b32_e32 v3, 7, v3
	v_cmp_eq_u16_e32 vcc, 0, v7
	v_cndmask_b32_e32 v3, v6, v3, vcc
	v_cndmask_b32_e32 v6, v7, v12, vcc
	v_lshlrev_b32_e32 v7, 16, v4
	v_mov_b32_e32 v12, 0x3b800000
	v_lshlrev_b32_e32 v3, 20, v3
	v_and_b32_e32 v7, 0x80000000, v7
	v_lshl_add_u32 v6, v6, 23, v12
	v_or3_b32 v6, v7, v6, v3
.LBB4_336:
	s_or_b64 exec, exec, s[6:7]
	s_nop 0
	v_mfma_f32_16x16x4f32 a[0:3], v2, v6, a[0:3]
	s_movk_i32 s4, 0xff
	v_and_b32_sdwa v3, v8, s4 dst_sel:DWORD dst_unused:UNUSED_PAD src0_sel:WORD_1 src1_sel:DWORD
	s_movk_i32 s4, 0x7f
	v_cmp_lt_i16_e32 vcc, s4, v3
	s_mov_b64 s[4:5], 0
                                        ; implicit-def: $sgpr10
	s_and_saveexec_b64 s[6:7], vcc
	s_xor_b64 s[6:7], exec, s[6:7]
	s_cbranch_execnz .LBB4_2385
; %bb.337:
	s_or_saveexec_b64 s[6:7], s[6:7]
	v_mov_b32_e32 v2, s10
	s_xor_b64 exec, exec, s[6:7]
	s_cbranch_execnz .LBB4_2388
.LBB4_338:
	s_or_b64 exec, exec, s[6:7]
	s_and_saveexec_b64 s[6:7], s[4:5]
	s_cbranch_execz .LBB4_340
.LBB4_339:
	v_bfe_u32 v2, v8, 16, 3
	v_ffbh_u32_e32 v7, v2
	v_min_u32_e32 v7, 32, v7
	v_lshrrev_b32_e32 v3, 19, v8
	v_subrev_u32_e32 v12, 28, v7
	v_and_b32_e32 v3, 15, v3
	v_lshlrev_b32_sdwa v12, v12, v8 dst_sel:DWORD dst_unused:UNUSED_PAD src0_sel:DWORD src1_sel:WORD_1
	v_bfe_u32 v6, v8, 19, 4
	v_sub_u32_e32 v7, 29, v7
	v_and_b32_e32 v12, 7, v12
	v_cmp_eq_u16_e32 vcc, 0, v3
	v_cndmask_b32_e32 v2, v2, v12, vcc
	v_cndmask_b32_e32 v3, v6, v7, vcc
	v_lshlrev_b32_e32 v6, 8, v8
	v_mov_b32_e32 v7, 0x3b800000
	v_lshlrev_b32_e32 v2, 20, v2
	v_and_b32_e32 v6, 0x80000000, v6
	v_lshl_add_u32 v3, v3, 23, v7
	v_or3_b32 v2, v6, v3, v2
.LBB4_340:
	s_or_b64 exec, exec, s[6:7]
	s_movk_i32 s4, 0xff
	v_and_b32_sdwa v3, v4, s4 dst_sel:DWORD dst_unused:UNUSED_PAD src0_sel:WORD_1 src1_sel:DWORD
	s_movk_i32 s4, 0x7f
	v_cmp_lt_i16_e32 vcc, s4, v3
	s_mov_b64 s[4:5], 0
                                        ; implicit-def: $sgpr10
	s_and_saveexec_b64 s[6:7], vcc
	s_xor_b64 s[6:7], exec, s[6:7]
	s_cbranch_execnz .LBB4_2389
; %bb.341:
	s_or_saveexec_b64 s[6:7], s[6:7]
	v_mov_b32_e32 v6, s10
	s_xor_b64 exec, exec, s[6:7]
	s_cbranch_execnz .LBB4_2392
.LBB4_342:
	s_or_b64 exec, exec, s[6:7]
	s_and_saveexec_b64 s[6:7], s[4:5]
	s_cbranch_execz .LBB4_344
.LBB4_343:
	v_bfe_u32 v3, v4, 16, 3
	v_ffbh_u32_e32 v12, v3
	v_min_u32_e32 v12, 32, v12
	v_lshrrev_b32_e32 v6, 19, v4
	v_subrev_u32_e32 v13, 28, v12
	v_and_b32_e32 v6, 15, v6
	v_lshlrev_b32_sdwa v13, v13, v4 dst_sel:DWORD dst_unused:UNUSED_PAD src0_sel:DWORD src1_sel:WORD_1
	v_bfe_u32 v7, v4, 19, 4
	v_sub_u32_e32 v12, 29, v12
	v_and_b32_e32 v13, 7, v13
	v_cmp_eq_u16_e32 vcc, 0, v6
	v_cndmask_b32_e32 v3, v3, v13, vcc
	v_cndmask_b32_e32 v6, v7, v12, vcc
	v_lshlrev_b32_e32 v7, 8, v4
	v_mov_b32_e32 v12, 0x3b800000
	v_lshlrev_b32_e32 v3, 20, v3
	v_and_b32_e32 v7, 0x80000000, v7
	v_lshl_add_u32 v6, v6, 23, v12
	v_or3_b32 v6, v7, v6, v3
.LBB4_344:
	s_or_b64 exec, exec, s[6:7]
	s_nop 0
	v_mfma_f32_16x16x4f32 a[0:3], v2, v6, a[0:3]
	s_movk_i32 s4, 0x7f
	v_cmp_gt_i16_sdwa s[6:7], v8, s4 src0_sel:BYTE_3 src1_sel:DWORD
	s_mov_b64 s[4:5], 0
                                        ; implicit-def: $sgpr10
	s_and_saveexec_b64 s[8:9], s[6:7]
	s_xor_b64 s[6:7], exec, s[8:9]
	s_cbranch_execnz .LBB4_2393
; %bb.345:
	s_or_saveexec_b64 s[6:7], s[6:7]
	v_mov_b32_e32 v2, s10
	s_xor_b64 exec, exec, s[6:7]
	s_cbranch_execnz .LBB4_2396
.LBB4_346:
	s_or_b64 exec, exec, s[6:7]
	s_and_saveexec_b64 s[6:7], s[4:5]
	s_cbranch_execz .LBB4_348
.LBB4_347:
	v_bfe_u32 v2, v8, 24, 3
	v_ffbh_u32_e32 v12, v2
	v_min_u32_e32 v12, 32, v12
	v_lshrrev_b32_e32 v6, 27, v8
	v_subrev_u32_e32 v13, 28, v12
	v_and_b32_e32 v3, 0x80000000, v8
	v_and_b32_e32 v6, 15, v6
	v_bfe_u32 v7, v8, 27, 4
	v_lshlrev_b32_sdwa v8, v13, v8 dst_sel:DWORD dst_unused:UNUSED_PAD src0_sel:DWORD src1_sel:BYTE_3
	v_sub_u32_e32 v12, 29, v12
	v_and_b32_e32 v8, 7, v8
	v_cmp_eq_u16_e32 vcc, 0, v6
	v_cndmask_b32_e32 v2, v2, v8, vcc
	v_cndmask_b32_e32 v6, v7, v12, vcc
	v_mov_b32_e32 v7, 0x3b800000
	v_lshlrev_b32_e32 v2, 20, v2
	v_lshl_add_u32 v6, v6, 23, v7
	v_or3_b32 v2, v3, v6, v2
.LBB4_348:
	s_or_b64 exec, exec, s[6:7]
	s_movk_i32 s4, 0x7f
	v_cmp_gt_i16_sdwa s[6:7], v4, s4 src0_sel:BYTE_3 src1_sel:DWORD
	s_mov_b64 s[4:5], 0
                                        ; implicit-def: $sgpr10
	s_and_saveexec_b64 s[8:9], s[6:7]
	s_xor_b64 s[6:7], exec, s[8:9]
	s_cbranch_execnz .LBB4_2397
; %bb.349:
	s_or_saveexec_b64 s[6:7], s[6:7]
	v_mov_b32_e32 v3, s10
	s_xor_b64 exec, exec, s[6:7]
	s_cbranch_execnz .LBB4_2400
.LBB4_350:
	s_or_b64 exec, exec, s[6:7]
	s_and_saveexec_b64 s[6:7], s[4:5]
	s_cbranch_execz .LBB4_352
.LBB4_351:
	v_bfe_u32 v3, v4, 24, 3
	v_ffbh_u32_e32 v12, v3
	v_min_u32_e32 v12, 32, v12
	v_lshrrev_b32_e32 v7, 27, v4
	v_subrev_u32_e32 v13, 28, v12
	v_and_b32_e32 v6, 0x80000000, v4
	v_and_b32_e32 v7, 15, v7
	v_bfe_u32 v8, v4, 27, 4
	v_lshlrev_b32_sdwa v4, v13, v4 dst_sel:DWORD dst_unused:UNUSED_PAD src0_sel:DWORD src1_sel:BYTE_3
	v_sub_u32_e32 v12, 29, v12
	v_and_b32_e32 v4, 7, v4
	v_cmp_eq_u16_e32 vcc, 0, v7
	v_cndmask_b32_e32 v3, v3, v4, vcc
	v_cndmask_b32_e32 v4, v8, v12, vcc
	v_mov_b32_e32 v7, 0x3b800000
	v_lshlrev_b32_e32 v3, 20, v3
	v_lshl_add_u32 v4, v4, 23, v7
	v_or3_b32 v3, v6, v4, v3
.LBB4_352:
	s_or_b64 exec, exec, s[6:7]
	s_nop 0
	v_mfma_f32_16x16x4f32 a[0:3], v2, v3, a[0:3]
	s_movk_i32 s4, 0x7f
	v_cmp_gt_i16_sdwa s[6:7], v9, s4 src0_sel:BYTE_0 src1_sel:DWORD
	s_mov_b64 s[4:5], 0
                                        ; implicit-def: $sgpr10
	s_and_saveexec_b64 s[8:9], s[6:7]
	s_xor_b64 s[6:7], exec, s[8:9]
	s_cbranch_execnz .LBB4_2401
; %bb.353:
	s_or_saveexec_b64 s[6:7], s[6:7]
	v_mov_b32_e32 v2, s10
	s_xor_b64 exec, exec, s[6:7]
	s_cbranch_execnz .LBB4_2404
.LBB4_354:
	s_or_b64 exec, exec, s[6:7]
	s_and_saveexec_b64 s[6:7], s[4:5]
	s_cbranch_execz .LBB4_356
.LBB4_355:
	v_mov_b32_e32 v2, 8
	v_and_b32_e32 v3, 7, v9
	v_lshrrev_b32_sdwa v2, v2, v9 dst_sel:BYTE_1 dst_unused:UNUSED_PAD src0_sel:DWORD src1_sel:DWORD
	v_ffbh_u32_e32 v4, v3
	v_or_b32_sdwa v2, v9, v2 dst_sel:DWORD dst_unused:UNUSED_PAD src0_sel:BYTE_0 src1_sel:DWORD
	v_min_u32_e32 v4, 32, v4
	v_lshrrev_b16_e32 v2, 3, v2
	v_subrev_u32_e32 v6, 28, v4
	v_and_b32_e32 v2, 15, v2
	v_lshlrev_b32_e32 v6, v6, v9
	v_sub_u32_e32 v4, 29, v4
	v_and_b32_e32 v6, 7, v6
	v_cmp_eq_u16_e32 vcc, 0, v2
	v_cndmask_b32_e32 v3, v3, v6, vcc
	v_cndmask_b32_e32 v2, v2, v4, vcc
	v_lshlrev_b32_e32 v4, 24, v9
	v_mov_b32_e32 v6, 0x3b800000
	v_lshlrev_b32_e32 v3, 20, v3
	v_and_b32_e32 v4, 0x80000000, v4
	v_lshl_add_u32 v2, v2, 23, v6
	v_or3_b32 v2, v4, v2, v3
.LBB4_356:
	s_or_b64 exec, exec, s[6:7]
	s_movk_i32 s4, 0x7f
	v_cmp_gt_i16_sdwa s[6:7], v5, s4 src0_sel:BYTE_0 src1_sel:DWORD
	s_mov_b64 s[4:5], 0
                                        ; implicit-def: $sgpr10
	s_and_saveexec_b64 s[8:9], s[6:7]
	s_xor_b64 s[6:7], exec, s[8:9]
	s_cbranch_execnz .LBB4_2405
; %bb.357:
	s_or_saveexec_b64 s[6:7], s[6:7]
	v_mov_b32_e32 v3, s10
	s_xor_b64 exec, exec, s[6:7]
	s_cbranch_execnz .LBB4_2408
.LBB4_358:
	s_or_b64 exec, exec, s[6:7]
	s_and_saveexec_b64 s[6:7], s[4:5]
	s_cbranch_execz .LBB4_360
.LBB4_359:
	v_mov_b32_e32 v3, 8
	v_and_b32_e32 v4, 7, v5
	v_lshrrev_b32_sdwa v3, v3, v5 dst_sel:BYTE_1 dst_unused:UNUSED_PAD src0_sel:DWORD src1_sel:DWORD
	v_ffbh_u32_e32 v6, v4
	v_or_b32_sdwa v3, v5, v3 dst_sel:DWORD dst_unused:UNUSED_PAD src0_sel:BYTE_0 src1_sel:DWORD
	v_min_u32_e32 v6, 32, v6
	v_lshrrev_b16_e32 v3, 3, v3
	v_subrev_u32_e32 v7, 28, v6
	v_and_b32_e32 v3, 15, v3
	v_lshlrev_b32_e32 v7, v7, v5
	v_sub_u32_e32 v6, 29, v6
	v_and_b32_e32 v7, 7, v7
	v_cmp_eq_u16_e32 vcc, 0, v3
	v_cndmask_b32_e32 v4, v4, v7, vcc
	v_cndmask_b32_e32 v3, v3, v6, vcc
	v_lshlrev_b32_e32 v6, 24, v5
	v_mov_b32_e32 v7, 0x3b800000
	v_lshlrev_b32_e32 v4, 20, v4
	v_and_b32_e32 v6, 0x80000000, v6
	v_lshl_add_u32 v3, v3, 23, v7
	v_or3_b32 v3, v6, v3, v4
.LBB4_360:
	s_or_b64 exec, exec, s[6:7]
	s_nop 0
	v_mfma_f32_16x16x4f32 a[0:3], v2, v3, a[0:3]
	v_lshrrev_b32_e32 v3, 8, v9
	s_movk_i32 s4, 0x7f
	v_cmp_gt_i16_sdwa s[6:7], v3, s4 src0_sel:BYTE_0 src1_sel:DWORD
	s_mov_b64 s[4:5], 0
                                        ; implicit-def: $sgpr10
	s_and_saveexec_b64 s[8:9], s[6:7]
	s_xor_b64 s[6:7], exec, s[8:9]
	s_cbranch_execnz .LBB4_2409
; %bb.361:
	s_or_saveexec_b64 s[6:7], s[6:7]
	v_mov_b32_e32 v2, s10
	s_xor_b64 exec, exec, s[6:7]
	s_cbranch_execnz .LBB4_2412
.LBB4_362:
	s_or_b64 exec, exec, s[6:7]
	s_and_saveexec_b64 s[6:7], s[4:5]
	s_cbranch_execz .LBB4_364
.LBB4_363:
	v_bfe_u32 v2, v9, 8, 3
	v_ffbh_u32_e32 v6, v2
	v_min_u32_e32 v6, 32, v6
	v_lshrrev_b16_e32 v4, 3, v3
	v_subrev_u32_e32 v7, 28, v6
	v_and_b32_e32 v4, 15, v4
	v_lshlrev_b32_e32 v3, v7, v3
	v_sub_u32_e32 v6, 29, v6
	v_and_b32_e32 v3, 7, v3
	v_cmp_eq_u16_e32 vcc, 0, v4
	v_cndmask_b32_e32 v2, v2, v3, vcc
	v_cndmask_b32_e32 v3, v4, v6, vcc
	v_lshlrev_b32_e32 v4, 16, v9
	v_mov_b32_e32 v6, 0x3b800000
	v_lshlrev_b32_e32 v2, 20, v2
	v_and_b32_e32 v4, 0x80000000, v4
	v_lshl_add_u32 v3, v3, 23, v6
	v_or3_b32 v2, v4, v3, v2
.LBB4_364:
	s_or_b64 exec, exec, s[6:7]
	v_lshrrev_b32_e32 v3, 8, v5
	s_movk_i32 s4, 0x7f
	v_cmp_gt_i16_sdwa s[6:7], v3, s4 src0_sel:BYTE_0 src1_sel:DWORD
	s_mov_b64 s[4:5], 0
                                        ; implicit-def: $sgpr10
	s_and_saveexec_b64 s[8:9], s[6:7]
	s_xor_b64 s[6:7], exec, s[8:9]
	s_cbranch_execnz .LBB4_2413
; %bb.365:
	s_or_saveexec_b64 s[6:7], s[6:7]
	v_mov_b32_e32 v4, s10
	s_xor_b64 exec, exec, s[6:7]
	s_cbranch_execnz .LBB4_2416
.LBB4_366:
	s_or_b64 exec, exec, s[6:7]
	s_and_saveexec_b64 s[6:7], s[4:5]
	s_cbranch_execz .LBB4_368
.LBB4_367:
	v_bfe_u32 v4, v5, 8, 3
	v_ffbh_u32_e32 v7, v4
	v_min_u32_e32 v7, 32, v7
	v_lshrrev_b16_e32 v6, 3, v3
	v_subrev_u32_e32 v8, 28, v7
	v_and_b32_e32 v6, 15, v6
	v_lshlrev_b32_e32 v3, v8, v3
	v_sub_u32_e32 v7, 29, v7
	v_and_b32_e32 v3, 7, v3
	v_cmp_eq_u16_e32 vcc, 0, v6
	v_cndmask_b32_e32 v3, v4, v3, vcc
	v_cndmask_b32_e32 v4, v6, v7, vcc
	v_lshlrev_b32_e32 v6, 16, v5
	v_mov_b32_e32 v7, 0x3b800000
	v_lshlrev_b32_e32 v3, 20, v3
	v_and_b32_e32 v6, 0x80000000, v6
	v_lshl_add_u32 v4, v4, 23, v7
	v_or3_b32 v4, v6, v4, v3
.LBB4_368:
	s_or_b64 exec, exec, s[6:7]
	s_nop 0
	v_mfma_f32_16x16x4f32 a[0:3], v2, v4, a[0:3]
	s_movk_i32 s4, 0xff
	v_and_b32_sdwa v3, v9, s4 dst_sel:DWORD dst_unused:UNUSED_PAD src0_sel:WORD_1 src1_sel:DWORD
	s_movk_i32 s4, 0x7f
	v_cmp_lt_i16_e32 vcc, s4, v3
	s_mov_b64 s[4:5], 0
                                        ; implicit-def: $sgpr10
	s_and_saveexec_b64 s[6:7], vcc
	s_xor_b64 s[6:7], exec, s[6:7]
	s_cbranch_execnz .LBB4_2417
; %bb.369:
	s_or_saveexec_b64 s[6:7], s[6:7]
	v_mov_b32_e32 v2, s10
	s_xor_b64 exec, exec, s[6:7]
	s_cbranch_execnz .LBB4_2420
.LBB4_370:
	s_or_b64 exec, exec, s[6:7]
	s_and_saveexec_b64 s[6:7], s[4:5]
	s_cbranch_execz .LBB4_372
.LBB4_371:
	v_bfe_u32 v2, v9, 16, 3
	v_ffbh_u32_e32 v6, v2
	v_min_u32_e32 v6, 32, v6
	v_lshrrev_b32_e32 v3, 19, v9
	v_subrev_u32_e32 v7, 28, v6
	v_and_b32_e32 v3, 15, v3
	v_lshlrev_b32_sdwa v7, v7, v9 dst_sel:DWORD dst_unused:UNUSED_PAD src0_sel:DWORD src1_sel:WORD_1
	v_bfe_u32 v4, v9, 19, 4
	v_sub_u32_e32 v6, 29, v6
	v_and_b32_e32 v7, 7, v7
	v_cmp_eq_u16_e32 vcc, 0, v3
	v_cndmask_b32_e32 v2, v2, v7, vcc
	v_cndmask_b32_e32 v3, v4, v6, vcc
	v_lshlrev_b32_e32 v4, 8, v9
	v_mov_b32_e32 v6, 0x3b800000
	v_lshlrev_b32_e32 v2, 20, v2
	v_and_b32_e32 v4, 0x80000000, v4
	v_lshl_add_u32 v3, v3, 23, v6
	v_or3_b32 v2, v4, v3, v2
.LBB4_372:
	s_or_b64 exec, exec, s[6:7]
	s_movk_i32 s4, 0xff
	v_and_b32_sdwa v3, v5, s4 dst_sel:DWORD dst_unused:UNUSED_PAD src0_sel:WORD_1 src1_sel:DWORD
	s_movk_i32 s4, 0x7f
	v_cmp_lt_i16_e32 vcc, s4, v3
	s_mov_b64 s[4:5], 0
                                        ; implicit-def: $sgpr10
	s_and_saveexec_b64 s[6:7], vcc
	s_xor_b64 s[6:7], exec, s[6:7]
	s_cbranch_execnz .LBB4_2421
; %bb.373:
	s_or_saveexec_b64 s[6:7], s[6:7]
	v_mov_b32_e32 v4, s10
	s_xor_b64 exec, exec, s[6:7]
	s_cbranch_execnz .LBB4_2424
.LBB4_374:
	s_or_b64 exec, exec, s[6:7]
	s_and_saveexec_b64 s[6:7], s[4:5]
	s_cbranch_execz .LBB4_376
.LBB4_375:
	v_bfe_u32 v3, v5, 16, 3
	v_ffbh_u32_e32 v7, v3
	v_min_u32_e32 v7, 32, v7
	v_lshrrev_b32_e32 v4, 19, v5
	v_subrev_u32_e32 v8, 28, v7
	v_and_b32_e32 v4, 15, v4
	v_lshlrev_b32_sdwa v8, v8, v5 dst_sel:DWORD dst_unused:UNUSED_PAD src0_sel:DWORD src1_sel:WORD_1
	v_bfe_u32 v6, v5, 19, 4
	v_sub_u32_e32 v7, 29, v7
	v_and_b32_e32 v8, 7, v8
	v_cmp_eq_u16_e32 vcc, 0, v4
	v_cndmask_b32_e32 v3, v3, v8, vcc
	v_cndmask_b32_e32 v4, v6, v7, vcc
	v_lshlrev_b32_e32 v6, 8, v5
	v_mov_b32_e32 v7, 0x3b800000
	v_lshlrev_b32_e32 v3, 20, v3
	v_and_b32_e32 v6, 0x80000000, v6
	v_lshl_add_u32 v4, v4, 23, v7
	v_or3_b32 v4, v6, v4, v3
.LBB4_376:
	s_or_b64 exec, exec, s[6:7]
	s_nop 0
	v_mfma_f32_16x16x4f32 a[0:3], v2, v4, a[0:3]
	s_movk_i32 s4, 0x7f
	v_cmp_gt_i16_sdwa s[6:7], v9, s4 src0_sel:BYTE_3 src1_sel:DWORD
	s_mov_b64 s[4:5], 0
                                        ; implicit-def: $sgpr10
	s_and_saveexec_b64 s[8:9], s[6:7]
	s_xor_b64 s[6:7], exec, s[8:9]
	s_cbranch_execnz .LBB4_2425
; %bb.377:
	s_or_saveexec_b64 s[6:7], s[6:7]
	v_mov_b32_e32 v2, s10
	s_xor_b64 exec, exec, s[6:7]
	s_cbranch_execnz .LBB4_2428
.LBB4_378:
	s_or_b64 exec, exec, s[6:7]
	s_and_saveexec_b64 s[6:7], s[4:5]
	s_cbranch_execz .LBB4_380
.LBB4_379:
	v_bfe_u32 v2, v9, 24, 3
	v_ffbh_u32_e32 v7, v2
	v_min_u32_e32 v7, 32, v7
	v_lshrrev_b32_e32 v4, 27, v9
	v_subrev_u32_e32 v8, 28, v7
	v_and_b32_e32 v4, 15, v4
	v_lshlrev_b32_sdwa v8, v8, v9 dst_sel:DWORD dst_unused:UNUSED_PAD src0_sel:DWORD src1_sel:BYTE_3
	v_bfe_u32 v6, v9, 27, 4
	v_sub_u32_e32 v7, 29, v7
	v_and_b32_e32 v8, 7, v8
	v_cmp_eq_u16_e32 vcc, 0, v4
	v_cndmask_b32_e32 v2, v2, v8, vcc
	v_cndmask_b32_e32 v4, v6, v7, vcc
	v_mov_b32_e32 v6, 0x3b800000
	v_and_b32_e32 v3, 0x80000000, v9
	v_lshlrev_b32_e32 v2, 20, v2
	v_lshl_add_u32 v4, v4, 23, v6
	v_or3_b32 v2, v3, v4, v2
.LBB4_380:
	s_or_b64 exec, exec, s[6:7]
	s_movk_i32 s4, 0x7f
	v_cmp_gt_i16_sdwa s[6:7], v5, s4 src0_sel:BYTE_3 src1_sel:DWORD
	s_mov_b64 s[4:5], 0
                                        ; implicit-def: $sgpr10
	s_and_saveexec_b64 s[8:9], s[6:7]
	s_xor_b64 s[6:7], exec, s[8:9]
	s_cbranch_execnz .LBB4_2429
; %bb.381:
	s_or_saveexec_b64 s[6:7], s[6:7]
	v_mov_b32_e32 v3, s10
	s_xor_b64 exec, exec, s[6:7]
	s_cbranch_execnz .LBB4_2432
.LBB4_382:
	s_or_b64 exec, exec, s[6:7]
	s_and_saveexec_b64 s[6:7], s[4:5]
	s_cbranch_execz .LBB4_384
.LBB4_383:
	v_bfe_u32 v3, v5, 24, 3
	v_ffbh_u32_e32 v8, v3
	v_min_u32_e32 v8, 32, v8
	v_lshrrev_b32_e32 v6, 27, v5
	v_subrev_u32_e32 v9, 28, v8
	v_and_b32_e32 v4, 0x80000000, v5
	v_and_b32_e32 v6, 15, v6
	v_bfe_u32 v7, v5, 27, 4
	v_lshlrev_b32_sdwa v5, v9, v5 dst_sel:DWORD dst_unused:UNUSED_PAD src0_sel:DWORD src1_sel:BYTE_3
	v_sub_u32_e32 v8, 29, v8
	v_and_b32_e32 v5, 7, v5
	v_cmp_eq_u16_e32 vcc, 0, v6
	v_cndmask_b32_e32 v3, v3, v5, vcc
	v_cndmask_b32_e32 v5, v7, v8, vcc
	v_mov_b32_e32 v6, 0x3b800000
	v_lshlrev_b32_e32 v3, 20, v3
	v_lshl_add_u32 v5, v5, 23, v6
	v_or3_b32 v3, v4, v5, v3
.LBB4_384:
	s_or_b64 exec, exec, s[6:7]
	s_nop 0
	v_mfma_f32_16x16x4f32 a[0:3], v2, v3, a[0:3]
	s_movk_i32 s4, 0x7f
                                        ; implicit-def: $sgpr10
	s_nop 7
	s_nop 1
	flat_store_dwordx4 v[10:11], a[0:3] offset:32
	flat_load_dwordx4 v[12:15], v[0:1] offset:8
	s_nop 0
	flat_load_dwordx2 v[10:11], v[0:1] offset:32
	s_waitcnt vmcnt(0) lgkmcnt(0)
	flat_load_dwordx4 v[6:9], v[12:13] offset:16
	flat_load_dwordx4 v[2:5], v[14:15] offset:112
	s_waitcnt vmcnt(0) lgkmcnt(0)
	v_cmp_gt_i16_sdwa s[6:7], v6, s4 src0_sel:BYTE_0 src1_sel:DWORD
	s_mov_b64 s[4:5], 0
	s_and_saveexec_b64 s[8:9], s[6:7]
	s_xor_b64 s[6:7], exec, s[8:9]
	s_cbranch_execnz .LBB4_2433
; %bb.385:
	s_or_saveexec_b64 s[6:7], s[6:7]
	v_mov_b32_e32 v12, s10
	s_xor_b64 exec, exec, s[6:7]
	s_cbranch_execnz .LBB4_2436
.LBB4_386:
	s_or_b64 exec, exec, s[6:7]
	s_and_saveexec_b64 s[6:7], s[4:5]
	s_cbranch_execz .LBB4_388
.LBB4_387:
	v_and_b32_e32 v12, 7, v6
	v_ffbh_u32_e32 v14, v12
	v_min_u32_e32 v14, 32, v14
	v_lshrrev_b16_e32 v13, 3, v6
	v_subrev_u32_e32 v15, 28, v14
	v_and_b32_e32 v13, 15, v13
	v_lshlrev_b32_e32 v15, v15, v6
	v_sub_u32_e32 v14, 29, v14
	v_and_b32_e32 v15, 7, v15
	v_cmp_eq_u16_e32 vcc, 0, v13
	v_cndmask_b32_e32 v12, v12, v15, vcc
	v_cndmask_b32_e32 v13, v13, v14, vcc
	v_lshlrev_b32_e32 v14, 24, v6
	v_mov_b32_e32 v15, 0x3b800000
	v_lshlrev_b32_e32 v12, 20, v12
	v_and_b32_e32 v14, 0x80000000, v14
	v_lshl_add_u32 v13, v13, 23, v15
	v_or3_b32 v12, v14, v13, v12
.LBB4_388:
	s_or_b64 exec, exec, s[6:7]
	s_movk_i32 s4, 0x7f
	v_cmp_gt_i16_sdwa s[6:7], v2, s4 src0_sel:BYTE_0 src1_sel:DWORD
	s_mov_b64 s[4:5], 0
                                        ; implicit-def: $sgpr10
	s_and_saveexec_b64 s[8:9], s[6:7]
	s_xor_b64 s[6:7], exec, s[8:9]
	s_cbranch_execnz .LBB4_2437
; %bb.389:
	s_or_saveexec_b64 s[6:7], s[6:7]
	v_mov_b32_e32 v13, s10
	s_xor_b64 exec, exec, s[6:7]
	s_cbranch_execnz .LBB4_2440
.LBB4_390:
	s_or_b64 exec, exec, s[6:7]
	s_and_saveexec_b64 s[6:7], s[4:5]
	s_cbranch_execz .LBB4_392
.LBB4_391:
	v_and_b32_e32 v13, 7, v2
	v_ffbh_u32_e32 v15, v13
	v_min_u32_e32 v15, 32, v15
	v_lshrrev_b16_e32 v14, 3, v2
	v_subrev_u32_e32 v16, 28, v15
	v_and_b32_e32 v14, 15, v14
	v_lshlrev_b32_e32 v16, v16, v2
	v_sub_u32_e32 v15, 29, v15
	v_and_b32_e32 v16, 7, v16
	v_cmp_eq_u16_e32 vcc, 0, v14
	v_cndmask_b32_e32 v13, v13, v16, vcc
	v_cndmask_b32_e32 v14, v14, v15, vcc
	v_lshlrev_b32_e32 v15, 24, v2
	v_mov_b32_e32 v16, 0x3b800000
	v_lshlrev_b32_e32 v13, 20, v13
	v_and_b32_e32 v15, 0x80000000, v15
	v_lshl_add_u32 v14, v14, 23, v16
	v_or3_b32 v13, v15, v14, v13
.LBB4_392:
	s_or_b64 exec, exec, s[6:7]
	flat_load_dwordx4 a[0:3], v[10:11] offset:48
	s_movk_i32 s4, 0x7f
                                        ; implicit-def: $sgpr10
	s_waitcnt vmcnt(0) lgkmcnt(0)
	v_mfma_f32_16x16x4f32 a[0:3], v12, v13, a[0:3]
	v_lshrrev_b32_e32 v13, 8, v6
	v_cmp_gt_i16_sdwa s[6:7], v13, s4 src0_sel:BYTE_0 src1_sel:DWORD
	s_mov_b64 s[4:5], 0
	s_and_saveexec_b64 s[8:9], s[6:7]
	s_xor_b64 s[6:7], exec, s[8:9]
	s_cbranch_execnz .LBB4_2441
; %bb.393:
	s_or_saveexec_b64 s[6:7], s[6:7]
	v_mov_b32_e32 v12, s10
	s_xor_b64 exec, exec, s[6:7]
	s_cbranch_execnz .LBB4_2444
.LBB4_394:
	s_or_b64 exec, exec, s[6:7]
	s_and_saveexec_b64 s[6:7], s[4:5]
	s_cbranch_execz .LBB4_396
.LBB4_395:
	v_bfe_u32 v12, v6, 8, 3
	v_ffbh_u32_e32 v15, v12
	v_min_u32_e32 v15, 32, v15
	v_lshrrev_b16_e32 v14, 3, v13
	v_subrev_u32_e32 v16, 28, v15
	v_and_b32_e32 v14, 15, v14
	v_lshlrev_b32_e32 v13, v16, v13
	v_sub_u32_e32 v15, 29, v15
	v_and_b32_e32 v13, 7, v13
	v_cmp_eq_u16_e32 vcc, 0, v14
	v_cndmask_b32_e32 v12, v12, v13, vcc
	v_cndmask_b32_e32 v13, v14, v15, vcc
	v_lshlrev_b32_e32 v14, 16, v6
	v_mov_b32_e32 v15, 0x3b800000
	v_lshlrev_b32_e32 v12, 20, v12
	v_and_b32_e32 v14, 0x80000000, v14
	v_lshl_add_u32 v13, v13, 23, v15
	v_or3_b32 v12, v14, v13, v12
.LBB4_396:
	s_or_b64 exec, exec, s[6:7]
	v_lshrrev_b32_e32 v13, 8, v2
	s_movk_i32 s4, 0x7f
	v_cmp_gt_i16_sdwa s[6:7], v13, s4 src0_sel:BYTE_0 src1_sel:DWORD
	s_mov_b64 s[4:5], 0
                                        ; implicit-def: $sgpr10
	s_and_saveexec_b64 s[8:9], s[6:7]
	s_xor_b64 s[6:7], exec, s[8:9]
	s_cbranch_execnz .LBB4_2445
; %bb.397:
	s_or_saveexec_b64 s[6:7], s[6:7]
	v_mov_b32_e32 v14, s10
	s_xor_b64 exec, exec, s[6:7]
	s_cbranch_execnz .LBB4_2448
.LBB4_398:
	s_or_b64 exec, exec, s[6:7]
	s_and_saveexec_b64 s[6:7], s[4:5]
	s_cbranch_execz .LBB4_400
.LBB4_399:
	v_bfe_u32 v14, v2, 8, 3
	v_ffbh_u32_e32 v16, v14
	v_min_u32_e32 v16, 32, v16
	v_lshrrev_b16_e32 v15, 3, v13
	v_subrev_u32_e32 v17, 28, v16
	v_and_b32_e32 v15, 15, v15
	v_lshlrev_b32_e32 v13, v17, v13
	v_sub_u32_e32 v16, 29, v16
	v_and_b32_e32 v13, 7, v13
	v_cmp_eq_u16_e32 vcc, 0, v15
	v_cndmask_b32_e32 v13, v14, v13, vcc
	v_cndmask_b32_e32 v14, v15, v16, vcc
	v_lshlrev_b32_e32 v15, 16, v2
	v_mov_b32_e32 v16, 0x3b800000
	v_lshlrev_b32_e32 v13, 20, v13
	v_and_b32_e32 v15, 0x80000000, v15
	v_lshl_add_u32 v14, v14, 23, v16
	v_or3_b32 v14, v15, v14, v13
.LBB4_400:
	s_or_b64 exec, exec, s[6:7]
	s_nop 0
	v_mfma_f32_16x16x4f32 a[0:3], v12, v14, a[0:3]
	s_movk_i32 s4, 0xff
	v_and_b32_sdwa v13, v6, s4 dst_sel:DWORD dst_unused:UNUSED_PAD src0_sel:WORD_1 src1_sel:DWORD
	s_movk_i32 s4, 0x7f
	v_cmp_lt_i16_e32 vcc, s4, v13
	s_mov_b64 s[4:5], 0
                                        ; implicit-def: $sgpr10
	s_and_saveexec_b64 s[6:7], vcc
	s_xor_b64 s[6:7], exec, s[6:7]
	s_cbranch_execnz .LBB4_2449
; %bb.401:
	s_or_saveexec_b64 s[6:7], s[6:7]
	v_mov_b32_e32 v12, s10
	s_xor_b64 exec, exec, s[6:7]
	s_cbranch_execnz .LBB4_2452
.LBB4_402:
	s_or_b64 exec, exec, s[6:7]
	s_and_saveexec_b64 s[6:7], s[4:5]
	s_cbranch_execz .LBB4_404
.LBB4_403:
	v_bfe_u32 v12, v6, 16, 3
	v_ffbh_u32_e32 v15, v12
	v_min_u32_e32 v15, 32, v15
	v_lshrrev_b32_e32 v13, 19, v6
	v_subrev_u32_e32 v16, 28, v15
	v_and_b32_e32 v13, 15, v13
	v_lshlrev_b32_sdwa v16, v16, v6 dst_sel:DWORD dst_unused:UNUSED_PAD src0_sel:DWORD src1_sel:WORD_1
	v_bfe_u32 v14, v6, 19, 4
	v_sub_u32_e32 v15, 29, v15
	v_and_b32_e32 v16, 7, v16
	v_cmp_eq_u16_e32 vcc, 0, v13
	v_cndmask_b32_e32 v12, v12, v16, vcc
	v_cndmask_b32_e32 v13, v14, v15, vcc
	v_lshlrev_b32_e32 v14, 8, v6
	v_mov_b32_e32 v15, 0x3b800000
	v_lshlrev_b32_e32 v12, 20, v12
	v_and_b32_e32 v14, 0x80000000, v14
	v_lshl_add_u32 v13, v13, 23, v15
	v_or3_b32 v12, v14, v13, v12
.LBB4_404:
	s_or_b64 exec, exec, s[6:7]
	s_movk_i32 s4, 0xff
	v_and_b32_sdwa v13, v2, s4 dst_sel:DWORD dst_unused:UNUSED_PAD src0_sel:WORD_1 src1_sel:DWORD
	s_movk_i32 s4, 0x7f
	v_cmp_lt_i16_e32 vcc, s4, v13
	s_mov_b64 s[4:5], 0
                                        ; implicit-def: $sgpr10
	s_and_saveexec_b64 s[6:7], vcc
	s_xor_b64 s[6:7], exec, s[6:7]
	s_cbranch_execnz .LBB4_2453
; %bb.405:
	s_or_saveexec_b64 s[6:7], s[6:7]
	v_mov_b32_e32 v14, s10
	s_xor_b64 exec, exec, s[6:7]
	s_cbranch_execnz .LBB4_2456
.LBB4_406:
	s_or_b64 exec, exec, s[6:7]
	s_and_saveexec_b64 s[6:7], s[4:5]
	s_cbranch_execz .LBB4_408
.LBB4_407:
	v_bfe_u32 v13, v2, 16, 3
	v_ffbh_u32_e32 v16, v13
	v_min_u32_e32 v16, 32, v16
	v_lshrrev_b32_e32 v14, 19, v2
	v_subrev_u32_e32 v17, 28, v16
	v_and_b32_e32 v14, 15, v14
	v_lshlrev_b32_sdwa v17, v17, v2 dst_sel:DWORD dst_unused:UNUSED_PAD src0_sel:DWORD src1_sel:WORD_1
	v_bfe_u32 v15, v2, 19, 4
	v_sub_u32_e32 v16, 29, v16
	v_and_b32_e32 v17, 7, v17
	v_cmp_eq_u16_e32 vcc, 0, v14
	v_cndmask_b32_e32 v13, v13, v17, vcc
	v_cndmask_b32_e32 v14, v15, v16, vcc
	v_lshlrev_b32_e32 v15, 8, v2
	v_mov_b32_e32 v16, 0x3b800000
	v_lshlrev_b32_e32 v13, 20, v13
	v_and_b32_e32 v15, 0x80000000, v15
	v_lshl_add_u32 v14, v14, 23, v16
	v_or3_b32 v14, v15, v14, v13
.LBB4_408:
	s_or_b64 exec, exec, s[6:7]
	s_nop 0
	v_mfma_f32_16x16x4f32 a[0:3], v12, v14, a[0:3]
	s_movk_i32 s4, 0x7f
	v_cmp_gt_i16_sdwa s[6:7], v6, s4 src0_sel:BYTE_3 src1_sel:DWORD
	s_mov_b64 s[4:5], 0
                                        ; implicit-def: $sgpr10
	s_and_saveexec_b64 s[8:9], s[6:7]
	s_xor_b64 s[6:7], exec, s[8:9]
	s_cbranch_execnz .LBB4_2457
; %bb.409:
	s_or_saveexec_b64 s[6:7], s[6:7]
	v_mov_b32_e32 v12, s10
	s_xor_b64 exec, exec, s[6:7]
	s_cbranch_execnz .LBB4_2460
.LBB4_410:
	s_or_b64 exec, exec, s[6:7]
	s_and_saveexec_b64 s[6:7], s[4:5]
	s_cbranch_execz .LBB4_412
.LBB4_411:
	v_bfe_u32 v12, v6, 24, 3
	v_ffbh_u32_e32 v16, v12
	v_min_u32_e32 v16, 32, v16
	v_lshrrev_b32_e32 v14, 27, v6
	v_subrev_u32_e32 v17, 28, v16
	v_and_b32_e32 v13, 0x80000000, v6
	v_and_b32_e32 v14, 15, v14
	v_bfe_u32 v15, v6, 27, 4
	v_lshlrev_b32_sdwa v6, v17, v6 dst_sel:DWORD dst_unused:UNUSED_PAD src0_sel:DWORD src1_sel:BYTE_3
	v_sub_u32_e32 v16, 29, v16
	v_and_b32_e32 v6, 7, v6
	v_cmp_eq_u16_e32 vcc, 0, v14
	v_cndmask_b32_e32 v6, v12, v6, vcc
	v_cndmask_b32_e32 v12, v15, v16, vcc
	v_mov_b32_e32 v14, 0x3b800000
	v_lshlrev_b32_e32 v6, 20, v6
	v_lshl_add_u32 v12, v12, 23, v14
	v_or3_b32 v12, v13, v12, v6
.LBB4_412:
	s_or_b64 exec, exec, s[6:7]
	s_movk_i32 s4, 0x7f
	v_cmp_gt_i16_sdwa s[6:7], v2, s4 src0_sel:BYTE_3 src1_sel:DWORD
	s_mov_b64 s[4:5], 0
                                        ; implicit-def: $sgpr10
	s_and_saveexec_b64 s[8:9], s[6:7]
	s_xor_b64 s[6:7], exec, s[8:9]
	s_cbranch_execnz .LBB4_2461
; %bb.413:
	s_or_saveexec_b64 s[6:7], s[6:7]
	v_mov_b32_e32 v6, s10
	s_xor_b64 exec, exec, s[6:7]
	s_cbranch_execnz .LBB4_2464
.LBB4_414:
	s_or_b64 exec, exec, s[6:7]
	s_and_saveexec_b64 s[6:7], s[4:5]
	s_cbranch_execz .LBB4_416
.LBB4_415:
	v_bfe_u32 v6, v2, 24, 3
	v_ffbh_u32_e32 v16, v6
	v_min_u32_e32 v16, 32, v16
	v_lshrrev_b32_e32 v14, 27, v2
	v_subrev_u32_e32 v17, 28, v16
	v_and_b32_e32 v13, 0x80000000, v2
	v_and_b32_e32 v14, 15, v14
	v_bfe_u32 v15, v2, 27, 4
	v_lshlrev_b32_sdwa v2, v17, v2 dst_sel:DWORD dst_unused:UNUSED_PAD src0_sel:DWORD src1_sel:BYTE_3
	v_sub_u32_e32 v16, 29, v16
	v_and_b32_e32 v2, 7, v2
	v_cmp_eq_u16_e32 vcc, 0, v14
	v_cndmask_b32_e32 v2, v6, v2, vcc
	v_cndmask_b32_e32 v6, v15, v16, vcc
	v_mov_b32_e32 v14, 0x3b800000
	v_lshlrev_b32_e32 v2, 20, v2
	v_lshl_add_u32 v6, v6, 23, v14
	v_or3_b32 v6, v13, v6, v2
.LBB4_416:
	s_or_b64 exec, exec, s[6:7]
	s_nop 0
	v_mfma_f32_16x16x4f32 a[0:3], v12, v6, a[0:3]
	s_movk_i32 s4, 0x7f
	v_cmp_gt_i16_sdwa s[6:7], v7, s4 src0_sel:BYTE_0 src1_sel:DWORD
	s_mov_b64 s[4:5], 0
                                        ; implicit-def: $sgpr10
	s_and_saveexec_b64 s[8:9], s[6:7]
	s_xor_b64 s[6:7], exec, s[8:9]
	s_cbranch_execnz .LBB4_2465
; %bb.417:
	s_or_saveexec_b64 s[6:7], s[6:7]
	v_mov_b32_e32 v2, s10
	s_xor_b64 exec, exec, s[6:7]
	s_cbranch_execnz .LBB4_2468
.LBB4_418:
	s_or_b64 exec, exec, s[6:7]
	s_and_saveexec_b64 s[6:7], s[4:5]
	s_cbranch_execz .LBB4_420
.LBB4_419:
	v_and_b32_e32 v2, 7, v7
	v_ffbh_u32_e32 v12, v2
	v_min_u32_e32 v12, 32, v12
	v_lshrrev_b16_e32 v6, 3, v7
	v_subrev_u32_e32 v13, 28, v12
	v_and_b32_e32 v6, 15, v6
	v_lshlrev_b32_e32 v13, v13, v7
	v_sub_u32_e32 v12, 29, v12
	v_and_b32_e32 v13, 7, v13
	v_cmp_eq_u16_e32 vcc, 0, v6
	v_cndmask_b32_e32 v2, v2, v13, vcc
	v_cndmask_b32_e32 v6, v6, v12, vcc
	v_lshlrev_b32_e32 v12, 24, v7
	v_mov_b32_e32 v13, 0x3b800000
	v_lshlrev_b32_e32 v2, 20, v2
	v_and_b32_e32 v12, 0x80000000, v12
	v_lshl_add_u32 v6, v6, 23, v13
	v_or3_b32 v2, v12, v6, v2
.LBB4_420:
	s_or_b64 exec, exec, s[6:7]
	s_movk_i32 s4, 0x7f
	v_cmp_gt_i16_sdwa s[6:7], v3, s4 src0_sel:BYTE_0 src1_sel:DWORD
	s_mov_b64 s[4:5], 0
                                        ; implicit-def: $sgpr10
	s_and_saveexec_b64 s[8:9], s[6:7]
	s_xor_b64 s[6:7], exec, s[8:9]
	s_cbranch_execnz .LBB4_2469
; %bb.421:
	s_or_saveexec_b64 s[6:7], s[6:7]
	v_mov_b32_e32 v6, s10
	s_xor_b64 exec, exec, s[6:7]
	s_cbranch_execnz .LBB4_2472
.LBB4_422:
	s_or_b64 exec, exec, s[6:7]
	s_and_saveexec_b64 s[6:7], s[4:5]
	s_cbranch_execz .LBB4_424
.LBB4_423:
	v_and_b32_e32 v6, 7, v3
	v_ffbh_u32_e32 v13, v6
	v_min_u32_e32 v13, 32, v13
	v_lshrrev_b16_e32 v12, 3, v3
	v_subrev_u32_e32 v14, 28, v13
	v_and_b32_e32 v12, 15, v12
	v_lshlrev_b32_e32 v14, v14, v3
	v_sub_u32_e32 v13, 29, v13
	v_and_b32_e32 v14, 7, v14
	v_cmp_eq_u16_e32 vcc, 0, v12
	v_cndmask_b32_e32 v6, v6, v14, vcc
	v_cndmask_b32_e32 v12, v12, v13, vcc
	v_lshlrev_b32_e32 v13, 24, v3
	v_mov_b32_e32 v14, 0x3b800000
	v_lshlrev_b32_e32 v6, 20, v6
	v_and_b32_e32 v13, 0x80000000, v13
	v_lshl_add_u32 v12, v12, 23, v14
	v_or3_b32 v6, v13, v12, v6
.LBB4_424:
	s_or_b64 exec, exec, s[6:7]
	s_nop 0
	v_mfma_f32_16x16x4f32 a[0:3], v2, v6, a[0:3]
	v_lshrrev_b32_e32 v6, 8, v7
	s_movk_i32 s4, 0x7f
	v_cmp_gt_i16_sdwa s[6:7], v6, s4 src0_sel:BYTE_0 src1_sel:DWORD
	s_mov_b64 s[4:5], 0
                                        ; implicit-def: $sgpr10
	s_and_saveexec_b64 s[8:9], s[6:7]
	s_xor_b64 s[6:7], exec, s[8:9]
	s_cbranch_execnz .LBB4_2473
; %bb.425:
	s_or_saveexec_b64 s[6:7], s[6:7]
	v_mov_b32_e32 v2, s10
	s_xor_b64 exec, exec, s[6:7]
	s_cbranch_execnz .LBB4_2476
.LBB4_426:
	s_or_b64 exec, exec, s[6:7]
	s_and_saveexec_b64 s[6:7], s[4:5]
	s_cbranch_execz .LBB4_428
.LBB4_427:
	v_bfe_u32 v2, v7, 8, 3
	v_ffbh_u32_e32 v13, v2
	v_min_u32_e32 v13, 32, v13
	v_lshrrev_b16_e32 v12, 3, v6
	v_subrev_u32_e32 v14, 28, v13
	v_and_b32_e32 v12, 15, v12
	v_lshlrev_b32_e32 v6, v14, v6
	v_sub_u32_e32 v13, 29, v13
	v_and_b32_e32 v6, 7, v6
	v_cmp_eq_u16_e32 vcc, 0, v12
	v_cndmask_b32_e32 v2, v2, v6, vcc
	v_cndmask_b32_e32 v6, v12, v13, vcc
	v_lshlrev_b32_e32 v12, 16, v7
	v_mov_b32_e32 v13, 0x3b800000
	v_lshlrev_b32_e32 v2, 20, v2
	v_and_b32_e32 v12, 0x80000000, v12
	v_lshl_add_u32 v6, v6, 23, v13
	v_or3_b32 v2, v12, v6, v2
.LBB4_428:
	s_or_b64 exec, exec, s[6:7]
	v_lshrrev_b32_e32 v6, 8, v3
	s_movk_i32 s4, 0x7f
	v_cmp_gt_i16_sdwa s[6:7], v6, s4 src0_sel:BYTE_0 src1_sel:DWORD
	s_mov_b64 s[4:5], 0
                                        ; implicit-def: $sgpr10
	s_and_saveexec_b64 s[8:9], s[6:7]
	s_xor_b64 s[6:7], exec, s[8:9]
	s_cbranch_execnz .LBB4_2477
; %bb.429:
	s_or_saveexec_b64 s[6:7], s[6:7]
	v_mov_b32_e32 v12, s10
	s_xor_b64 exec, exec, s[6:7]
	s_cbranch_execnz .LBB4_2480
.LBB4_430:
	s_or_b64 exec, exec, s[6:7]
	s_and_saveexec_b64 s[6:7], s[4:5]
	s_cbranch_execz .LBB4_432
.LBB4_431:
	v_bfe_u32 v12, v3, 8, 3
	v_ffbh_u32_e32 v14, v12
	v_min_u32_e32 v14, 32, v14
	v_lshrrev_b16_e32 v13, 3, v6
	v_subrev_u32_e32 v15, 28, v14
	v_and_b32_e32 v13, 15, v13
	v_lshlrev_b32_e32 v6, v15, v6
	v_sub_u32_e32 v14, 29, v14
	v_and_b32_e32 v6, 7, v6
	v_cmp_eq_u16_e32 vcc, 0, v13
	v_cndmask_b32_e32 v6, v12, v6, vcc
	v_cndmask_b32_e32 v12, v13, v14, vcc
	v_lshlrev_b32_e32 v13, 16, v3
	v_mov_b32_e32 v14, 0x3b800000
	v_lshlrev_b32_e32 v6, 20, v6
	v_and_b32_e32 v13, 0x80000000, v13
	v_lshl_add_u32 v12, v12, 23, v14
	v_or3_b32 v12, v13, v12, v6
.LBB4_432:
	s_or_b64 exec, exec, s[6:7]
	s_nop 0
	v_mfma_f32_16x16x4f32 a[0:3], v2, v12, a[0:3]
	s_movk_i32 s4, 0xff
	v_and_b32_sdwa v6, v7, s4 dst_sel:DWORD dst_unused:UNUSED_PAD src0_sel:WORD_1 src1_sel:DWORD
	s_movk_i32 s4, 0x7f
	v_cmp_lt_i16_e32 vcc, s4, v6
	s_mov_b64 s[4:5], 0
                                        ; implicit-def: $sgpr10
	s_and_saveexec_b64 s[6:7], vcc
	s_xor_b64 s[6:7], exec, s[6:7]
	s_cbranch_execnz .LBB4_2481
; %bb.433:
	s_or_saveexec_b64 s[6:7], s[6:7]
	v_mov_b32_e32 v2, s10
	s_xor_b64 exec, exec, s[6:7]
	s_cbranch_execnz .LBB4_2484
.LBB4_434:
	s_or_b64 exec, exec, s[6:7]
	s_and_saveexec_b64 s[6:7], s[4:5]
	s_cbranch_execz .LBB4_436
.LBB4_435:
	v_bfe_u32 v2, v7, 16, 3
	v_ffbh_u32_e32 v13, v2
	v_min_u32_e32 v13, 32, v13
	v_lshrrev_b32_e32 v6, 19, v7
	v_subrev_u32_e32 v14, 28, v13
	v_and_b32_e32 v6, 15, v6
	v_lshlrev_b32_sdwa v14, v14, v7 dst_sel:DWORD dst_unused:UNUSED_PAD src0_sel:DWORD src1_sel:WORD_1
	v_bfe_u32 v12, v7, 19, 4
	v_sub_u32_e32 v13, 29, v13
	v_and_b32_e32 v14, 7, v14
	v_cmp_eq_u16_e32 vcc, 0, v6
	v_cndmask_b32_e32 v2, v2, v14, vcc
	v_cndmask_b32_e32 v6, v12, v13, vcc
	v_lshlrev_b32_e32 v12, 8, v7
	v_mov_b32_e32 v13, 0x3b800000
	v_lshlrev_b32_e32 v2, 20, v2
	v_and_b32_e32 v12, 0x80000000, v12
	v_lshl_add_u32 v6, v6, 23, v13
	v_or3_b32 v2, v12, v6, v2
.LBB4_436:
	s_or_b64 exec, exec, s[6:7]
	s_movk_i32 s4, 0xff
	v_and_b32_sdwa v6, v3, s4 dst_sel:DWORD dst_unused:UNUSED_PAD src0_sel:WORD_1 src1_sel:DWORD
	s_movk_i32 s4, 0x7f
	v_cmp_lt_i16_e32 vcc, s4, v6
	s_mov_b64 s[4:5], 0
                                        ; implicit-def: $sgpr10
	s_and_saveexec_b64 s[6:7], vcc
	s_xor_b64 s[6:7], exec, s[6:7]
	s_cbranch_execnz .LBB4_2485
; %bb.437:
	s_or_saveexec_b64 s[6:7], s[6:7]
	v_mov_b32_e32 v12, s10
	s_xor_b64 exec, exec, s[6:7]
	s_cbranch_execnz .LBB4_2488
.LBB4_438:
	s_or_b64 exec, exec, s[6:7]
	s_and_saveexec_b64 s[6:7], s[4:5]
	s_cbranch_execz .LBB4_440
.LBB4_439:
	v_bfe_u32 v6, v3, 16, 3
	v_ffbh_u32_e32 v14, v6
	v_min_u32_e32 v14, 32, v14
	v_lshrrev_b32_e32 v12, 19, v3
	v_subrev_u32_e32 v15, 28, v14
	v_and_b32_e32 v12, 15, v12
	v_lshlrev_b32_sdwa v15, v15, v3 dst_sel:DWORD dst_unused:UNUSED_PAD src0_sel:DWORD src1_sel:WORD_1
	v_bfe_u32 v13, v3, 19, 4
	v_sub_u32_e32 v14, 29, v14
	v_and_b32_e32 v15, 7, v15
	v_cmp_eq_u16_e32 vcc, 0, v12
	v_cndmask_b32_e32 v6, v6, v15, vcc
	v_cndmask_b32_e32 v12, v13, v14, vcc
	v_lshlrev_b32_e32 v13, 8, v3
	v_mov_b32_e32 v14, 0x3b800000
	v_lshlrev_b32_e32 v6, 20, v6
	v_and_b32_e32 v13, 0x80000000, v13
	v_lshl_add_u32 v12, v12, 23, v14
	v_or3_b32 v12, v13, v12, v6
.LBB4_440:
	s_or_b64 exec, exec, s[6:7]
	s_nop 0
	v_mfma_f32_16x16x4f32 a[0:3], v2, v12, a[0:3]
	s_movk_i32 s4, 0x7f
	v_cmp_gt_i16_sdwa s[6:7], v7, s4 src0_sel:BYTE_3 src1_sel:DWORD
	s_mov_b64 s[4:5], 0
                                        ; implicit-def: $sgpr10
	s_and_saveexec_b64 s[8:9], s[6:7]
	s_xor_b64 s[6:7], exec, s[8:9]
	s_cbranch_execnz .LBB4_2489
; %bb.441:
	s_or_saveexec_b64 s[6:7], s[6:7]
	v_mov_b32_e32 v2, s10
	s_xor_b64 exec, exec, s[6:7]
	s_cbranch_execnz .LBB4_2492
.LBB4_442:
	s_or_b64 exec, exec, s[6:7]
	s_and_saveexec_b64 s[6:7], s[4:5]
	s_cbranch_execz .LBB4_444
.LBB4_443:
	v_bfe_u32 v2, v7, 24, 3
	v_ffbh_u32_e32 v14, v2
	v_min_u32_e32 v14, 32, v14
	v_lshrrev_b32_e32 v12, 27, v7
	v_subrev_u32_e32 v15, 28, v14
	v_and_b32_e32 v6, 0x80000000, v7
	v_and_b32_e32 v12, 15, v12
	v_bfe_u32 v13, v7, 27, 4
	v_lshlrev_b32_sdwa v7, v15, v7 dst_sel:DWORD dst_unused:UNUSED_PAD src0_sel:DWORD src1_sel:BYTE_3
	v_sub_u32_e32 v14, 29, v14
	v_and_b32_e32 v7, 7, v7
	v_cmp_eq_u16_e32 vcc, 0, v12
	v_cndmask_b32_e32 v2, v2, v7, vcc
	v_cndmask_b32_e32 v7, v13, v14, vcc
	v_mov_b32_e32 v12, 0x3b800000
	v_lshlrev_b32_e32 v2, 20, v2
	v_lshl_add_u32 v7, v7, 23, v12
	v_or3_b32 v2, v6, v7, v2
.LBB4_444:
	s_or_b64 exec, exec, s[6:7]
	s_movk_i32 s4, 0x7f
	v_cmp_gt_i16_sdwa s[6:7], v3, s4 src0_sel:BYTE_3 src1_sel:DWORD
	s_mov_b64 s[4:5], 0
                                        ; implicit-def: $sgpr10
	s_and_saveexec_b64 s[8:9], s[6:7]
	s_xor_b64 s[6:7], exec, s[8:9]
	s_cbranch_execnz .LBB4_2493
; %bb.445:
	s_or_saveexec_b64 s[6:7], s[6:7]
	v_mov_b32_e32 v6, s10
	s_xor_b64 exec, exec, s[6:7]
	s_cbranch_execnz .LBB4_2496
.LBB4_446:
	s_or_b64 exec, exec, s[6:7]
	s_and_saveexec_b64 s[6:7], s[4:5]
	s_cbranch_execz .LBB4_448
.LBB4_447:
	v_bfe_u32 v6, v3, 24, 3
	v_ffbh_u32_e32 v14, v6
	v_min_u32_e32 v14, 32, v14
	v_lshrrev_b32_e32 v12, 27, v3
	v_subrev_u32_e32 v15, 28, v14
	v_and_b32_e32 v7, 0x80000000, v3
	v_and_b32_e32 v12, 15, v12
	v_bfe_u32 v13, v3, 27, 4
	v_lshlrev_b32_sdwa v3, v15, v3 dst_sel:DWORD dst_unused:UNUSED_PAD src0_sel:DWORD src1_sel:BYTE_3
	v_sub_u32_e32 v14, 29, v14
	v_and_b32_e32 v3, 7, v3
	v_cmp_eq_u16_e32 vcc, 0, v12
	v_cndmask_b32_e32 v3, v6, v3, vcc
	v_cndmask_b32_e32 v6, v13, v14, vcc
	v_mov_b32_e32 v12, 0x3b800000
	v_lshlrev_b32_e32 v3, 20, v3
	v_lshl_add_u32 v6, v6, 23, v12
	v_or3_b32 v6, v7, v6, v3
.LBB4_448:
	s_or_b64 exec, exec, s[6:7]
	s_nop 0
	v_mfma_f32_16x16x4f32 a[0:3], v2, v6, a[0:3]
	s_movk_i32 s4, 0x7f
	v_cmp_gt_i16_sdwa s[6:7], v8, s4 src0_sel:BYTE_0 src1_sel:DWORD
	s_mov_b64 s[4:5], 0
                                        ; implicit-def: $sgpr10
	s_and_saveexec_b64 s[8:9], s[6:7]
	s_xor_b64 s[6:7], exec, s[8:9]
	s_cbranch_execnz .LBB4_2497
; %bb.449:
	s_or_saveexec_b64 s[6:7], s[6:7]
	v_mov_b32_e32 v2, s10
	s_xor_b64 exec, exec, s[6:7]
	s_cbranch_execnz .LBB4_2500
.LBB4_450:
	s_or_b64 exec, exec, s[6:7]
	s_and_saveexec_b64 s[6:7], s[4:5]
	s_cbranch_execz .LBB4_452
.LBB4_451:
	v_and_b32_e32 v2, 7, v8
	v_ffbh_u32_e32 v6, v2
	v_min_u32_e32 v6, 32, v6
	v_lshrrev_b16_e32 v3, 3, v8
	v_subrev_u32_e32 v7, 28, v6
	v_and_b32_e32 v3, 15, v3
	v_lshlrev_b32_e32 v7, v7, v8
	v_sub_u32_e32 v6, 29, v6
	v_and_b32_e32 v7, 7, v7
	v_cmp_eq_u16_e32 vcc, 0, v3
	v_cndmask_b32_e32 v2, v2, v7, vcc
	v_cndmask_b32_e32 v3, v3, v6, vcc
	v_lshlrev_b32_e32 v6, 24, v8
	v_mov_b32_e32 v7, 0x3b800000
	v_lshlrev_b32_e32 v2, 20, v2
	v_and_b32_e32 v6, 0x80000000, v6
	v_lshl_add_u32 v3, v3, 23, v7
	v_or3_b32 v2, v6, v3, v2
.LBB4_452:
	s_or_b64 exec, exec, s[6:7]
	s_movk_i32 s4, 0x7f
	v_cmp_gt_i16_sdwa s[6:7], v4, s4 src0_sel:BYTE_0 src1_sel:DWORD
	s_mov_b64 s[4:5], 0
                                        ; implicit-def: $sgpr10
	s_and_saveexec_b64 s[8:9], s[6:7]
	s_xor_b64 s[6:7], exec, s[8:9]
	s_cbranch_execnz .LBB4_2501
; %bb.453:
	s_or_saveexec_b64 s[6:7], s[6:7]
	v_mov_b32_e32 v3, s10
	s_xor_b64 exec, exec, s[6:7]
	s_cbranch_execnz .LBB4_2504
.LBB4_454:
	s_or_b64 exec, exec, s[6:7]
	s_and_saveexec_b64 s[6:7], s[4:5]
	s_cbranch_execz .LBB4_456
.LBB4_455:
	v_and_b32_e32 v3, 7, v4
	v_ffbh_u32_e32 v7, v3
	v_min_u32_e32 v7, 32, v7
	v_lshrrev_b16_e32 v6, 3, v4
	v_subrev_u32_e32 v12, 28, v7
	v_and_b32_e32 v6, 15, v6
	v_lshlrev_b32_e32 v12, v12, v4
	v_sub_u32_e32 v7, 29, v7
	v_and_b32_e32 v12, 7, v12
	v_cmp_eq_u16_e32 vcc, 0, v6
	v_cndmask_b32_e32 v3, v3, v12, vcc
	v_cndmask_b32_e32 v6, v6, v7, vcc
	v_lshlrev_b32_e32 v7, 24, v4
	v_mov_b32_e32 v12, 0x3b800000
	v_lshlrev_b32_e32 v3, 20, v3
	v_and_b32_e32 v7, 0x80000000, v7
	v_lshl_add_u32 v6, v6, 23, v12
	v_or3_b32 v3, v7, v6, v3
.LBB4_456:
	s_or_b64 exec, exec, s[6:7]
	s_nop 0
	v_mfma_f32_16x16x4f32 a[0:3], v2, v3, a[0:3]
	v_lshrrev_b32_e32 v3, 8, v8
	s_movk_i32 s4, 0x7f
	v_cmp_gt_i16_sdwa s[6:7], v3, s4 src0_sel:BYTE_0 src1_sel:DWORD
	s_mov_b64 s[4:5], 0
                                        ; implicit-def: $sgpr10
	s_and_saveexec_b64 s[8:9], s[6:7]
	s_xor_b64 s[6:7], exec, s[8:9]
	s_cbranch_execnz .LBB4_2505
; %bb.457:
	s_or_saveexec_b64 s[6:7], s[6:7]
	v_mov_b32_e32 v2, s10
	s_xor_b64 exec, exec, s[6:7]
	s_cbranch_execnz .LBB4_2508
.LBB4_458:
	s_or_b64 exec, exec, s[6:7]
	s_and_saveexec_b64 s[6:7], s[4:5]
	s_cbranch_execz .LBB4_460
.LBB4_459:
	v_bfe_u32 v2, v8, 8, 3
	v_ffbh_u32_e32 v7, v2
	v_min_u32_e32 v7, 32, v7
	v_lshrrev_b16_e32 v6, 3, v3
	v_subrev_u32_e32 v12, 28, v7
	v_and_b32_e32 v6, 15, v6
	v_lshlrev_b32_e32 v3, v12, v3
	v_sub_u32_e32 v7, 29, v7
	v_and_b32_e32 v3, 7, v3
	v_cmp_eq_u16_e32 vcc, 0, v6
	v_cndmask_b32_e32 v2, v2, v3, vcc
	v_cndmask_b32_e32 v3, v6, v7, vcc
	v_lshlrev_b32_e32 v6, 16, v8
	v_mov_b32_e32 v7, 0x3b800000
	v_lshlrev_b32_e32 v2, 20, v2
	v_and_b32_e32 v6, 0x80000000, v6
	v_lshl_add_u32 v3, v3, 23, v7
	v_or3_b32 v2, v6, v3, v2
.LBB4_460:
	s_or_b64 exec, exec, s[6:7]
	v_lshrrev_b32_e32 v3, 8, v4
	s_movk_i32 s4, 0x7f
	v_cmp_gt_i16_sdwa s[6:7], v3, s4 src0_sel:BYTE_0 src1_sel:DWORD
	s_mov_b64 s[4:5], 0
                                        ; implicit-def: $sgpr10
	s_and_saveexec_b64 s[8:9], s[6:7]
	s_xor_b64 s[6:7], exec, s[8:9]
	s_cbranch_execnz .LBB4_2509
; %bb.461:
	s_or_saveexec_b64 s[6:7], s[6:7]
	v_mov_b32_e32 v6, s10
	s_xor_b64 exec, exec, s[6:7]
	s_cbranch_execnz .LBB4_2512
.LBB4_462:
	s_or_b64 exec, exec, s[6:7]
	s_and_saveexec_b64 s[6:7], s[4:5]
	s_cbranch_execz .LBB4_464
.LBB4_463:
	v_bfe_u32 v6, v4, 8, 3
	v_ffbh_u32_e32 v12, v6
	v_min_u32_e32 v12, 32, v12
	v_lshrrev_b16_e32 v7, 3, v3
	v_subrev_u32_e32 v13, 28, v12
	v_and_b32_e32 v7, 15, v7
	v_lshlrev_b32_e32 v3, v13, v3
	v_sub_u32_e32 v12, 29, v12
	v_and_b32_e32 v3, 7, v3
	v_cmp_eq_u16_e32 vcc, 0, v7
	v_cndmask_b32_e32 v3, v6, v3, vcc
	v_cndmask_b32_e32 v6, v7, v12, vcc
	v_lshlrev_b32_e32 v7, 16, v4
	v_mov_b32_e32 v12, 0x3b800000
	v_lshlrev_b32_e32 v3, 20, v3
	v_and_b32_e32 v7, 0x80000000, v7
	v_lshl_add_u32 v6, v6, 23, v12
	v_or3_b32 v6, v7, v6, v3
.LBB4_464:
	s_or_b64 exec, exec, s[6:7]
	s_nop 0
	v_mfma_f32_16x16x4f32 a[0:3], v2, v6, a[0:3]
	s_movk_i32 s4, 0xff
	v_and_b32_sdwa v3, v8, s4 dst_sel:DWORD dst_unused:UNUSED_PAD src0_sel:WORD_1 src1_sel:DWORD
	s_movk_i32 s4, 0x7f
	v_cmp_lt_i16_e32 vcc, s4, v3
	s_mov_b64 s[4:5], 0
                                        ; implicit-def: $sgpr10
	s_and_saveexec_b64 s[6:7], vcc
	s_xor_b64 s[6:7], exec, s[6:7]
	s_cbranch_execnz .LBB4_2513
; %bb.465:
	s_or_saveexec_b64 s[6:7], s[6:7]
	v_mov_b32_e32 v2, s10
	s_xor_b64 exec, exec, s[6:7]
	s_cbranch_execnz .LBB4_2516
.LBB4_466:
	s_or_b64 exec, exec, s[6:7]
	s_and_saveexec_b64 s[6:7], s[4:5]
	s_cbranch_execz .LBB4_468
.LBB4_467:
	v_bfe_u32 v2, v8, 16, 3
	v_ffbh_u32_e32 v7, v2
	v_min_u32_e32 v7, 32, v7
	v_lshrrev_b32_e32 v3, 19, v8
	v_subrev_u32_e32 v12, 28, v7
	v_and_b32_e32 v3, 15, v3
	v_lshlrev_b32_sdwa v12, v12, v8 dst_sel:DWORD dst_unused:UNUSED_PAD src0_sel:DWORD src1_sel:WORD_1
	v_bfe_u32 v6, v8, 19, 4
	v_sub_u32_e32 v7, 29, v7
	v_and_b32_e32 v12, 7, v12
	v_cmp_eq_u16_e32 vcc, 0, v3
	v_cndmask_b32_e32 v2, v2, v12, vcc
	v_cndmask_b32_e32 v3, v6, v7, vcc
	v_lshlrev_b32_e32 v6, 8, v8
	v_mov_b32_e32 v7, 0x3b800000
	v_lshlrev_b32_e32 v2, 20, v2
	v_and_b32_e32 v6, 0x80000000, v6
	v_lshl_add_u32 v3, v3, 23, v7
	v_or3_b32 v2, v6, v3, v2
.LBB4_468:
	s_or_b64 exec, exec, s[6:7]
	s_movk_i32 s4, 0xff
	v_and_b32_sdwa v3, v4, s4 dst_sel:DWORD dst_unused:UNUSED_PAD src0_sel:WORD_1 src1_sel:DWORD
	s_movk_i32 s4, 0x7f
	v_cmp_lt_i16_e32 vcc, s4, v3
	s_mov_b64 s[4:5], 0
                                        ; implicit-def: $sgpr10
	s_and_saveexec_b64 s[6:7], vcc
	s_xor_b64 s[6:7], exec, s[6:7]
	s_cbranch_execnz .LBB4_2517
; %bb.469:
	s_or_saveexec_b64 s[6:7], s[6:7]
	v_mov_b32_e32 v6, s10
	s_xor_b64 exec, exec, s[6:7]
	s_cbranch_execnz .LBB4_2520
.LBB4_470:
	s_or_b64 exec, exec, s[6:7]
	s_and_saveexec_b64 s[6:7], s[4:5]
	s_cbranch_execz .LBB4_472
.LBB4_471:
	v_bfe_u32 v3, v4, 16, 3
	v_ffbh_u32_e32 v12, v3
	v_min_u32_e32 v12, 32, v12
	v_lshrrev_b32_e32 v6, 19, v4
	v_subrev_u32_e32 v13, 28, v12
	v_and_b32_e32 v6, 15, v6
	v_lshlrev_b32_sdwa v13, v13, v4 dst_sel:DWORD dst_unused:UNUSED_PAD src0_sel:DWORD src1_sel:WORD_1
	v_bfe_u32 v7, v4, 19, 4
	v_sub_u32_e32 v12, 29, v12
	v_and_b32_e32 v13, 7, v13
	v_cmp_eq_u16_e32 vcc, 0, v6
	v_cndmask_b32_e32 v3, v3, v13, vcc
	v_cndmask_b32_e32 v6, v7, v12, vcc
	v_lshlrev_b32_e32 v7, 8, v4
	v_mov_b32_e32 v12, 0x3b800000
	v_lshlrev_b32_e32 v3, 20, v3
	v_and_b32_e32 v7, 0x80000000, v7
	v_lshl_add_u32 v6, v6, 23, v12
	v_or3_b32 v6, v7, v6, v3
.LBB4_472:
	s_or_b64 exec, exec, s[6:7]
	s_nop 0
	v_mfma_f32_16x16x4f32 a[0:3], v2, v6, a[0:3]
	s_movk_i32 s4, 0x7f
	v_cmp_gt_i16_sdwa s[6:7], v8, s4 src0_sel:BYTE_3 src1_sel:DWORD
	s_mov_b64 s[4:5], 0
                                        ; implicit-def: $sgpr10
	s_and_saveexec_b64 s[8:9], s[6:7]
	s_xor_b64 s[6:7], exec, s[8:9]
	s_cbranch_execnz .LBB4_2521
; %bb.473:
	s_or_saveexec_b64 s[6:7], s[6:7]
	v_mov_b32_e32 v2, s10
	s_xor_b64 exec, exec, s[6:7]
	s_cbranch_execnz .LBB4_2524
.LBB4_474:
	s_or_b64 exec, exec, s[6:7]
	s_and_saveexec_b64 s[6:7], s[4:5]
	s_cbranch_execz .LBB4_476
.LBB4_475:
	v_bfe_u32 v2, v8, 24, 3
	v_ffbh_u32_e32 v12, v2
	v_min_u32_e32 v12, 32, v12
	v_lshrrev_b32_e32 v6, 27, v8
	v_subrev_u32_e32 v13, 28, v12
	v_and_b32_e32 v3, 0x80000000, v8
	v_and_b32_e32 v6, 15, v6
	v_bfe_u32 v7, v8, 27, 4
	v_lshlrev_b32_sdwa v8, v13, v8 dst_sel:DWORD dst_unused:UNUSED_PAD src0_sel:DWORD src1_sel:BYTE_3
	v_sub_u32_e32 v12, 29, v12
	v_and_b32_e32 v8, 7, v8
	v_cmp_eq_u16_e32 vcc, 0, v6
	v_cndmask_b32_e32 v2, v2, v8, vcc
	v_cndmask_b32_e32 v6, v7, v12, vcc
	v_mov_b32_e32 v7, 0x3b800000
	v_lshlrev_b32_e32 v2, 20, v2
	v_lshl_add_u32 v6, v6, 23, v7
	v_or3_b32 v2, v3, v6, v2
.LBB4_476:
	s_or_b64 exec, exec, s[6:7]
	s_movk_i32 s4, 0x7f
	v_cmp_gt_i16_sdwa s[6:7], v4, s4 src0_sel:BYTE_3 src1_sel:DWORD
	s_mov_b64 s[4:5], 0
                                        ; implicit-def: $sgpr10
	s_and_saveexec_b64 s[8:9], s[6:7]
	s_xor_b64 s[6:7], exec, s[8:9]
	s_cbranch_execnz .LBB4_2525
; %bb.477:
	s_or_saveexec_b64 s[6:7], s[6:7]
	v_mov_b32_e32 v3, s10
	s_xor_b64 exec, exec, s[6:7]
	s_cbranch_execnz .LBB4_2528
.LBB4_478:
	s_or_b64 exec, exec, s[6:7]
	s_and_saveexec_b64 s[6:7], s[4:5]
	s_cbranch_execz .LBB4_480
.LBB4_479:
	v_bfe_u32 v3, v4, 24, 3
	v_ffbh_u32_e32 v12, v3
	v_min_u32_e32 v12, 32, v12
	v_lshrrev_b32_e32 v7, 27, v4
	v_subrev_u32_e32 v13, 28, v12
	v_and_b32_e32 v6, 0x80000000, v4
	v_and_b32_e32 v7, 15, v7
	v_bfe_u32 v8, v4, 27, 4
	v_lshlrev_b32_sdwa v4, v13, v4 dst_sel:DWORD dst_unused:UNUSED_PAD src0_sel:DWORD src1_sel:BYTE_3
	v_sub_u32_e32 v12, 29, v12
	v_and_b32_e32 v4, 7, v4
	v_cmp_eq_u16_e32 vcc, 0, v7
	v_cndmask_b32_e32 v3, v3, v4, vcc
	v_cndmask_b32_e32 v4, v8, v12, vcc
	v_mov_b32_e32 v7, 0x3b800000
	v_lshlrev_b32_e32 v3, 20, v3
	v_lshl_add_u32 v4, v4, 23, v7
	v_or3_b32 v3, v6, v4, v3
.LBB4_480:
	s_or_b64 exec, exec, s[6:7]
	s_nop 0
	v_mfma_f32_16x16x4f32 a[0:3], v2, v3, a[0:3]
	s_movk_i32 s4, 0x7f
	v_cmp_gt_i16_sdwa s[6:7], v9, s4 src0_sel:BYTE_0 src1_sel:DWORD
	s_mov_b64 s[4:5], 0
                                        ; implicit-def: $sgpr10
	s_and_saveexec_b64 s[8:9], s[6:7]
	s_xor_b64 s[6:7], exec, s[8:9]
	s_cbranch_execnz .LBB4_2529
; %bb.481:
	s_or_saveexec_b64 s[6:7], s[6:7]
	v_mov_b32_e32 v2, s10
	s_xor_b64 exec, exec, s[6:7]
	s_cbranch_execnz .LBB4_2532
.LBB4_482:
	s_or_b64 exec, exec, s[6:7]
	s_and_saveexec_b64 s[6:7], s[4:5]
	s_cbranch_execz .LBB4_484
.LBB4_483:
	v_mov_b32_e32 v2, 8
	v_and_b32_e32 v3, 7, v9
	v_lshrrev_b32_sdwa v2, v2, v9 dst_sel:BYTE_1 dst_unused:UNUSED_PAD src0_sel:DWORD src1_sel:DWORD
	v_ffbh_u32_e32 v4, v3
	v_or_b32_sdwa v2, v9, v2 dst_sel:DWORD dst_unused:UNUSED_PAD src0_sel:BYTE_0 src1_sel:DWORD
	v_min_u32_e32 v4, 32, v4
	v_lshrrev_b16_e32 v2, 3, v2
	v_subrev_u32_e32 v6, 28, v4
	v_and_b32_e32 v2, 15, v2
	v_lshlrev_b32_e32 v6, v6, v9
	v_sub_u32_e32 v4, 29, v4
	v_and_b32_e32 v6, 7, v6
	v_cmp_eq_u16_e32 vcc, 0, v2
	v_cndmask_b32_e32 v3, v3, v6, vcc
	v_cndmask_b32_e32 v2, v2, v4, vcc
	v_lshlrev_b32_e32 v4, 24, v9
	v_mov_b32_e32 v6, 0x3b800000
	v_lshlrev_b32_e32 v3, 20, v3
	v_and_b32_e32 v4, 0x80000000, v4
	v_lshl_add_u32 v2, v2, 23, v6
	v_or3_b32 v2, v4, v2, v3
.LBB4_484:
	s_or_b64 exec, exec, s[6:7]
	s_movk_i32 s4, 0x7f
	v_cmp_gt_i16_sdwa s[6:7], v5, s4 src0_sel:BYTE_0 src1_sel:DWORD
	s_mov_b64 s[4:5], 0
                                        ; implicit-def: $sgpr10
	s_and_saveexec_b64 s[8:9], s[6:7]
	s_xor_b64 s[6:7], exec, s[8:9]
	s_cbranch_execnz .LBB4_2533
; %bb.485:
	s_or_saveexec_b64 s[6:7], s[6:7]
	v_mov_b32_e32 v3, s10
	s_xor_b64 exec, exec, s[6:7]
	s_cbranch_execnz .LBB4_2536
.LBB4_486:
	s_or_b64 exec, exec, s[6:7]
	s_and_saveexec_b64 s[6:7], s[4:5]
	s_cbranch_execz .LBB4_488
.LBB4_487:
	v_mov_b32_e32 v3, 8
	v_and_b32_e32 v4, 7, v5
	v_lshrrev_b32_sdwa v3, v3, v5 dst_sel:BYTE_1 dst_unused:UNUSED_PAD src0_sel:DWORD src1_sel:DWORD
	v_ffbh_u32_e32 v6, v4
	v_or_b32_sdwa v3, v5, v3 dst_sel:DWORD dst_unused:UNUSED_PAD src0_sel:BYTE_0 src1_sel:DWORD
	v_min_u32_e32 v6, 32, v6
	v_lshrrev_b16_e32 v3, 3, v3
	v_subrev_u32_e32 v7, 28, v6
	v_and_b32_e32 v3, 15, v3
	v_lshlrev_b32_e32 v7, v7, v5
	v_sub_u32_e32 v6, 29, v6
	v_and_b32_e32 v7, 7, v7
	v_cmp_eq_u16_e32 vcc, 0, v3
	v_cndmask_b32_e32 v4, v4, v7, vcc
	v_cndmask_b32_e32 v3, v3, v6, vcc
	v_lshlrev_b32_e32 v6, 24, v5
	v_mov_b32_e32 v7, 0x3b800000
	v_lshlrev_b32_e32 v4, 20, v4
	v_and_b32_e32 v6, 0x80000000, v6
	v_lshl_add_u32 v3, v3, 23, v7
	v_or3_b32 v3, v6, v3, v4
.LBB4_488:
	s_or_b64 exec, exec, s[6:7]
	s_nop 0
	v_mfma_f32_16x16x4f32 a[0:3], v2, v3, a[0:3]
	v_lshrrev_b32_e32 v3, 8, v9
	s_movk_i32 s4, 0x7f
	v_cmp_gt_i16_sdwa s[6:7], v3, s4 src0_sel:BYTE_0 src1_sel:DWORD
	s_mov_b64 s[4:5], 0
                                        ; implicit-def: $sgpr10
	s_and_saveexec_b64 s[8:9], s[6:7]
	s_xor_b64 s[6:7], exec, s[8:9]
	s_cbranch_execnz .LBB4_2537
; %bb.489:
	s_or_saveexec_b64 s[6:7], s[6:7]
	v_mov_b32_e32 v2, s10
	s_xor_b64 exec, exec, s[6:7]
	s_cbranch_execnz .LBB4_2540
.LBB4_490:
	s_or_b64 exec, exec, s[6:7]
	s_and_saveexec_b64 s[6:7], s[4:5]
	s_cbranch_execz .LBB4_492
.LBB4_491:
	v_bfe_u32 v2, v9, 8, 3
	v_ffbh_u32_e32 v6, v2
	v_min_u32_e32 v6, 32, v6
	v_lshrrev_b16_e32 v4, 3, v3
	v_subrev_u32_e32 v7, 28, v6
	v_and_b32_e32 v4, 15, v4
	v_lshlrev_b32_e32 v3, v7, v3
	v_sub_u32_e32 v6, 29, v6
	v_and_b32_e32 v3, 7, v3
	v_cmp_eq_u16_e32 vcc, 0, v4
	v_cndmask_b32_e32 v2, v2, v3, vcc
	v_cndmask_b32_e32 v3, v4, v6, vcc
	v_lshlrev_b32_e32 v4, 16, v9
	v_mov_b32_e32 v6, 0x3b800000
	v_lshlrev_b32_e32 v2, 20, v2
	v_and_b32_e32 v4, 0x80000000, v4
	v_lshl_add_u32 v3, v3, 23, v6
	v_or3_b32 v2, v4, v3, v2
.LBB4_492:
	s_or_b64 exec, exec, s[6:7]
	v_lshrrev_b32_e32 v3, 8, v5
	s_movk_i32 s4, 0x7f
	v_cmp_gt_i16_sdwa s[6:7], v3, s4 src0_sel:BYTE_0 src1_sel:DWORD
	s_mov_b64 s[4:5], 0
                                        ; implicit-def: $sgpr10
	s_and_saveexec_b64 s[8:9], s[6:7]
	s_xor_b64 s[6:7], exec, s[8:9]
	s_cbranch_execnz .LBB4_2541
; %bb.493:
	s_or_saveexec_b64 s[6:7], s[6:7]
	v_mov_b32_e32 v4, s10
	s_xor_b64 exec, exec, s[6:7]
	s_cbranch_execnz .LBB4_2544
.LBB4_494:
	s_or_b64 exec, exec, s[6:7]
	s_and_saveexec_b64 s[6:7], s[4:5]
	s_cbranch_execz .LBB4_496
.LBB4_495:
	v_bfe_u32 v4, v5, 8, 3
	v_ffbh_u32_e32 v7, v4
	v_min_u32_e32 v7, 32, v7
	v_lshrrev_b16_e32 v6, 3, v3
	v_subrev_u32_e32 v8, 28, v7
	v_and_b32_e32 v6, 15, v6
	v_lshlrev_b32_e32 v3, v8, v3
	v_sub_u32_e32 v7, 29, v7
	v_and_b32_e32 v3, 7, v3
	v_cmp_eq_u16_e32 vcc, 0, v6
	v_cndmask_b32_e32 v3, v4, v3, vcc
	v_cndmask_b32_e32 v4, v6, v7, vcc
	v_lshlrev_b32_e32 v6, 16, v5
	v_mov_b32_e32 v7, 0x3b800000
	v_lshlrev_b32_e32 v3, 20, v3
	v_and_b32_e32 v6, 0x80000000, v6
	v_lshl_add_u32 v4, v4, 23, v7
	v_or3_b32 v4, v6, v4, v3
.LBB4_496:
	s_or_b64 exec, exec, s[6:7]
	s_nop 0
	v_mfma_f32_16x16x4f32 a[0:3], v2, v4, a[0:3]
	s_movk_i32 s4, 0xff
	v_and_b32_sdwa v3, v9, s4 dst_sel:DWORD dst_unused:UNUSED_PAD src0_sel:WORD_1 src1_sel:DWORD
	s_movk_i32 s4, 0x7f
	v_cmp_lt_i16_e32 vcc, s4, v3
	s_mov_b64 s[4:5], 0
                                        ; implicit-def: $sgpr10
	s_and_saveexec_b64 s[6:7], vcc
	s_xor_b64 s[6:7], exec, s[6:7]
	s_cbranch_execnz .LBB4_2545
; %bb.497:
	s_or_saveexec_b64 s[6:7], s[6:7]
	v_mov_b32_e32 v2, s10
	s_xor_b64 exec, exec, s[6:7]
	s_cbranch_execnz .LBB4_2548
.LBB4_498:
	s_or_b64 exec, exec, s[6:7]
	s_and_saveexec_b64 s[6:7], s[4:5]
	s_cbranch_execz .LBB4_500
.LBB4_499:
	v_bfe_u32 v2, v9, 16, 3
	v_ffbh_u32_e32 v6, v2
	v_min_u32_e32 v6, 32, v6
	v_lshrrev_b32_e32 v3, 19, v9
	v_subrev_u32_e32 v7, 28, v6
	v_and_b32_e32 v3, 15, v3
	v_lshlrev_b32_sdwa v7, v7, v9 dst_sel:DWORD dst_unused:UNUSED_PAD src0_sel:DWORD src1_sel:WORD_1
	v_bfe_u32 v4, v9, 19, 4
	v_sub_u32_e32 v6, 29, v6
	v_and_b32_e32 v7, 7, v7
	v_cmp_eq_u16_e32 vcc, 0, v3
	v_cndmask_b32_e32 v2, v2, v7, vcc
	v_cndmask_b32_e32 v3, v4, v6, vcc
	v_lshlrev_b32_e32 v4, 8, v9
	v_mov_b32_e32 v6, 0x3b800000
	v_lshlrev_b32_e32 v2, 20, v2
	v_and_b32_e32 v4, 0x80000000, v4
	v_lshl_add_u32 v3, v3, 23, v6
	v_or3_b32 v2, v4, v3, v2
.LBB4_500:
	s_or_b64 exec, exec, s[6:7]
	s_movk_i32 s4, 0xff
	v_and_b32_sdwa v3, v5, s4 dst_sel:DWORD dst_unused:UNUSED_PAD src0_sel:WORD_1 src1_sel:DWORD
	s_movk_i32 s4, 0x7f
	v_cmp_lt_i16_e32 vcc, s4, v3
	s_mov_b64 s[4:5], 0
                                        ; implicit-def: $sgpr10
	s_and_saveexec_b64 s[6:7], vcc
	s_xor_b64 s[6:7], exec, s[6:7]
	s_cbranch_execnz .LBB4_2549
; %bb.501:
	s_or_saveexec_b64 s[6:7], s[6:7]
	v_mov_b32_e32 v4, s10
	s_xor_b64 exec, exec, s[6:7]
	s_cbranch_execnz .LBB4_2552
.LBB4_502:
	s_or_b64 exec, exec, s[6:7]
	s_and_saveexec_b64 s[6:7], s[4:5]
	s_cbranch_execz .LBB4_504
.LBB4_503:
	v_bfe_u32 v3, v5, 16, 3
	v_ffbh_u32_e32 v7, v3
	v_min_u32_e32 v7, 32, v7
	v_lshrrev_b32_e32 v4, 19, v5
	v_subrev_u32_e32 v8, 28, v7
	v_and_b32_e32 v4, 15, v4
	v_lshlrev_b32_sdwa v8, v8, v5 dst_sel:DWORD dst_unused:UNUSED_PAD src0_sel:DWORD src1_sel:WORD_1
	v_bfe_u32 v6, v5, 19, 4
	v_sub_u32_e32 v7, 29, v7
	v_and_b32_e32 v8, 7, v8
	v_cmp_eq_u16_e32 vcc, 0, v4
	v_cndmask_b32_e32 v3, v3, v8, vcc
	v_cndmask_b32_e32 v4, v6, v7, vcc
	v_lshlrev_b32_e32 v6, 8, v5
	v_mov_b32_e32 v7, 0x3b800000
	v_lshlrev_b32_e32 v3, 20, v3
	v_and_b32_e32 v6, 0x80000000, v6
	v_lshl_add_u32 v4, v4, 23, v7
	v_or3_b32 v4, v6, v4, v3
.LBB4_504:
	s_or_b64 exec, exec, s[6:7]
	s_nop 0
	v_mfma_f32_16x16x4f32 a[0:3], v2, v4, a[0:3]
	s_movk_i32 s4, 0x7f
	v_cmp_gt_i16_sdwa s[6:7], v9, s4 src0_sel:BYTE_3 src1_sel:DWORD
	s_mov_b64 s[4:5], 0
                                        ; implicit-def: $sgpr10
	s_and_saveexec_b64 s[8:9], s[6:7]
	s_xor_b64 s[6:7], exec, s[8:9]
	s_cbranch_execnz .LBB4_2553
; %bb.505:
	s_or_saveexec_b64 s[6:7], s[6:7]
	v_mov_b32_e32 v2, s10
	s_xor_b64 exec, exec, s[6:7]
	s_cbranch_execnz .LBB4_2556
.LBB4_506:
	s_or_b64 exec, exec, s[6:7]
	s_and_saveexec_b64 s[6:7], s[4:5]
	s_cbranch_execz .LBB4_508
.LBB4_507:
	v_bfe_u32 v2, v9, 24, 3
	v_ffbh_u32_e32 v7, v2
	v_min_u32_e32 v7, 32, v7
	v_lshrrev_b32_e32 v4, 27, v9
	v_subrev_u32_e32 v8, 28, v7
	v_and_b32_e32 v4, 15, v4
	v_lshlrev_b32_sdwa v8, v8, v9 dst_sel:DWORD dst_unused:UNUSED_PAD src0_sel:DWORD src1_sel:BYTE_3
	v_bfe_u32 v6, v9, 27, 4
	v_sub_u32_e32 v7, 29, v7
	v_and_b32_e32 v8, 7, v8
	v_cmp_eq_u16_e32 vcc, 0, v4
	v_cndmask_b32_e32 v2, v2, v8, vcc
	v_cndmask_b32_e32 v4, v6, v7, vcc
	v_mov_b32_e32 v6, 0x3b800000
	v_and_b32_e32 v3, 0x80000000, v9
	v_lshlrev_b32_e32 v2, 20, v2
	v_lshl_add_u32 v4, v4, 23, v6
	v_or3_b32 v2, v3, v4, v2
.LBB4_508:
	s_or_b64 exec, exec, s[6:7]
	s_movk_i32 s4, 0x7f
	v_cmp_gt_i16_sdwa s[6:7], v5, s4 src0_sel:BYTE_3 src1_sel:DWORD
	s_mov_b64 s[4:5], 0
                                        ; implicit-def: $sgpr10
	s_and_saveexec_b64 s[8:9], s[6:7]
	s_xor_b64 s[6:7], exec, s[8:9]
	s_cbranch_execnz .LBB4_2557
; %bb.509:
	s_or_saveexec_b64 s[6:7], s[6:7]
	v_mov_b32_e32 v3, s10
	s_xor_b64 exec, exec, s[6:7]
	s_cbranch_execnz .LBB4_2560
.LBB4_510:
	s_or_b64 exec, exec, s[6:7]
	s_and_saveexec_b64 s[6:7], s[4:5]
	s_cbranch_execz .LBB4_512
.LBB4_511:
	v_bfe_u32 v3, v5, 24, 3
	v_ffbh_u32_e32 v8, v3
	v_min_u32_e32 v8, 32, v8
	v_lshrrev_b32_e32 v6, 27, v5
	v_subrev_u32_e32 v9, 28, v8
	v_and_b32_e32 v4, 0x80000000, v5
	v_and_b32_e32 v6, 15, v6
	v_bfe_u32 v7, v5, 27, 4
	v_lshlrev_b32_sdwa v5, v9, v5 dst_sel:DWORD dst_unused:UNUSED_PAD src0_sel:DWORD src1_sel:BYTE_3
	v_sub_u32_e32 v8, 29, v8
	v_and_b32_e32 v5, 7, v5
	v_cmp_eq_u16_e32 vcc, 0, v6
	v_cndmask_b32_e32 v3, v3, v5, vcc
	v_cndmask_b32_e32 v5, v7, v8, vcc
	v_mov_b32_e32 v6, 0x3b800000
	v_lshlrev_b32_e32 v3, 20, v3
	v_lshl_add_u32 v5, v5, 23, v6
	v_or3_b32 v3, v4, v5, v3
.LBB4_512:
	s_or_b64 exec, exec, s[6:7]
	s_nop 0
	v_mfma_f32_16x16x4f32 a[0:3], v2, v3, a[0:3]
	s_movk_i32 s4, 0x7f
                                        ; implicit-def: $sgpr10
	s_nop 7
	s_nop 1
	flat_store_dwordx4 v[10:11], a[0:3] offset:48
	flat_load_dwordx4 v[12:15], v[0:1] offset:8
	s_nop 0
	flat_load_dwordx2 v[10:11], v[0:1] offset:32
	s_waitcnt vmcnt(0) lgkmcnt(0)
	flat_load_dwordx4 v[6:9], v[12:13] offset:48
	flat_load_dwordx4 v[2:5], v[14:15] offset:16
	s_waitcnt vmcnt(0) lgkmcnt(0)
	v_cmp_gt_i16_sdwa s[6:7], v6, s4 src0_sel:BYTE_0 src1_sel:DWORD
	s_mov_b64 s[4:5], 0
	s_and_saveexec_b64 s[8:9], s[6:7]
	s_xor_b64 s[6:7], exec, s[8:9]
	s_cbranch_execnz .LBB4_2561
; %bb.513:
	s_or_saveexec_b64 s[6:7], s[6:7]
	v_mov_b32_e32 v12, s10
	s_xor_b64 exec, exec, s[6:7]
	s_cbranch_execnz .LBB4_2564
.LBB4_514:
	s_or_b64 exec, exec, s[6:7]
	s_and_saveexec_b64 s[6:7], s[4:5]
	s_cbranch_execz .LBB4_516
.LBB4_515:
	v_and_b32_e32 v12, 7, v6
	v_ffbh_u32_e32 v14, v12
	v_min_u32_e32 v14, 32, v14
	v_lshrrev_b16_e32 v13, 3, v6
	v_subrev_u32_e32 v15, 28, v14
	v_and_b32_e32 v13, 15, v13
	v_lshlrev_b32_e32 v15, v15, v6
	v_sub_u32_e32 v14, 29, v14
	v_and_b32_e32 v15, 7, v15
	v_cmp_eq_u16_e32 vcc, 0, v13
	v_cndmask_b32_e32 v12, v12, v15, vcc
	v_cndmask_b32_e32 v13, v13, v14, vcc
	v_lshlrev_b32_e32 v14, 24, v6
	v_mov_b32_e32 v15, 0x3b800000
	v_lshlrev_b32_e32 v12, 20, v12
	v_and_b32_e32 v14, 0x80000000, v14
	v_lshl_add_u32 v13, v13, 23, v15
	v_or3_b32 v12, v14, v13, v12
.LBB4_516:
	s_or_b64 exec, exec, s[6:7]
	s_movk_i32 s4, 0x7f
	v_cmp_gt_i16_sdwa s[6:7], v2, s4 src0_sel:BYTE_0 src1_sel:DWORD
	s_mov_b64 s[4:5], 0
                                        ; implicit-def: $sgpr10
	s_and_saveexec_b64 s[8:9], s[6:7]
	s_xor_b64 s[6:7], exec, s[8:9]
	s_cbranch_execnz .LBB4_2565
; %bb.517:
	s_or_saveexec_b64 s[6:7], s[6:7]
	v_mov_b32_e32 v13, s10
	s_xor_b64 exec, exec, s[6:7]
	s_cbranch_execnz .LBB4_2568
.LBB4_518:
	s_or_b64 exec, exec, s[6:7]
	s_and_saveexec_b64 s[6:7], s[4:5]
	s_cbranch_execz .LBB4_520
.LBB4_519:
	v_and_b32_e32 v13, 7, v2
	v_ffbh_u32_e32 v15, v13
	v_min_u32_e32 v15, 32, v15
	v_lshrrev_b16_e32 v14, 3, v2
	v_subrev_u32_e32 v16, 28, v15
	v_and_b32_e32 v14, 15, v14
	v_lshlrev_b32_e32 v16, v16, v2
	v_sub_u32_e32 v15, 29, v15
	v_and_b32_e32 v16, 7, v16
	v_cmp_eq_u16_e32 vcc, 0, v14
	v_cndmask_b32_e32 v13, v13, v16, vcc
	v_cndmask_b32_e32 v14, v14, v15, vcc
	v_lshlrev_b32_e32 v15, 24, v2
	v_mov_b32_e32 v16, 0x3b800000
	v_lshlrev_b32_e32 v13, 20, v13
	v_and_b32_e32 v15, 0x80000000, v15
	v_lshl_add_u32 v14, v14, 23, v16
	v_or3_b32 v13, v15, v14, v13
.LBB4_520:
	s_or_b64 exec, exec, s[6:7]
	flat_load_dwordx4 a[0:3], v[10:11] offset:64
	s_movk_i32 s4, 0x7f
                                        ; implicit-def: $sgpr10
	s_waitcnt vmcnt(0) lgkmcnt(0)
	v_mfma_f32_16x16x4f32 a[0:3], v12, v13, a[0:3]
	v_lshrrev_b32_e32 v13, 8, v6
	v_cmp_gt_i16_sdwa s[6:7], v13, s4 src0_sel:BYTE_0 src1_sel:DWORD
	s_mov_b64 s[4:5], 0
	s_and_saveexec_b64 s[8:9], s[6:7]
	s_xor_b64 s[6:7], exec, s[8:9]
	s_cbranch_execnz .LBB4_2569
; %bb.521:
	s_or_saveexec_b64 s[6:7], s[6:7]
	v_mov_b32_e32 v12, s10
	s_xor_b64 exec, exec, s[6:7]
	s_cbranch_execnz .LBB4_2572
.LBB4_522:
	s_or_b64 exec, exec, s[6:7]
	s_and_saveexec_b64 s[6:7], s[4:5]
	s_cbranch_execz .LBB4_524
.LBB4_523:
	v_bfe_u32 v12, v6, 8, 3
	v_ffbh_u32_e32 v15, v12
	v_min_u32_e32 v15, 32, v15
	v_lshrrev_b16_e32 v14, 3, v13
	v_subrev_u32_e32 v16, 28, v15
	v_and_b32_e32 v14, 15, v14
	v_lshlrev_b32_e32 v13, v16, v13
	v_sub_u32_e32 v15, 29, v15
	v_and_b32_e32 v13, 7, v13
	v_cmp_eq_u16_e32 vcc, 0, v14
	v_cndmask_b32_e32 v12, v12, v13, vcc
	v_cndmask_b32_e32 v13, v14, v15, vcc
	v_lshlrev_b32_e32 v14, 16, v6
	v_mov_b32_e32 v15, 0x3b800000
	v_lshlrev_b32_e32 v12, 20, v12
	v_and_b32_e32 v14, 0x80000000, v14
	v_lshl_add_u32 v13, v13, 23, v15
	v_or3_b32 v12, v14, v13, v12
.LBB4_524:
	s_or_b64 exec, exec, s[6:7]
	v_lshrrev_b32_e32 v13, 8, v2
	s_movk_i32 s4, 0x7f
	v_cmp_gt_i16_sdwa s[6:7], v13, s4 src0_sel:BYTE_0 src1_sel:DWORD
	s_mov_b64 s[4:5], 0
                                        ; implicit-def: $sgpr10
	s_and_saveexec_b64 s[8:9], s[6:7]
	s_xor_b64 s[6:7], exec, s[8:9]
	s_cbranch_execnz .LBB4_2573
; %bb.525:
	s_or_saveexec_b64 s[6:7], s[6:7]
	v_mov_b32_e32 v14, s10
	s_xor_b64 exec, exec, s[6:7]
	s_cbranch_execnz .LBB4_2576
.LBB4_526:
	s_or_b64 exec, exec, s[6:7]
	s_and_saveexec_b64 s[6:7], s[4:5]
	s_cbranch_execz .LBB4_528
.LBB4_527:
	v_bfe_u32 v14, v2, 8, 3
	v_ffbh_u32_e32 v16, v14
	v_min_u32_e32 v16, 32, v16
	v_lshrrev_b16_e32 v15, 3, v13
	v_subrev_u32_e32 v17, 28, v16
	v_and_b32_e32 v15, 15, v15
	v_lshlrev_b32_e32 v13, v17, v13
	v_sub_u32_e32 v16, 29, v16
	v_and_b32_e32 v13, 7, v13
	v_cmp_eq_u16_e32 vcc, 0, v15
	v_cndmask_b32_e32 v13, v14, v13, vcc
	v_cndmask_b32_e32 v14, v15, v16, vcc
	v_lshlrev_b32_e32 v15, 16, v2
	v_mov_b32_e32 v16, 0x3b800000
	v_lshlrev_b32_e32 v13, 20, v13
	v_and_b32_e32 v15, 0x80000000, v15
	v_lshl_add_u32 v14, v14, 23, v16
	v_or3_b32 v14, v15, v14, v13
.LBB4_528:
	s_or_b64 exec, exec, s[6:7]
	s_nop 0
	v_mfma_f32_16x16x4f32 a[0:3], v12, v14, a[0:3]
	s_movk_i32 s4, 0xff
	v_and_b32_sdwa v13, v6, s4 dst_sel:DWORD dst_unused:UNUSED_PAD src0_sel:WORD_1 src1_sel:DWORD
	s_movk_i32 s4, 0x7f
	v_cmp_lt_i16_e32 vcc, s4, v13
	s_mov_b64 s[4:5], 0
                                        ; implicit-def: $sgpr10
	s_and_saveexec_b64 s[6:7], vcc
	s_xor_b64 s[6:7], exec, s[6:7]
	s_cbranch_execnz .LBB4_2577
; %bb.529:
	s_or_saveexec_b64 s[6:7], s[6:7]
	v_mov_b32_e32 v12, s10
	s_xor_b64 exec, exec, s[6:7]
	s_cbranch_execnz .LBB4_2580
.LBB4_530:
	s_or_b64 exec, exec, s[6:7]
	s_and_saveexec_b64 s[6:7], s[4:5]
	s_cbranch_execz .LBB4_532
.LBB4_531:
	v_bfe_u32 v12, v6, 16, 3
	v_ffbh_u32_e32 v15, v12
	v_min_u32_e32 v15, 32, v15
	v_lshrrev_b32_e32 v13, 19, v6
	v_subrev_u32_e32 v16, 28, v15
	v_and_b32_e32 v13, 15, v13
	v_lshlrev_b32_sdwa v16, v16, v6 dst_sel:DWORD dst_unused:UNUSED_PAD src0_sel:DWORD src1_sel:WORD_1
	v_bfe_u32 v14, v6, 19, 4
	v_sub_u32_e32 v15, 29, v15
	v_and_b32_e32 v16, 7, v16
	v_cmp_eq_u16_e32 vcc, 0, v13
	v_cndmask_b32_e32 v12, v12, v16, vcc
	v_cndmask_b32_e32 v13, v14, v15, vcc
	v_lshlrev_b32_e32 v14, 8, v6
	v_mov_b32_e32 v15, 0x3b800000
	v_lshlrev_b32_e32 v12, 20, v12
	v_and_b32_e32 v14, 0x80000000, v14
	v_lshl_add_u32 v13, v13, 23, v15
	v_or3_b32 v12, v14, v13, v12
.LBB4_532:
	s_or_b64 exec, exec, s[6:7]
	s_movk_i32 s4, 0xff
	v_and_b32_sdwa v13, v2, s4 dst_sel:DWORD dst_unused:UNUSED_PAD src0_sel:WORD_1 src1_sel:DWORD
	s_movk_i32 s4, 0x7f
	v_cmp_lt_i16_e32 vcc, s4, v13
	s_mov_b64 s[4:5], 0
                                        ; implicit-def: $sgpr10
	s_and_saveexec_b64 s[6:7], vcc
	s_xor_b64 s[6:7], exec, s[6:7]
	s_cbranch_execnz .LBB4_2581
; %bb.533:
	s_or_saveexec_b64 s[6:7], s[6:7]
	v_mov_b32_e32 v14, s10
	s_xor_b64 exec, exec, s[6:7]
	s_cbranch_execnz .LBB4_2584
.LBB4_534:
	s_or_b64 exec, exec, s[6:7]
	s_and_saveexec_b64 s[6:7], s[4:5]
	s_cbranch_execz .LBB4_536
.LBB4_535:
	v_bfe_u32 v13, v2, 16, 3
	v_ffbh_u32_e32 v16, v13
	v_min_u32_e32 v16, 32, v16
	v_lshrrev_b32_e32 v14, 19, v2
	v_subrev_u32_e32 v17, 28, v16
	v_and_b32_e32 v14, 15, v14
	v_lshlrev_b32_sdwa v17, v17, v2 dst_sel:DWORD dst_unused:UNUSED_PAD src0_sel:DWORD src1_sel:WORD_1
	v_bfe_u32 v15, v2, 19, 4
	v_sub_u32_e32 v16, 29, v16
	v_and_b32_e32 v17, 7, v17
	v_cmp_eq_u16_e32 vcc, 0, v14
	v_cndmask_b32_e32 v13, v13, v17, vcc
	v_cndmask_b32_e32 v14, v15, v16, vcc
	v_lshlrev_b32_e32 v15, 8, v2
	v_mov_b32_e32 v16, 0x3b800000
	v_lshlrev_b32_e32 v13, 20, v13
	v_and_b32_e32 v15, 0x80000000, v15
	v_lshl_add_u32 v14, v14, 23, v16
	v_or3_b32 v14, v15, v14, v13
.LBB4_536:
	s_or_b64 exec, exec, s[6:7]
	s_nop 0
	v_mfma_f32_16x16x4f32 a[0:3], v12, v14, a[0:3]
	s_movk_i32 s4, 0x7f
	v_cmp_gt_i16_sdwa s[6:7], v6, s4 src0_sel:BYTE_3 src1_sel:DWORD
	s_mov_b64 s[4:5], 0
                                        ; implicit-def: $sgpr10
	s_and_saveexec_b64 s[8:9], s[6:7]
	s_xor_b64 s[6:7], exec, s[8:9]
	s_cbranch_execnz .LBB4_2585
; %bb.537:
	s_or_saveexec_b64 s[6:7], s[6:7]
	v_mov_b32_e32 v12, s10
	s_xor_b64 exec, exec, s[6:7]
	s_cbranch_execnz .LBB4_2588
.LBB4_538:
	s_or_b64 exec, exec, s[6:7]
	s_and_saveexec_b64 s[6:7], s[4:5]
	s_cbranch_execz .LBB4_540
.LBB4_539:
	v_bfe_u32 v12, v6, 24, 3
	v_ffbh_u32_e32 v16, v12
	v_min_u32_e32 v16, 32, v16
	v_lshrrev_b32_e32 v14, 27, v6
	v_subrev_u32_e32 v17, 28, v16
	v_and_b32_e32 v13, 0x80000000, v6
	v_and_b32_e32 v14, 15, v14
	v_bfe_u32 v15, v6, 27, 4
	v_lshlrev_b32_sdwa v6, v17, v6 dst_sel:DWORD dst_unused:UNUSED_PAD src0_sel:DWORD src1_sel:BYTE_3
	v_sub_u32_e32 v16, 29, v16
	v_and_b32_e32 v6, 7, v6
	v_cmp_eq_u16_e32 vcc, 0, v14
	v_cndmask_b32_e32 v6, v12, v6, vcc
	v_cndmask_b32_e32 v12, v15, v16, vcc
	v_mov_b32_e32 v14, 0x3b800000
	v_lshlrev_b32_e32 v6, 20, v6
	v_lshl_add_u32 v12, v12, 23, v14
	v_or3_b32 v12, v13, v12, v6
.LBB4_540:
	s_or_b64 exec, exec, s[6:7]
	s_movk_i32 s4, 0x7f
	v_cmp_gt_i16_sdwa s[6:7], v2, s4 src0_sel:BYTE_3 src1_sel:DWORD
	s_mov_b64 s[4:5], 0
                                        ; implicit-def: $sgpr10
	s_and_saveexec_b64 s[8:9], s[6:7]
	s_xor_b64 s[6:7], exec, s[8:9]
	s_cbranch_execnz .LBB4_2589
; %bb.541:
	s_or_saveexec_b64 s[6:7], s[6:7]
	v_mov_b32_e32 v6, s10
	s_xor_b64 exec, exec, s[6:7]
	s_cbranch_execnz .LBB4_2592
.LBB4_542:
	s_or_b64 exec, exec, s[6:7]
	s_and_saveexec_b64 s[6:7], s[4:5]
	s_cbranch_execz .LBB4_544
.LBB4_543:
	v_bfe_u32 v6, v2, 24, 3
	v_ffbh_u32_e32 v16, v6
	v_min_u32_e32 v16, 32, v16
	v_lshrrev_b32_e32 v14, 27, v2
	v_subrev_u32_e32 v17, 28, v16
	v_and_b32_e32 v13, 0x80000000, v2
	v_and_b32_e32 v14, 15, v14
	v_bfe_u32 v15, v2, 27, 4
	v_lshlrev_b32_sdwa v2, v17, v2 dst_sel:DWORD dst_unused:UNUSED_PAD src0_sel:DWORD src1_sel:BYTE_3
	v_sub_u32_e32 v16, 29, v16
	v_and_b32_e32 v2, 7, v2
	v_cmp_eq_u16_e32 vcc, 0, v14
	v_cndmask_b32_e32 v2, v6, v2, vcc
	v_cndmask_b32_e32 v6, v15, v16, vcc
	v_mov_b32_e32 v14, 0x3b800000
	v_lshlrev_b32_e32 v2, 20, v2
	v_lshl_add_u32 v6, v6, 23, v14
	v_or3_b32 v6, v13, v6, v2
.LBB4_544:
	s_or_b64 exec, exec, s[6:7]
	s_nop 0
	v_mfma_f32_16x16x4f32 a[0:3], v12, v6, a[0:3]
	s_movk_i32 s4, 0x7f
	v_cmp_gt_i16_sdwa s[6:7], v7, s4 src0_sel:BYTE_0 src1_sel:DWORD
	s_mov_b64 s[4:5], 0
                                        ; implicit-def: $sgpr10
	s_and_saveexec_b64 s[8:9], s[6:7]
	s_xor_b64 s[6:7], exec, s[8:9]
	s_cbranch_execnz .LBB4_2593
; %bb.545:
	s_or_saveexec_b64 s[6:7], s[6:7]
	v_mov_b32_e32 v2, s10
	s_xor_b64 exec, exec, s[6:7]
	s_cbranch_execnz .LBB4_2596
.LBB4_546:
	s_or_b64 exec, exec, s[6:7]
	s_and_saveexec_b64 s[6:7], s[4:5]
	s_cbranch_execz .LBB4_548
.LBB4_547:
	v_and_b32_e32 v2, 7, v7
	v_ffbh_u32_e32 v12, v2
	v_min_u32_e32 v12, 32, v12
	v_lshrrev_b16_e32 v6, 3, v7
	v_subrev_u32_e32 v13, 28, v12
	v_and_b32_e32 v6, 15, v6
	v_lshlrev_b32_e32 v13, v13, v7
	v_sub_u32_e32 v12, 29, v12
	v_and_b32_e32 v13, 7, v13
	v_cmp_eq_u16_e32 vcc, 0, v6
	v_cndmask_b32_e32 v2, v2, v13, vcc
	v_cndmask_b32_e32 v6, v6, v12, vcc
	v_lshlrev_b32_e32 v12, 24, v7
	v_mov_b32_e32 v13, 0x3b800000
	v_lshlrev_b32_e32 v2, 20, v2
	v_and_b32_e32 v12, 0x80000000, v12
	v_lshl_add_u32 v6, v6, 23, v13
	v_or3_b32 v2, v12, v6, v2
.LBB4_548:
	s_or_b64 exec, exec, s[6:7]
	s_movk_i32 s4, 0x7f
	v_cmp_gt_i16_sdwa s[6:7], v3, s4 src0_sel:BYTE_0 src1_sel:DWORD
	s_mov_b64 s[4:5], 0
                                        ; implicit-def: $sgpr10
	s_and_saveexec_b64 s[8:9], s[6:7]
	s_xor_b64 s[6:7], exec, s[8:9]
	s_cbranch_execnz .LBB4_2597
; %bb.549:
	s_or_saveexec_b64 s[6:7], s[6:7]
	v_mov_b32_e32 v6, s10
	s_xor_b64 exec, exec, s[6:7]
	s_cbranch_execnz .LBB4_2600
.LBB4_550:
	s_or_b64 exec, exec, s[6:7]
	s_and_saveexec_b64 s[6:7], s[4:5]
	s_cbranch_execz .LBB4_552
.LBB4_551:
	v_and_b32_e32 v6, 7, v3
	v_ffbh_u32_e32 v13, v6
	v_min_u32_e32 v13, 32, v13
	v_lshrrev_b16_e32 v12, 3, v3
	v_subrev_u32_e32 v14, 28, v13
	v_and_b32_e32 v12, 15, v12
	v_lshlrev_b32_e32 v14, v14, v3
	v_sub_u32_e32 v13, 29, v13
	v_and_b32_e32 v14, 7, v14
	v_cmp_eq_u16_e32 vcc, 0, v12
	v_cndmask_b32_e32 v6, v6, v14, vcc
	v_cndmask_b32_e32 v12, v12, v13, vcc
	v_lshlrev_b32_e32 v13, 24, v3
	v_mov_b32_e32 v14, 0x3b800000
	v_lshlrev_b32_e32 v6, 20, v6
	v_and_b32_e32 v13, 0x80000000, v13
	v_lshl_add_u32 v12, v12, 23, v14
	v_or3_b32 v6, v13, v12, v6
.LBB4_552:
	s_or_b64 exec, exec, s[6:7]
	s_nop 0
	v_mfma_f32_16x16x4f32 a[0:3], v2, v6, a[0:3]
	v_lshrrev_b32_e32 v6, 8, v7
	s_movk_i32 s4, 0x7f
	v_cmp_gt_i16_sdwa s[6:7], v6, s4 src0_sel:BYTE_0 src1_sel:DWORD
	s_mov_b64 s[4:5], 0
                                        ; implicit-def: $sgpr10
	s_and_saveexec_b64 s[8:9], s[6:7]
	s_xor_b64 s[6:7], exec, s[8:9]
	s_cbranch_execnz .LBB4_2601
; %bb.553:
	s_or_saveexec_b64 s[6:7], s[6:7]
	v_mov_b32_e32 v2, s10
	s_xor_b64 exec, exec, s[6:7]
	s_cbranch_execnz .LBB4_2604
.LBB4_554:
	s_or_b64 exec, exec, s[6:7]
	s_and_saveexec_b64 s[6:7], s[4:5]
	s_cbranch_execz .LBB4_556
.LBB4_555:
	v_bfe_u32 v2, v7, 8, 3
	v_ffbh_u32_e32 v13, v2
	v_min_u32_e32 v13, 32, v13
	v_lshrrev_b16_e32 v12, 3, v6
	v_subrev_u32_e32 v14, 28, v13
	v_and_b32_e32 v12, 15, v12
	v_lshlrev_b32_e32 v6, v14, v6
	v_sub_u32_e32 v13, 29, v13
	v_and_b32_e32 v6, 7, v6
	v_cmp_eq_u16_e32 vcc, 0, v12
	v_cndmask_b32_e32 v2, v2, v6, vcc
	v_cndmask_b32_e32 v6, v12, v13, vcc
	v_lshlrev_b32_e32 v12, 16, v7
	v_mov_b32_e32 v13, 0x3b800000
	v_lshlrev_b32_e32 v2, 20, v2
	v_and_b32_e32 v12, 0x80000000, v12
	v_lshl_add_u32 v6, v6, 23, v13
	v_or3_b32 v2, v12, v6, v2
.LBB4_556:
	s_or_b64 exec, exec, s[6:7]
	v_lshrrev_b32_e32 v6, 8, v3
	s_movk_i32 s4, 0x7f
	v_cmp_gt_i16_sdwa s[6:7], v6, s4 src0_sel:BYTE_0 src1_sel:DWORD
	s_mov_b64 s[4:5], 0
                                        ; implicit-def: $sgpr10
	s_and_saveexec_b64 s[8:9], s[6:7]
	s_xor_b64 s[6:7], exec, s[8:9]
	s_cbranch_execnz .LBB4_2605
; %bb.557:
	s_or_saveexec_b64 s[6:7], s[6:7]
	v_mov_b32_e32 v12, s10
	s_xor_b64 exec, exec, s[6:7]
	s_cbranch_execnz .LBB4_2608
.LBB4_558:
	s_or_b64 exec, exec, s[6:7]
	s_and_saveexec_b64 s[6:7], s[4:5]
	s_cbranch_execz .LBB4_560
.LBB4_559:
	v_bfe_u32 v12, v3, 8, 3
	v_ffbh_u32_e32 v14, v12
	v_min_u32_e32 v14, 32, v14
	v_lshrrev_b16_e32 v13, 3, v6
	v_subrev_u32_e32 v15, 28, v14
	v_and_b32_e32 v13, 15, v13
	v_lshlrev_b32_e32 v6, v15, v6
	v_sub_u32_e32 v14, 29, v14
	v_and_b32_e32 v6, 7, v6
	v_cmp_eq_u16_e32 vcc, 0, v13
	v_cndmask_b32_e32 v6, v12, v6, vcc
	v_cndmask_b32_e32 v12, v13, v14, vcc
	v_lshlrev_b32_e32 v13, 16, v3
	v_mov_b32_e32 v14, 0x3b800000
	v_lshlrev_b32_e32 v6, 20, v6
	v_and_b32_e32 v13, 0x80000000, v13
	v_lshl_add_u32 v12, v12, 23, v14
	v_or3_b32 v12, v13, v12, v6
.LBB4_560:
	s_or_b64 exec, exec, s[6:7]
	s_nop 0
	v_mfma_f32_16x16x4f32 a[0:3], v2, v12, a[0:3]
	s_movk_i32 s4, 0xff
	v_and_b32_sdwa v6, v7, s4 dst_sel:DWORD dst_unused:UNUSED_PAD src0_sel:WORD_1 src1_sel:DWORD
	s_movk_i32 s4, 0x7f
	v_cmp_lt_i16_e32 vcc, s4, v6
	s_mov_b64 s[4:5], 0
                                        ; implicit-def: $sgpr10
	s_and_saveexec_b64 s[6:7], vcc
	s_xor_b64 s[6:7], exec, s[6:7]
	s_cbranch_execnz .LBB4_2609
; %bb.561:
	s_or_saveexec_b64 s[6:7], s[6:7]
	v_mov_b32_e32 v2, s10
	s_xor_b64 exec, exec, s[6:7]
	s_cbranch_execnz .LBB4_2612
.LBB4_562:
	s_or_b64 exec, exec, s[6:7]
	s_and_saveexec_b64 s[6:7], s[4:5]
	s_cbranch_execz .LBB4_564
.LBB4_563:
	v_bfe_u32 v2, v7, 16, 3
	v_ffbh_u32_e32 v13, v2
	v_min_u32_e32 v13, 32, v13
	v_lshrrev_b32_e32 v6, 19, v7
	v_subrev_u32_e32 v14, 28, v13
	v_and_b32_e32 v6, 15, v6
	v_lshlrev_b32_sdwa v14, v14, v7 dst_sel:DWORD dst_unused:UNUSED_PAD src0_sel:DWORD src1_sel:WORD_1
	v_bfe_u32 v12, v7, 19, 4
	v_sub_u32_e32 v13, 29, v13
	v_and_b32_e32 v14, 7, v14
	v_cmp_eq_u16_e32 vcc, 0, v6
	v_cndmask_b32_e32 v2, v2, v14, vcc
	v_cndmask_b32_e32 v6, v12, v13, vcc
	v_lshlrev_b32_e32 v12, 8, v7
	v_mov_b32_e32 v13, 0x3b800000
	v_lshlrev_b32_e32 v2, 20, v2
	v_and_b32_e32 v12, 0x80000000, v12
	v_lshl_add_u32 v6, v6, 23, v13
	v_or3_b32 v2, v12, v6, v2
.LBB4_564:
	s_or_b64 exec, exec, s[6:7]
	s_movk_i32 s4, 0xff
	v_and_b32_sdwa v6, v3, s4 dst_sel:DWORD dst_unused:UNUSED_PAD src0_sel:WORD_1 src1_sel:DWORD
	s_movk_i32 s4, 0x7f
	v_cmp_lt_i16_e32 vcc, s4, v6
	s_mov_b64 s[4:5], 0
                                        ; implicit-def: $sgpr10
	s_and_saveexec_b64 s[6:7], vcc
	s_xor_b64 s[6:7], exec, s[6:7]
	s_cbranch_execnz .LBB4_2613
; %bb.565:
	s_or_saveexec_b64 s[6:7], s[6:7]
	v_mov_b32_e32 v12, s10
	s_xor_b64 exec, exec, s[6:7]
	s_cbranch_execnz .LBB4_2616
.LBB4_566:
	s_or_b64 exec, exec, s[6:7]
	s_and_saveexec_b64 s[6:7], s[4:5]
	s_cbranch_execz .LBB4_568
.LBB4_567:
	v_bfe_u32 v6, v3, 16, 3
	v_ffbh_u32_e32 v14, v6
	v_min_u32_e32 v14, 32, v14
	v_lshrrev_b32_e32 v12, 19, v3
	v_subrev_u32_e32 v15, 28, v14
	v_and_b32_e32 v12, 15, v12
	v_lshlrev_b32_sdwa v15, v15, v3 dst_sel:DWORD dst_unused:UNUSED_PAD src0_sel:DWORD src1_sel:WORD_1
	v_bfe_u32 v13, v3, 19, 4
	v_sub_u32_e32 v14, 29, v14
	v_and_b32_e32 v15, 7, v15
	v_cmp_eq_u16_e32 vcc, 0, v12
	v_cndmask_b32_e32 v6, v6, v15, vcc
	v_cndmask_b32_e32 v12, v13, v14, vcc
	v_lshlrev_b32_e32 v13, 8, v3
	v_mov_b32_e32 v14, 0x3b800000
	v_lshlrev_b32_e32 v6, 20, v6
	v_and_b32_e32 v13, 0x80000000, v13
	v_lshl_add_u32 v12, v12, 23, v14
	v_or3_b32 v12, v13, v12, v6
.LBB4_568:
	s_or_b64 exec, exec, s[6:7]
	s_nop 0
	v_mfma_f32_16x16x4f32 a[0:3], v2, v12, a[0:3]
	s_movk_i32 s4, 0x7f
	v_cmp_gt_i16_sdwa s[6:7], v7, s4 src0_sel:BYTE_3 src1_sel:DWORD
	s_mov_b64 s[4:5], 0
                                        ; implicit-def: $sgpr10
	s_and_saveexec_b64 s[8:9], s[6:7]
	s_xor_b64 s[6:7], exec, s[8:9]
	s_cbranch_execnz .LBB4_2617
; %bb.569:
	s_or_saveexec_b64 s[6:7], s[6:7]
	v_mov_b32_e32 v2, s10
	s_xor_b64 exec, exec, s[6:7]
	s_cbranch_execnz .LBB4_2620
.LBB4_570:
	s_or_b64 exec, exec, s[6:7]
	s_and_saveexec_b64 s[6:7], s[4:5]
	s_cbranch_execz .LBB4_572
.LBB4_571:
	v_bfe_u32 v2, v7, 24, 3
	v_ffbh_u32_e32 v14, v2
	v_min_u32_e32 v14, 32, v14
	v_lshrrev_b32_e32 v12, 27, v7
	v_subrev_u32_e32 v15, 28, v14
	v_and_b32_e32 v6, 0x80000000, v7
	v_and_b32_e32 v12, 15, v12
	v_bfe_u32 v13, v7, 27, 4
	v_lshlrev_b32_sdwa v7, v15, v7 dst_sel:DWORD dst_unused:UNUSED_PAD src0_sel:DWORD src1_sel:BYTE_3
	v_sub_u32_e32 v14, 29, v14
	v_and_b32_e32 v7, 7, v7
	v_cmp_eq_u16_e32 vcc, 0, v12
	v_cndmask_b32_e32 v2, v2, v7, vcc
	v_cndmask_b32_e32 v7, v13, v14, vcc
	v_mov_b32_e32 v12, 0x3b800000
	v_lshlrev_b32_e32 v2, 20, v2
	v_lshl_add_u32 v7, v7, 23, v12
	v_or3_b32 v2, v6, v7, v2
.LBB4_572:
	s_or_b64 exec, exec, s[6:7]
	s_movk_i32 s4, 0x7f
	v_cmp_gt_i16_sdwa s[6:7], v3, s4 src0_sel:BYTE_3 src1_sel:DWORD
	s_mov_b64 s[4:5], 0
                                        ; implicit-def: $sgpr10
	s_and_saveexec_b64 s[8:9], s[6:7]
	s_xor_b64 s[6:7], exec, s[8:9]
	s_cbranch_execnz .LBB4_2621
; %bb.573:
	s_or_saveexec_b64 s[6:7], s[6:7]
	v_mov_b32_e32 v6, s10
	s_xor_b64 exec, exec, s[6:7]
	s_cbranch_execnz .LBB4_2624
.LBB4_574:
	s_or_b64 exec, exec, s[6:7]
	s_and_saveexec_b64 s[6:7], s[4:5]
	s_cbranch_execz .LBB4_576
.LBB4_575:
	v_bfe_u32 v6, v3, 24, 3
	v_ffbh_u32_e32 v14, v6
	v_min_u32_e32 v14, 32, v14
	v_lshrrev_b32_e32 v12, 27, v3
	v_subrev_u32_e32 v15, 28, v14
	v_and_b32_e32 v7, 0x80000000, v3
	v_and_b32_e32 v12, 15, v12
	v_bfe_u32 v13, v3, 27, 4
	v_lshlrev_b32_sdwa v3, v15, v3 dst_sel:DWORD dst_unused:UNUSED_PAD src0_sel:DWORD src1_sel:BYTE_3
	v_sub_u32_e32 v14, 29, v14
	v_and_b32_e32 v3, 7, v3
	v_cmp_eq_u16_e32 vcc, 0, v12
	v_cndmask_b32_e32 v3, v6, v3, vcc
	v_cndmask_b32_e32 v6, v13, v14, vcc
	v_mov_b32_e32 v12, 0x3b800000
	v_lshlrev_b32_e32 v3, 20, v3
	v_lshl_add_u32 v6, v6, 23, v12
	v_or3_b32 v6, v7, v6, v3
.LBB4_576:
	s_or_b64 exec, exec, s[6:7]
	s_nop 0
	v_mfma_f32_16x16x4f32 a[0:3], v2, v6, a[0:3]
	s_movk_i32 s4, 0x7f
	v_cmp_gt_i16_sdwa s[6:7], v8, s4 src0_sel:BYTE_0 src1_sel:DWORD
	s_mov_b64 s[4:5], 0
                                        ; implicit-def: $sgpr10
	s_and_saveexec_b64 s[8:9], s[6:7]
	s_xor_b64 s[6:7], exec, s[8:9]
	s_cbranch_execnz .LBB4_2625
; %bb.577:
	s_or_saveexec_b64 s[6:7], s[6:7]
	v_mov_b32_e32 v2, s10
	s_xor_b64 exec, exec, s[6:7]
	s_cbranch_execnz .LBB4_2628
.LBB4_578:
	s_or_b64 exec, exec, s[6:7]
	s_and_saveexec_b64 s[6:7], s[4:5]
	s_cbranch_execz .LBB4_580
.LBB4_579:
	v_and_b32_e32 v2, 7, v8
	v_ffbh_u32_e32 v6, v2
	v_min_u32_e32 v6, 32, v6
	v_lshrrev_b16_e32 v3, 3, v8
	v_subrev_u32_e32 v7, 28, v6
	v_and_b32_e32 v3, 15, v3
	v_lshlrev_b32_e32 v7, v7, v8
	v_sub_u32_e32 v6, 29, v6
	v_and_b32_e32 v7, 7, v7
	v_cmp_eq_u16_e32 vcc, 0, v3
	v_cndmask_b32_e32 v2, v2, v7, vcc
	v_cndmask_b32_e32 v3, v3, v6, vcc
	v_lshlrev_b32_e32 v6, 24, v8
	v_mov_b32_e32 v7, 0x3b800000
	v_lshlrev_b32_e32 v2, 20, v2
	v_and_b32_e32 v6, 0x80000000, v6
	v_lshl_add_u32 v3, v3, 23, v7
	v_or3_b32 v2, v6, v3, v2
.LBB4_580:
	s_or_b64 exec, exec, s[6:7]
	s_movk_i32 s4, 0x7f
	v_cmp_gt_i16_sdwa s[6:7], v4, s4 src0_sel:BYTE_0 src1_sel:DWORD
	s_mov_b64 s[4:5], 0
                                        ; implicit-def: $sgpr10
	s_and_saveexec_b64 s[8:9], s[6:7]
	s_xor_b64 s[6:7], exec, s[8:9]
	s_cbranch_execnz .LBB4_2629
; %bb.581:
	s_or_saveexec_b64 s[6:7], s[6:7]
	v_mov_b32_e32 v3, s10
	s_xor_b64 exec, exec, s[6:7]
	s_cbranch_execnz .LBB4_2632
.LBB4_582:
	s_or_b64 exec, exec, s[6:7]
	s_and_saveexec_b64 s[6:7], s[4:5]
	s_cbranch_execz .LBB4_584
.LBB4_583:
	v_and_b32_e32 v3, 7, v4
	v_ffbh_u32_e32 v7, v3
	v_min_u32_e32 v7, 32, v7
	v_lshrrev_b16_e32 v6, 3, v4
	v_subrev_u32_e32 v12, 28, v7
	v_and_b32_e32 v6, 15, v6
	v_lshlrev_b32_e32 v12, v12, v4
	v_sub_u32_e32 v7, 29, v7
	v_and_b32_e32 v12, 7, v12
	v_cmp_eq_u16_e32 vcc, 0, v6
	v_cndmask_b32_e32 v3, v3, v12, vcc
	v_cndmask_b32_e32 v6, v6, v7, vcc
	v_lshlrev_b32_e32 v7, 24, v4
	v_mov_b32_e32 v12, 0x3b800000
	v_lshlrev_b32_e32 v3, 20, v3
	v_and_b32_e32 v7, 0x80000000, v7
	v_lshl_add_u32 v6, v6, 23, v12
	v_or3_b32 v3, v7, v6, v3
.LBB4_584:
	s_or_b64 exec, exec, s[6:7]
	s_nop 0
	v_mfma_f32_16x16x4f32 a[0:3], v2, v3, a[0:3]
	v_lshrrev_b32_e32 v3, 8, v8
	s_movk_i32 s4, 0x7f
	v_cmp_gt_i16_sdwa s[6:7], v3, s4 src0_sel:BYTE_0 src1_sel:DWORD
	s_mov_b64 s[4:5], 0
                                        ; implicit-def: $sgpr10
	s_and_saveexec_b64 s[8:9], s[6:7]
	s_xor_b64 s[6:7], exec, s[8:9]
	s_cbranch_execnz .LBB4_2633
; %bb.585:
	s_or_saveexec_b64 s[6:7], s[6:7]
	v_mov_b32_e32 v2, s10
	s_xor_b64 exec, exec, s[6:7]
	s_cbranch_execnz .LBB4_2636
.LBB4_586:
	s_or_b64 exec, exec, s[6:7]
	s_and_saveexec_b64 s[6:7], s[4:5]
	s_cbranch_execz .LBB4_588
.LBB4_587:
	v_bfe_u32 v2, v8, 8, 3
	v_ffbh_u32_e32 v7, v2
	v_min_u32_e32 v7, 32, v7
	v_lshrrev_b16_e32 v6, 3, v3
	v_subrev_u32_e32 v12, 28, v7
	v_and_b32_e32 v6, 15, v6
	v_lshlrev_b32_e32 v3, v12, v3
	v_sub_u32_e32 v7, 29, v7
	v_and_b32_e32 v3, 7, v3
	v_cmp_eq_u16_e32 vcc, 0, v6
	v_cndmask_b32_e32 v2, v2, v3, vcc
	v_cndmask_b32_e32 v3, v6, v7, vcc
	v_lshlrev_b32_e32 v6, 16, v8
	v_mov_b32_e32 v7, 0x3b800000
	v_lshlrev_b32_e32 v2, 20, v2
	v_and_b32_e32 v6, 0x80000000, v6
	v_lshl_add_u32 v3, v3, 23, v7
	v_or3_b32 v2, v6, v3, v2
.LBB4_588:
	s_or_b64 exec, exec, s[6:7]
	v_lshrrev_b32_e32 v3, 8, v4
	s_movk_i32 s4, 0x7f
	v_cmp_gt_i16_sdwa s[6:7], v3, s4 src0_sel:BYTE_0 src1_sel:DWORD
	s_mov_b64 s[4:5], 0
                                        ; implicit-def: $sgpr10
	s_and_saveexec_b64 s[8:9], s[6:7]
	s_xor_b64 s[6:7], exec, s[8:9]
	s_cbranch_execnz .LBB4_2637
; %bb.589:
	s_or_saveexec_b64 s[6:7], s[6:7]
	v_mov_b32_e32 v6, s10
	s_xor_b64 exec, exec, s[6:7]
	s_cbranch_execnz .LBB4_2640
.LBB4_590:
	s_or_b64 exec, exec, s[6:7]
	s_and_saveexec_b64 s[6:7], s[4:5]
	s_cbranch_execz .LBB4_592
.LBB4_591:
	v_bfe_u32 v6, v4, 8, 3
	v_ffbh_u32_e32 v12, v6
	v_min_u32_e32 v12, 32, v12
	v_lshrrev_b16_e32 v7, 3, v3
	v_subrev_u32_e32 v13, 28, v12
	v_and_b32_e32 v7, 15, v7
	v_lshlrev_b32_e32 v3, v13, v3
	v_sub_u32_e32 v12, 29, v12
	v_and_b32_e32 v3, 7, v3
	v_cmp_eq_u16_e32 vcc, 0, v7
	v_cndmask_b32_e32 v3, v6, v3, vcc
	v_cndmask_b32_e32 v6, v7, v12, vcc
	v_lshlrev_b32_e32 v7, 16, v4
	v_mov_b32_e32 v12, 0x3b800000
	v_lshlrev_b32_e32 v3, 20, v3
	v_and_b32_e32 v7, 0x80000000, v7
	v_lshl_add_u32 v6, v6, 23, v12
	v_or3_b32 v6, v7, v6, v3
.LBB4_592:
	s_or_b64 exec, exec, s[6:7]
	s_nop 0
	v_mfma_f32_16x16x4f32 a[0:3], v2, v6, a[0:3]
	s_movk_i32 s4, 0xff
	v_and_b32_sdwa v3, v8, s4 dst_sel:DWORD dst_unused:UNUSED_PAD src0_sel:WORD_1 src1_sel:DWORD
	s_movk_i32 s4, 0x7f
	v_cmp_lt_i16_e32 vcc, s4, v3
	s_mov_b64 s[4:5], 0
                                        ; implicit-def: $sgpr10
	s_and_saveexec_b64 s[6:7], vcc
	s_xor_b64 s[6:7], exec, s[6:7]
	s_cbranch_execnz .LBB4_2641
; %bb.593:
	s_or_saveexec_b64 s[6:7], s[6:7]
	v_mov_b32_e32 v2, s10
	s_xor_b64 exec, exec, s[6:7]
	s_cbranch_execnz .LBB4_2644
.LBB4_594:
	s_or_b64 exec, exec, s[6:7]
	s_and_saveexec_b64 s[6:7], s[4:5]
	s_cbranch_execz .LBB4_596
.LBB4_595:
	v_bfe_u32 v2, v8, 16, 3
	v_ffbh_u32_e32 v7, v2
	v_min_u32_e32 v7, 32, v7
	v_lshrrev_b32_e32 v3, 19, v8
	v_subrev_u32_e32 v12, 28, v7
	v_and_b32_e32 v3, 15, v3
	v_lshlrev_b32_sdwa v12, v12, v8 dst_sel:DWORD dst_unused:UNUSED_PAD src0_sel:DWORD src1_sel:WORD_1
	v_bfe_u32 v6, v8, 19, 4
	v_sub_u32_e32 v7, 29, v7
	v_and_b32_e32 v12, 7, v12
	v_cmp_eq_u16_e32 vcc, 0, v3
	v_cndmask_b32_e32 v2, v2, v12, vcc
	v_cndmask_b32_e32 v3, v6, v7, vcc
	v_lshlrev_b32_e32 v6, 8, v8
	v_mov_b32_e32 v7, 0x3b800000
	v_lshlrev_b32_e32 v2, 20, v2
	v_and_b32_e32 v6, 0x80000000, v6
	v_lshl_add_u32 v3, v3, 23, v7
	v_or3_b32 v2, v6, v3, v2
.LBB4_596:
	s_or_b64 exec, exec, s[6:7]
	s_movk_i32 s4, 0xff
	v_and_b32_sdwa v3, v4, s4 dst_sel:DWORD dst_unused:UNUSED_PAD src0_sel:WORD_1 src1_sel:DWORD
	s_movk_i32 s4, 0x7f
	v_cmp_lt_i16_e32 vcc, s4, v3
	s_mov_b64 s[4:5], 0
                                        ; implicit-def: $sgpr10
	s_and_saveexec_b64 s[6:7], vcc
	s_xor_b64 s[6:7], exec, s[6:7]
	s_cbranch_execnz .LBB4_2645
; %bb.597:
	s_or_saveexec_b64 s[6:7], s[6:7]
	v_mov_b32_e32 v6, s10
	s_xor_b64 exec, exec, s[6:7]
	s_cbranch_execnz .LBB4_2648
.LBB4_598:
	s_or_b64 exec, exec, s[6:7]
	s_and_saveexec_b64 s[6:7], s[4:5]
	s_cbranch_execz .LBB4_600
.LBB4_599:
	v_bfe_u32 v3, v4, 16, 3
	v_ffbh_u32_e32 v12, v3
	v_min_u32_e32 v12, 32, v12
	v_lshrrev_b32_e32 v6, 19, v4
	v_subrev_u32_e32 v13, 28, v12
	v_and_b32_e32 v6, 15, v6
	v_lshlrev_b32_sdwa v13, v13, v4 dst_sel:DWORD dst_unused:UNUSED_PAD src0_sel:DWORD src1_sel:WORD_1
	v_bfe_u32 v7, v4, 19, 4
	v_sub_u32_e32 v12, 29, v12
	v_and_b32_e32 v13, 7, v13
	v_cmp_eq_u16_e32 vcc, 0, v6
	v_cndmask_b32_e32 v3, v3, v13, vcc
	v_cndmask_b32_e32 v6, v7, v12, vcc
	v_lshlrev_b32_e32 v7, 8, v4
	v_mov_b32_e32 v12, 0x3b800000
	v_lshlrev_b32_e32 v3, 20, v3
	v_and_b32_e32 v7, 0x80000000, v7
	v_lshl_add_u32 v6, v6, 23, v12
	v_or3_b32 v6, v7, v6, v3
.LBB4_600:
	s_or_b64 exec, exec, s[6:7]
	s_nop 0
	v_mfma_f32_16x16x4f32 a[0:3], v2, v6, a[0:3]
	s_movk_i32 s4, 0x7f
	v_cmp_gt_i16_sdwa s[6:7], v8, s4 src0_sel:BYTE_3 src1_sel:DWORD
	s_mov_b64 s[4:5], 0
                                        ; implicit-def: $sgpr10
	s_and_saveexec_b64 s[8:9], s[6:7]
	s_xor_b64 s[6:7], exec, s[8:9]
	s_cbranch_execnz .LBB4_2649
; %bb.601:
	s_or_saveexec_b64 s[6:7], s[6:7]
	v_mov_b32_e32 v2, s10
	s_xor_b64 exec, exec, s[6:7]
	s_cbranch_execnz .LBB4_2652
.LBB4_602:
	s_or_b64 exec, exec, s[6:7]
	s_and_saveexec_b64 s[6:7], s[4:5]
	s_cbranch_execz .LBB4_604
.LBB4_603:
	v_bfe_u32 v2, v8, 24, 3
	v_ffbh_u32_e32 v12, v2
	v_min_u32_e32 v12, 32, v12
	v_lshrrev_b32_e32 v6, 27, v8
	v_subrev_u32_e32 v13, 28, v12
	v_and_b32_e32 v3, 0x80000000, v8
	v_and_b32_e32 v6, 15, v6
	v_bfe_u32 v7, v8, 27, 4
	v_lshlrev_b32_sdwa v8, v13, v8 dst_sel:DWORD dst_unused:UNUSED_PAD src0_sel:DWORD src1_sel:BYTE_3
	v_sub_u32_e32 v12, 29, v12
	v_and_b32_e32 v8, 7, v8
	v_cmp_eq_u16_e32 vcc, 0, v6
	v_cndmask_b32_e32 v2, v2, v8, vcc
	v_cndmask_b32_e32 v6, v7, v12, vcc
	v_mov_b32_e32 v7, 0x3b800000
	v_lshlrev_b32_e32 v2, 20, v2
	v_lshl_add_u32 v6, v6, 23, v7
	v_or3_b32 v2, v3, v6, v2
.LBB4_604:
	s_or_b64 exec, exec, s[6:7]
	s_movk_i32 s4, 0x7f
	v_cmp_gt_i16_sdwa s[6:7], v4, s4 src0_sel:BYTE_3 src1_sel:DWORD
	s_mov_b64 s[4:5], 0
                                        ; implicit-def: $sgpr10
	s_and_saveexec_b64 s[8:9], s[6:7]
	s_xor_b64 s[6:7], exec, s[8:9]
	s_cbranch_execnz .LBB4_2653
; %bb.605:
	s_or_saveexec_b64 s[6:7], s[6:7]
	v_mov_b32_e32 v3, s10
	s_xor_b64 exec, exec, s[6:7]
	s_cbranch_execnz .LBB4_2656
.LBB4_606:
	s_or_b64 exec, exec, s[6:7]
	s_and_saveexec_b64 s[6:7], s[4:5]
	s_cbranch_execz .LBB4_608
.LBB4_607:
	v_bfe_u32 v3, v4, 24, 3
	v_ffbh_u32_e32 v12, v3
	v_min_u32_e32 v12, 32, v12
	v_lshrrev_b32_e32 v7, 27, v4
	v_subrev_u32_e32 v13, 28, v12
	v_and_b32_e32 v6, 0x80000000, v4
	v_and_b32_e32 v7, 15, v7
	v_bfe_u32 v8, v4, 27, 4
	v_lshlrev_b32_sdwa v4, v13, v4 dst_sel:DWORD dst_unused:UNUSED_PAD src0_sel:DWORD src1_sel:BYTE_3
	v_sub_u32_e32 v12, 29, v12
	v_and_b32_e32 v4, 7, v4
	v_cmp_eq_u16_e32 vcc, 0, v7
	v_cndmask_b32_e32 v3, v3, v4, vcc
	v_cndmask_b32_e32 v4, v8, v12, vcc
	v_mov_b32_e32 v7, 0x3b800000
	v_lshlrev_b32_e32 v3, 20, v3
	v_lshl_add_u32 v4, v4, 23, v7
	v_or3_b32 v3, v6, v4, v3
.LBB4_608:
	s_or_b64 exec, exec, s[6:7]
	s_nop 0
	v_mfma_f32_16x16x4f32 a[0:3], v2, v3, a[0:3]
	s_movk_i32 s4, 0x7f
	v_cmp_gt_i16_sdwa s[6:7], v9, s4 src0_sel:BYTE_0 src1_sel:DWORD
	s_mov_b64 s[4:5], 0
                                        ; implicit-def: $sgpr10
	s_and_saveexec_b64 s[8:9], s[6:7]
	s_xor_b64 s[6:7], exec, s[8:9]
	s_cbranch_execnz .LBB4_2657
; %bb.609:
	s_or_saveexec_b64 s[6:7], s[6:7]
	v_mov_b32_e32 v2, s10
	s_xor_b64 exec, exec, s[6:7]
	s_cbranch_execnz .LBB4_2660
.LBB4_610:
	s_or_b64 exec, exec, s[6:7]
	s_and_saveexec_b64 s[6:7], s[4:5]
	s_cbranch_execz .LBB4_612
.LBB4_611:
	v_mov_b32_e32 v2, 8
	v_and_b32_e32 v3, 7, v9
	v_lshrrev_b32_sdwa v2, v2, v9 dst_sel:BYTE_1 dst_unused:UNUSED_PAD src0_sel:DWORD src1_sel:DWORD
	v_ffbh_u32_e32 v4, v3
	v_or_b32_sdwa v2, v9, v2 dst_sel:DWORD dst_unused:UNUSED_PAD src0_sel:BYTE_0 src1_sel:DWORD
	v_min_u32_e32 v4, 32, v4
	v_lshrrev_b16_e32 v2, 3, v2
	v_subrev_u32_e32 v6, 28, v4
	v_and_b32_e32 v2, 15, v2
	v_lshlrev_b32_e32 v6, v6, v9
	v_sub_u32_e32 v4, 29, v4
	v_and_b32_e32 v6, 7, v6
	v_cmp_eq_u16_e32 vcc, 0, v2
	v_cndmask_b32_e32 v3, v3, v6, vcc
	v_cndmask_b32_e32 v2, v2, v4, vcc
	v_lshlrev_b32_e32 v4, 24, v9
	v_mov_b32_e32 v6, 0x3b800000
	v_lshlrev_b32_e32 v3, 20, v3
	v_and_b32_e32 v4, 0x80000000, v4
	v_lshl_add_u32 v2, v2, 23, v6
	v_or3_b32 v2, v4, v2, v3
.LBB4_612:
	s_or_b64 exec, exec, s[6:7]
	s_movk_i32 s4, 0x7f
	v_cmp_gt_i16_sdwa s[6:7], v5, s4 src0_sel:BYTE_0 src1_sel:DWORD
	s_mov_b64 s[4:5], 0
                                        ; implicit-def: $sgpr10
	s_and_saveexec_b64 s[8:9], s[6:7]
	s_xor_b64 s[6:7], exec, s[8:9]
	s_cbranch_execnz .LBB4_2661
; %bb.613:
	s_or_saveexec_b64 s[6:7], s[6:7]
	v_mov_b32_e32 v3, s10
	s_xor_b64 exec, exec, s[6:7]
	s_cbranch_execnz .LBB4_2664
.LBB4_614:
	s_or_b64 exec, exec, s[6:7]
	s_and_saveexec_b64 s[6:7], s[4:5]
	s_cbranch_execz .LBB4_616
.LBB4_615:
	v_mov_b32_e32 v3, 8
	v_and_b32_e32 v4, 7, v5
	v_lshrrev_b32_sdwa v3, v3, v5 dst_sel:BYTE_1 dst_unused:UNUSED_PAD src0_sel:DWORD src1_sel:DWORD
	v_ffbh_u32_e32 v6, v4
	v_or_b32_sdwa v3, v5, v3 dst_sel:DWORD dst_unused:UNUSED_PAD src0_sel:BYTE_0 src1_sel:DWORD
	v_min_u32_e32 v6, 32, v6
	v_lshrrev_b16_e32 v3, 3, v3
	v_subrev_u32_e32 v7, 28, v6
	v_and_b32_e32 v3, 15, v3
	v_lshlrev_b32_e32 v7, v7, v5
	v_sub_u32_e32 v6, 29, v6
	v_and_b32_e32 v7, 7, v7
	v_cmp_eq_u16_e32 vcc, 0, v3
	v_cndmask_b32_e32 v4, v4, v7, vcc
	v_cndmask_b32_e32 v3, v3, v6, vcc
	v_lshlrev_b32_e32 v6, 24, v5
	v_mov_b32_e32 v7, 0x3b800000
	v_lshlrev_b32_e32 v4, 20, v4
	v_and_b32_e32 v6, 0x80000000, v6
	v_lshl_add_u32 v3, v3, 23, v7
	v_or3_b32 v3, v6, v3, v4
.LBB4_616:
	s_or_b64 exec, exec, s[6:7]
	s_nop 0
	v_mfma_f32_16x16x4f32 a[0:3], v2, v3, a[0:3]
	v_lshrrev_b32_e32 v3, 8, v9
	s_movk_i32 s4, 0x7f
	v_cmp_gt_i16_sdwa s[6:7], v3, s4 src0_sel:BYTE_0 src1_sel:DWORD
	s_mov_b64 s[4:5], 0
                                        ; implicit-def: $sgpr10
	s_and_saveexec_b64 s[8:9], s[6:7]
	s_xor_b64 s[6:7], exec, s[8:9]
	s_cbranch_execnz .LBB4_2665
; %bb.617:
	s_or_saveexec_b64 s[6:7], s[6:7]
	v_mov_b32_e32 v2, s10
	s_xor_b64 exec, exec, s[6:7]
	s_cbranch_execnz .LBB4_2668
.LBB4_618:
	s_or_b64 exec, exec, s[6:7]
	s_and_saveexec_b64 s[6:7], s[4:5]
	s_cbranch_execz .LBB4_620
.LBB4_619:
	v_bfe_u32 v2, v9, 8, 3
	v_ffbh_u32_e32 v6, v2
	v_min_u32_e32 v6, 32, v6
	v_lshrrev_b16_e32 v4, 3, v3
	v_subrev_u32_e32 v7, 28, v6
	v_and_b32_e32 v4, 15, v4
	v_lshlrev_b32_e32 v3, v7, v3
	v_sub_u32_e32 v6, 29, v6
	v_and_b32_e32 v3, 7, v3
	v_cmp_eq_u16_e32 vcc, 0, v4
	v_cndmask_b32_e32 v2, v2, v3, vcc
	v_cndmask_b32_e32 v3, v4, v6, vcc
	v_lshlrev_b32_e32 v4, 16, v9
	v_mov_b32_e32 v6, 0x3b800000
	v_lshlrev_b32_e32 v2, 20, v2
	v_and_b32_e32 v4, 0x80000000, v4
	v_lshl_add_u32 v3, v3, 23, v6
	v_or3_b32 v2, v4, v3, v2
.LBB4_620:
	s_or_b64 exec, exec, s[6:7]
	v_lshrrev_b32_e32 v3, 8, v5
	s_movk_i32 s4, 0x7f
	v_cmp_gt_i16_sdwa s[6:7], v3, s4 src0_sel:BYTE_0 src1_sel:DWORD
	s_mov_b64 s[4:5], 0
                                        ; implicit-def: $sgpr10
	s_and_saveexec_b64 s[8:9], s[6:7]
	s_xor_b64 s[6:7], exec, s[8:9]
	s_cbranch_execnz .LBB4_2669
; %bb.621:
	s_or_saveexec_b64 s[6:7], s[6:7]
	v_mov_b32_e32 v4, s10
	s_xor_b64 exec, exec, s[6:7]
	s_cbranch_execnz .LBB4_2672
.LBB4_622:
	s_or_b64 exec, exec, s[6:7]
	s_and_saveexec_b64 s[6:7], s[4:5]
	s_cbranch_execz .LBB4_624
.LBB4_623:
	v_bfe_u32 v4, v5, 8, 3
	v_ffbh_u32_e32 v7, v4
	v_min_u32_e32 v7, 32, v7
	v_lshrrev_b16_e32 v6, 3, v3
	v_subrev_u32_e32 v8, 28, v7
	v_and_b32_e32 v6, 15, v6
	v_lshlrev_b32_e32 v3, v8, v3
	v_sub_u32_e32 v7, 29, v7
	v_and_b32_e32 v3, 7, v3
	v_cmp_eq_u16_e32 vcc, 0, v6
	v_cndmask_b32_e32 v3, v4, v3, vcc
	v_cndmask_b32_e32 v4, v6, v7, vcc
	v_lshlrev_b32_e32 v6, 16, v5
	v_mov_b32_e32 v7, 0x3b800000
	v_lshlrev_b32_e32 v3, 20, v3
	v_and_b32_e32 v6, 0x80000000, v6
	v_lshl_add_u32 v4, v4, 23, v7
	v_or3_b32 v4, v6, v4, v3
.LBB4_624:
	s_or_b64 exec, exec, s[6:7]
	s_nop 0
	v_mfma_f32_16x16x4f32 a[0:3], v2, v4, a[0:3]
	s_movk_i32 s4, 0xff
	v_and_b32_sdwa v3, v9, s4 dst_sel:DWORD dst_unused:UNUSED_PAD src0_sel:WORD_1 src1_sel:DWORD
	s_movk_i32 s4, 0x7f
	v_cmp_lt_i16_e32 vcc, s4, v3
	s_mov_b64 s[4:5], 0
                                        ; implicit-def: $sgpr10
	s_and_saveexec_b64 s[6:7], vcc
	s_xor_b64 s[6:7], exec, s[6:7]
	s_cbranch_execnz .LBB4_2673
; %bb.625:
	s_or_saveexec_b64 s[6:7], s[6:7]
	v_mov_b32_e32 v2, s10
	s_xor_b64 exec, exec, s[6:7]
	s_cbranch_execnz .LBB4_2676
.LBB4_626:
	s_or_b64 exec, exec, s[6:7]
	s_and_saveexec_b64 s[6:7], s[4:5]
	s_cbranch_execz .LBB4_628
.LBB4_627:
	v_bfe_u32 v2, v9, 16, 3
	v_ffbh_u32_e32 v6, v2
	v_min_u32_e32 v6, 32, v6
	v_lshrrev_b32_e32 v3, 19, v9
	v_subrev_u32_e32 v7, 28, v6
	v_and_b32_e32 v3, 15, v3
	v_lshlrev_b32_sdwa v7, v7, v9 dst_sel:DWORD dst_unused:UNUSED_PAD src0_sel:DWORD src1_sel:WORD_1
	v_bfe_u32 v4, v9, 19, 4
	v_sub_u32_e32 v6, 29, v6
	v_and_b32_e32 v7, 7, v7
	v_cmp_eq_u16_e32 vcc, 0, v3
	v_cndmask_b32_e32 v2, v2, v7, vcc
	v_cndmask_b32_e32 v3, v4, v6, vcc
	v_lshlrev_b32_e32 v4, 8, v9
	v_mov_b32_e32 v6, 0x3b800000
	v_lshlrev_b32_e32 v2, 20, v2
	v_and_b32_e32 v4, 0x80000000, v4
	v_lshl_add_u32 v3, v3, 23, v6
	v_or3_b32 v2, v4, v3, v2
.LBB4_628:
	s_or_b64 exec, exec, s[6:7]
	s_movk_i32 s4, 0xff
	v_and_b32_sdwa v3, v5, s4 dst_sel:DWORD dst_unused:UNUSED_PAD src0_sel:WORD_1 src1_sel:DWORD
	s_movk_i32 s4, 0x7f
	v_cmp_lt_i16_e32 vcc, s4, v3
	s_mov_b64 s[4:5], 0
                                        ; implicit-def: $sgpr10
	s_and_saveexec_b64 s[6:7], vcc
	s_xor_b64 s[6:7], exec, s[6:7]
	s_cbranch_execnz .LBB4_2677
; %bb.629:
	s_or_saveexec_b64 s[6:7], s[6:7]
	v_mov_b32_e32 v4, s10
	s_xor_b64 exec, exec, s[6:7]
	s_cbranch_execnz .LBB4_2680
.LBB4_630:
	s_or_b64 exec, exec, s[6:7]
	s_and_saveexec_b64 s[6:7], s[4:5]
	s_cbranch_execz .LBB4_632
.LBB4_631:
	v_bfe_u32 v3, v5, 16, 3
	v_ffbh_u32_e32 v7, v3
	v_min_u32_e32 v7, 32, v7
	v_lshrrev_b32_e32 v4, 19, v5
	v_subrev_u32_e32 v8, 28, v7
	v_and_b32_e32 v4, 15, v4
	v_lshlrev_b32_sdwa v8, v8, v5 dst_sel:DWORD dst_unused:UNUSED_PAD src0_sel:DWORD src1_sel:WORD_1
	v_bfe_u32 v6, v5, 19, 4
	v_sub_u32_e32 v7, 29, v7
	v_and_b32_e32 v8, 7, v8
	v_cmp_eq_u16_e32 vcc, 0, v4
	v_cndmask_b32_e32 v3, v3, v8, vcc
	v_cndmask_b32_e32 v4, v6, v7, vcc
	v_lshlrev_b32_e32 v6, 8, v5
	v_mov_b32_e32 v7, 0x3b800000
	v_lshlrev_b32_e32 v3, 20, v3
	v_and_b32_e32 v6, 0x80000000, v6
	v_lshl_add_u32 v4, v4, 23, v7
	v_or3_b32 v4, v6, v4, v3
.LBB4_632:
	s_or_b64 exec, exec, s[6:7]
	s_nop 0
	v_mfma_f32_16x16x4f32 a[0:3], v2, v4, a[0:3]
	s_movk_i32 s4, 0x7f
	v_cmp_gt_i16_sdwa s[6:7], v9, s4 src0_sel:BYTE_3 src1_sel:DWORD
	s_mov_b64 s[4:5], 0
                                        ; implicit-def: $sgpr10
	s_and_saveexec_b64 s[8:9], s[6:7]
	s_xor_b64 s[6:7], exec, s[8:9]
	s_cbranch_execnz .LBB4_2681
; %bb.633:
	s_or_saveexec_b64 s[6:7], s[6:7]
	v_mov_b32_e32 v2, s10
	s_xor_b64 exec, exec, s[6:7]
	s_cbranch_execnz .LBB4_2684
.LBB4_634:
	s_or_b64 exec, exec, s[6:7]
	s_and_saveexec_b64 s[6:7], s[4:5]
	s_cbranch_execz .LBB4_636
.LBB4_635:
	v_bfe_u32 v2, v9, 24, 3
	v_ffbh_u32_e32 v7, v2
	v_min_u32_e32 v7, 32, v7
	v_lshrrev_b32_e32 v4, 27, v9
	v_subrev_u32_e32 v8, 28, v7
	v_and_b32_e32 v4, 15, v4
	v_lshlrev_b32_sdwa v8, v8, v9 dst_sel:DWORD dst_unused:UNUSED_PAD src0_sel:DWORD src1_sel:BYTE_3
	v_bfe_u32 v6, v9, 27, 4
	v_sub_u32_e32 v7, 29, v7
	v_and_b32_e32 v8, 7, v8
	v_cmp_eq_u16_e32 vcc, 0, v4
	v_cndmask_b32_e32 v2, v2, v8, vcc
	v_cndmask_b32_e32 v4, v6, v7, vcc
	v_mov_b32_e32 v6, 0x3b800000
	v_and_b32_e32 v3, 0x80000000, v9
	v_lshlrev_b32_e32 v2, 20, v2
	v_lshl_add_u32 v4, v4, 23, v6
	v_or3_b32 v2, v3, v4, v2
.LBB4_636:
	s_or_b64 exec, exec, s[6:7]
	s_movk_i32 s4, 0x7f
	v_cmp_gt_i16_sdwa s[6:7], v5, s4 src0_sel:BYTE_3 src1_sel:DWORD
	s_mov_b64 s[4:5], 0
                                        ; implicit-def: $sgpr10
	s_and_saveexec_b64 s[8:9], s[6:7]
	s_xor_b64 s[6:7], exec, s[8:9]
	s_cbranch_execnz .LBB4_2685
; %bb.637:
	s_or_saveexec_b64 s[6:7], s[6:7]
	v_mov_b32_e32 v3, s10
	s_xor_b64 exec, exec, s[6:7]
	s_cbranch_execnz .LBB4_2688
.LBB4_638:
	s_or_b64 exec, exec, s[6:7]
	s_and_saveexec_b64 s[6:7], s[4:5]
	s_cbranch_execz .LBB4_640
.LBB4_639:
	v_bfe_u32 v3, v5, 24, 3
	v_ffbh_u32_e32 v8, v3
	v_min_u32_e32 v8, 32, v8
	v_lshrrev_b32_e32 v6, 27, v5
	v_subrev_u32_e32 v9, 28, v8
	v_and_b32_e32 v4, 0x80000000, v5
	v_and_b32_e32 v6, 15, v6
	v_bfe_u32 v7, v5, 27, 4
	v_lshlrev_b32_sdwa v5, v9, v5 dst_sel:DWORD dst_unused:UNUSED_PAD src0_sel:DWORD src1_sel:BYTE_3
	v_sub_u32_e32 v8, 29, v8
	v_and_b32_e32 v5, 7, v5
	v_cmp_eq_u16_e32 vcc, 0, v6
	v_cndmask_b32_e32 v3, v3, v5, vcc
	v_cndmask_b32_e32 v5, v7, v8, vcc
	v_mov_b32_e32 v6, 0x3b800000
	v_lshlrev_b32_e32 v3, 20, v3
	v_lshl_add_u32 v5, v5, 23, v6
	v_or3_b32 v3, v4, v5, v3
.LBB4_640:
	s_or_b64 exec, exec, s[6:7]
	s_nop 0
	v_mfma_f32_16x16x4f32 a[0:3], v2, v3, a[0:3]
	s_movk_i32 s4, 0x7f
                                        ; implicit-def: $sgpr10
	s_nop 7
	s_nop 1
	flat_store_dwordx4 v[10:11], a[0:3] offset:64
	flat_load_dwordx4 v[12:15], v[0:1] offset:8
	s_nop 0
	flat_load_dwordx2 v[10:11], v[0:1] offset:32
	s_waitcnt vmcnt(0) lgkmcnt(0)
	flat_load_dwordx4 v[6:9], v[12:13] offset:48
	flat_load_dwordx4 v[2:5], v[14:15] offset:48
	s_waitcnt vmcnt(0) lgkmcnt(0)
	v_cmp_gt_i16_sdwa s[6:7], v6, s4 src0_sel:BYTE_0 src1_sel:DWORD
	s_mov_b64 s[4:5], 0
	s_and_saveexec_b64 s[8:9], s[6:7]
	s_xor_b64 s[6:7], exec, s[8:9]
	s_cbranch_execnz .LBB4_2689
; %bb.641:
	s_or_saveexec_b64 s[6:7], s[6:7]
	v_mov_b32_e32 v12, s10
	s_xor_b64 exec, exec, s[6:7]
	s_cbranch_execnz .LBB4_2692
.LBB4_642:
	s_or_b64 exec, exec, s[6:7]
	s_and_saveexec_b64 s[6:7], s[4:5]
	s_cbranch_execz .LBB4_644
.LBB4_643:
	v_and_b32_e32 v12, 7, v6
	v_ffbh_u32_e32 v14, v12
	v_min_u32_e32 v14, 32, v14
	v_lshrrev_b16_e32 v13, 3, v6
	v_subrev_u32_e32 v15, 28, v14
	v_and_b32_e32 v13, 15, v13
	v_lshlrev_b32_e32 v15, v15, v6
	v_sub_u32_e32 v14, 29, v14
	v_and_b32_e32 v15, 7, v15
	v_cmp_eq_u16_e32 vcc, 0, v13
	v_cndmask_b32_e32 v12, v12, v15, vcc
	v_cndmask_b32_e32 v13, v13, v14, vcc
	v_lshlrev_b32_e32 v14, 24, v6
	v_mov_b32_e32 v15, 0x3b800000
	v_lshlrev_b32_e32 v12, 20, v12
	v_and_b32_e32 v14, 0x80000000, v14
	v_lshl_add_u32 v13, v13, 23, v15
	v_or3_b32 v12, v14, v13, v12
.LBB4_644:
	s_or_b64 exec, exec, s[6:7]
	s_movk_i32 s4, 0x7f
	v_cmp_gt_i16_sdwa s[6:7], v2, s4 src0_sel:BYTE_0 src1_sel:DWORD
	s_mov_b64 s[4:5], 0
                                        ; implicit-def: $sgpr10
	s_and_saveexec_b64 s[8:9], s[6:7]
	s_xor_b64 s[6:7], exec, s[8:9]
	s_cbranch_execnz .LBB4_2693
; %bb.645:
	s_or_saveexec_b64 s[6:7], s[6:7]
	v_mov_b32_e32 v13, s10
	s_xor_b64 exec, exec, s[6:7]
	s_cbranch_execnz .LBB4_2696
.LBB4_646:
	s_or_b64 exec, exec, s[6:7]
	s_and_saveexec_b64 s[6:7], s[4:5]
	s_cbranch_execz .LBB4_648
.LBB4_647:
	v_and_b32_e32 v13, 7, v2
	v_ffbh_u32_e32 v15, v13
	v_min_u32_e32 v15, 32, v15
	v_lshrrev_b16_e32 v14, 3, v2
	v_subrev_u32_e32 v16, 28, v15
	v_and_b32_e32 v14, 15, v14
	v_lshlrev_b32_e32 v16, v16, v2
	v_sub_u32_e32 v15, 29, v15
	v_and_b32_e32 v16, 7, v16
	v_cmp_eq_u16_e32 vcc, 0, v14
	v_cndmask_b32_e32 v13, v13, v16, vcc
	v_cndmask_b32_e32 v14, v14, v15, vcc
	v_lshlrev_b32_e32 v15, 24, v2
	v_mov_b32_e32 v16, 0x3b800000
	v_lshlrev_b32_e32 v13, 20, v13
	v_and_b32_e32 v15, 0x80000000, v15
	v_lshl_add_u32 v14, v14, 23, v16
	v_or3_b32 v13, v15, v14, v13
.LBB4_648:
	s_or_b64 exec, exec, s[6:7]
	flat_load_dwordx4 a[0:3], v[10:11] offset:80
	s_movk_i32 s4, 0x7f
                                        ; implicit-def: $sgpr10
	s_waitcnt vmcnt(0) lgkmcnt(0)
	v_mfma_f32_16x16x4f32 a[0:3], v12, v13, a[0:3]
	v_lshrrev_b32_e32 v13, 8, v6
	v_cmp_gt_i16_sdwa s[6:7], v13, s4 src0_sel:BYTE_0 src1_sel:DWORD
	s_mov_b64 s[4:5], 0
	s_and_saveexec_b64 s[8:9], s[6:7]
	s_xor_b64 s[6:7], exec, s[8:9]
	s_cbranch_execnz .LBB4_2697
; %bb.649:
	s_or_saveexec_b64 s[6:7], s[6:7]
	v_mov_b32_e32 v12, s10
	s_xor_b64 exec, exec, s[6:7]
	s_cbranch_execnz .LBB4_2700
.LBB4_650:
	s_or_b64 exec, exec, s[6:7]
	s_and_saveexec_b64 s[6:7], s[4:5]
	s_cbranch_execz .LBB4_652
.LBB4_651:
	v_bfe_u32 v12, v6, 8, 3
	v_ffbh_u32_e32 v15, v12
	v_min_u32_e32 v15, 32, v15
	v_lshrrev_b16_e32 v14, 3, v13
	v_subrev_u32_e32 v16, 28, v15
	v_and_b32_e32 v14, 15, v14
	v_lshlrev_b32_e32 v13, v16, v13
	v_sub_u32_e32 v15, 29, v15
	v_and_b32_e32 v13, 7, v13
	v_cmp_eq_u16_e32 vcc, 0, v14
	v_cndmask_b32_e32 v12, v12, v13, vcc
	v_cndmask_b32_e32 v13, v14, v15, vcc
	v_lshlrev_b32_e32 v14, 16, v6
	v_mov_b32_e32 v15, 0x3b800000
	v_lshlrev_b32_e32 v12, 20, v12
	v_and_b32_e32 v14, 0x80000000, v14
	v_lshl_add_u32 v13, v13, 23, v15
	v_or3_b32 v12, v14, v13, v12
.LBB4_652:
	s_or_b64 exec, exec, s[6:7]
	v_lshrrev_b32_e32 v13, 8, v2
	s_movk_i32 s4, 0x7f
	v_cmp_gt_i16_sdwa s[6:7], v13, s4 src0_sel:BYTE_0 src1_sel:DWORD
	s_mov_b64 s[4:5], 0
                                        ; implicit-def: $sgpr10
	s_and_saveexec_b64 s[8:9], s[6:7]
	s_xor_b64 s[6:7], exec, s[8:9]
	s_cbranch_execnz .LBB4_2701
; %bb.653:
	s_or_saveexec_b64 s[6:7], s[6:7]
	v_mov_b32_e32 v14, s10
	s_xor_b64 exec, exec, s[6:7]
	s_cbranch_execnz .LBB4_2704
.LBB4_654:
	s_or_b64 exec, exec, s[6:7]
	s_and_saveexec_b64 s[6:7], s[4:5]
	s_cbranch_execz .LBB4_656
.LBB4_655:
	v_bfe_u32 v14, v2, 8, 3
	v_ffbh_u32_e32 v16, v14
	v_min_u32_e32 v16, 32, v16
	v_lshrrev_b16_e32 v15, 3, v13
	v_subrev_u32_e32 v17, 28, v16
	v_and_b32_e32 v15, 15, v15
	v_lshlrev_b32_e32 v13, v17, v13
	v_sub_u32_e32 v16, 29, v16
	v_and_b32_e32 v13, 7, v13
	v_cmp_eq_u16_e32 vcc, 0, v15
	v_cndmask_b32_e32 v13, v14, v13, vcc
	v_cndmask_b32_e32 v14, v15, v16, vcc
	v_lshlrev_b32_e32 v15, 16, v2
	v_mov_b32_e32 v16, 0x3b800000
	v_lshlrev_b32_e32 v13, 20, v13
	v_and_b32_e32 v15, 0x80000000, v15
	v_lshl_add_u32 v14, v14, 23, v16
	v_or3_b32 v14, v15, v14, v13
.LBB4_656:
	s_or_b64 exec, exec, s[6:7]
	s_nop 0
	v_mfma_f32_16x16x4f32 a[0:3], v12, v14, a[0:3]
	s_movk_i32 s4, 0xff
	v_and_b32_sdwa v13, v6, s4 dst_sel:DWORD dst_unused:UNUSED_PAD src0_sel:WORD_1 src1_sel:DWORD
	s_movk_i32 s4, 0x7f
	v_cmp_lt_i16_e32 vcc, s4, v13
	s_mov_b64 s[4:5], 0
                                        ; implicit-def: $sgpr10
	s_and_saveexec_b64 s[6:7], vcc
	s_xor_b64 s[6:7], exec, s[6:7]
	s_cbranch_execnz .LBB4_2705
; %bb.657:
	s_or_saveexec_b64 s[6:7], s[6:7]
	v_mov_b32_e32 v12, s10
	s_xor_b64 exec, exec, s[6:7]
	s_cbranch_execnz .LBB4_2708
.LBB4_658:
	s_or_b64 exec, exec, s[6:7]
	s_and_saveexec_b64 s[6:7], s[4:5]
	s_cbranch_execz .LBB4_660
.LBB4_659:
	v_bfe_u32 v12, v6, 16, 3
	v_ffbh_u32_e32 v15, v12
	v_min_u32_e32 v15, 32, v15
	v_lshrrev_b32_e32 v13, 19, v6
	v_subrev_u32_e32 v16, 28, v15
	v_and_b32_e32 v13, 15, v13
	v_lshlrev_b32_sdwa v16, v16, v6 dst_sel:DWORD dst_unused:UNUSED_PAD src0_sel:DWORD src1_sel:WORD_1
	v_bfe_u32 v14, v6, 19, 4
	v_sub_u32_e32 v15, 29, v15
	v_and_b32_e32 v16, 7, v16
	v_cmp_eq_u16_e32 vcc, 0, v13
	v_cndmask_b32_e32 v12, v12, v16, vcc
	v_cndmask_b32_e32 v13, v14, v15, vcc
	v_lshlrev_b32_e32 v14, 8, v6
	v_mov_b32_e32 v15, 0x3b800000
	v_lshlrev_b32_e32 v12, 20, v12
	v_and_b32_e32 v14, 0x80000000, v14
	v_lshl_add_u32 v13, v13, 23, v15
	v_or3_b32 v12, v14, v13, v12
.LBB4_660:
	s_or_b64 exec, exec, s[6:7]
	s_movk_i32 s4, 0xff
	v_and_b32_sdwa v13, v2, s4 dst_sel:DWORD dst_unused:UNUSED_PAD src0_sel:WORD_1 src1_sel:DWORD
	s_movk_i32 s4, 0x7f
	v_cmp_lt_i16_e32 vcc, s4, v13
	s_mov_b64 s[4:5], 0
                                        ; implicit-def: $sgpr10
	s_and_saveexec_b64 s[6:7], vcc
	s_xor_b64 s[6:7], exec, s[6:7]
	s_cbranch_execnz .LBB4_2709
; %bb.661:
	s_or_saveexec_b64 s[6:7], s[6:7]
	v_mov_b32_e32 v14, s10
	s_xor_b64 exec, exec, s[6:7]
	s_cbranch_execnz .LBB4_2712
.LBB4_662:
	s_or_b64 exec, exec, s[6:7]
	s_and_saveexec_b64 s[6:7], s[4:5]
	s_cbranch_execz .LBB4_664
.LBB4_663:
	v_bfe_u32 v13, v2, 16, 3
	v_ffbh_u32_e32 v16, v13
	v_min_u32_e32 v16, 32, v16
	v_lshrrev_b32_e32 v14, 19, v2
	v_subrev_u32_e32 v17, 28, v16
	v_and_b32_e32 v14, 15, v14
	v_lshlrev_b32_sdwa v17, v17, v2 dst_sel:DWORD dst_unused:UNUSED_PAD src0_sel:DWORD src1_sel:WORD_1
	v_bfe_u32 v15, v2, 19, 4
	v_sub_u32_e32 v16, 29, v16
	v_and_b32_e32 v17, 7, v17
	v_cmp_eq_u16_e32 vcc, 0, v14
	v_cndmask_b32_e32 v13, v13, v17, vcc
	v_cndmask_b32_e32 v14, v15, v16, vcc
	v_lshlrev_b32_e32 v15, 8, v2
	v_mov_b32_e32 v16, 0x3b800000
	v_lshlrev_b32_e32 v13, 20, v13
	v_and_b32_e32 v15, 0x80000000, v15
	v_lshl_add_u32 v14, v14, 23, v16
	v_or3_b32 v14, v15, v14, v13
.LBB4_664:
	s_or_b64 exec, exec, s[6:7]
	s_nop 0
	v_mfma_f32_16x16x4f32 a[0:3], v12, v14, a[0:3]
	s_movk_i32 s4, 0x7f
	v_cmp_gt_i16_sdwa s[6:7], v6, s4 src0_sel:BYTE_3 src1_sel:DWORD
	s_mov_b64 s[4:5], 0
                                        ; implicit-def: $sgpr10
	s_and_saveexec_b64 s[8:9], s[6:7]
	s_xor_b64 s[6:7], exec, s[8:9]
	s_cbranch_execnz .LBB4_2713
; %bb.665:
	s_or_saveexec_b64 s[6:7], s[6:7]
	v_mov_b32_e32 v12, s10
	s_xor_b64 exec, exec, s[6:7]
	s_cbranch_execnz .LBB4_2716
.LBB4_666:
	s_or_b64 exec, exec, s[6:7]
	s_and_saveexec_b64 s[6:7], s[4:5]
	s_cbranch_execz .LBB4_668
.LBB4_667:
	v_bfe_u32 v12, v6, 24, 3
	v_ffbh_u32_e32 v16, v12
	v_min_u32_e32 v16, 32, v16
	v_lshrrev_b32_e32 v14, 27, v6
	v_subrev_u32_e32 v17, 28, v16
	v_and_b32_e32 v13, 0x80000000, v6
	v_and_b32_e32 v14, 15, v14
	v_bfe_u32 v15, v6, 27, 4
	v_lshlrev_b32_sdwa v6, v17, v6 dst_sel:DWORD dst_unused:UNUSED_PAD src0_sel:DWORD src1_sel:BYTE_3
	v_sub_u32_e32 v16, 29, v16
	v_and_b32_e32 v6, 7, v6
	v_cmp_eq_u16_e32 vcc, 0, v14
	v_cndmask_b32_e32 v6, v12, v6, vcc
	v_cndmask_b32_e32 v12, v15, v16, vcc
	v_mov_b32_e32 v14, 0x3b800000
	v_lshlrev_b32_e32 v6, 20, v6
	v_lshl_add_u32 v12, v12, 23, v14
	v_or3_b32 v12, v13, v12, v6
.LBB4_668:
	s_or_b64 exec, exec, s[6:7]
	s_movk_i32 s4, 0x7f
	v_cmp_gt_i16_sdwa s[6:7], v2, s4 src0_sel:BYTE_3 src1_sel:DWORD
	s_mov_b64 s[4:5], 0
                                        ; implicit-def: $sgpr10
	s_and_saveexec_b64 s[8:9], s[6:7]
	s_xor_b64 s[6:7], exec, s[8:9]
	s_cbranch_execnz .LBB4_2717
; %bb.669:
	s_or_saveexec_b64 s[6:7], s[6:7]
	v_mov_b32_e32 v6, s10
	s_xor_b64 exec, exec, s[6:7]
	s_cbranch_execnz .LBB4_2720
.LBB4_670:
	s_or_b64 exec, exec, s[6:7]
	s_and_saveexec_b64 s[6:7], s[4:5]
	s_cbranch_execz .LBB4_672
.LBB4_671:
	v_bfe_u32 v6, v2, 24, 3
	v_ffbh_u32_e32 v16, v6
	v_min_u32_e32 v16, 32, v16
	v_lshrrev_b32_e32 v14, 27, v2
	v_subrev_u32_e32 v17, 28, v16
	v_and_b32_e32 v13, 0x80000000, v2
	v_and_b32_e32 v14, 15, v14
	v_bfe_u32 v15, v2, 27, 4
	v_lshlrev_b32_sdwa v2, v17, v2 dst_sel:DWORD dst_unused:UNUSED_PAD src0_sel:DWORD src1_sel:BYTE_3
	v_sub_u32_e32 v16, 29, v16
	v_and_b32_e32 v2, 7, v2
	v_cmp_eq_u16_e32 vcc, 0, v14
	v_cndmask_b32_e32 v2, v6, v2, vcc
	v_cndmask_b32_e32 v6, v15, v16, vcc
	v_mov_b32_e32 v14, 0x3b800000
	v_lshlrev_b32_e32 v2, 20, v2
	v_lshl_add_u32 v6, v6, 23, v14
	v_or3_b32 v6, v13, v6, v2
.LBB4_672:
	s_or_b64 exec, exec, s[6:7]
	s_nop 0
	v_mfma_f32_16x16x4f32 a[0:3], v12, v6, a[0:3]
	s_movk_i32 s4, 0x7f
	v_cmp_gt_i16_sdwa s[6:7], v7, s4 src0_sel:BYTE_0 src1_sel:DWORD
	s_mov_b64 s[4:5], 0
                                        ; implicit-def: $sgpr10
	s_and_saveexec_b64 s[8:9], s[6:7]
	s_xor_b64 s[6:7], exec, s[8:9]
	s_cbranch_execnz .LBB4_2721
; %bb.673:
	s_or_saveexec_b64 s[6:7], s[6:7]
	v_mov_b32_e32 v2, s10
	s_xor_b64 exec, exec, s[6:7]
	s_cbranch_execnz .LBB4_2724
.LBB4_674:
	s_or_b64 exec, exec, s[6:7]
	s_and_saveexec_b64 s[6:7], s[4:5]
	s_cbranch_execz .LBB4_676
.LBB4_675:
	v_and_b32_e32 v2, 7, v7
	v_ffbh_u32_e32 v12, v2
	v_min_u32_e32 v12, 32, v12
	v_lshrrev_b16_e32 v6, 3, v7
	v_subrev_u32_e32 v13, 28, v12
	v_and_b32_e32 v6, 15, v6
	v_lshlrev_b32_e32 v13, v13, v7
	v_sub_u32_e32 v12, 29, v12
	v_and_b32_e32 v13, 7, v13
	v_cmp_eq_u16_e32 vcc, 0, v6
	v_cndmask_b32_e32 v2, v2, v13, vcc
	v_cndmask_b32_e32 v6, v6, v12, vcc
	v_lshlrev_b32_e32 v12, 24, v7
	v_mov_b32_e32 v13, 0x3b800000
	v_lshlrev_b32_e32 v2, 20, v2
	v_and_b32_e32 v12, 0x80000000, v12
	v_lshl_add_u32 v6, v6, 23, v13
	v_or3_b32 v2, v12, v6, v2
.LBB4_676:
	s_or_b64 exec, exec, s[6:7]
	s_movk_i32 s4, 0x7f
	v_cmp_gt_i16_sdwa s[6:7], v3, s4 src0_sel:BYTE_0 src1_sel:DWORD
	s_mov_b64 s[4:5], 0
                                        ; implicit-def: $sgpr10
	s_and_saveexec_b64 s[8:9], s[6:7]
	s_xor_b64 s[6:7], exec, s[8:9]
	s_cbranch_execnz .LBB4_2725
; %bb.677:
	s_or_saveexec_b64 s[6:7], s[6:7]
	v_mov_b32_e32 v6, s10
	s_xor_b64 exec, exec, s[6:7]
	s_cbranch_execnz .LBB4_2728
.LBB4_678:
	s_or_b64 exec, exec, s[6:7]
	s_and_saveexec_b64 s[6:7], s[4:5]
	s_cbranch_execz .LBB4_680
.LBB4_679:
	v_and_b32_e32 v6, 7, v3
	v_ffbh_u32_e32 v13, v6
	v_min_u32_e32 v13, 32, v13
	v_lshrrev_b16_e32 v12, 3, v3
	v_subrev_u32_e32 v14, 28, v13
	v_and_b32_e32 v12, 15, v12
	v_lshlrev_b32_e32 v14, v14, v3
	v_sub_u32_e32 v13, 29, v13
	v_and_b32_e32 v14, 7, v14
	v_cmp_eq_u16_e32 vcc, 0, v12
	v_cndmask_b32_e32 v6, v6, v14, vcc
	v_cndmask_b32_e32 v12, v12, v13, vcc
	v_lshlrev_b32_e32 v13, 24, v3
	v_mov_b32_e32 v14, 0x3b800000
	v_lshlrev_b32_e32 v6, 20, v6
	v_and_b32_e32 v13, 0x80000000, v13
	v_lshl_add_u32 v12, v12, 23, v14
	v_or3_b32 v6, v13, v12, v6
.LBB4_680:
	s_or_b64 exec, exec, s[6:7]
	s_nop 0
	v_mfma_f32_16x16x4f32 a[0:3], v2, v6, a[0:3]
	v_lshrrev_b32_e32 v6, 8, v7
	s_movk_i32 s4, 0x7f
	v_cmp_gt_i16_sdwa s[6:7], v6, s4 src0_sel:BYTE_0 src1_sel:DWORD
	s_mov_b64 s[4:5], 0
                                        ; implicit-def: $sgpr10
	s_and_saveexec_b64 s[8:9], s[6:7]
	s_xor_b64 s[6:7], exec, s[8:9]
	s_cbranch_execnz .LBB4_2729
; %bb.681:
	s_or_saveexec_b64 s[6:7], s[6:7]
	v_mov_b32_e32 v2, s10
	s_xor_b64 exec, exec, s[6:7]
	s_cbranch_execnz .LBB4_2732
.LBB4_682:
	s_or_b64 exec, exec, s[6:7]
	s_and_saveexec_b64 s[6:7], s[4:5]
	s_cbranch_execz .LBB4_684
.LBB4_683:
	v_bfe_u32 v2, v7, 8, 3
	v_ffbh_u32_e32 v13, v2
	v_min_u32_e32 v13, 32, v13
	v_lshrrev_b16_e32 v12, 3, v6
	v_subrev_u32_e32 v14, 28, v13
	v_and_b32_e32 v12, 15, v12
	v_lshlrev_b32_e32 v6, v14, v6
	v_sub_u32_e32 v13, 29, v13
	v_and_b32_e32 v6, 7, v6
	v_cmp_eq_u16_e32 vcc, 0, v12
	v_cndmask_b32_e32 v2, v2, v6, vcc
	v_cndmask_b32_e32 v6, v12, v13, vcc
	v_lshlrev_b32_e32 v12, 16, v7
	v_mov_b32_e32 v13, 0x3b800000
	v_lshlrev_b32_e32 v2, 20, v2
	v_and_b32_e32 v12, 0x80000000, v12
	v_lshl_add_u32 v6, v6, 23, v13
	v_or3_b32 v2, v12, v6, v2
.LBB4_684:
	s_or_b64 exec, exec, s[6:7]
	v_lshrrev_b32_e32 v6, 8, v3
	s_movk_i32 s4, 0x7f
	v_cmp_gt_i16_sdwa s[6:7], v6, s4 src0_sel:BYTE_0 src1_sel:DWORD
	s_mov_b64 s[4:5], 0
                                        ; implicit-def: $sgpr10
	s_and_saveexec_b64 s[8:9], s[6:7]
	s_xor_b64 s[6:7], exec, s[8:9]
	s_cbranch_execnz .LBB4_2733
; %bb.685:
	s_or_saveexec_b64 s[6:7], s[6:7]
	v_mov_b32_e32 v12, s10
	s_xor_b64 exec, exec, s[6:7]
	s_cbranch_execnz .LBB4_2736
.LBB4_686:
	s_or_b64 exec, exec, s[6:7]
	s_and_saveexec_b64 s[6:7], s[4:5]
	s_cbranch_execz .LBB4_688
.LBB4_687:
	v_bfe_u32 v12, v3, 8, 3
	v_ffbh_u32_e32 v14, v12
	v_min_u32_e32 v14, 32, v14
	v_lshrrev_b16_e32 v13, 3, v6
	v_subrev_u32_e32 v15, 28, v14
	v_and_b32_e32 v13, 15, v13
	v_lshlrev_b32_e32 v6, v15, v6
	v_sub_u32_e32 v14, 29, v14
	v_and_b32_e32 v6, 7, v6
	v_cmp_eq_u16_e32 vcc, 0, v13
	v_cndmask_b32_e32 v6, v12, v6, vcc
	v_cndmask_b32_e32 v12, v13, v14, vcc
	v_lshlrev_b32_e32 v13, 16, v3
	v_mov_b32_e32 v14, 0x3b800000
	v_lshlrev_b32_e32 v6, 20, v6
	v_and_b32_e32 v13, 0x80000000, v13
	v_lshl_add_u32 v12, v12, 23, v14
	v_or3_b32 v12, v13, v12, v6
.LBB4_688:
	s_or_b64 exec, exec, s[6:7]
	s_nop 0
	v_mfma_f32_16x16x4f32 a[0:3], v2, v12, a[0:3]
	s_movk_i32 s4, 0xff
	v_and_b32_sdwa v6, v7, s4 dst_sel:DWORD dst_unused:UNUSED_PAD src0_sel:WORD_1 src1_sel:DWORD
	s_movk_i32 s4, 0x7f
	v_cmp_lt_i16_e32 vcc, s4, v6
	s_mov_b64 s[4:5], 0
                                        ; implicit-def: $sgpr10
	s_and_saveexec_b64 s[6:7], vcc
	s_xor_b64 s[6:7], exec, s[6:7]
	s_cbranch_execnz .LBB4_2737
; %bb.689:
	s_or_saveexec_b64 s[6:7], s[6:7]
	v_mov_b32_e32 v2, s10
	s_xor_b64 exec, exec, s[6:7]
	s_cbranch_execnz .LBB4_2740
.LBB4_690:
	s_or_b64 exec, exec, s[6:7]
	s_and_saveexec_b64 s[6:7], s[4:5]
	s_cbranch_execz .LBB4_692
.LBB4_691:
	v_bfe_u32 v2, v7, 16, 3
	v_ffbh_u32_e32 v13, v2
	v_min_u32_e32 v13, 32, v13
	v_lshrrev_b32_e32 v6, 19, v7
	v_subrev_u32_e32 v14, 28, v13
	v_and_b32_e32 v6, 15, v6
	v_lshlrev_b32_sdwa v14, v14, v7 dst_sel:DWORD dst_unused:UNUSED_PAD src0_sel:DWORD src1_sel:WORD_1
	v_bfe_u32 v12, v7, 19, 4
	v_sub_u32_e32 v13, 29, v13
	v_and_b32_e32 v14, 7, v14
	v_cmp_eq_u16_e32 vcc, 0, v6
	v_cndmask_b32_e32 v2, v2, v14, vcc
	v_cndmask_b32_e32 v6, v12, v13, vcc
	v_lshlrev_b32_e32 v12, 8, v7
	v_mov_b32_e32 v13, 0x3b800000
	v_lshlrev_b32_e32 v2, 20, v2
	v_and_b32_e32 v12, 0x80000000, v12
	v_lshl_add_u32 v6, v6, 23, v13
	v_or3_b32 v2, v12, v6, v2
.LBB4_692:
	s_or_b64 exec, exec, s[6:7]
	s_movk_i32 s4, 0xff
	v_and_b32_sdwa v6, v3, s4 dst_sel:DWORD dst_unused:UNUSED_PAD src0_sel:WORD_1 src1_sel:DWORD
	s_movk_i32 s4, 0x7f
	v_cmp_lt_i16_e32 vcc, s4, v6
	s_mov_b64 s[4:5], 0
                                        ; implicit-def: $sgpr10
	s_and_saveexec_b64 s[6:7], vcc
	s_xor_b64 s[6:7], exec, s[6:7]
	s_cbranch_execnz .LBB4_2741
; %bb.693:
	s_or_saveexec_b64 s[6:7], s[6:7]
	v_mov_b32_e32 v12, s10
	s_xor_b64 exec, exec, s[6:7]
	s_cbranch_execnz .LBB4_2744
.LBB4_694:
	s_or_b64 exec, exec, s[6:7]
	s_and_saveexec_b64 s[6:7], s[4:5]
	s_cbranch_execz .LBB4_696
.LBB4_695:
	v_bfe_u32 v6, v3, 16, 3
	v_ffbh_u32_e32 v14, v6
	v_min_u32_e32 v14, 32, v14
	v_lshrrev_b32_e32 v12, 19, v3
	v_subrev_u32_e32 v15, 28, v14
	v_and_b32_e32 v12, 15, v12
	v_lshlrev_b32_sdwa v15, v15, v3 dst_sel:DWORD dst_unused:UNUSED_PAD src0_sel:DWORD src1_sel:WORD_1
	v_bfe_u32 v13, v3, 19, 4
	v_sub_u32_e32 v14, 29, v14
	v_and_b32_e32 v15, 7, v15
	v_cmp_eq_u16_e32 vcc, 0, v12
	v_cndmask_b32_e32 v6, v6, v15, vcc
	v_cndmask_b32_e32 v12, v13, v14, vcc
	v_lshlrev_b32_e32 v13, 8, v3
	v_mov_b32_e32 v14, 0x3b800000
	v_lshlrev_b32_e32 v6, 20, v6
	v_and_b32_e32 v13, 0x80000000, v13
	v_lshl_add_u32 v12, v12, 23, v14
	v_or3_b32 v12, v13, v12, v6
.LBB4_696:
	s_or_b64 exec, exec, s[6:7]
	s_nop 0
	v_mfma_f32_16x16x4f32 a[0:3], v2, v12, a[0:3]
	s_movk_i32 s4, 0x7f
	v_cmp_gt_i16_sdwa s[6:7], v7, s4 src0_sel:BYTE_3 src1_sel:DWORD
	s_mov_b64 s[4:5], 0
                                        ; implicit-def: $sgpr10
	s_and_saveexec_b64 s[8:9], s[6:7]
	s_xor_b64 s[6:7], exec, s[8:9]
	s_cbranch_execnz .LBB4_2745
; %bb.697:
	s_or_saveexec_b64 s[6:7], s[6:7]
	v_mov_b32_e32 v2, s10
	s_xor_b64 exec, exec, s[6:7]
	s_cbranch_execnz .LBB4_2748
.LBB4_698:
	s_or_b64 exec, exec, s[6:7]
	s_and_saveexec_b64 s[6:7], s[4:5]
	s_cbranch_execz .LBB4_700
.LBB4_699:
	v_bfe_u32 v2, v7, 24, 3
	v_ffbh_u32_e32 v14, v2
	v_min_u32_e32 v14, 32, v14
	v_lshrrev_b32_e32 v12, 27, v7
	v_subrev_u32_e32 v15, 28, v14
	v_and_b32_e32 v6, 0x80000000, v7
	v_and_b32_e32 v12, 15, v12
	v_bfe_u32 v13, v7, 27, 4
	v_lshlrev_b32_sdwa v7, v15, v7 dst_sel:DWORD dst_unused:UNUSED_PAD src0_sel:DWORD src1_sel:BYTE_3
	v_sub_u32_e32 v14, 29, v14
	v_and_b32_e32 v7, 7, v7
	v_cmp_eq_u16_e32 vcc, 0, v12
	v_cndmask_b32_e32 v2, v2, v7, vcc
	v_cndmask_b32_e32 v7, v13, v14, vcc
	v_mov_b32_e32 v12, 0x3b800000
	v_lshlrev_b32_e32 v2, 20, v2
	v_lshl_add_u32 v7, v7, 23, v12
	v_or3_b32 v2, v6, v7, v2
.LBB4_700:
	s_or_b64 exec, exec, s[6:7]
	s_movk_i32 s4, 0x7f
	v_cmp_gt_i16_sdwa s[6:7], v3, s4 src0_sel:BYTE_3 src1_sel:DWORD
	s_mov_b64 s[4:5], 0
                                        ; implicit-def: $sgpr10
	s_and_saveexec_b64 s[8:9], s[6:7]
	s_xor_b64 s[6:7], exec, s[8:9]
	s_cbranch_execnz .LBB4_2749
; %bb.701:
	s_or_saveexec_b64 s[6:7], s[6:7]
	v_mov_b32_e32 v6, s10
	s_xor_b64 exec, exec, s[6:7]
	s_cbranch_execnz .LBB4_2752
.LBB4_702:
	s_or_b64 exec, exec, s[6:7]
	s_and_saveexec_b64 s[6:7], s[4:5]
	s_cbranch_execz .LBB4_704
.LBB4_703:
	v_bfe_u32 v6, v3, 24, 3
	v_ffbh_u32_e32 v14, v6
	v_min_u32_e32 v14, 32, v14
	v_lshrrev_b32_e32 v12, 27, v3
	v_subrev_u32_e32 v15, 28, v14
	v_and_b32_e32 v7, 0x80000000, v3
	v_and_b32_e32 v12, 15, v12
	v_bfe_u32 v13, v3, 27, 4
	v_lshlrev_b32_sdwa v3, v15, v3 dst_sel:DWORD dst_unused:UNUSED_PAD src0_sel:DWORD src1_sel:BYTE_3
	v_sub_u32_e32 v14, 29, v14
	v_and_b32_e32 v3, 7, v3
	v_cmp_eq_u16_e32 vcc, 0, v12
	v_cndmask_b32_e32 v3, v6, v3, vcc
	v_cndmask_b32_e32 v6, v13, v14, vcc
	v_mov_b32_e32 v12, 0x3b800000
	v_lshlrev_b32_e32 v3, 20, v3
	v_lshl_add_u32 v6, v6, 23, v12
	v_or3_b32 v6, v7, v6, v3
.LBB4_704:
	s_or_b64 exec, exec, s[6:7]
	s_nop 0
	v_mfma_f32_16x16x4f32 a[0:3], v2, v6, a[0:3]
	s_movk_i32 s4, 0x7f
	v_cmp_gt_i16_sdwa s[6:7], v8, s4 src0_sel:BYTE_0 src1_sel:DWORD
	s_mov_b64 s[4:5], 0
                                        ; implicit-def: $sgpr10
	s_and_saveexec_b64 s[8:9], s[6:7]
	s_xor_b64 s[6:7], exec, s[8:9]
	s_cbranch_execnz .LBB4_2753
; %bb.705:
	s_or_saveexec_b64 s[6:7], s[6:7]
	v_mov_b32_e32 v2, s10
	s_xor_b64 exec, exec, s[6:7]
	s_cbranch_execnz .LBB4_2756
.LBB4_706:
	s_or_b64 exec, exec, s[6:7]
	s_and_saveexec_b64 s[6:7], s[4:5]
	s_cbranch_execz .LBB4_708
.LBB4_707:
	v_and_b32_e32 v2, 7, v8
	v_ffbh_u32_e32 v6, v2
	v_min_u32_e32 v6, 32, v6
	v_lshrrev_b16_e32 v3, 3, v8
	v_subrev_u32_e32 v7, 28, v6
	v_and_b32_e32 v3, 15, v3
	v_lshlrev_b32_e32 v7, v7, v8
	v_sub_u32_e32 v6, 29, v6
	v_and_b32_e32 v7, 7, v7
	v_cmp_eq_u16_e32 vcc, 0, v3
	v_cndmask_b32_e32 v2, v2, v7, vcc
	v_cndmask_b32_e32 v3, v3, v6, vcc
	v_lshlrev_b32_e32 v6, 24, v8
	v_mov_b32_e32 v7, 0x3b800000
	v_lshlrev_b32_e32 v2, 20, v2
	v_and_b32_e32 v6, 0x80000000, v6
	v_lshl_add_u32 v3, v3, 23, v7
	v_or3_b32 v2, v6, v3, v2
.LBB4_708:
	s_or_b64 exec, exec, s[6:7]
	s_movk_i32 s4, 0x7f
	v_cmp_gt_i16_sdwa s[6:7], v4, s4 src0_sel:BYTE_0 src1_sel:DWORD
	s_mov_b64 s[4:5], 0
                                        ; implicit-def: $sgpr10
	s_and_saveexec_b64 s[8:9], s[6:7]
	s_xor_b64 s[6:7], exec, s[8:9]
	s_cbranch_execnz .LBB4_2757
; %bb.709:
	s_or_saveexec_b64 s[6:7], s[6:7]
	v_mov_b32_e32 v3, s10
	s_xor_b64 exec, exec, s[6:7]
	s_cbranch_execnz .LBB4_2760
.LBB4_710:
	s_or_b64 exec, exec, s[6:7]
	s_and_saveexec_b64 s[6:7], s[4:5]
	s_cbranch_execz .LBB4_712
.LBB4_711:
	v_and_b32_e32 v3, 7, v4
	v_ffbh_u32_e32 v7, v3
	v_min_u32_e32 v7, 32, v7
	v_lshrrev_b16_e32 v6, 3, v4
	v_subrev_u32_e32 v12, 28, v7
	v_and_b32_e32 v6, 15, v6
	v_lshlrev_b32_e32 v12, v12, v4
	v_sub_u32_e32 v7, 29, v7
	v_and_b32_e32 v12, 7, v12
	v_cmp_eq_u16_e32 vcc, 0, v6
	v_cndmask_b32_e32 v3, v3, v12, vcc
	v_cndmask_b32_e32 v6, v6, v7, vcc
	v_lshlrev_b32_e32 v7, 24, v4
	v_mov_b32_e32 v12, 0x3b800000
	v_lshlrev_b32_e32 v3, 20, v3
	v_and_b32_e32 v7, 0x80000000, v7
	v_lshl_add_u32 v6, v6, 23, v12
	v_or3_b32 v3, v7, v6, v3
.LBB4_712:
	s_or_b64 exec, exec, s[6:7]
	s_nop 0
	v_mfma_f32_16x16x4f32 a[0:3], v2, v3, a[0:3]
	v_lshrrev_b32_e32 v3, 8, v8
	s_movk_i32 s4, 0x7f
	v_cmp_gt_i16_sdwa s[6:7], v3, s4 src0_sel:BYTE_0 src1_sel:DWORD
	s_mov_b64 s[4:5], 0
                                        ; implicit-def: $sgpr10
	s_and_saveexec_b64 s[8:9], s[6:7]
	s_xor_b64 s[6:7], exec, s[8:9]
	s_cbranch_execnz .LBB4_2761
; %bb.713:
	s_or_saveexec_b64 s[6:7], s[6:7]
	v_mov_b32_e32 v2, s10
	s_xor_b64 exec, exec, s[6:7]
	s_cbranch_execnz .LBB4_2764
.LBB4_714:
	s_or_b64 exec, exec, s[6:7]
	s_and_saveexec_b64 s[6:7], s[4:5]
	s_cbranch_execz .LBB4_716
.LBB4_715:
	v_bfe_u32 v2, v8, 8, 3
	v_ffbh_u32_e32 v7, v2
	v_min_u32_e32 v7, 32, v7
	v_lshrrev_b16_e32 v6, 3, v3
	v_subrev_u32_e32 v12, 28, v7
	v_and_b32_e32 v6, 15, v6
	v_lshlrev_b32_e32 v3, v12, v3
	v_sub_u32_e32 v7, 29, v7
	v_and_b32_e32 v3, 7, v3
	v_cmp_eq_u16_e32 vcc, 0, v6
	v_cndmask_b32_e32 v2, v2, v3, vcc
	v_cndmask_b32_e32 v3, v6, v7, vcc
	v_lshlrev_b32_e32 v6, 16, v8
	v_mov_b32_e32 v7, 0x3b800000
	v_lshlrev_b32_e32 v2, 20, v2
	v_and_b32_e32 v6, 0x80000000, v6
	v_lshl_add_u32 v3, v3, 23, v7
	v_or3_b32 v2, v6, v3, v2
.LBB4_716:
	s_or_b64 exec, exec, s[6:7]
	v_lshrrev_b32_e32 v3, 8, v4
	s_movk_i32 s4, 0x7f
	v_cmp_gt_i16_sdwa s[6:7], v3, s4 src0_sel:BYTE_0 src1_sel:DWORD
	s_mov_b64 s[4:5], 0
                                        ; implicit-def: $sgpr10
	s_and_saveexec_b64 s[8:9], s[6:7]
	s_xor_b64 s[6:7], exec, s[8:9]
	s_cbranch_execnz .LBB4_2765
; %bb.717:
	s_or_saveexec_b64 s[6:7], s[6:7]
	v_mov_b32_e32 v6, s10
	s_xor_b64 exec, exec, s[6:7]
	s_cbranch_execnz .LBB4_2768
.LBB4_718:
	s_or_b64 exec, exec, s[6:7]
	s_and_saveexec_b64 s[6:7], s[4:5]
	s_cbranch_execz .LBB4_720
.LBB4_719:
	v_bfe_u32 v6, v4, 8, 3
	v_ffbh_u32_e32 v12, v6
	v_min_u32_e32 v12, 32, v12
	v_lshrrev_b16_e32 v7, 3, v3
	v_subrev_u32_e32 v13, 28, v12
	v_and_b32_e32 v7, 15, v7
	v_lshlrev_b32_e32 v3, v13, v3
	v_sub_u32_e32 v12, 29, v12
	v_and_b32_e32 v3, 7, v3
	v_cmp_eq_u16_e32 vcc, 0, v7
	v_cndmask_b32_e32 v3, v6, v3, vcc
	v_cndmask_b32_e32 v6, v7, v12, vcc
	v_lshlrev_b32_e32 v7, 16, v4
	v_mov_b32_e32 v12, 0x3b800000
	v_lshlrev_b32_e32 v3, 20, v3
	v_and_b32_e32 v7, 0x80000000, v7
	v_lshl_add_u32 v6, v6, 23, v12
	v_or3_b32 v6, v7, v6, v3
.LBB4_720:
	s_or_b64 exec, exec, s[6:7]
	s_nop 0
	v_mfma_f32_16x16x4f32 a[0:3], v2, v6, a[0:3]
	s_movk_i32 s4, 0xff
	v_and_b32_sdwa v3, v8, s4 dst_sel:DWORD dst_unused:UNUSED_PAD src0_sel:WORD_1 src1_sel:DWORD
	s_movk_i32 s4, 0x7f
	v_cmp_lt_i16_e32 vcc, s4, v3
	s_mov_b64 s[4:5], 0
                                        ; implicit-def: $sgpr10
	s_and_saveexec_b64 s[6:7], vcc
	s_xor_b64 s[6:7], exec, s[6:7]
	s_cbranch_execnz .LBB4_2769
; %bb.721:
	s_or_saveexec_b64 s[6:7], s[6:7]
	v_mov_b32_e32 v2, s10
	s_xor_b64 exec, exec, s[6:7]
	s_cbranch_execnz .LBB4_2772
.LBB4_722:
	s_or_b64 exec, exec, s[6:7]
	s_and_saveexec_b64 s[6:7], s[4:5]
	s_cbranch_execz .LBB4_724
.LBB4_723:
	v_bfe_u32 v2, v8, 16, 3
	v_ffbh_u32_e32 v7, v2
	v_min_u32_e32 v7, 32, v7
	v_lshrrev_b32_e32 v3, 19, v8
	v_subrev_u32_e32 v12, 28, v7
	v_and_b32_e32 v3, 15, v3
	v_lshlrev_b32_sdwa v12, v12, v8 dst_sel:DWORD dst_unused:UNUSED_PAD src0_sel:DWORD src1_sel:WORD_1
	v_bfe_u32 v6, v8, 19, 4
	v_sub_u32_e32 v7, 29, v7
	v_and_b32_e32 v12, 7, v12
	v_cmp_eq_u16_e32 vcc, 0, v3
	v_cndmask_b32_e32 v2, v2, v12, vcc
	v_cndmask_b32_e32 v3, v6, v7, vcc
	v_lshlrev_b32_e32 v6, 8, v8
	v_mov_b32_e32 v7, 0x3b800000
	v_lshlrev_b32_e32 v2, 20, v2
	v_and_b32_e32 v6, 0x80000000, v6
	v_lshl_add_u32 v3, v3, 23, v7
	v_or3_b32 v2, v6, v3, v2
.LBB4_724:
	s_or_b64 exec, exec, s[6:7]
	s_movk_i32 s4, 0xff
	v_and_b32_sdwa v3, v4, s4 dst_sel:DWORD dst_unused:UNUSED_PAD src0_sel:WORD_1 src1_sel:DWORD
	s_movk_i32 s4, 0x7f
	v_cmp_lt_i16_e32 vcc, s4, v3
	s_mov_b64 s[4:5], 0
                                        ; implicit-def: $sgpr10
	s_and_saveexec_b64 s[6:7], vcc
	s_xor_b64 s[6:7], exec, s[6:7]
	s_cbranch_execnz .LBB4_2773
; %bb.725:
	s_or_saveexec_b64 s[6:7], s[6:7]
	v_mov_b32_e32 v6, s10
	s_xor_b64 exec, exec, s[6:7]
	s_cbranch_execnz .LBB4_2776
.LBB4_726:
	s_or_b64 exec, exec, s[6:7]
	s_and_saveexec_b64 s[6:7], s[4:5]
	s_cbranch_execz .LBB4_728
.LBB4_727:
	v_bfe_u32 v3, v4, 16, 3
	v_ffbh_u32_e32 v12, v3
	v_min_u32_e32 v12, 32, v12
	v_lshrrev_b32_e32 v6, 19, v4
	v_subrev_u32_e32 v13, 28, v12
	v_and_b32_e32 v6, 15, v6
	v_lshlrev_b32_sdwa v13, v13, v4 dst_sel:DWORD dst_unused:UNUSED_PAD src0_sel:DWORD src1_sel:WORD_1
	v_bfe_u32 v7, v4, 19, 4
	v_sub_u32_e32 v12, 29, v12
	v_and_b32_e32 v13, 7, v13
	v_cmp_eq_u16_e32 vcc, 0, v6
	v_cndmask_b32_e32 v3, v3, v13, vcc
	v_cndmask_b32_e32 v6, v7, v12, vcc
	v_lshlrev_b32_e32 v7, 8, v4
	v_mov_b32_e32 v12, 0x3b800000
	v_lshlrev_b32_e32 v3, 20, v3
	v_and_b32_e32 v7, 0x80000000, v7
	v_lshl_add_u32 v6, v6, 23, v12
	v_or3_b32 v6, v7, v6, v3
.LBB4_728:
	s_or_b64 exec, exec, s[6:7]
	s_nop 0
	v_mfma_f32_16x16x4f32 a[0:3], v2, v6, a[0:3]
	s_movk_i32 s4, 0x7f
	v_cmp_gt_i16_sdwa s[6:7], v8, s4 src0_sel:BYTE_3 src1_sel:DWORD
	s_mov_b64 s[4:5], 0
                                        ; implicit-def: $sgpr10
	s_and_saveexec_b64 s[8:9], s[6:7]
	s_xor_b64 s[6:7], exec, s[8:9]
	s_cbranch_execnz .LBB4_2777
; %bb.729:
	s_or_saveexec_b64 s[6:7], s[6:7]
	v_mov_b32_e32 v2, s10
	s_xor_b64 exec, exec, s[6:7]
	s_cbranch_execnz .LBB4_2780
.LBB4_730:
	s_or_b64 exec, exec, s[6:7]
	s_and_saveexec_b64 s[6:7], s[4:5]
	s_cbranch_execz .LBB4_732
.LBB4_731:
	v_bfe_u32 v2, v8, 24, 3
	v_ffbh_u32_e32 v12, v2
	v_min_u32_e32 v12, 32, v12
	v_lshrrev_b32_e32 v6, 27, v8
	v_subrev_u32_e32 v13, 28, v12
	v_and_b32_e32 v3, 0x80000000, v8
	v_and_b32_e32 v6, 15, v6
	v_bfe_u32 v7, v8, 27, 4
	v_lshlrev_b32_sdwa v8, v13, v8 dst_sel:DWORD dst_unused:UNUSED_PAD src0_sel:DWORD src1_sel:BYTE_3
	v_sub_u32_e32 v12, 29, v12
	v_and_b32_e32 v8, 7, v8
	v_cmp_eq_u16_e32 vcc, 0, v6
	v_cndmask_b32_e32 v2, v2, v8, vcc
	v_cndmask_b32_e32 v6, v7, v12, vcc
	v_mov_b32_e32 v7, 0x3b800000
	v_lshlrev_b32_e32 v2, 20, v2
	v_lshl_add_u32 v6, v6, 23, v7
	v_or3_b32 v2, v3, v6, v2
.LBB4_732:
	s_or_b64 exec, exec, s[6:7]
	s_movk_i32 s4, 0x7f
	v_cmp_gt_i16_sdwa s[6:7], v4, s4 src0_sel:BYTE_3 src1_sel:DWORD
	s_mov_b64 s[4:5], 0
                                        ; implicit-def: $sgpr10
	s_and_saveexec_b64 s[8:9], s[6:7]
	s_xor_b64 s[6:7], exec, s[8:9]
	s_cbranch_execnz .LBB4_2781
; %bb.733:
	s_or_saveexec_b64 s[6:7], s[6:7]
	v_mov_b32_e32 v3, s10
	s_xor_b64 exec, exec, s[6:7]
	s_cbranch_execnz .LBB4_2784
.LBB4_734:
	s_or_b64 exec, exec, s[6:7]
	s_and_saveexec_b64 s[6:7], s[4:5]
	s_cbranch_execz .LBB4_736
.LBB4_735:
	v_bfe_u32 v3, v4, 24, 3
	v_ffbh_u32_e32 v12, v3
	v_min_u32_e32 v12, 32, v12
	v_lshrrev_b32_e32 v7, 27, v4
	v_subrev_u32_e32 v13, 28, v12
	v_and_b32_e32 v6, 0x80000000, v4
	v_and_b32_e32 v7, 15, v7
	v_bfe_u32 v8, v4, 27, 4
	v_lshlrev_b32_sdwa v4, v13, v4 dst_sel:DWORD dst_unused:UNUSED_PAD src0_sel:DWORD src1_sel:BYTE_3
	v_sub_u32_e32 v12, 29, v12
	v_and_b32_e32 v4, 7, v4
	v_cmp_eq_u16_e32 vcc, 0, v7
	v_cndmask_b32_e32 v3, v3, v4, vcc
	v_cndmask_b32_e32 v4, v8, v12, vcc
	v_mov_b32_e32 v7, 0x3b800000
	v_lshlrev_b32_e32 v3, 20, v3
	v_lshl_add_u32 v4, v4, 23, v7
	v_or3_b32 v3, v6, v4, v3
.LBB4_736:
	s_or_b64 exec, exec, s[6:7]
	s_nop 0
	v_mfma_f32_16x16x4f32 a[0:3], v2, v3, a[0:3]
	s_movk_i32 s4, 0x7f
	v_cmp_gt_i16_sdwa s[6:7], v9, s4 src0_sel:BYTE_0 src1_sel:DWORD
	s_mov_b64 s[4:5], 0
                                        ; implicit-def: $sgpr10
	s_and_saveexec_b64 s[8:9], s[6:7]
	s_xor_b64 s[6:7], exec, s[8:9]
	s_cbranch_execnz .LBB4_2785
; %bb.737:
	s_or_saveexec_b64 s[6:7], s[6:7]
	v_mov_b32_e32 v2, s10
	s_xor_b64 exec, exec, s[6:7]
	s_cbranch_execnz .LBB4_2788
.LBB4_738:
	s_or_b64 exec, exec, s[6:7]
	s_and_saveexec_b64 s[6:7], s[4:5]
	s_cbranch_execz .LBB4_740
.LBB4_739:
	v_mov_b32_e32 v2, 8
	v_and_b32_e32 v3, 7, v9
	v_lshrrev_b32_sdwa v2, v2, v9 dst_sel:BYTE_1 dst_unused:UNUSED_PAD src0_sel:DWORD src1_sel:DWORD
	v_ffbh_u32_e32 v4, v3
	v_or_b32_sdwa v2, v9, v2 dst_sel:DWORD dst_unused:UNUSED_PAD src0_sel:BYTE_0 src1_sel:DWORD
	v_min_u32_e32 v4, 32, v4
	v_lshrrev_b16_e32 v2, 3, v2
	v_subrev_u32_e32 v6, 28, v4
	v_and_b32_e32 v2, 15, v2
	v_lshlrev_b32_e32 v6, v6, v9
	v_sub_u32_e32 v4, 29, v4
	v_and_b32_e32 v6, 7, v6
	v_cmp_eq_u16_e32 vcc, 0, v2
	v_cndmask_b32_e32 v3, v3, v6, vcc
	v_cndmask_b32_e32 v2, v2, v4, vcc
	v_lshlrev_b32_e32 v4, 24, v9
	v_mov_b32_e32 v6, 0x3b800000
	v_lshlrev_b32_e32 v3, 20, v3
	v_and_b32_e32 v4, 0x80000000, v4
	v_lshl_add_u32 v2, v2, 23, v6
	v_or3_b32 v2, v4, v2, v3
.LBB4_740:
	s_or_b64 exec, exec, s[6:7]
	s_movk_i32 s4, 0x7f
	v_cmp_gt_i16_sdwa s[6:7], v5, s4 src0_sel:BYTE_0 src1_sel:DWORD
	s_mov_b64 s[4:5], 0
                                        ; implicit-def: $sgpr10
	s_and_saveexec_b64 s[8:9], s[6:7]
	s_xor_b64 s[6:7], exec, s[8:9]
	s_cbranch_execnz .LBB4_2789
; %bb.741:
	s_or_saveexec_b64 s[6:7], s[6:7]
	v_mov_b32_e32 v3, s10
	s_xor_b64 exec, exec, s[6:7]
	s_cbranch_execnz .LBB4_2792
.LBB4_742:
	s_or_b64 exec, exec, s[6:7]
	s_and_saveexec_b64 s[6:7], s[4:5]
	s_cbranch_execz .LBB4_744
.LBB4_743:
	v_mov_b32_e32 v3, 8
	v_and_b32_e32 v4, 7, v5
	v_lshrrev_b32_sdwa v3, v3, v5 dst_sel:BYTE_1 dst_unused:UNUSED_PAD src0_sel:DWORD src1_sel:DWORD
	v_ffbh_u32_e32 v6, v4
	v_or_b32_sdwa v3, v5, v3 dst_sel:DWORD dst_unused:UNUSED_PAD src0_sel:BYTE_0 src1_sel:DWORD
	v_min_u32_e32 v6, 32, v6
	v_lshrrev_b16_e32 v3, 3, v3
	v_subrev_u32_e32 v7, 28, v6
	v_and_b32_e32 v3, 15, v3
	v_lshlrev_b32_e32 v7, v7, v5
	v_sub_u32_e32 v6, 29, v6
	v_and_b32_e32 v7, 7, v7
	v_cmp_eq_u16_e32 vcc, 0, v3
	v_cndmask_b32_e32 v4, v4, v7, vcc
	v_cndmask_b32_e32 v3, v3, v6, vcc
	v_lshlrev_b32_e32 v6, 24, v5
	v_mov_b32_e32 v7, 0x3b800000
	v_lshlrev_b32_e32 v4, 20, v4
	v_and_b32_e32 v6, 0x80000000, v6
	v_lshl_add_u32 v3, v3, 23, v7
	v_or3_b32 v3, v6, v3, v4
.LBB4_744:
	s_or_b64 exec, exec, s[6:7]
	s_nop 0
	v_mfma_f32_16x16x4f32 a[0:3], v2, v3, a[0:3]
	v_lshrrev_b32_e32 v3, 8, v9
	s_movk_i32 s4, 0x7f
	v_cmp_gt_i16_sdwa s[6:7], v3, s4 src0_sel:BYTE_0 src1_sel:DWORD
	s_mov_b64 s[4:5], 0
                                        ; implicit-def: $sgpr10
	s_and_saveexec_b64 s[8:9], s[6:7]
	s_xor_b64 s[6:7], exec, s[8:9]
	s_cbranch_execnz .LBB4_2793
; %bb.745:
	s_or_saveexec_b64 s[6:7], s[6:7]
	v_mov_b32_e32 v2, s10
	s_xor_b64 exec, exec, s[6:7]
	s_cbranch_execnz .LBB4_2796
.LBB4_746:
	s_or_b64 exec, exec, s[6:7]
	s_and_saveexec_b64 s[6:7], s[4:5]
	s_cbranch_execz .LBB4_748
.LBB4_747:
	v_bfe_u32 v2, v9, 8, 3
	v_ffbh_u32_e32 v6, v2
	v_min_u32_e32 v6, 32, v6
	v_lshrrev_b16_e32 v4, 3, v3
	v_subrev_u32_e32 v7, 28, v6
	v_and_b32_e32 v4, 15, v4
	v_lshlrev_b32_e32 v3, v7, v3
	v_sub_u32_e32 v6, 29, v6
	v_and_b32_e32 v3, 7, v3
	v_cmp_eq_u16_e32 vcc, 0, v4
	v_cndmask_b32_e32 v2, v2, v3, vcc
	v_cndmask_b32_e32 v3, v4, v6, vcc
	v_lshlrev_b32_e32 v4, 16, v9
	v_mov_b32_e32 v6, 0x3b800000
	v_lshlrev_b32_e32 v2, 20, v2
	v_and_b32_e32 v4, 0x80000000, v4
	v_lshl_add_u32 v3, v3, 23, v6
	v_or3_b32 v2, v4, v3, v2
.LBB4_748:
	s_or_b64 exec, exec, s[6:7]
	v_lshrrev_b32_e32 v3, 8, v5
	s_movk_i32 s4, 0x7f
	v_cmp_gt_i16_sdwa s[6:7], v3, s4 src0_sel:BYTE_0 src1_sel:DWORD
	s_mov_b64 s[4:5], 0
                                        ; implicit-def: $sgpr10
	s_and_saveexec_b64 s[8:9], s[6:7]
	s_xor_b64 s[6:7], exec, s[8:9]
	s_cbranch_execnz .LBB4_2797
; %bb.749:
	s_or_saveexec_b64 s[6:7], s[6:7]
	v_mov_b32_e32 v4, s10
	s_xor_b64 exec, exec, s[6:7]
	s_cbranch_execnz .LBB4_2800
.LBB4_750:
	s_or_b64 exec, exec, s[6:7]
	s_and_saveexec_b64 s[6:7], s[4:5]
	s_cbranch_execz .LBB4_752
.LBB4_751:
	v_bfe_u32 v4, v5, 8, 3
	v_ffbh_u32_e32 v7, v4
	v_min_u32_e32 v7, 32, v7
	v_lshrrev_b16_e32 v6, 3, v3
	v_subrev_u32_e32 v8, 28, v7
	v_and_b32_e32 v6, 15, v6
	v_lshlrev_b32_e32 v3, v8, v3
	v_sub_u32_e32 v7, 29, v7
	v_and_b32_e32 v3, 7, v3
	v_cmp_eq_u16_e32 vcc, 0, v6
	v_cndmask_b32_e32 v3, v4, v3, vcc
	v_cndmask_b32_e32 v4, v6, v7, vcc
	v_lshlrev_b32_e32 v6, 16, v5
	v_mov_b32_e32 v7, 0x3b800000
	v_lshlrev_b32_e32 v3, 20, v3
	v_and_b32_e32 v6, 0x80000000, v6
	v_lshl_add_u32 v4, v4, 23, v7
	v_or3_b32 v4, v6, v4, v3
.LBB4_752:
	s_or_b64 exec, exec, s[6:7]
	s_nop 0
	v_mfma_f32_16x16x4f32 a[0:3], v2, v4, a[0:3]
	s_movk_i32 s4, 0xff
	v_and_b32_sdwa v3, v9, s4 dst_sel:DWORD dst_unused:UNUSED_PAD src0_sel:WORD_1 src1_sel:DWORD
	s_movk_i32 s4, 0x7f
	v_cmp_lt_i16_e32 vcc, s4, v3
	s_mov_b64 s[4:5], 0
                                        ; implicit-def: $sgpr10
	s_and_saveexec_b64 s[6:7], vcc
	s_xor_b64 s[6:7], exec, s[6:7]
	s_cbranch_execnz .LBB4_2801
; %bb.753:
	s_or_saveexec_b64 s[6:7], s[6:7]
	v_mov_b32_e32 v2, s10
	s_xor_b64 exec, exec, s[6:7]
	s_cbranch_execnz .LBB4_2804
.LBB4_754:
	s_or_b64 exec, exec, s[6:7]
	s_and_saveexec_b64 s[6:7], s[4:5]
	s_cbranch_execz .LBB4_756
.LBB4_755:
	v_bfe_u32 v2, v9, 16, 3
	v_ffbh_u32_e32 v6, v2
	v_min_u32_e32 v6, 32, v6
	v_lshrrev_b32_e32 v3, 19, v9
	v_subrev_u32_e32 v7, 28, v6
	v_and_b32_e32 v3, 15, v3
	v_lshlrev_b32_sdwa v7, v7, v9 dst_sel:DWORD dst_unused:UNUSED_PAD src0_sel:DWORD src1_sel:WORD_1
	v_bfe_u32 v4, v9, 19, 4
	v_sub_u32_e32 v6, 29, v6
	v_and_b32_e32 v7, 7, v7
	v_cmp_eq_u16_e32 vcc, 0, v3
	v_cndmask_b32_e32 v2, v2, v7, vcc
	v_cndmask_b32_e32 v3, v4, v6, vcc
	v_lshlrev_b32_e32 v4, 8, v9
	v_mov_b32_e32 v6, 0x3b800000
	v_lshlrev_b32_e32 v2, 20, v2
	v_and_b32_e32 v4, 0x80000000, v4
	v_lshl_add_u32 v3, v3, 23, v6
	v_or3_b32 v2, v4, v3, v2
.LBB4_756:
	s_or_b64 exec, exec, s[6:7]
	s_movk_i32 s4, 0xff
	v_and_b32_sdwa v3, v5, s4 dst_sel:DWORD dst_unused:UNUSED_PAD src0_sel:WORD_1 src1_sel:DWORD
	s_movk_i32 s4, 0x7f
	v_cmp_lt_i16_e32 vcc, s4, v3
	s_mov_b64 s[4:5], 0
                                        ; implicit-def: $sgpr10
	s_and_saveexec_b64 s[6:7], vcc
	s_xor_b64 s[6:7], exec, s[6:7]
	s_cbranch_execnz .LBB4_2805
; %bb.757:
	s_or_saveexec_b64 s[6:7], s[6:7]
	v_mov_b32_e32 v4, s10
	s_xor_b64 exec, exec, s[6:7]
	s_cbranch_execnz .LBB4_2808
.LBB4_758:
	s_or_b64 exec, exec, s[6:7]
	s_and_saveexec_b64 s[6:7], s[4:5]
	s_cbranch_execz .LBB4_760
.LBB4_759:
	v_bfe_u32 v3, v5, 16, 3
	v_ffbh_u32_e32 v7, v3
	v_min_u32_e32 v7, 32, v7
	v_lshrrev_b32_e32 v4, 19, v5
	v_subrev_u32_e32 v8, 28, v7
	v_and_b32_e32 v4, 15, v4
	v_lshlrev_b32_sdwa v8, v8, v5 dst_sel:DWORD dst_unused:UNUSED_PAD src0_sel:DWORD src1_sel:WORD_1
	v_bfe_u32 v6, v5, 19, 4
	v_sub_u32_e32 v7, 29, v7
	v_and_b32_e32 v8, 7, v8
	v_cmp_eq_u16_e32 vcc, 0, v4
	v_cndmask_b32_e32 v3, v3, v8, vcc
	v_cndmask_b32_e32 v4, v6, v7, vcc
	v_lshlrev_b32_e32 v6, 8, v5
	v_mov_b32_e32 v7, 0x3b800000
	v_lshlrev_b32_e32 v3, 20, v3
	v_and_b32_e32 v6, 0x80000000, v6
	v_lshl_add_u32 v4, v4, 23, v7
	v_or3_b32 v4, v6, v4, v3
.LBB4_760:
	s_or_b64 exec, exec, s[6:7]
	s_nop 0
	v_mfma_f32_16x16x4f32 a[0:3], v2, v4, a[0:3]
	s_movk_i32 s4, 0x7f
	v_cmp_gt_i16_sdwa s[6:7], v9, s4 src0_sel:BYTE_3 src1_sel:DWORD
	s_mov_b64 s[4:5], 0
                                        ; implicit-def: $sgpr10
	s_and_saveexec_b64 s[8:9], s[6:7]
	s_xor_b64 s[6:7], exec, s[8:9]
	s_cbranch_execnz .LBB4_2809
; %bb.761:
	s_or_saveexec_b64 s[6:7], s[6:7]
	v_mov_b32_e32 v2, s10
	s_xor_b64 exec, exec, s[6:7]
	s_cbranch_execnz .LBB4_2812
.LBB4_762:
	s_or_b64 exec, exec, s[6:7]
	s_and_saveexec_b64 s[6:7], s[4:5]
	s_cbranch_execz .LBB4_764
.LBB4_763:
	v_bfe_u32 v2, v9, 24, 3
	v_ffbh_u32_e32 v7, v2
	v_min_u32_e32 v7, 32, v7
	v_lshrrev_b32_e32 v4, 27, v9
	v_subrev_u32_e32 v8, 28, v7
	v_and_b32_e32 v4, 15, v4
	v_lshlrev_b32_sdwa v8, v8, v9 dst_sel:DWORD dst_unused:UNUSED_PAD src0_sel:DWORD src1_sel:BYTE_3
	v_bfe_u32 v6, v9, 27, 4
	v_sub_u32_e32 v7, 29, v7
	v_and_b32_e32 v8, 7, v8
	v_cmp_eq_u16_e32 vcc, 0, v4
	v_cndmask_b32_e32 v2, v2, v8, vcc
	v_cndmask_b32_e32 v4, v6, v7, vcc
	v_mov_b32_e32 v6, 0x3b800000
	v_and_b32_e32 v3, 0x80000000, v9
	v_lshlrev_b32_e32 v2, 20, v2
	v_lshl_add_u32 v4, v4, 23, v6
	v_or3_b32 v2, v3, v4, v2
.LBB4_764:
	s_or_b64 exec, exec, s[6:7]
	s_movk_i32 s4, 0x7f
	v_cmp_gt_i16_sdwa s[6:7], v5, s4 src0_sel:BYTE_3 src1_sel:DWORD
	s_mov_b64 s[4:5], 0
                                        ; implicit-def: $sgpr10
	s_and_saveexec_b64 s[8:9], s[6:7]
	s_xor_b64 s[6:7], exec, s[8:9]
	s_cbranch_execnz .LBB4_2813
; %bb.765:
	s_or_saveexec_b64 s[6:7], s[6:7]
	v_mov_b32_e32 v3, s10
	s_xor_b64 exec, exec, s[6:7]
	s_cbranch_execnz .LBB4_2816
.LBB4_766:
	s_or_b64 exec, exec, s[6:7]
	s_and_saveexec_b64 s[6:7], s[4:5]
	s_cbranch_execz .LBB4_768
.LBB4_767:
	v_bfe_u32 v3, v5, 24, 3
	v_ffbh_u32_e32 v8, v3
	v_min_u32_e32 v8, 32, v8
	v_lshrrev_b32_e32 v6, 27, v5
	v_subrev_u32_e32 v9, 28, v8
	v_and_b32_e32 v4, 0x80000000, v5
	v_and_b32_e32 v6, 15, v6
	v_bfe_u32 v7, v5, 27, 4
	v_lshlrev_b32_sdwa v5, v9, v5 dst_sel:DWORD dst_unused:UNUSED_PAD src0_sel:DWORD src1_sel:BYTE_3
	v_sub_u32_e32 v8, 29, v8
	v_and_b32_e32 v5, 7, v5
	v_cmp_eq_u16_e32 vcc, 0, v6
	v_cndmask_b32_e32 v3, v3, v5, vcc
	v_cndmask_b32_e32 v5, v7, v8, vcc
	v_mov_b32_e32 v6, 0x3b800000
	v_lshlrev_b32_e32 v3, 20, v3
	v_lshl_add_u32 v5, v5, 23, v6
	v_or3_b32 v3, v4, v5, v3
.LBB4_768:
	s_or_b64 exec, exec, s[6:7]
	s_nop 0
	v_mfma_f32_16x16x4f32 a[0:3], v2, v3, a[0:3]
	s_movk_i32 s4, 0x7f
                                        ; implicit-def: $sgpr10
	s_nop 7
	s_nop 1
	flat_store_dwordx4 v[10:11], a[0:3] offset:80
	flat_load_dwordx4 v[12:15], v[0:1] offset:8
	s_nop 0
	flat_load_dwordx2 v[10:11], v[0:1] offset:32
	s_waitcnt vmcnt(0) lgkmcnt(0)
	flat_load_dwordx4 v[6:9], v[12:13] offset:48
	flat_load_dwordx4 v[2:5], v[14:15] offset:80
	s_waitcnt vmcnt(0) lgkmcnt(0)
	v_cmp_gt_i16_sdwa s[6:7], v6, s4 src0_sel:BYTE_0 src1_sel:DWORD
	s_mov_b64 s[4:5], 0
	s_and_saveexec_b64 s[8:9], s[6:7]
	s_xor_b64 s[6:7], exec, s[8:9]
	s_cbranch_execnz .LBB4_2817
; %bb.769:
	s_or_saveexec_b64 s[6:7], s[6:7]
	v_mov_b32_e32 v12, s10
	s_xor_b64 exec, exec, s[6:7]
	s_cbranch_execnz .LBB4_2820
.LBB4_770:
	s_or_b64 exec, exec, s[6:7]
	s_and_saveexec_b64 s[6:7], s[4:5]
	s_cbranch_execz .LBB4_772
.LBB4_771:
	v_and_b32_e32 v12, 7, v6
	v_ffbh_u32_e32 v14, v12
	v_min_u32_e32 v14, 32, v14
	v_lshrrev_b16_e32 v13, 3, v6
	v_subrev_u32_e32 v15, 28, v14
	v_and_b32_e32 v13, 15, v13
	v_lshlrev_b32_e32 v15, v15, v6
	v_sub_u32_e32 v14, 29, v14
	v_and_b32_e32 v15, 7, v15
	v_cmp_eq_u16_e32 vcc, 0, v13
	v_cndmask_b32_e32 v12, v12, v15, vcc
	v_cndmask_b32_e32 v13, v13, v14, vcc
	v_lshlrev_b32_e32 v14, 24, v6
	v_mov_b32_e32 v15, 0x3b800000
	v_lshlrev_b32_e32 v12, 20, v12
	v_and_b32_e32 v14, 0x80000000, v14
	v_lshl_add_u32 v13, v13, 23, v15
	v_or3_b32 v12, v14, v13, v12
.LBB4_772:
	s_or_b64 exec, exec, s[6:7]
	s_movk_i32 s4, 0x7f
	v_cmp_gt_i16_sdwa s[6:7], v2, s4 src0_sel:BYTE_0 src1_sel:DWORD
	s_mov_b64 s[4:5], 0
                                        ; implicit-def: $sgpr10
	s_and_saveexec_b64 s[8:9], s[6:7]
	s_xor_b64 s[6:7], exec, s[8:9]
	s_cbranch_execnz .LBB4_2821
; %bb.773:
	s_or_saveexec_b64 s[6:7], s[6:7]
	v_mov_b32_e32 v13, s10
	s_xor_b64 exec, exec, s[6:7]
	s_cbranch_execnz .LBB4_2824
.LBB4_774:
	s_or_b64 exec, exec, s[6:7]
	s_and_saveexec_b64 s[6:7], s[4:5]
	s_cbranch_execz .LBB4_776
.LBB4_775:
	v_and_b32_e32 v13, 7, v2
	v_ffbh_u32_e32 v15, v13
	v_min_u32_e32 v15, 32, v15
	v_lshrrev_b16_e32 v14, 3, v2
	v_subrev_u32_e32 v16, 28, v15
	v_and_b32_e32 v14, 15, v14
	v_lshlrev_b32_e32 v16, v16, v2
	v_sub_u32_e32 v15, 29, v15
	v_and_b32_e32 v16, 7, v16
	v_cmp_eq_u16_e32 vcc, 0, v14
	v_cndmask_b32_e32 v13, v13, v16, vcc
	v_cndmask_b32_e32 v14, v14, v15, vcc
	v_lshlrev_b32_e32 v15, 24, v2
	v_mov_b32_e32 v16, 0x3b800000
	v_lshlrev_b32_e32 v13, 20, v13
	v_and_b32_e32 v15, 0x80000000, v15
	v_lshl_add_u32 v14, v14, 23, v16
	v_or3_b32 v13, v15, v14, v13
.LBB4_776:
	s_or_b64 exec, exec, s[6:7]
	flat_load_dwordx4 a[0:3], v[10:11] offset:96
	s_movk_i32 s4, 0x7f
                                        ; implicit-def: $sgpr10
	s_waitcnt vmcnt(0) lgkmcnt(0)
	v_mfma_f32_16x16x4f32 a[0:3], v12, v13, a[0:3]
	v_lshrrev_b32_e32 v13, 8, v6
	v_cmp_gt_i16_sdwa s[6:7], v13, s4 src0_sel:BYTE_0 src1_sel:DWORD
	s_mov_b64 s[4:5], 0
	s_and_saveexec_b64 s[8:9], s[6:7]
	s_xor_b64 s[6:7], exec, s[8:9]
	s_cbranch_execnz .LBB4_2825
; %bb.777:
	s_or_saveexec_b64 s[6:7], s[6:7]
	v_mov_b32_e32 v12, s10
	s_xor_b64 exec, exec, s[6:7]
	s_cbranch_execnz .LBB4_2828
.LBB4_778:
	s_or_b64 exec, exec, s[6:7]
	s_and_saveexec_b64 s[6:7], s[4:5]
	s_cbranch_execz .LBB4_780
.LBB4_779:
	v_bfe_u32 v12, v6, 8, 3
	v_ffbh_u32_e32 v15, v12
	v_min_u32_e32 v15, 32, v15
	v_lshrrev_b16_e32 v14, 3, v13
	v_subrev_u32_e32 v16, 28, v15
	v_and_b32_e32 v14, 15, v14
	v_lshlrev_b32_e32 v13, v16, v13
	v_sub_u32_e32 v15, 29, v15
	v_and_b32_e32 v13, 7, v13
	v_cmp_eq_u16_e32 vcc, 0, v14
	v_cndmask_b32_e32 v12, v12, v13, vcc
	v_cndmask_b32_e32 v13, v14, v15, vcc
	v_lshlrev_b32_e32 v14, 16, v6
	v_mov_b32_e32 v15, 0x3b800000
	v_lshlrev_b32_e32 v12, 20, v12
	v_and_b32_e32 v14, 0x80000000, v14
	v_lshl_add_u32 v13, v13, 23, v15
	v_or3_b32 v12, v14, v13, v12
.LBB4_780:
	s_or_b64 exec, exec, s[6:7]
	v_lshrrev_b32_e32 v13, 8, v2
	s_movk_i32 s4, 0x7f
	v_cmp_gt_i16_sdwa s[6:7], v13, s4 src0_sel:BYTE_0 src1_sel:DWORD
	s_mov_b64 s[4:5], 0
                                        ; implicit-def: $sgpr10
	s_and_saveexec_b64 s[8:9], s[6:7]
	s_xor_b64 s[6:7], exec, s[8:9]
	s_cbranch_execnz .LBB4_2829
; %bb.781:
	s_or_saveexec_b64 s[6:7], s[6:7]
	v_mov_b32_e32 v14, s10
	s_xor_b64 exec, exec, s[6:7]
	s_cbranch_execnz .LBB4_2832
.LBB4_782:
	s_or_b64 exec, exec, s[6:7]
	s_and_saveexec_b64 s[6:7], s[4:5]
	s_cbranch_execz .LBB4_784
.LBB4_783:
	v_bfe_u32 v14, v2, 8, 3
	v_ffbh_u32_e32 v16, v14
	v_min_u32_e32 v16, 32, v16
	v_lshrrev_b16_e32 v15, 3, v13
	v_subrev_u32_e32 v17, 28, v16
	v_and_b32_e32 v15, 15, v15
	v_lshlrev_b32_e32 v13, v17, v13
	v_sub_u32_e32 v16, 29, v16
	v_and_b32_e32 v13, 7, v13
	v_cmp_eq_u16_e32 vcc, 0, v15
	v_cndmask_b32_e32 v13, v14, v13, vcc
	v_cndmask_b32_e32 v14, v15, v16, vcc
	v_lshlrev_b32_e32 v15, 16, v2
	v_mov_b32_e32 v16, 0x3b800000
	v_lshlrev_b32_e32 v13, 20, v13
	v_and_b32_e32 v15, 0x80000000, v15
	v_lshl_add_u32 v14, v14, 23, v16
	v_or3_b32 v14, v15, v14, v13
.LBB4_784:
	s_or_b64 exec, exec, s[6:7]
	s_nop 0
	v_mfma_f32_16x16x4f32 a[0:3], v12, v14, a[0:3]
	s_movk_i32 s4, 0xff
	v_and_b32_sdwa v13, v6, s4 dst_sel:DWORD dst_unused:UNUSED_PAD src0_sel:WORD_1 src1_sel:DWORD
	s_movk_i32 s4, 0x7f
	v_cmp_lt_i16_e32 vcc, s4, v13
	s_mov_b64 s[4:5], 0
                                        ; implicit-def: $sgpr10
	s_and_saveexec_b64 s[6:7], vcc
	s_xor_b64 s[6:7], exec, s[6:7]
	s_cbranch_execnz .LBB4_2833
; %bb.785:
	s_or_saveexec_b64 s[6:7], s[6:7]
	v_mov_b32_e32 v12, s10
	s_xor_b64 exec, exec, s[6:7]
	s_cbranch_execnz .LBB4_2836
.LBB4_786:
	s_or_b64 exec, exec, s[6:7]
	s_and_saveexec_b64 s[6:7], s[4:5]
	s_cbranch_execz .LBB4_788
.LBB4_787:
	v_bfe_u32 v12, v6, 16, 3
	v_ffbh_u32_e32 v15, v12
	v_min_u32_e32 v15, 32, v15
	v_lshrrev_b32_e32 v13, 19, v6
	v_subrev_u32_e32 v16, 28, v15
	v_and_b32_e32 v13, 15, v13
	v_lshlrev_b32_sdwa v16, v16, v6 dst_sel:DWORD dst_unused:UNUSED_PAD src0_sel:DWORD src1_sel:WORD_1
	v_bfe_u32 v14, v6, 19, 4
	v_sub_u32_e32 v15, 29, v15
	v_and_b32_e32 v16, 7, v16
	v_cmp_eq_u16_e32 vcc, 0, v13
	v_cndmask_b32_e32 v12, v12, v16, vcc
	v_cndmask_b32_e32 v13, v14, v15, vcc
	v_lshlrev_b32_e32 v14, 8, v6
	v_mov_b32_e32 v15, 0x3b800000
	v_lshlrev_b32_e32 v12, 20, v12
	v_and_b32_e32 v14, 0x80000000, v14
	v_lshl_add_u32 v13, v13, 23, v15
	v_or3_b32 v12, v14, v13, v12
.LBB4_788:
	s_or_b64 exec, exec, s[6:7]
	s_movk_i32 s4, 0xff
	v_and_b32_sdwa v13, v2, s4 dst_sel:DWORD dst_unused:UNUSED_PAD src0_sel:WORD_1 src1_sel:DWORD
	s_movk_i32 s4, 0x7f
	v_cmp_lt_i16_e32 vcc, s4, v13
	s_mov_b64 s[4:5], 0
                                        ; implicit-def: $sgpr10
	s_and_saveexec_b64 s[6:7], vcc
	s_xor_b64 s[6:7], exec, s[6:7]
	s_cbranch_execnz .LBB4_2837
; %bb.789:
	s_or_saveexec_b64 s[6:7], s[6:7]
	v_mov_b32_e32 v14, s10
	s_xor_b64 exec, exec, s[6:7]
	s_cbranch_execnz .LBB4_2840
.LBB4_790:
	s_or_b64 exec, exec, s[6:7]
	s_and_saveexec_b64 s[6:7], s[4:5]
	s_cbranch_execz .LBB4_792
.LBB4_791:
	v_bfe_u32 v13, v2, 16, 3
	v_ffbh_u32_e32 v16, v13
	v_min_u32_e32 v16, 32, v16
	v_lshrrev_b32_e32 v14, 19, v2
	v_subrev_u32_e32 v17, 28, v16
	v_and_b32_e32 v14, 15, v14
	v_lshlrev_b32_sdwa v17, v17, v2 dst_sel:DWORD dst_unused:UNUSED_PAD src0_sel:DWORD src1_sel:WORD_1
	v_bfe_u32 v15, v2, 19, 4
	v_sub_u32_e32 v16, 29, v16
	v_and_b32_e32 v17, 7, v17
	v_cmp_eq_u16_e32 vcc, 0, v14
	v_cndmask_b32_e32 v13, v13, v17, vcc
	v_cndmask_b32_e32 v14, v15, v16, vcc
	v_lshlrev_b32_e32 v15, 8, v2
	v_mov_b32_e32 v16, 0x3b800000
	v_lshlrev_b32_e32 v13, 20, v13
	v_and_b32_e32 v15, 0x80000000, v15
	v_lshl_add_u32 v14, v14, 23, v16
	v_or3_b32 v14, v15, v14, v13
.LBB4_792:
	s_or_b64 exec, exec, s[6:7]
	s_nop 0
	v_mfma_f32_16x16x4f32 a[0:3], v12, v14, a[0:3]
	s_movk_i32 s4, 0x7f
	v_cmp_gt_i16_sdwa s[6:7], v6, s4 src0_sel:BYTE_3 src1_sel:DWORD
	s_mov_b64 s[4:5], 0
                                        ; implicit-def: $sgpr10
	s_and_saveexec_b64 s[8:9], s[6:7]
	s_xor_b64 s[6:7], exec, s[8:9]
	s_cbranch_execnz .LBB4_2841
; %bb.793:
	s_or_saveexec_b64 s[6:7], s[6:7]
	v_mov_b32_e32 v12, s10
	s_xor_b64 exec, exec, s[6:7]
	s_cbranch_execnz .LBB4_2844
.LBB4_794:
	s_or_b64 exec, exec, s[6:7]
	s_and_saveexec_b64 s[6:7], s[4:5]
	s_cbranch_execz .LBB4_796
.LBB4_795:
	v_bfe_u32 v12, v6, 24, 3
	v_ffbh_u32_e32 v16, v12
	v_min_u32_e32 v16, 32, v16
	v_lshrrev_b32_e32 v14, 27, v6
	v_subrev_u32_e32 v17, 28, v16
	v_and_b32_e32 v13, 0x80000000, v6
	v_and_b32_e32 v14, 15, v14
	v_bfe_u32 v15, v6, 27, 4
	v_lshlrev_b32_sdwa v6, v17, v6 dst_sel:DWORD dst_unused:UNUSED_PAD src0_sel:DWORD src1_sel:BYTE_3
	v_sub_u32_e32 v16, 29, v16
	v_and_b32_e32 v6, 7, v6
	v_cmp_eq_u16_e32 vcc, 0, v14
	v_cndmask_b32_e32 v6, v12, v6, vcc
	v_cndmask_b32_e32 v12, v15, v16, vcc
	v_mov_b32_e32 v14, 0x3b800000
	v_lshlrev_b32_e32 v6, 20, v6
	v_lshl_add_u32 v12, v12, 23, v14
	v_or3_b32 v12, v13, v12, v6
.LBB4_796:
	s_or_b64 exec, exec, s[6:7]
	s_movk_i32 s4, 0x7f
	v_cmp_gt_i16_sdwa s[6:7], v2, s4 src0_sel:BYTE_3 src1_sel:DWORD
	s_mov_b64 s[4:5], 0
                                        ; implicit-def: $sgpr10
	s_and_saveexec_b64 s[8:9], s[6:7]
	s_xor_b64 s[6:7], exec, s[8:9]
	s_cbranch_execnz .LBB4_2845
; %bb.797:
	s_or_saveexec_b64 s[6:7], s[6:7]
	v_mov_b32_e32 v6, s10
	s_xor_b64 exec, exec, s[6:7]
	s_cbranch_execnz .LBB4_2848
.LBB4_798:
	s_or_b64 exec, exec, s[6:7]
	s_and_saveexec_b64 s[6:7], s[4:5]
	s_cbranch_execz .LBB4_800
.LBB4_799:
	v_bfe_u32 v6, v2, 24, 3
	v_ffbh_u32_e32 v16, v6
	v_min_u32_e32 v16, 32, v16
	v_lshrrev_b32_e32 v14, 27, v2
	v_subrev_u32_e32 v17, 28, v16
	v_and_b32_e32 v13, 0x80000000, v2
	v_and_b32_e32 v14, 15, v14
	v_bfe_u32 v15, v2, 27, 4
	v_lshlrev_b32_sdwa v2, v17, v2 dst_sel:DWORD dst_unused:UNUSED_PAD src0_sel:DWORD src1_sel:BYTE_3
	v_sub_u32_e32 v16, 29, v16
	v_and_b32_e32 v2, 7, v2
	v_cmp_eq_u16_e32 vcc, 0, v14
	v_cndmask_b32_e32 v2, v6, v2, vcc
	v_cndmask_b32_e32 v6, v15, v16, vcc
	v_mov_b32_e32 v14, 0x3b800000
	v_lshlrev_b32_e32 v2, 20, v2
	v_lshl_add_u32 v6, v6, 23, v14
	v_or3_b32 v6, v13, v6, v2
.LBB4_800:
	s_or_b64 exec, exec, s[6:7]
	s_nop 0
	v_mfma_f32_16x16x4f32 a[0:3], v12, v6, a[0:3]
	s_movk_i32 s4, 0x7f
	v_cmp_gt_i16_sdwa s[6:7], v7, s4 src0_sel:BYTE_0 src1_sel:DWORD
	s_mov_b64 s[4:5], 0
                                        ; implicit-def: $sgpr10
	s_and_saveexec_b64 s[8:9], s[6:7]
	s_xor_b64 s[6:7], exec, s[8:9]
	s_cbranch_execnz .LBB4_2849
; %bb.801:
	s_or_saveexec_b64 s[6:7], s[6:7]
	v_mov_b32_e32 v2, s10
	s_xor_b64 exec, exec, s[6:7]
	s_cbranch_execnz .LBB4_2852
.LBB4_802:
	s_or_b64 exec, exec, s[6:7]
	s_and_saveexec_b64 s[6:7], s[4:5]
	s_cbranch_execz .LBB4_804
.LBB4_803:
	v_and_b32_e32 v2, 7, v7
	v_ffbh_u32_e32 v12, v2
	v_min_u32_e32 v12, 32, v12
	v_lshrrev_b16_e32 v6, 3, v7
	v_subrev_u32_e32 v13, 28, v12
	v_and_b32_e32 v6, 15, v6
	v_lshlrev_b32_e32 v13, v13, v7
	v_sub_u32_e32 v12, 29, v12
	v_and_b32_e32 v13, 7, v13
	v_cmp_eq_u16_e32 vcc, 0, v6
	v_cndmask_b32_e32 v2, v2, v13, vcc
	v_cndmask_b32_e32 v6, v6, v12, vcc
	v_lshlrev_b32_e32 v12, 24, v7
	v_mov_b32_e32 v13, 0x3b800000
	v_lshlrev_b32_e32 v2, 20, v2
	v_and_b32_e32 v12, 0x80000000, v12
	v_lshl_add_u32 v6, v6, 23, v13
	v_or3_b32 v2, v12, v6, v2
.LBB4_804:
	s_or_b64 exec, exec, s[6:7]
	s_movk_i32 s4, 0x7f
	v_cmp_gt_i16_sdwa s[6:7], v3, s4 src0_sel:BYTE_0 src1_sel:DWORD
	s_mov_b64 s[4:5], 0
                                        ; implicit-def: $sgpr10
	s_and_saveexec_b64 s[8:9], s[6:7]
	s_xor_b64 s[6:7], exec, s[8:9]
	s_cbranch_execnz .LBB4_2853
; %bb.805:
	s_or_saveexec_b64 s[6:7], s[6:7]
	v_mov_b32_e32 v6, s10
	s_xor_b64 exec, exec, s[6:7]
	s_cbranch_execnz .LBB4_2856
.LBB4_806:
	s_or_b64 exec, exec, s[6:7]
	s_and_saveexec_b64 s[6:7], s[4:5]
	s_cbranch_execz .LBB4_808
.LBB4_807:
	v_and_b32_e32 v6, 7, v3
	v_ffbh_u32_e32 v13, v6
	v_min_u32_e32 v13, 32, v13
	v_lshrrev_b16_e32 v12, 3, v3
	v_subrev_u32_e32 v14, 28, v13
	v_and_b32_e32 v12, 15, v12
	v_lshlrev_b32_e32 v14, v14, v3
	v_sub_u32_e32 v13, 29, v13
	v_and_b32_e32 v14, 7, v14
	v_cmp_eq_u16_e32 vcc, 0, v12
	v_cndmask_b32_e32 v6, v6, v14, vcc
	v_cndmask_b32_e32 v12, v12, v13, vcc
	v_lshlrev_b32_e32 v13, 24, v3
	v_mov_b32_e32 v14, 0x3b800000
	v_lshlrev_b32_e32 v6, 20, v6
	v_and_b32_e32 v13, 0x80000000, v13
	v_lshl_add_u32 v12, v12, 23, v14
	v_or3_b32 v6, v13, v12, v6
.LBB4_808:
	s_or_b64 exec, exec, s[6:7]
	s_nop 0
	v_mfma_f32_16x16x4f32 a[0:3], v2, v6, a[0:3]
	v_lshrrev_b32_e32 v6, 8, v7
	s_movk_i32 s4, 0x7f
	v_cmp_gt_i16_sdwa s[6:7], v6, s4 src0_sel:BYTE_0 src1_sel:DWORD
	s_mov_b64 s[4:5], 0
                                        ; implicit-def: $sgpr10
	s_and_saveexec_b64 s[8:9], s[6:7]
	s_xor_b64 s[6:7], exec, s[8:9]
	s_cbranch_execnz .LBB4_2857
; %bb.809:
	s_or_saveexec_b64 s[6:7], s[6:7]
	v_mov_b32_e32 v2, s10
	s_xor_b64 exec, exec, s[6:7]
	s_cbranch_execnz .LBB4_2860
.LBB4_810:
	s_or_b64 exec, exec, s[6:7]
	s_and_saveexec_b64 s[6:7], s[4:5]
	s_cbranch_execz .LBB4_812
.LBB4_811:
	v_bfe_u32 v2, v7, 8, 3
	v_ffbh_u32_e32 v13, v2
	v_min_u32_e32 v13, 32, v13
	v_lshrrev_b16_e32 v12, 3, v6
	v_subrev_u32_e32 v14, 28, v13
	v_and_b32_e32 v12, 15, v12
	v_lshlrev_b32_e32 v6, v14, v6
	v_sub_u32_e32 v13, 29, v13
	v_and_b32_e32 v6, 7, v6
	v_cmp_eq_u16_e32 vcc, 0, v12
	v_cndmask_b32_e32 v2, v2, v6, vcc
	v_cndmask_b32_e32 v6, v12, v13, vcc
	v_lshlrev_b32_e32 v12, 16, v7
	v_mov_b32_e32 v13, 0x3b800000
	v_lshlrev_b32_e32 v2, 20, v2
	v_and_b32_e32 v12, 0x80000000, v12
	v_lshl_add_u32 v6, v6, 23, v13
	v_or3_b32 v2, v12, v6, v2
.LBB4_812:
	s_or_b64 exec, exec, s[6:7]
	v_lshrrev_b32_e32 v6, 8, v3
	s_movk_i32 s4, 0x7f
	v_cmp_gt_i16_sdwa s[6:7], v6, s4 src0_sel:BYTE_0 src1_sel:DWORD
	s_mov_b64 s[4:5], 0
                                        ; implicit-def: $sgpr10
	s_and_saveexec_b64 s[8:9], s[6:7]
	s_xor_b64 s[6:7], exec, s[8:9]
	s_cbranch_execnz .LBB4_2861
; %bb.813:
	s_or_saveexec_b64 s[6:7], s[6:7]
	v_mov_b32_e32 v12, s10
	s_xor_b64 exec, exec, s[6:7]
	s_cbranch_execnz .LBB4_2864
.LBB4_814:
	s_or_b64 exec, exec, s[6:7]
	s_and_saveexec_b64 s[6:7], s[4:5]
	s_cbranch_execz .LBB4_816
.LBB4_815:
	v_bfe_u32 v12, v3, 8, 3
	v_ffbh_u32_e32 v14, v12
	v_min_u32_e32 v14, 32, v14
	v_lshrrev_b16_e32 v13, 3, v6
	v_subrev_u32_e32 v15, 28, v14
	v_and_b32_e32 v13, 15, v13
	v_lshlrev_b32_e32 v6, v15, v6
	v_sub_u32_e32 v14, 29, v14
	v_and_b32_e32 v6, 7, v6
	v_cmp_eq_u16_e32 vcc, 0, v13
	v_cndmask_b32_e32 v6, v12, v6, vcc
	v_cndmask_b32_e32 v12, v13, v14, vcc
	v_lshlrev_b32_e32 v13, 16, v3
	v_mov_b32_e32 v14, 0x3b800000
	v_lshlrev_b32_e32 v6, 20, v6
	v_and_b32_e32 v13, 0x80000000, v13
	v_lshl_add_u32 v12, v12, 23, v14
	v_or3_b32 v12, v13, v12, v6
.LBB4_816:
	s_or_b64 exec, exec, s[6:7]
	s_nop 0
	v_mfma_f32_16x16x4f32 a[0:3], v2, v12, a[0:3]
	s_movk_i32 s4, 0xff
	v_and_b32_sdwa v6, v7, s4 dst_sel:DWORD dst_unused:UNUSED_PAD src0_sel:WORD_1 src1_sel:DWORD
	s_movk_i32 s4, 0x7f
	v_cmp_lt_i16_e32 vcc, s4, v6
	s_mov_b64 s[4:5], 0
                                        ; implicit-def: $sgpr10
	s_and_saveexec_b64 s[6:7], vcc
	s_xor_b64 s[6:7], exec, s[6:7]
	s_cbranch_execnz .LBB4_2865
; %bb.817:
	s_or_saveexec_b64 s[6:7], s[6:7]
	v_mov_b32_e32 v2, s10
	s_xor_b64 exec, exec, s[6:7]
	s_cbranch_execnz .LBB4_2868
.LBB4_818:
	s_or_b64 exec, exec, s[6:7]
	s_and_saveexec_b64 s[6:7], s[4:5]
	s_cbranch_execz .LBB4_820
.LBB4_819:
	v_bfe_u32 v2, v7, 16, 3
	v_ffbh_u32_e32 v13, v2
	v_min_u32_e32 v13, 32, v13
	v_lshrrev_b32_e32 v6, 19, v7
	v_subrev_u32_e32 v14, 28, v13
	v_and_b32_e32 v6, 15, v6
	v_lshlrev_b32_sdwa v14, v14, v7 dst_sel:DWORD dst_unused:UNUSED_PAD src0_sel:DWORD src1_sel:WORD_1
	v_bfe_u32 v12, v7, 19, 4
	v_sub_u32_e32 v13, 29, v13
	v_and_b32_e32 v14, 7, v14
	v_cmp_eq_u16_e32 vcc, 0, v6
	v_cndmask_b32_e32 v2, v2, v14, vcc
	v_cndmask_b32_e32 v6, v12, v13, vcc
	v_lshlrev_b32_e32 v12, 8, v7
	v_mov_b32_e32 v13, 0x3b800000
	v_lshlrev_b32_e32 v2, 20, v2
	v_and_b32_e32 v12, 0x80000000, v12
	v_lshl_add_u32 v6, v6, 23, v13
	v_or3_b32 v2, v12, v6, v2
.LBB4_820:
	s_or_b64 exec, exec, s[6:7]
	s_movk_i32 s4, 0xff
	v_and_b32_sdwa v6, v3, s4 dst_sel:DWORD dst_unused:UNUSED_PAD src0_sel:WORD_1 src1_sel:DWORD
	s_movk_i32 s4, 0x7f
	v_cmp_lt_i16_e32 vcc, s4, v6
	s_mov_b64 s[4:5], 0
                                        ; implicit-def: $sgpr10
	s_and_saveexec_b64 s[6:7], vcc
	s_xor_b64 s[6:7], exec, s[6:7]
	s_cbranch_execnz .LBB4_2869
; %bb.821:
	s_or_saveexec_b64 s[6:7], s[6:7]
	v_mov_b32_e32 v12, s10
	s_xor_b64 exec, exec, s[6:7]
	s_cbranch_execnz .LBB4_2872
.LBB4_822:
	s_or_b64 exec, exec, s[6:7]
	s_and_saveexec_b64 s[6:7], s[4:5]
	s_cbranch_execz .LBB4_824
.LBB4_823:
	v_bfe_u32 v6, v3, 16, 3
	v_ffbh_u32_e32 v14, v6
	v_min_u32_e32 v14, 32, v14
	v_lshrrev_b32_e32 v12, 19, v3
	v_subrev_u32_e32 v15, 28, v14
	v_and_b32_e32 v12, 15, v12
	v_lshlrev_b32_sdwa v15, v15, v3 dst_sel:DWORD dst_unused:UNUSED_PAD src0_sel:DWORD src1_sel:WORD_1
	v_bfe_u32 v13, v3, 19, 4
	v_sub_u32_e32 v14, 29, v14
	v_and_b32_e32 v15, 7, v15
	v_cmp_eq_u16_e32 vcc, 0, v12
	v_cndmask_b32_e32 v6, v6, v15, vcc
	v_cndmask_b32_e32 v12, v13, v14, vcc
	v_lshlrev_b32_e32 v13, 8, v3
	v_mov_b32_e32 v14, 0x3b800000
	v_lshlrev_b32_e32 v6, 20, v6
	v_and_b32_e32 v13, 0x80000000, v13
	v_lshl_add_u32 v12, v12, 23, v14
	v_or3_b32 v12, v13, v12, v6
.LBB4_824:
	s_or_b64 exec, exec, s[6:7]
	s_nop 0
	v_mfma_f32_16x16x4f32 a[0:3], v2, v12, a[0:3]
	s_movk_i32 s4, 0x7f
	v_cmp_gt_i16_sdwa s[6:7], v7, s4 src0_sel:BYTE_3 src1_sel:DWORD
	s_mov_b64 s[4:5], 0
                                        ; implicit-def: $sgpr10
	s_and_saveexec_b64 s[8:9], s[6:7]
	s_xor_b64 s[6:7], exec, s[8:9]
	s_cbranch_execnz .LBB4_2873
; %bb.825:
	s_or_saveexec_b64 s[6:7], s[6:7]
	v_mov_b32_e32 v2, s10
	s_xor_b64 exec, exec, s[6:7]
	s_cbranch_execnz .LBB4_2876
.LBB4_826:
	s_or_b64 exec, exec, s[6:7]
	s_and_saveexec_b64 s[6:7], s[4:5]
	s_cbranch_execz .LBB4_828
.LBB4_827:
	v_bfe_u32 v2, v7, 24, 3
	v_ffbh_u32_e32 v14, v2
	v_min_u32_e32 v14, 32, v14
	v_lshrrev_b32_e32 v12, 27, v7
	v_subrev_u32_e32 v15, 28, v14
	v_and_b32_e32 v6, 0x80000000, v7
	v_and_b32_e32 v12, 15, v12
	v_bfe_u32 v13, v7, 27, 4
	v_lshlrev_b32_sdwa v7, v15, v7 dst_sel:DWORD dst_unused:UNUSED_PAD src0_sel:DWORD src1_sel:BYTE_3
	v_sub_u32_e32 v14, 29, v14
	v_and_b32_e32 v7, 7, v7
	v_cmp_eq_u16_e32 vcc, 0, v12
	v_cndmask_b32_e32 v2, v2, v7, vcc
	v_cndmask_b32_e32 v7, v13, v14, vcc
	v_mov_b32_e32 v12, 0x3b800000
	v_lshlrev_b32_e32 v2, 20, v2
	v_lshl_add_u32 v7, v7, 23, v12
	v_or3_b32 v2, v6, v7, v2
.LBB4_828:
	s_or_b64 exec, exec, s[6:7]
	s_movk_i32 s4, 0x7f
	v_cmp_gt_i16_sdwa s[6:7], v3, s4 src0_sel:BYTE_3 src1_sel:DWORD
	s_mov_b64 s[4:5], 0
                                        ; implicit-def: $sgpr10
	s_and_saveexec_b64 s[8:9], s[6:7]
	s_xor_b64 s[6:7], exec, s[8:9]
	s_cbranch_execnz .LBB4_2877
; %bb.829:
	s_or_saveexec_b64 s[6:7], s[6:7]
	v_mov_b32_e32 v6, s10
	s_xor_b64 exec, exec, s[6:7]
	s_cbranch_execnz .LBB4_2880
.LBB4_830:
	s_or_b64 exec, exec, s[6:7]
	s_and_saveexec_b64 s[6:7], s[4:5]
	s_cbranch_execz .LBB4_832
.LBB4_831:
	v_bfe_u32 v6, v3, 24, 3
	v_ffbh_u32_e32 v14, v6
	v_min_u32_e32 v14, 32, v14
	v_lshrrev_b32_e32 v12, 27, v3
	v_subrev_u32_e32 v15, 28, v14
	v_and_b32_e32 v7, 0x80000000, v3
	v_and_b32_e32 v12, 15, v12
	v_bfe_u32 v13, v3, 27, 4
	v_lshlrev_b32_sdwa v3, v15, v3 dst_sel:DWORD dst_unused:UNUSED_PAD src0_sel:DWORD src1_sel:BYTE_3
	v_sub_u32_e32 v14, 29, v14
	v_and_b32_e32 v3, 7, v3
	v_cmp_eq_u16_e32 vcc, 0, v12
	v_cndmask_b32_e32 v3, v6, v3, vcc
	v_cndmask_b32_e32 v6, v13, v14, vcc
	v_mov_b32_e32 v12, 0x3b800000
	v_lshlrev_b32_e32 v3, 20, v3
	v_lshl_add_u32 v6, v6, 23, v12
	v_or3_b32 v6, v7, v6, v3
.LBB4_832:
	s_or_b64 exec, exec, s[6:7]
	s_nop 0
	v_mfma_f32_16x16x4f32 a[0:3], v2, v6, a[0:3]
	s_movk_i32 s4, 0x7f
	v_cmp_gt_i16_sdwa s[6:7], v8, s4 src0_sel:BYTE_0 src1_sel:DWORD
	s_mov_b64 s[4:5], 0
                                        ; implicit-def: $sgpr10
	s_and_saveexec_b64 s[8:9], s[6:7]
	s_xor_b64 s[6:7], exec, s[8:9]
	s_cbranch_execnz .LBB4_2881
; %bb.833:
	s_or_saveexec_b64 s[6:7], s[6:7]
	v_mov_b32_e32 v2, s10
	s_xor_b64 exec, exec, s[6:7]
	s_cbranch_execnz .LBB4_2884
.LBB4_834:
	s_or_b64 exec, exec, s[6:7]
	s_and_saveexec_b64 s[6:7], s[4:5]
	s_cbranch_execz .LBB4_836
.LBB4_835:
	v_and_b32_e32 v2, 7, v8
	v_ffbh_u32_e32 v6, v2
	v_min_u32_e32 v6, 32, v6
	v_lshrrev_b16_e32 v3, 3, v8
	v_subrev_u32_e32 v7, 28, v6
	v_and_b32_e32 v3, 15, v3
	v_lshlrev_b32_e32 v7, v7, v8
	v_sub_u32_e32 v6, 29, v6
	v_and_b32_e32 v7, 7, v7
	v_cmp_eq_u16_e32 vcc, 0, v3
	v_cndmask_b32_e32 v2, v2, v7, vcc
	v_cndmask_b32_e32 v3, v3, v6, vcc
	v_lshlrev_b32_e32 v6, 24, v8
	v_mov_b32_e32 v7, 0x3b800000
	v_lshlrev_b32_e32 v2, 20, v2
	v_and_b32_e32 v6, 0x80000000, v6
	v_lshl_add_u32 v3, v3, 23, v7
	v_or3_b32 v2, v6, v3, v2
.LBB4_836:
	s_or_b64 exec, exec, s[6:7]
	s_movk_i32 s4, 0x7f
	v_cmp_gt_i16_sdwa s[6:7], v4, s4 src0_sel:BYTE_0 src1_sel:DWORD
	s_mov_b64 s[4:5], 0
                                        ; implicit-def: $sgpr10
	s_and_saveexec_b64 s[8:9], s[6:7]
	s_xor_b64 s[6:7], exec, s[8:9]
	s_cbranch_execnz .LBB4_2885
; %bb.837:
	s_or_saveexec_b64 s[6:7], s[6:7]
	v_mov_b32_e32 v3, s10
	s_xor_b64 exec, exec, s[6:7]
	s_cbranch_execnz .LBB4_2888
.LBB4_838:
	s_or_b64 exec, exec, s[6:7]
	s_and_saveexec_b64 s[6:7], s[4:5]
	s_cbranch_execz .LBB4_840
.LBB4_839:
	v_and_b32_e32 v3, 7, v4
	v_ffbh_u32_e32 v7, v3
	v_min_u32_e32 v7, 32, v7
	v_lshrrev_b16_e32 v6, 3, v4
	v_subrev_u32_e32 v12, 28, v7
	v_and_b32_e32 v6, 15, v6
	v_lshlrev_b32_e32 v12, v12, v4
	v_sub_u32_e32 v7, 29, v7
	v_and_b32_e32 v12, 7, v12
	v_cmp_eq_u16_e32 vcc, 0, v6
	v_cndmask_b32_e32 v3, v3, v12, vcc
	v_cndmask_b32_e32 v6, v6, v7, vcc
	v_lshlrev_b32_e32 v7, 24, v4
	v_mov_b32_e32 v12, 0x3b800000
	v_lshlrev_b32_e32 v3, 20, v3
	v_and_b32_e32 v7, 0x80000000, v7
	v_lshl_add_u32 v6, v6, 23, v12
	v_or3_b32 v3, v7, v6, v3
.LBB4_840:
	s_or_b64 exec, exec, s[6:7]
	s_nop 0
	v_mfma_f32_16x16x4f32 a[0:3], v2, v3, a[0:3]
	v_lshrrev_b32_e32 v3, 8, v8
	s_movk_i32 s4, 0x7f
	v_cmp_gt_i16_sdwa s[6:7], v3, s4 src0_sel:BYTE_0 src1_sel:DWORD
	s_mov_b64 s[4:5], 0
                                        ; implicit-def: $sgpr10
	s_and_saveexec_b64 s[8:9], s[6:7]
	s_xor_b64 s[6:7], exec, s[8:9]
	s_cbranch_execnz .LBB4_2889
; %bb.841:
	s_or_saveexec_b64 s[6:7], s[6:7]
	v_mov_b32_e32 v2, s10
	s_xor_b64 exec, exec, s[6:7]
	s_cbranch_execnz .LBB4_2892
.LBB4_842:
	s_or_b64 exec, exec, s[6:7]
	s_and_saveexec_b64 s[6:7], s[4:5]
	s_cbranch_execz .LBB4_844
.LBB4_843:
	v_bfe_u32 v2, v8, 8, 3
	v_ffbh_u32_e32 v7, v2
	v_min_u32_e32 v7, 32, v7
	v_lshrrev_b16_e32 v6, 3, v3
	v_subrev_u32_e32 v12, 28, v7
	v_and_b32_e32 v6, 15, v6
	v_lshlrev_b32_e32 v3, v12, v3
	v_sub_u32_e32 v7, 29, v7
	v_and_b32_e32 v3, 7, v3
	v_cmp_eq_u16_e32 vcc, 0, v6
	v_cndmask_b32_e32 v2, v2, v3, vcc
	v_cndmask_b32_e32 v3, v6, v7, vcc
	v_lshlrev_b32_e32 v6, 16, v8
	v_mov_b32_e32 v7, 0x3b800000
	v_lshlrev_b32_e32 v2, 20, v2
	v_and_b32_e32 v6, 0x80000000, v6
	v_lshl_add_u32 v3, v3, 23, v7
	v_or3_b32 v2, v6, v3, v2
.LBB4_844:
	s_or_b64 exec, exec, s[6:7]
	v_lshrrev_b32_e32 v3, 8, v4
	s_movk_i32 s4, 0x7f
	v_cmp_gt_i16_sdwa s[6:7], v3, s4 src0_sel:BYTE_0 src1_sel:DWORD
	s_mov_b64 s[4:5], 0
                                        ; implicit-def: $sgpr10
	s_and_saveexec_b64 s[8:9], s[6:7]
	s_xor_b64 s[6:7], exec, s[8:9]
	s_cbranch_execnz .LBB4_2893
; %bb.845:
	s_or_saveexec_b64 s[6:7], s[6:7]
	v_mov_b32_e32 v6, s10
	s_xor_b64 exec, exec, s[6:7]
	s_cbranch_execnz .LBB4_2896
.LBB4_846:
	s_or_b64 exec, exec, s[6:7]
	s_and_saveexec_b64 s[6:7], s[4:5]
	s_cbranch_execz .LBB4_848
.LBB4_847:
	v_bfe_u32 v6, v4, 8, 3
	v_ffbh_u32_e32 v12, v6
	v_min_u32_e32 v12, 32, v12
	v_lshrrev_b16_e32 v7, 3, v3
	v_subrev_u32_e32 v13, 28, v12
	v_and_b32_e32 v7, 15, v7
	v_lshlrev_b32_e32 v3, v13, v3
	v_sub_u32_e32 v12, 29, v12
	v_and_b32_e32 v3, 7, v3
	v_cmp_eq_u16_e32 vcc, 0, v7
	v_cndmask_b32_e32 v3, v6, v3, vcc
	v_cndmask_b32_e32 v6, v7, v12, vcc
	v_lshlrev_b32_e32 v7, 16, v4
	v_mov_b32_e32 v12, 0x3b800000
	v_lshlrev_b32_e32 v3, 20, v3
	v_and_b32_e32 v7, 0x80000000, v7
	v_lshl_add_u32 v6, v6, 23, v12
	v_or3_b32 v6, v7, v6, v3
.LBB4_848:
	s_or_b64 exec, exec, s[6:7]
	s_nop 0
	v_mfma_f32_16x16x4f32 a[0:3], v2, v6, a[0:3]
	s_movk_i32 s4, 0xff
	v_and_b32_sdwa v3, v8, s4 dst_sel:DWORD dst_unused:UNUSED_PAD src0_sel:WORD_1 src1_sel:DWORD
	s_movk_i32 s4, 0x7f
	v_cmp_lt_i16_e32 vcc, s4, v3
	s_mov_b64 s[4:5], 0
                                        ; implicit-def: $sgpr10
	s_and_saveexec_b64 s[6:7], vcc
	s_xor_b64 s[6:7], exec, s[6:7]
	s_cbranch_execnz .LBB4_2897
; %bb.849:
	s_or_saveexec_b64 s[6:7], s[6:7]
	v_mov_b32_e32 v2, s10
	s_xor_b64 exec, exec, s[6:7]
	s_cbranch_execnz .LBB4_2900
.LBB4_850:
	s_or_b64 exec, exec, s[6:7]
	s_and_saveexec_b64 s[6:7], s[4:5]
	s_cbranch_execz .LBB4_852
.LBB4_851:
	v_bfe_u32 v2, v8, 16, 3
	v_ffbh_u32_e32 v7, v2
	v_min_u32_e32 v7, 32, v7
	v_lshrrev_b32_e32 v3, 19, v8
	v_subrev_u32_e32 v12, 28, v7
	v_and_b32_e32 v3, 15, v3
	v_lshlrev_b32_sdwa v12, v12, v8 dst_sel:DWORD dst_unused:UNUSED_PAD src0_sel:DWORD src1_sel:WORD_1
	v_bfe_u32 v6, v8, 19, 4
	v_sub_u32_e32 v7, 29, v7
	v_and_b32_e32 v12, 7, v12
	v_cmp_eq_u16_e32 vcc, 0, v3
	v_cndmask_b32_e32 v2, v2, v12, vcc
	v_cndmask_b32_e32 v3, v6, v7, vcc
	v_lshlrev_b32_e32 v6, 8, v8
	v_mov_b32_e32 v7, 0x3b800000
	v_lshlrev_b32_e32 v2, 20, v2
	v_and_b32_e32 v6, 0x80000000, v6
	v_lshl_add_u32 v3, v3, 23, v7
	v_or3_b32 v2, v6, v3, v2
.LBB4_852:
	s_or_b64 exec, exec, s[6:7]
	s_movk_i32 s4, 0xff
	v_and_b32_sdwa v3, v4, s4 dst_sel:DWORD dst_unused:UNUSED_PAD src0_sel:WORD_1 src1_sel:DWORD
	s_movk_i32 s4, 0x7f
	v_cmp_lt_i16_e32 vcc, s4, v3
	s_mov_b64 s[4:5], 0
                                        ; implicit-def: $sgpr10
	s_and_saveexec_b64 s[6:7], vcc
	s_xor_b64 s[6:7], exec, s[6:7]
	s_cbranch_execnz .LBB4_2901
; %bb.853:
	s_or_saveexec_b64 s[6:7], s[6:7]
	v_mov_b32_e32 v6, s10
	s_xor_b64 exec, exec, s[6:7]
	s_cbranch_execnz .LBB4_2904
.LBB4_854:
	s_or_b64 exec, exec, s[6:7]
	s_and_saveexec_b64 s[6:7], s[4:5]
	s_cbranch_execz .LBB4_856
.LBB4_855:
	v_bfe_u32 v3, v4, 16, 3
	v_ffbh_u32_e32 v12, v3
	v_min_u32_e32 v12, 32, v12
	v_lshrrev_b32_e32 v6, 19, v4
	v_subrev_u32_e32 v13, 28, v12
	v_and_b32_e32 v6, 15, v6
	v_lshlrev_b32_sdwa v13, v13, v4 dst_sel:DWORD dst_unused:UNUSED_PAD src0_sel:DWORD src1_sel:WORD_1
	v_bfe_u32 v7, v4, 19, 4
	v_sub_u32_e32 v12, 29, v12
	v_and_b32_e32 v13, 7, v13
	v_cmp_eq_u16_e32 vcc, 0, v6
	v_cndmask_b32_e32 v3, v3, v13, vcc
	v_cndmask_b32_e32 v6, v7, v12, vcc
	v_lshlrev_b32_e32 v7, 8, v4
	v_mov_b32_e32 v12, 0x3b800000
	v_lshlrev_b32_e32 v3, 20, v3
	v_and_b32_e32 v7, 0x80000000, v7
	v_lshl_add_u32 v6, v6, 23, v12
	v_or3_b32 v6, v7, v6, v3
.LBB4_856:
	s_or_b64 exec, exec, s[6:7]
	s_nop 0
	v_mfma_f32_16x16x4f32 a[0:3], v2, v6, a[0:3]
	s_movk_i32 s4, 0x7f
	v_cmp_gt_i16_sdwa s[6:7], v8, s4 src0_sel:BYTE_3 src1_sel:DWORD
	s_mov_b64 s[4:5], 0
                                        ; implicit-def: $sgpr10
	s_and_saveexec_b64 s[8:9], s[6:7]
	s_xor_b64 s[6:7], exec, s[8:9]
	s_cbranch_execnz .LBB4_2905
; %bb.857:
	s_or_saveexec_b64 s[6:7], s[6:7]
	v_mov_b32_e32 v2, s10
	s_xor_b64 exec, exec, s[6:7]
	s_cbranch_execnz .LBB4_2908
.LBB4_858:
	s_or_b64 exec, exec, s[6:7]
	s_and_saveexec_b64 s[6:7], s[4:5]
	s_cbranch_execz .LBB4_860
.LBB4_859:
	v_bfe_u32 v2, v8, 24, 3
	v_ffbh_u32_e32 v12, v2
	v_min_u32_e32 v12, 32, v12
	v_lshrrev_b32_e32 v6, 27, v8
	v_subrev_u32_e32 v13, 28, v12
	v_and_b32_e32 v3, 0x80000000, v8
	v_and_b32_e32 v6, 15, v6
	v_bfe_u32 v7, v8, 27, 4
	v_lshlrev_b32_sdwa v8, v13, v8 dst_sel:DWORD dst_unused:UNUSED_PAD src0_sel:DWORD src1_sel:BYTE_3
	v_sub_u32_e32 v12, 29, v12
	v_and_b32_e32 v8, 7, v8
	v_cmp_eq_u16_e32 vcc, 0, v6
	v_cndmask_b32_e32 v2, v2, v8, vcc
	v_cndmask_b32_e32 v6, v7, v12, vcc
	v_mov_b32_e32 v7, 0x3b800000
	v_lshlrev_b32_e32 v2, 20, v2
	v_lshl_add_u32 v6, v6, 23, v7
	v_or3_b32 v2, v3, v6, v2
.LBB4_860:
	s_or_b64 exec, exec, s[6:7]
	s_movk_i32 s4, 0x7f
	v_cmp_gt_i16_sdwa s[6:7], v4, s4 src0_sel:BYTE_3 src1_sel:DWORD
	s_mov_b64 s[4:5], 0
                                        ; implicit-def: $sgpr10
	s_and_saveexec_b64 s[8:9], s[6:7]
	s_xor_b64 s[6:7], exec, s[8:9]
	s_cbranch_execnz .LBB4_2909
; %bb.861:
	s_or_saveexec_b64 s[6:7], s[6:7]
	v_mov_b32_e32 v3, s10
	s_xor_b64 exec, exec, s[6:7]
	s_cbranch_execnz .LBB4_2912
.LBB4_862:
	s_or_b64 exec, exec, s[6:7]
	s_and_saveexec_b64 s[6:7], s[4:5]
	s_cbranch_execz .LBB4_864
.LBB4_863:
	v_bfe_u32 v3, v4, 24, 3
	v_ffbh_u32_e32 v12, v3
	v_min_u32_e32 v12, 32, v12
	v_lshrrev_b32_e32 v7, 27, v4
	v_subrev_u32_e32 v13, 28, v12
	v_and_b32_e32 v6, 0x80000000, v4
	v_and_b32_e32 v7, 15, v7
	v_bfe_u32 v8, v4, 27, 4
	v_lshlrev_b32_sdwa v4, v13, v4 dst_sel:DWORD dst_unused:UNUSED_PAD src0_sel:DWORD src1_sel:BYTE_3
	v_sub_u32_e32 v12, 29, v12
	v_and_b32_e32 v4, 7, v4
	v_cmp_eq_u16_e32 vcc, 0, v7
	v_cndmask_b32_e32 v3, v3, v4, vcc
	v_cndmask_b32_e32 v4, v8, v12, vcc
	v_mov_b32_e32 v7, 0x3b800000
	v_lshlrev_b32_e32 v3, 20, v3
	v_lshl_add_u32 v4, v4, 23, v7
	v_or3_b32 v3, v6, v4, v3
.LBB4_864:
	s_or_b64 exec, exec, s[6:7]
	s_nop 0
	v_mfma_f32_16x16x4f32 a[0:3], v2, v3, a[0:3]
	s_movk_i32 s4, 0x7f
	v_cmp_gt_i16_sdwa s[6:7], v9, s4 src0_sel:BYTE_0 src1_sel:DWORD
	s_mov_b64 s[4:5], 0
                                        ; implicit-def: $sgpr10
	s_and_saveexec_b64 s[8:9], s[6:7]
	s_xor_b64 s[6:7], exec, s[8:9]
	s_cbranch_execnz .LBB4_2913
; %bb.865:
	s_or_saveexec_b64 s[6:7], s[6:7]
	v_mov_b32_e32 v2, s10
	s_xor_b64 exec, exec, s[6:7]
	s_cbranch_execnz .LBB4_2916
.LBB4_866:
	s_or_b64 exec, exec, s[6:7]
	s_and_saveexec_b64 s[6:7], s[4:5]
	s_cbranch_execz .LBB4_868
.LBB4_867:
	v_mov_b32_e32 v2, 8
	v_and_b32_e32 v3, 7, v9
	v_lshrrev_b32_sdwa v2, v2, v9 dst_sel:BYTE_1 dst_unused:UNUSED_PAD src0_sel:DWORD src1_sel:DWORD
	v_ffbh_u32_e32 v4, v3
	v_or_b32_sdwa v2, v9, v2 dst_sel:DWORD dst_unused:UNUSED_PAD src0_sel:BYTE_0 src1_sel:DWORD
	v_min_u32_e32 v4, 32, v4
	v_lshrrev_b16_e32 v2, 3, v2
	v_subrev_u32_e32 v6, 28, v4
	v_and_b32_e32 v2, 15, v2
	v_lshlrev_b32_e32 v6, v6, v9
	v_sub_u32_e32 v4, 29, v4
	v_and_b32_e32 v6, 7, v6
	v_cmp_eq_u16_e32 vcc, 0, v2
	v_cndmask_b32_e32 v3, v3, v6, vcc
	v_cndmask_b32_e32 v2, v2, v4, vcc
	v_lshlrev_b32_e32 v4, 24, v9
	v_mov_b32_e32 v6, 0x3b800000
	v_lshlrev_b32_e32 v3, 20, v3
	v_and_b32_e32 v4, 0x80000000, v4
	v_lshl_add_u32 v2, v2, 23, v6
	v_or3_b32 v2, v4, v2, v3
.LBB4_868:
	s_or_b64 exec, exec, s[6:7]
	s_movk_i32 s4, 0x7f
	v_cmp_gt_i16_sdwa s[6:7], v5, s4 src0_sel:BYTE_0 src1_sel:DWORD
	s_mov_b64 s[4:5], 0
                                        ; implicit-def: $sgpr10
	s_and_saveexec_b64 s[8:9], s[6:7]
	s_xor_b64 s[6:7], exec, s[8:9]
	s_cbranch_execnz .LBB4_2917
; %bb.869:
	s_or_saveexec_b64 s[6:7], s[6:7]
	v_mov_b32_e32 v3, s10
	s_xor_b64 exec, exec, s[6:7]
	s_cbranch_execnz .LBB4_2920
.LBB4_870:
	s_or_b64 exec, exec, s[6:7]
	s_and_saveexec_b64 s[6:7], s[4:5]
	s_cbranch_execz .LBB4_872
.LBB4_871:
	v_mov_b32_e32 v3, 8
	v_and_b32_e32 v4, 7, v5
	v_lshrrev_b32_sdwa v3, v3, v5 dst_sel:BYTE_1 dst_unused:UNUSED_PAD src0_sel:DWORD src1_sel:DWORD
	v_ffbh_u32_e32 v6, v4
	v_or_b32_sdwa v3, v5, v3 dst_sel:DWORD dst_unused:UNUSED_PAD src0_sel:BYTE_0 src1_sel:DWORD
	v_min_u32_e32 v6, 32, v6
	v_lshrrev_b16_e32 v3, 3, v3
	v_subrev_u32_e32 v7, 28, v6
	v_and_b32_e32 v3, 15, v3
	v_lshlrev_b32_e32 v7, v7, v5
	v_sub_u32_e32 v6, 29, v6
	v_and_b32_e32 v7, 7, v7
	v_cmp_eq_u16_e32 vcc, 0, v3
	v_cndmask_b32_e32 v4, v4, v7, vcc
	v_cndmask_b32_e32 v3, v3, v6, vcc
	v_lshlrev_b32_e32 v6, 24, v5
	v_mov_b32_e32 v7, 0x3b800000
	v_lshlrev_b32_e32 v4, 20, v4
	v_and_b32_e32 v6, 0x80000000, v6
	v_lshl_add_u32 v3, v3, 23, v7
	v_or3_b32 v3, v6, v3, v4
.LBB4_872:
	s_or_b64 exec, exec, s[6:7]
	s_nop 0
	v_mfma_f32_16x16x4f32 a[0:3], v2, v3, a[0:3]
	v_lshrrev_b32_e32 v3, 8, v9
	s_movk_i32 s4, 0x7f
	v_cmp_gt_i16_sdwa s[6:7], v3, s4 src0_sel:BYTE_0 src1_sel:DWORD
	s_mov_b64 s[4:5], 0
                                        ; implicit-def: $sgpr10
	s_and_saveexec_b64 s[8:9], s[6:7]
	s_xor_b64 s[6:7], exec, s[8:9]
	s_cbranch_execnz .LBB4_2921
; %bb.873:
	s_or_saveexec_b64 s[6:7], s[6:7]
	v_mov_b32_e32 v2, s10
	s_xor_b64 exec, exec, s[6:7]
	s_cbranch_execnz .LBB4_2924
.LBB4_874:
	s_or_b64 exec, exec, s[6:7]
	s_and_saveexec_b64 s[6:7], s[4:5]
	s_cbranch_execz .LBB4_876
.LBB4_875:
	v_bfe_u32 v2, v9, 8, 3
	v_ffbh_u32_e32 v6, v2
	v_min_u32_e32 v6, 32, v6
	v_lshrrev_b16_e32 v4, 3, v3
	v_subrev_u32_e32 v7, 28, v6
	v_and_b32_e32 v4, 15, v4
	v_lshlrev_b32_e32 v3, v7, v3
	v_sub_u32_e32 v6, 29, v6
	v_and_b32_e32 v3, 7, v3
	v_cmp_eq_u16_e32 vcc, 0, v4
	v_cndmask_b32_e32 v2, v2, v3, vcc
	v_cndmask_b32_e32 v3, v4, v6, vcc
	v_lshlrev_b32_e32 v4, 16, v9
	v_mov_b32_e32 v6, 0x3b800000
	v_lshlrev_b32_e32 v2, 20, v2
	v_and_b32_e32 v4, 0x80000000, v4
	v_lshl_add_u32 v3, v3, 23, v6
	v_or3_b32 v2, v4, v3, v2
.LBB4_876:
	s_or_b64 exec, exec, s[6:7]
	v_lshrrev_b32_e32 v3, 8, v5
	s_movk_i32 s4, 0x7f
	v_cmp_gt_i16_sdwa s[6:7], v3, s4 src0_sel:BYTE_0 src1_sel:DWORD
	s_mov_b64 s[4:5], 0
                                        ; implicit-def: $sgpr10
	s_and_saveexec_b64 s[8:9], s[6:7]
	s_xor_b64 s[6:7], exec, s[8:9]
	s_cbranch_execnz .LBB4_2925
; %bb.877:
	s_or_saveexec_b64 s[6:7], s[6:7]
	v_mov_b32_e32 v4, s10
	s_xor_b64 exec, exec, s[6:7]
	s_cbranch_execnz .LBB4_2928
.LBB4_878:
	s_or_b64 exec, exec, s[6:7]
	s_and_saveexec_b64 s[6:7], s[4:5]
	s_cbranch_execz .LBB4_880
.LBB4_879:
	v_bfe_u32 v4, v5, 8, 3
	v_ffbh_u32_e32 v7, v4
	v_min_u32_e32 v7, 32, v7
	v_lshrrev_b16_e32 v6, 3, v3
	v_subrev_u32_e32 v8, 28, v7
	v_and_b32_e32 v6, 15, v6
	v_lshlrev_b32_e32 v3, v8, v3
	v_sub_u32_e32 v7, 29, v7
	v_and_b32_e32 v3, 7, v3
	v_cmp_eq_u16_e32 vcc, 0, v6
	v_cndmask_b32_e32 v3, v4, v3, vcc
	v_cndmask_b32_e32 v4, v6, v7, vcc
	v_lshlrev_b32_e32 v6, 16, v5
	v_mov_b32_e32 v7, 0x3b800000
	v_lshlrev_b32_e32 v3, 20, v3
	v_and_b32_e32 v6, 0x80000000, v6
	v_lshl_add_u32 v4, v4, 23, v7
	v_or3_b32 v4, v6, v4, v3
.LBB4_880:
	s_or_b64 exec, exec, s[6:7]
	s_nop 0
	v_mfma_f32_16x16x4f32 a[0:3], v2, v4, a[0:3]
	s_movk_i32 s4, 0xff
	v_and_b32_sdwa v3, v9, s4 dst_sel:DWORD dst_unused:UNUSED_PAD src0_sel:WORD_1 src1_sel:DWORD
	s_movk_i32 s4, 0x7f
	v_cmp_lt_i16_e32 vcc, s4, v3
	s_mov_b64 s[4:5], 0
                                        ; implicit-def: $sgpr10
	s_and_saveexec_b64 s[6:7], vcc
	s_xor_b64 s[6:7], exec, s[6:7]
	s_cbranch_execnz .LBB4_2929
; %bb.881:
	s_or_saveexec_b64 s[6:7], s[6:7]
	v_mov_b32_e32 v2, s10
	s_xor_b64 exec, exec, s[6:7]
	s_cbranch_execnz .LBB4_2932
.LBB4_882:
	s_or_b64 exec, exec, s[6:7]
	s_and_saveexec_b64 s[6:7], s[4:5]
	s_cbranch_execz .LBB4_884
.LBB4_883:
	v_bfe_u32 v2, v9, 16, 3
	v_ffbh_u32_e32 v6, v2
	v_min_u32_e32 v6, 32, v6
	v_lshrrev_b32_e32 v3, 19, v9
	v_subrev_u32_e32 v7, 28, v6
	v_and_b32_e32 v3, 15, v3
	v_lshlrev_b32_sdwa v7, v7, v9 dst_sel:DWORD dst_unused:UNUSED_PAD src0_sel:DWORD src1_sel:WORD_1
	v_bfe_u32 v4, v9, 19, 4
	v_sub_u32_e32 v6, 29, v6
	v_and_b32_e32 v7, 7, v7
	v_cmp_eq_u16_e32 vcc, 0, v3
	v_cndmask_b32_e32 v2, v2, v7, vcc
	v_cndmask_b32_e32 v3, v4, v6, vcc
	v_lshlrev_b32_e32 v4, 8, v9
	v_mov_b32_e32 v6, 0x3b800000
	v_lshlrev_b32_e32 v2, 20, v2
	v_and_b32_e32 v4, 0x80000000, v4
	v_lshl_add_u32 v3, v3, 23, v6
	v_or3_b32 v2, v4, v3, v2
.LBB4_884:
	s_or_b64 exec, exec, s[6:7]
	s_movk_i32 s4, 0xff
	v_and_b32_sdwa v3, v5, s4 dst_sel:DWORD dst_unused:UNUSED_PAD src0_sel:WORD_1 src1_sel:DWORD
	s_movk_i32 s4, 0x7f
	v_cmp_lt_i16_e32 vcc, s4, v3
	s_mov_b64 s[4:5], 0
                                        ; implicit-def: $sgpr10
	s_and_saveexec_b64 s[6:7], vcc
	s_xor_b64 s[6:7], exec, s[6:7]
	s_cbranch_execnz .LBB4_2933
; %bb.885:
	s_or_saveexec_b64 s[6:7], s[6:7]
	v_mov_b32_e32 v4, s10
	s_xor_b64 exec, exec, s[6:7]
	s_cbranch_execnz .LBB4_2936
.LBB4_886:
	s_or_b64 exec, exec, s[6:7]
	s_and_saveexec_b64 s[6:7], s[4:5]
	s_cbranch_execz .LBB4_888
.LBB4_887:
	v_bfe_u32 v3, v5, 16, 3
	v_ffbh_u32_e32 v7, v3
	v_min_u32_e32 v7, 32, v7
	v_lshrrev_b32_e32 v4, 19, v5
	v_subrev_u32_e32 v8, 28, v7
	v_and_b32_e32 v4, 15, v4
	v_lshlrev_b32_sdwa v8, v8, v5 dst_sel:DWORD dst_unused:UNUSED_PAD src0_sel:DWORD src1_sel:WORD_1
	v_bfe_u32 v6, v5, 19, 4
	v_sub_u32_e32 v7, 29, v7
	v_and_b32_e32 v8, 7, v8
	v_cmp_eq_u16_e32 vcc, 0, v4
	v_cndmask_b32_e32 v3, v3, v8, vcc
	v_cndmask_b32_e32 v4, v6, v7, vcc
	v_lshlrev_b32_e32 v6, 8, v5
	v_mov_b32_e32 v7, 0x3b800000
	v_lshlrev_b32_e32 v3, 20, v3
	v_and_b32_e32 v6, 0x80000000, v6
	v_lshl_add_u32 v4, v4, 23, v7
	v_or3_b32 v4, v6, v4, v3
.LBB4_888:
	s_or_b64 exec, exec, s[6:7]
	s_nop 0
	v_mfma_f32_16x16x4f32 a[0:3], v2, v4, a[0:3]
	s_movk_i32 s4, 0x7f
	v_cmp_gt_i16_sdwa s[6:7], v9, s4 src0_sel:BYTE_3 src1_sel:DWORD
	s_mov_b64 s[4:5], 0
                                        ; implicit-def: $sgpr10
	s_and_saveexec_b64 s[8:9], s[6:7]
	s_xor_b64 s[6:7], exec, s[8:9]
	s_cbranch_execnz .LBB4_2937
; %bb.889:
	s_or_saveexec_b64 s[6:7], s[6:7]
	v_mov_b32_e32 v2, s10
	s_xor_b64 exec, exec, s[6:7]
	s_cbranch_execnz .LBB4_2940
.LBB4_890:
	s_or_b64 exec, exec, s[6:7]
	s_and_saveexec_b64 s[6:7], s[4:5]
	s_cbranch_execz .LBB4_892
.LBB4_891:
	v_bfe_u32 v2, v9, 24, 3
	v_ffbh_u32_e32 v7, v2
	v_min_u32_e32 v7, 32, v7
	v_lshrrev_b32_e32 v4, 27, v9
	v_subrev_u32_e32 v8, 28, v7
	v_and_b32_e32 v4, 15, v4
	v_lshlrev_b32_sdwa v8, v8, v9 dst_sel:DWORD dst_unused:UNUSED_PAD src0_sel:DWORD src1_sel:BYTE_3
	v_bfe_u32 v6, v9, 27, 4
	v_sub_u32_e32 v7, 29, v7
	v_and_b32_e32 v8, 7, v8
	v_cmp_eq_u16_e32 vcc, 0, v4
	v_cndmask_b32_e32 v2, v2, v8, vcc
	v_cndmask_b32_e32 v4, v6, v7, vcc
	v_mov_b32_e32 v6, 0x3b800000
	v_and_b32_e32 v3, 0x80000000, v9
	v_lshlrev_b32_e32 v2, 20, v2
	v_lshl_add_u32 v4, v4, 23, v6
	v_or3_b32 v2, v3, v4, v2
.LBB4_892:
	s_or_b64 exec, exec, s[6:7]
	s_movk_i32 s4, 0x7f
	v_cmp_gt_i16_sdwa s[6:7], v5, s4 src0_sel:BYTE_3 src1_sel:DWORD
	s_mov_b64 s[4:5], 0
                                        ; implicit-def: $sgpr10
	s_and_saveexec_b64 s[8:9], s[6:7]
	s_xor_b64 s[6:7], exec, s[8:9]
	s_cbranch_execnz .LBB4_2941
; %bb.893:
	s_or_saveexec_b64 s[6:7], s[6:7]
	v_mov_b32_e32 v3, s10
	s_xor_b64 exec, exec, s[6:7]
	s_cbranch_execnz .LBB4_2944
.LBB4_894:
	s_or_b64 exec, exec, s[6:7]
	s_and_saveexec_b64 s[6:7], s[4:5]
	s_cbranch_execz .LBB4_896
.LBB4_895:
	v_bfe_u32 v3, v5, 24, 3
	v_ffbh_u32_e32 v8, v3
	v_min_u32_e32 v8, 32, v8
	v_lshrrev_b32_e32 v6, 27, v5
	v_subrev_u32_e32 v9, 28, v8
	v_and_b32_e32 v4, 0x80000000, v5
	v_and_b32_e32 v6, 15, v6
	v_bfe_u32 v7, v5, 27, 4
	v_lshlrev_b32_sdwa v5, v9, v5 dst_sel:DWORD dst_unused:UNUSED_PAD src0_sel:DWORD src1_sel:BYTE_3
	v_sub_u32_e32 v8, 29, v8
	v_and_b32_e32 v5, 7, v5
	v_cmp_eq_u16_e32 vcc, 0, v6
	v_cndmask_b32_e32 v3, v3, v5, vcc
	v_cndmask_b32_e32 v5, v7, v8, vcc
	v_mov_b32_e32 v6, 0x3b800000
	v_lshlrev_b32_e32 v3, 20, v3
	v_lshl_add_u32 v5, v5, 23, v6
	v_or3_b32 v3, v4, v5, v3
.LBB4_896:
	s_or_b64 exec, exec, s[6:7]
	s_nop 0
	v_mfma_f32_16x16x4f32 a[0:3], v2, v3, a[0:3]
	s_movk_i32 s4, 0x7f
                                        ; implicit-def: $sgpr10
	s_nop 7
	s_nop 1
	flat_store_dwordx4 v[10:11], a[0:3] offset:96
	flat_load_dwordx4 v[12:15], v[0:1] offset:8
	s_nop 0
	flat_load_dwordx2 v[10:11], v[0:1] offset:32
	s_waitcnt vmcnt(0) lgkmcnt(0)
	flat_load_dwordx4 v[6:9], v[12:13] offset:48
	flat_load_dwordx4 v[2:5], v[14:15] offset:112
	s_waitcnt vmcnt(0) lgkmcnt(0)
	v_cmp_gt_i16_sdwa s[6:7], v6, s4 src0_sel:BYTE_0 src1_sel:DWORD
	s_mov_b64 s[4:5], 0
	s_and_saveexec_b64 s[8:9], s[6:7]
	s_xor_b64 s[6:7], exec, s[8:9]
	s_cbranch_execnz .LBB4_2945
; %bb.897:
	s_or_saveexec_b64 s[6:7], s[6:7]
	v_mov_b32_e32 v12, s10
	s_xor_b64 exec, exec, s[6:7]
	s_cbranch_execnz .LBB4_2948
.LBB4_898:
	s_or_b64 exec, exec, s[6:7]
	s_and_saveexec_b64 s[6:7], s[4:5]
	s_cbranch_execz .LBB4_900
.LBB4_899:
	v_and_b32_e32 v12, 7, v6
	v_ffbh_u32_e32 v14, v12
	v_min_u32_e32 v14, 32, v14
	v_lshrrev_b16_e32 v13, 3, v6
	v_subrev_u32_e32 v15, 28, v14
	v_and_b32_e32 v13, 15, v13
	v_lshlrev_b32_e32 v15, v15, v6
	v_sub_u32_e32 v14, 29, v14
	v_and_b32_e32 v15, 7, v15
	v_cmp_eq_u16_e32 vcc, 0, v13
	v_cndmask_b32_e32 v12, v12, v15, vcc
	v_cndmask_b32_e32 v13, v13, v14, vcc
	v_lshlrev_b32_e32 v14, 24, v6
	v_mov_b32_e32 v15, 0x3b800000
	v_lshlrev_b32_e32 v12, 20, v12
	v_and_b32_e32 v14, 0x80000000, v14
	v_lshl_add_u32 v13, v13, 23, v15
	v_or3_b32 v12, v14, v13, v12
.LBB4_900:
	s_or_b64 exec, exec, s[6:7]
	s_movk_i32 s4, 0x7f
	v_cmp_gt_i16_sdwa s[6:7], v2, s4 src0_sel:BYTE_0 src1_sel:DWORD
	s_mov_b64 s[4:5], 0
                                        ; implicit-def: $sgpr10
	s_and_saveexec_b64 s[8:9], s[6:7]
	s_xor_b64 s[6:7], exec, s[8:9]
	s_cbranch_execnz .LBB4_2949
; %bb.901:
	s_or_saveexec_b64 s[6:7], s[6:7]
	v_mov_b32_e32 v13, s10
	s_xor_b64 exec, exec, s[6:7]
	s_cbranch_execnz .LBB4_2952
.LBB4_902:
	s_or_b64 exec, exec, s[6:7]
	s_and_saveexec_b64 s[6:7], s[4:5]
	s_cbranch_execz .LBB4_904
.LBB4_903:
	v_and_b32_e32 v13, 7, v2
	v_ffbh_u32_e32 v15, v13
	v_min_u32_e32 v15, 32, v15
	v_lshrrev_b16_e32 v14, 3, v2
	v_subrev_u32_e32 v16, 28, v15
	v_and_b32_e32 v14, 15, v14
	v_lshlrev_b32_e32 v16, v16, v2
	v_sub_u32_e32 v15, 29, v15
	v_and_b32_e32 v16, 7, v16
	v_cmp_eq_u16_e32 vcc, 0, v14
	v_cndmask_b32_e32 v13, v13, v16, vcc
	v_cndmask_b32_e32 v14, v14, v15, vcc
	v_lshlrev_b32_e32 v15, 24, v2
	v_mov_b32_e32 v16, 0x3b800000
	v_lshlrev_b32_e32 v13, 20, v13
	v_and_b32_e32 v15, 0x80000000, v15
	v_lshl_add_u32 v14, v14, 23, v16
	v_or3_b32 v13, v15, v14, v13
.LBB4_904:
	s_or_b64 exec, exec, s[6:7]
	flat_load_dwordx4 a[0:3], v[10:11] offset:112
	s_movk_i32 s4, 0x7f
                                        ; implicit-def: $sgpr10
	s_waitcnt vmcnt(0) lgkmcnt(0)
	v_mfma_f32_16x16x4f32 a[0:3], v12, v13, a[0:3]
	v_lshrrev_b32_e32 v13, 8, v6
	v_cmp_gt_i16_sdwa s[6:7], v13, s4 src0_sel:BYTE_0 src1_sel:DWORD
	s_mov_b64 s[4:5], 0
	s_and_saveexec_b64 s[8:9], s[6:7]
	s_xor_b64 s[6:7], exec, s[8:9]
	s_cbranch_execnz .LBB4_2953
; %bb.905:
	s_or_saveexec_b64 s[6:7], s[6:7]
	v_mov_b32_e32 v12, s10
	s_xor_b64 exec, exec, s[6:7]
	s_cbranch_execnz .LBB4_2956
.LBB4_906:
	s_or_b64 exec, exec, s[6:7]
	s_and_saveexec_b64 s[6:7], s[4:5]
	s_cbranch_execz .LBB4_908
.LBB4_907:
	v_bfe_u32 v12, v6, 8, 3
	v_ffbh_u32_e32 v15, v12
	v_min_u32_e32 v15, 32, v15
	v_lshrrev_b16_e32 v14, 3, v13
	v_subrev_u32_e32 v16, 28, v15
	v_and_b32_e32 v14, 15, v14
	v_lshlrev_b32_e32 v13, v16, v13
	v_sub_u32_e32 v15, 29, v15
	v_and_b32_e32 v13, 7, v13
	v_cmp_eq_u16_e32 vcc, 0, v14
	v_cndmask_b32_e32 v12, v12, v13, vcc
	v_cndmask_b32_e32 v13, v14, v15, vcc
	v_lshlrev_b32_e32 v14, 16, v6
	v_mov_b32_e32 v15, 0x3b800000
	v_lshlrev_b32_e32 v12, 20, v12
	v_and_b32_e32 v14, 0x80000000, v14
	v_lshl_add_u32 v13, v13, 23, v15
	v_or3_b32 v12, v14, v13, v12
.LBB4_908:
	s_or_b64 exec, exec, s[6:7]
	v_lshrrev_b32_e32 v13, 8, v2
	s_movk_i32 s4, 0x7f
	v_cmp_gt_i16_sdwa s[6:7], v13, s4 src0_sel:BYTE_0 src1_sel:DWORD
	s_mov_b64 s[4:5], 0
                                        ; implicit-def: $sgpr10
	s_and_saveexec_b64 s[8:9], s[6:7]
	s_xor_b64 s[6:7], exec, s[8:9]
	s_cbranch_execnz .LBB4_2957
; %bb.909:
	s_or_saveexec_b64 s[6:7], s[6:7]
	v_mov_b32_e32 v14, s10
	s_xor_b64 exec, exec, s[6:7]
	s_cbranch_execnz .LBB4_2960
.LBB4_910:
	s_or_b64 exec, exec, s[6:7]
	s_and_saveexec_b64 s[6:7], s[4:5]
	s_cbranch_execz .LBB4_912
.LBB4_911:
	v_bfe_u32 v14, v2, 8, 3
	v_ffbh_u32_e32 v16, v14
	v_min_u32_e32 v16, 32, v16
	v_lshrrev_b16_e32 v15, 3, v13
	v_subrev_u32_e32 v17, 28, v16
	v_and_b32_e32 v15, 15, v15
	v_lshlrev_b32_e32 v13, v17, v13
	v_sub_u32_e32 v16, 29, v16
	v_and_b32_e32 v13, 7, v13
	v_cmp_eq_u16_e32 vcc, 0, v15
	v_cndmask_b32_e32 v13, v14, v13, vcc
	v_cndmask_b32_e32 v14, v15, v16, vcc
	v_lshlrev_b32_e32 v15, 16, v2
	v_mov_b32_e32 v16, 0x3b800000
	v_lshlrev_b32_e32 v13, 20, v13
	v_and_b32_e32 v15, 0x80000000, v15
	v_lshl_add_u32 v14, v14, 23, v16
	v_or3_b32 v14, v15, v14, v13
.LBB4_912:
	s_or_b64 exec, exec, s[6:7]
	s_nop 0
	v_mfma_f32_16x16x4f32 a[0:3], v12, v14, a[0:3]
	s_movk_i32 s4, 0xff
	v_and_b32_sdwa v13, v6, s4 dst_sel:DWORD dst_unused:UNUSED_PAD src0_sel:WORD_1 src1_sel:DWORD
	s_movk_i32 s4, 0x7f
	v_cmp_lt_i16_e32 vcc, s4, v13
	s_mov_b64 s[4:5], 0
                                        ; implicit-def: $sgpr10
	s_and_saveexec_b64 s[6:7], vcc
	s_xor_b64 s[6:7], exec, s[6:7]
	s_cbranch_execnz .LBB4_2961
; %bb.913:
	s_or_saveexec_b64 s[6:7], s[6:7]
	v_mov_b32_e32 v12, s10
	s_xor_b64 exec, exec, s[6:7]
	s_cbranch_execnz .LBB4_2964
.LBB4_914:
	s_or_b64 exec, exec, s[6:7]
	s_and_saveexec_b64 s[6:7], s[4:5]
	s_cbranch_execz .LBB4_916
.LBB4_915:
	v_bfe_u32 v12, v6, 16, 3
	v_ffbh_u32_e32 v15, v12
	v_min_u32_e32 v15, 32, v15
	v_lshrrev_b32_e32 v13, 19, v6
	v_subrev_u32_e32 v16, 28, v15
	v_and_b32_e32 v13, 15, v13
	v_lshlrev_b32_sdwa v16, v16, v6 dst_sel:DWORD dst_unused:UNUSED_PAD src0_sel:DWORD src1_sel:WORD_1
	v_bfe_u32 v14, v6, 19, 4
	v_sub_u32_e32 v15, 29, v15
	v_and_b32_e32 v16, 7, v16
	v_cmp_eq_u16_e32 vcc, 0, v13
	v_cndmask_b32_e32 v12, v12, v16, vcc
	v_cndmask_b32_e32 v13, v14, v15, vcc
	v_lshlrev_b32_e32 v14, 8, v6
	v_mov_b32_e32 v15, 0x3b800000
	v_lshlrev_b32_e32 v12, 20, v12
	v_and_b32_e32 v14, 0x80000000, v14
	v_lshl_add_u32 v13, v13, 23, v15
	v_or3_b32 v12, v14, v13, v12
.LBB4_916:
	s_or_b64 exec, exec, s[6:7]
	s_movk_i32 s4, 0xff
	v_and_b32_sdwa v13, v2, s4 dst_sel:DWORD dst_unused:UNUSED_PAD src0_sel:WORD_1 src1_sel:DWORD
	s_movk_i32 s4, 0x7f
	v_cmp_lt_i16_e32 vcc, s4, v13
	s_mov_b64 s[4:5], 0
                                        ; implicit-def: $sgpr10
	s_and_saveexec_b64 s[6:7], vcc
	s_xor_b64 s[6:7], exec, s[6:7]
	s_cbranch_execnz .LBB4_2965
; %bb.917:
	s_or_saveexec_b64 s[6:7], s[6:7]
	v_mov_b32_e32 v14, s10
	s_xor_b64 exec, exec, s[6:7]
	s_cbranch_execnz .LBB4_2968
.LBB4_918:
	s_or_b64 exec, exec, s[6:7]
	s_and_saveexec_b64 s[6:7], s[4:5]
	s_cbranch_execz .LBB4_920
.LBB4_919:
	v_bfe_u32 v13, v2, 16, 3
	v_ffbh_u32_e32 v16, v13
	v_min_u32_e32 v16, 32, v16
	v_lshrrev_b32_e32 v14, 19, v2
	v_subrev_u32_e32 v17, 28, v16
	v_and_b32_e32 v14, 15, v14
	v_lshlrev_b32_sdwa v17, v17, v2 dst_sel:DWORD dst_unused:UNUSED_PAD src0_sel:DWORD src1_sel:WORD_1
	v_bfe_u32 v15, v2, 19, 4
	v_sub_u32_e32 v16, 29, v16
	v_and_b32_e32 v17, 7, v17
	v_cmp_eq_u16_e32 vcc, 0, v14
	v_cndmask_b32_e32 v13, v13, v17, vcc
	v_cndmask_b32_e32 v14, v15, v16, vcc
	v_lshlrev_b32_e32 v15, 8, v2
	v_mov_b32_e32 v16, 0x3b800000
	v_lshlrev_b32_e32 v13, 20, v13
	v_and_b32_e32 v15, 0x80000000, v15
	v_lshl_add_u32 v14, v14, 23, v16
	v_or3_b32 v14, v15, v14, v13
.LBB4_920:
	s_or_b64 exec, exec, s[6:7]
	s_nop 0
	v_mfma_f32_16x16x4f32 a[0:3], v12, v14, a[0:3]
	s_movk_i32 s4, 0x7f
	v_cmp_gt_i16_sdwa s[6:7], v6, s4 src0_sel:BYTE_3 src1_sel:DWORD
	s_mov_b64 s[4:5], 0
                                        ; implicit-def: $sgpr10
	s_and_saveexec_b64 s[8:9], s[6:7]
	s_xor_b64 s[6:7], exec, s[8:9]
	s_cbranch_execnz .LBB4_2969
; %bb.921:
	s_or_saveexec_b64 s[6:7], s[6:7]
	v_mov_b32_e32 v12, s10
	s_xor_b64 exec, exec, s[6:7]
	s_cbranch_execnz .LBB4_2972
.LBB4_922:
	s_or_b64 exec, exec, s[6:7]
	s_and_saveexec_b64 s[6:7], s[4:5]
	s_cbranch_execz .LBB4_924
.LBB4_923:
	v_bfe_u32 v12, v6, 24, 3
	v_ffbh_u32_e32 v16, v12
	v_min_u32_e32 v16, 32, v16
	v_lshrrev_b32_e32 v14, 27, v6
	v_subrev_u32_e32 v17, 28, v16
	v_and_b32_e32 v13, 0x80000000, v6
	v_and_b32_e32 v14, 15, v14
	v_bfe_u32 v15, v6, 27, 4
	v_lshlrev_b32_sdwa v6, v17, v6 dst_sel:DWORD dst_unused:UNUSED_PAD src0_sel:DWORD src1_sel:BYTE_3
	v_sub_u32_e32 v16, 29, v16
	v_and_b32_e32 v6, 7, v6
	v_cmp_eq_u16_e32 vcc, 0, v14
	v_cndmask_b32_e32 v6, v12, v6, vcc
	v_cndmask_b32_e32 v12, v15, v16, vcc
	v_mov_b32_e32 v14, 0x3b800000
	v_lshlrev_b32_e32 v6, 20, v6
	v_lshl_add_u32 v12, v12, 23, v14
	v_or3_b32 v12, v13, v12, v6
.LBB4_924:
	s_or_b64 exec, exec, s[6:7]
	s_movk_i32 s4, 0x7f
	v_cmp_gt_i16_sdwa s[6:7], v2, s4 src0_sel:BYTE_3 src1_sel:DWORD
	s_mov_b64 s[4:5], 0
                                        ; implicit-def: $sgpr10
	s_and_saveexec_b64 s[8:9], s[6:7]
	s_xor_b64 s[6:7], exec, s[8:9]
	s_cbranch_execnz .LBB4_2973
; %bb.925:
	s_or_saveexec_b64 s[6:7], s[6:7]
	v_mov_b32_e32 v6, s10
	s_xor_b64 exec, exec, s[6:7]
	s_cbranch_execnz .LBB4_2976
.LBB4_926:
	s_or_b64 exec, exec, s[6:7]
	s_and_saveexec_b64 s[6:7], s[4:5]
	s_cbranch_execz .LBB4_928
.LBB4_927:
	v_bfe_u32 v6, v2, 24, 3
	v_ffbh_u32_e32 v16, v6
	v_min_u32_e32 v16, 32, v16
	v_lshrrev_b32_e32 v14, 27, v2
	v_subrev_u32_e32 v17, 28, v16
	v_and_b32_e32 v13, 0x80000000, v2
	v_and_b32_e32 v14, 15, v14
	v_bfe_u32 v15, v2, 27, 4
	v_lshlrev_b32_sdwa v2, v17, v2 dst_sel:DWORD dst_unused:UNUSED_PAD src0_sel:DWORD src1_sel:BYTE_3
	v_sub_u32_e32 v16, 29, v16
	v_and_b32_e32 v2, 7, v2
	v_cmp_eq_u16_e32 vcc, 0, v14
	v_cndmask_b32_e32 v2, v6, v2, vcc
	v_cndmask_b32_e32 v6, v15, v16, vcc
	v_mov_b32_e32 v14, 0x3b800000
	v_lshlrev_b32_e32 v2, 20, v2
	v_lshl_add_u32 v6, v6, 23, v14
	v_or3_b32 v6, v13, v6, v2
.LBB4_928:
	s_or_b64 exec, exec, s[6:7]
	s_nop 0
	v_mfma_f32_16x16x4f32 a[0:3], v12, v6, a[0:3]
	s_movk_i32 s4, 0x7f
	v_cmp_gt_i16_sdwa s[6:7], v7, s4 src0_sel:BYTE_0 src1_sel:DWORD
	s_mov_b64 s[4:5], 0
                                        ; implicit-def: $sgpr10
	s_and_saveexec_b64 s[8:9], s[6:7]
	s_xor_b64 s[6:7], exec, s[8:9]
	s_cbranch_execnz .LBB4_2977
; %bb.929:
	s_or_saveexec_b64 s[6:7], s[6:7]
	v_mov_b32_e32 v2, s10
	s_xor_b64 exec, exec, s[6:7]
	s_cbranch_execnz .LBB4_2980
.LBB4_930:
	s_or_b64 exec, exec, s[6:7]
	s_and_saveexec_b64 s[6:7], s[4:5]
	s_cbranch_execz .LBB4_932
.LBB4_931:
	v_and_b32_e32 v2, 7, v7
	v_ffbh_u32_e32 v12, v2
	v_min_u32_e32 v12, 32, v12
	v_lshrrev_b16_e32 v6, 3, v7
	v_subrev_u32_e32 v13, 28, v12
	v_and_b32_e32 v6, 15, v6
	v_lshlrev_b32_e32 v13, v13, v7
	v_sub_u32_e32 v12, 29, v12
	v_and_b32_e32 v13, 7, v13
	v_cmp_eq_u16_e32 vcc, 0, v6
	v_cndmask_b32_e32 v2, v2, v13, vcc
	v_cndmask_b32_e32 v6, v6, v12, vcc
	v_lshlrev_b32_e32 v12, 24, v7
	v_mov_b32_e32 v13, 0x3b800000
	v_lshlrev_b32_e32 v2, 20, v2
	v_and_b32_e32 v12, 0x80000000, v12
	v_lshl_add_u32 v6, v6, 23, v13
	v_or3_b32 v2, v12, v6, v2
.LBB4_932:
	s_or_b64 exec, exec, s[6:7]
	s_movk_i32 s4, 0x7f
	v_cmp_gt_i16_sdwa s[6:7], v3, s4 src0_sel:BYTE_0 src1_sel:DWORD
	s_mov_b64 s[4:5], 0
                                        ; implicit-def: $sgpr10
	s_and_saveexec_b64 s[8:9], s[6:7]
	s_xor_b64 s[6:7], exec, s[8:9]
	s_cbranch_execnz .LBB4_2981
; %bb.933:
	s_or_saveexec_b64 s[6:7], s[6:7]
	v_mov_b32_e32 v6, s10
	s_xor_b64 exec, exec, s[6:7]
	s_cbranch_execnz .LBB4_2984
.LBB4_934:
	s_or_b64 exec, exec, s[6:7]
	s_and_saveexec_b64 s[6:7], s[4:5]
	s_cbranch_execz .LBB4_936
.LBB4_935:
	v_and_b32_e32 v6, 7, v3
	v_ffbh_u32_e32 v13, v6
	v_min_u32_e32 v13, 32, v13
	v_lshrrev_b16_e32 v12, 3, v3
	v_subrev_u32_e32 v14, 28, v13
	v_and_b32_e32 v12, 15, v12
	v_lshlrev_b32_e32 v14, v14, v3
	v_sub_u32_e32 v13, 29, v13
	v_and_b32_e32 v14, 7, v14
	v_cmp_eq_u16_e32 vcc, 0, v12
	v_cndmask_b32_e32 v6, v6, v14, vcc
	v_cndmask_b32_e32 v12, v12, v13, vcc
	v_lshlrev_b32_e32 v13, 24, v3
	v_mov_b32_e32 v14, 0x3b800000
	v_lshlrev_b32_e32 v6, 20, v6
	v_and_b32_e32 v13, 0x80000000, v13
	v_lshl_add_u32 v12, v12, 23, v14
	v_or3_b32 v6, v13, v12, v6
.LBB4_936:
	s_or_b64 exec, exec, s[6:7]
	s_nop 0
	v_mfma_f32_16x16x4f32 a[0:3], v2, v6, a[0:3]
	v_lshrrev_b32_e32 v6, 8, v7
	s_movk_i32 s4, 0x7f
	v_cmp_gt_i16_sdwa s[6:7], v6, s4 src0_sel:BYTE_0 src1_sel:DWORD
	s_mov_b64 s[4:5], 0
                                        ; implicit-def: $sgpr10
	s_and_saveexec_b64 s[8:9], s[6:7]
	s_xor_b64 s[6:7], exec, s[8:9]
	s_cbranch_execnz .LBB4_2985
; %bb.937:
	s_or_saveexec_b64 s[6:7], s[6:7]
	v_mov_b32_e32 v2, s10
	s_xor_b64 exec, exec, s[6:7]
	s_cbranch_execnz .LBB4_2988
.LBB4_938:
	s_or_b64 exec, exec, s[6:7]
	s_and_saveexec_b64 s[6:7], s[4:5]
	s_cbranch_execz .LBB4_940
.LBB4_939:
	v_bfe_u32 v2, v7, 8, 3
	v_ffbh_u32_e32 v13, v2
	v_min_u32_e32 v13, 32, v13
	v_lshrrev_b16_e32 v12, 3, v6
	v_subrev_u32_e32 v14, 28, v13
	v_and_b32_e32 v12, 15, v12
	v_lshlrev_b32_e32 v6, v14, v6
	v_sub_u32_e32 v13, 29, v13
	v_and_b32_e32 v6, 7, v6
	v_cmp_eq_u16_e32 vcc, 0, v12
	v_cndmask_b32_e32 v2, v2, v6, vcc
	v_cndmask_b32_e32 v6, v12, v13, vcc
	v_lshlrev_b32_e32 v12, 16, v7
	v_mov_b32_e32 v13, 0x3b800000
	v_lshlrev_b32_e32 v2, 20, v2
	v_and_b32_e32 v12, 0x80000000, v12
	v_lshl_add_u32 v6, v6, 23, v13
	v_or3_b32 v2, v12, v6, v2
.LBB4_940:
	s_or_b64 exec, exec, s[6:7]
	v_lshrrev_b32_e32 v6, 8, v3
	s_movk_i32 s4, 0x7f
	v_cmp_gt_i16_sdwa s[6:7], v6, s4 src0_sel:BYTE_0 src1_sel:DWORD
	s_mov_b64 s[4:5], 0
                                        ; implicit-def: $sgpr10
	s_and_saveexec_b64 s[8:9], s[6:7]
	s_xor_b64 s[6:7], exec, s[8:9]
	s_cbranch_execnz .LBB4_2989
; %bb.941:
	s_or_saveexec_b64 s[6:7], s[6:7]
	v_mov_b32_e32 v12, s10
	s_xor_b64 exec, exec, s[6:7]
	s_cbranch_execnz .LBB4_2992
.LBB4_942:
	s_or_b64 exec, exec, s[6:7]
	s_and_saveexec_b64 s[6:7], s[4:5]
	s_cbranch_execz .LBB4_944
.LBB4_943:
	v_bfe_u32 v12, v3, 8, 3
	v_ffbh_u32_e32 v14, v12
	v_min_u32_e32 v14, 32, v14
	v_lshrrev_b16_e32 v13, 3, v6
	v_subrev_u32_e32 v15, 28, v14
	v_and_b32_e32 v13, 15, v13
	v_lshlrev_b32_e32 v6, v15, v6
	v_sub_u32_e32 v14, 29, v14
	v_and_b32_e32 v6, 7, v6
	v_cmp_eq_u16_e32 vcc, 0, v13
	v_cndmask_b32_e32 v6, v12, v6, vcc
	v_cndmask_b32_e32 v12, v13, v14, vcc
	v_lshlrev_b32_e32 v13, 16, v3
	v_mov_b32_e32 v14, 0x3b800000
	v_lshlrev_b32_e32 v6, 20, v6
	v_and_b32_e32 v13, 0x80000000, v13
	v_lshl_add_u32 v12, v12, 23, v14
	v_or3_b32 v12, v13, v12, v6
.LBB4_944:
	s_or_b64 exec, exec, s[6:7]
	s_nop 0
	v_mfma_f32_16x16x4f32 a[0:3], v2, v12, a[0:3]
	s_movk_i32 s4, 0xff
	v_and_b32_sdwa v6, v7, s4 dst_sel:DWORD dst_unused:UNUSED_PAD src0_sel:WORD_1 src1_sel:DWORD
	s_movk_i32 s4, 0x7f
	v_cmp_lt_i16_e32 vcc, s4, v6
	s_mov_b64 s[4:5], 0
                                        ; implicit-def: $sgpr10
	s_and_saveexec_b64 s[6:7], vcc
	s_xor_b64 s[6:7], exec, s[6:7]
	s_cbranch_execnz .LBB4_2993
; %bb.945:
	s_or_saveexec_b64 s[6:7], s[6:7]
	v_mov_b32_e32 v2, s10
	s_xor_b64 exec, exec, s[6:7]
	s_cbranch_execnz .LBB4_2996
.LBB4_946:
	s_or_b64 exec, exec, s[6:7]
	s_and_saveexec_b64 s[6:7], s[4:5]
	s_cbranch_execz .LBB4_948
.LBB4_947:
	v_bfe_u32 v2, v7, 16, 3
	v_ffbh_u32_e32 v13, v2
	v_min_u32_e32 v13, 32, v13
	v_lshrrev_b32_e32 v6, 19, v7
	v_subrev_u32_e32 v14, 28, v13
	v_and_b32_e32 v6, 15, v6
	v_lshlrev_b32_sdwa v14, v14, v7 dst_sel:DWORD dst_unused:UNUSED_PAD src0_sel:DWORD src1_sel:WORD_1
	v_bfe_u32 v12, v7, 19, 4
	v_sub_u32_e32 v13, 29, v13
	v_and_b32_e32 v14, 7, v14
	v_cmp_eq_u16_e32 vcc, 0, v6
	v_cndmask_b32_e32 v2, v2, v14, vcc
	v_cndmask_b32_e32 v6, v12, v13, vcc
	v_lshlrev_b32_e32 v12, 8, v7
	v_mov_b32_e32 v13, 0x3b800000
	v_lshlrev_b32_e32 v2, 20, v2
	v_and_b32_e32 v12, 0x80000000, v12
	v_lshl_add_u32 v6, v6, 23, v13
	v_or3_b32 v2, v12, v6, v2
.LBB4_948:
	s_or_b64 exec, exec, s[6:7]
	s_movk_i32 s4, 0xff
	v_and_b32_sdwa v6, v3, s4 dst_sel:DWORD dst_unused:UNUSED_PAD src0_sel:WORD_1 src1_sel:DWORD
	s_movk_i32 s4, 0x7f
	v_cmp_lt_i16_e32 vcc, s4, v6
	s_mov_b64 s[4:5], 0
                                        ; implicit-def: $sgpr10
	s_and_saveexec_b64 s[6:7], vcc
	s_xor_b64 s[6:7], exec, s[6:7]
	s_cbranch_execnz .LBB4_2997
; %bb.949:
	s_or_saveexec_b64 s[6:7], s[6:7]
	v_mov_b32_e32 v12, s10
	s_xor_b64 exec, exec, s[6:7]
	s_cbranch_execnz .LBB4_3000
.LBB4_950:
	s_or_b64 exec, exec, s[6:7]
	s_and_saveexec_b64 s[6:7], s[4:5]
	s_cbranch_execz .LBB4_952
.LBB4_951:
	v_bfe_u32 v6, v3, 16, 3
	v_ffbh_u32_e32 v14, v6
	v_min_u32_e32 v14, 32, v14
	v_lshrrev_b32_e32 v12, 19, v3
	v_subrev_u32_e32 v15, 28, v14
	v_and_b32_e32 v12, 15, v12
	v_lshlrev_b32_sdwa v15, v15, v3 dst_sel:DWORD dst_unused:UNUSED_PAD src0_sel:DWORD src1_sel:WORD_1
	v_bfe_u32 v13, v3, 19, 4
	v_sub_u32_e32 v14, 29, v14
	v_and_b32_e32 v15, 7, v15
	v_cmp_eq_u16_e32 vcc, 0, v12
	v_cndmask_b32_e32 v6, v6, v15, vcc
	v_cndmask_b32_e32 v12, v13, v14, vcc
	v_lshlrev_b32_e32 v13, 8, v3
	v_mov_b32_e32 v14, 0x3b800000
	v_lshlrev_b32_e32 v6, 20, v6
	v_and_b32_e32 v13, 0x80000000, v13
	v_lshl_add_u32 v12, v12, 23, v14
	v_or3_b32 v12, v13, v12, v6
.LBB4_952:
	s_or_b64 exec, exec, s[6:7]
	s_nop 0
	v_mfma_f32_16x16x4f32 a[0:3], v2, v12, a[0:3]
	s_movk_i32 s4, 0x7f
	v_cmp_gt_i16_sdwa s[6:7], v7, s4 src0_sel:BYTE_3 src1_sel:DWORD
	s_mov_b64 s[4:5], 0
                                        ; implicit-def: $sgpr10
	s_and_saveexec_b64 s[8:9], s[6:7]
	s_xor_b64 s[6:7], exec, s[8:9]
	s_cbranch_execnz .LBB4_3001
; %bb.953:
	s_or_saveexec_b64 s[6:7], s[6:7]
	v_mov_b32_e32 v2, s10
	s_xor_b64 exec, exec, s[6:7]
	s_cbranch_execnz .LBB4_3004
.LBB4_954:
	s_or_b64 exec, exec, s[6:7]
	s_and_saveexec_b64 s[6:7], s[4:5]
	s_cbranch_execz .LBB4_956
.LBB4_955:
	v_bfe_u32 v2, v7, 24, 3
	v_ffbh_u32_e32 v14, v2
	v_min_u32_e32 v14, 32, v14
	v_lshrrev_b32_e32 v12, 27, v7
	v_subrev_u32_e32 v15, 28, v14
	v_and_b32_e32 v6, 0x80000000, v7
	v_and_b32_e32 v12, 15, v12
	v_bfe_u32 v13, v7, 27, 4
	v_lshlrev_b32_sdwa v7, v15, v7 dst_sel:DWORD dst_unused:UNUSED_PAD src0_sel:DWORD src1_sel:BYTE_3
	v_sub_u32_e32 v14, 29, v14
	v_and_b32_e32 v7, 7, v7
	v_cmp_eq_u16_e32 vcc, 0, v12
	v_cndmask_b32_e32 v2, v2, v7, vcc
	v_cndmask_b32_e32 v7, v13, v14, vcc
	v_mov_b32_e32 v12, 0x3b800000
	v_lshlrev_b32_e32 v2, 20, v2
	v_lshl_add_u32 v7, v7, 23, v12
	v_or3_b32 v2, v6, v7, v2
.LBB4_956:
	s_or_b64 exec, exec, s[6:7]
	s_movk_i32 s4, 0x7f
	v_cmp_gt_i16_sdwa s[6:7], v3, s4 src0_sel:BYTE_3 src1_sel:DWORD
	s_mov_b64 s[4:5], 0
                                        ; implicit-def: $sgpr10
	s_and_saveexec_b64 s[8:9], s[6:7]
	s_xor_b64 s[6:7], exec, s[8:9]
	s_cbranch_execnz .LBB4_3005
; %bb.957:
	s_or_saveexec_b64 s[6:7], s[6:7]
	v_mov_b32_e32 v6, s10
	s_xor_b64 exec, exec, s[6:7]
	s_cbranch_execnz .LBB4_3008
.LBB4_958:
	s_or_b64 exec, exec, s[6:7]
	s_and_saveexec_b64 s[6:7], s[4:5]
	s_cbranch_execz .LBB4_960
.LBB4_959:
	v_bfe_u32 v6, v3, 24, 3
	v_ffbh_u32_e32 v14, v6
	v_min_u32_e32 v14, 32, v14
	v_lshrrev_b32_e32 v12, 27, v3
	v_subrev_u32_e32 v15, 28, v14
	v_and_b32_e32 v7, 0x80000000, v3
	v_and_b32_e32 v12, 15, v12
	v_bfe_u32 v13, v3, 27, 4
	v_lshlrev_b32_sdwa v3, v15, v3 dst_sel:DWORD dst_unused:UNUSED_PAD src0_sel:DWORD src1_sel:BYTE_3
	v_sub_u32_e32 v14, 29, v14
	v_and_b32_e32 v3, 7, v3
	v_cmp_eq_u16_e32 vcc, 0, v12
	v_cndmask_b32_e32 v3, v6, v3, vcc
	v_cndmask_b32_e32 v6, v13, v14, vcc
	v_mov_b32_e32 v12, 0x3b800000
	v_lshlrev_b32_e32 v3, 20, v3
	v_lshl_add_u32 v6, v6, 23, v12
	v_or3_b32 v6, v7, v6, v3
.LBB4_960:
	s_or_b64 exec, exec, s[6:7]
	s_nop 0
	v_mfma_f32_16x16x4f32 a[0:3], v2, v6, a[0:3]
	s_movk_i32 s4, 0x7f
	v_cmp_gt_i16_sdwa s[6:7], v8, s4 src0_sel:BYTE_0 src1_sel:DWORD
	s_mov_b64 s[4:5], 0
                                        ; implicit-def: $sgpr10
	s_and_saveexec_b64 s[8:9], s[6:7]
	s_xor_b64 s[6:7], exec, s[8:9]
	s_cbranch_execnz .LBB4_3009
; %bb.961:
	s_or_saveexec_b64 s[6:7], s[6:7]
	v_mov_b32_e32 v2, s10
	s_xor_b64 exec, exec, s[6:7]
	s_cbranch_execnz .LBB4_3012
.LBB4_962:
	s_or_b64 exec, exec, s[6:7]
	s_and_saveexec_b64 s[6:7], s[4:5]
	s_cbranch_execz .LBB4_964
.LBB4_963:
	v_and_b32_e32 v2, 7, v8
	v_ffbh_u32_e32 v6, v2
	v_min_u32_e32 v6, 32, v6
	v_lshrrev_b16_e32 v3, 3, v8
	v_subrev_u32_e32 v7, 28, v6
	v_and_b32_e32 v3, 15, v3
	v_lshlrev_b32_e32 v7, v7, v8
	v_sub_u32_e32 v6, 29, v6
	v_and_b32_e32 v7, 7, v7
	v_cmp_eq_u16_e32 vcc, 0, v3
	v_cndmask_b32_e32 v2, v2, v7, vcc
	v_cndmask_b32_e32 v3, v3, v6, vcc
	v_lshlrev_b32_e32 v6, 24, v8
	v_mov_b32_e32 v7, 0x3b800000
	v_lshlrev_b32_e32 v2, 20, v2
	v_and_b32_e32 v6, 0x80000000, v6
	v_lshl_add_u32 v3, v3, 23, v7
	v_or3_b32 v2, v6, v3, v2
.LBB4_964:
	s_or_b64 exec, exec, s[6:7]
	s_movk_i32 s4, 0x7f
	v_cmp_gt_i16_sdwa s[6:7], v4, s4 src0_sel:BYTE_0 src1_sel:DWORD
	s_mov_b64 s[4:5], 0
                                        ; implicit-def: $sgpr10
	s_and_saveexec_b64 s[8:9], s[6:7]
	s_xor_b64 s[6:7], exec, s[8:9]
	s_cbranch_execnz .LBB4_3013
; %bb.965:
	s_or_saveexec_b64 s[6:7], s[6:7]
	v_mov_b32_e32 v3, s10
	s_xor_b64 exec, exec, s[6:7]
	s_cbranch_execnz .LBB4_3016
.LBB4_966:
	s_or_b64 exec, exec, s[6:7]
	s_and_saveexec_b64 s[6:7], s[4:5]
	s_cbranch_execz .LBB4_968
.LBB4_967:
	v_and_b32_e32 v3, 7, v4
	v_ffbh_u32_e32 v7, v3
	v_min_u32_e32 v7, 32, v7
	v_lshrrev_b16_e32 v6, 3, v4
	v_subrev_u32_e32 v12, 28, v7
	v_and_b32_e32 v6, 15, v6
	v_lshlrev_b32_e32 v12, v12, v4
	v_sub_u32_e32 v7, 29, v7
	v_and_b32_e32 v12, 7, v12
	v_cmp_eq_u16_e32 vcc, 0, v6
	v_cndmask_b32_e32 v3, v3, v12, vcc
	v_cndmask_b32_e32 v6, v6, v7, vcc
	v_lshlrev_b32_e32 v7, 24, v4
	v_mov_b32_e32 v12, 0x3b800000
	v_lshlrev_b32_e32 v3, 20, v3
	v_and_b32_e32 v7, 0x80000000, v7
	v_lshl_add_u32 v6, v6, 23, v12
	v_or3_b32 v3, v7, v6, v3
.LBB4_968:
	s_or_b64 exec, exec, s[6:7]
	s_nop 0
	v_mfma_f32_16x16x4f32 a[0:3], v2, v3, a[0:3]
	v_lshrrev_b32_e32 v3, 8, v8
	s_movk_i32 s4, 0x7f
	v_cmp_gt_i16_sdwa s[6:7], v3, s4 src0_sel:BYTE_0 src1_sel:DWORD
	s_mov_b64 s[4:5], 0
                                        ; implicit-def: $sgpr10
	s_and_saveexec_b64 s[8:9], s[6:7]
	s_xor_b64 s[6:7], exec, s[8:9]
	s_cbranch_execnz .LBB4_3017
; %bb.969:
	s_or_saveexec_b64 s[6:7], s[6:7]
	v_mov_b32_e32 v2, s10
	s_xor_b64 exec, exec, s[6:7]
	s_cbranch_execnz .LBB4_3020
.LBB4_970:
	s_or_b64 exec, exec, s[6:7]
	s_and_saveexec_b64 s[6:7], s[4:5]
	s_cbranch_execz .LBB4_972
.LBB4_971:
	v_bfe_u32 v2, v8, 8, 3
	v_ffbh_u32_e32 v7, v2
	v_min_u32_e32 v7, 32, v7
	v_lshrrev_b16_e32 v6, 3, v3
	v_subrev_u32_e32 v12, 28, v7
	v_and_b32_e32 v6, 15, v6
	v_lshlrev_b32_e32 v3, v12, v3
	v_sub_u32_e32 v7, 29, v7
	v_and_b32_e32 v3, 7, v3
	v_cmp_eq_u16_e32 vcc, 0, v6
	v_cndmask_b32_e32 v2, v2, v3, vcc
	v_cndmask_b32_e32 v3, v6, v7, vcc
	v_lshlrev_b32_e32 v6, 16, v8
	v_mov_b32_e32 v7, 0x3b800000
	v_lshlrev_b32_e32 v2, 20, v2
	v_and_b32_e32 v6, 0x80000000, v6
	v_lshl_add_u32 v3, v3, 23, v7
	v_or3_b32 v2, v6, v3, v2
.LBB4_972:
	s_or_b64 exec, exec, s[6:7]
	v_lshrrev_b32_e32 v3, 8, v4
	s_movk_i32 s4, 0x7f
	v_cmp_gt_i16_sdwa s[6:7], v3, s4 src0_sel:BYTE_0 src1_sel:DWORD
	s_mov_b64 s[4:5], 0
                                        ; implicit-def: $sgpr10
	s_and_saveexec_b64 s[8:9], s[6:7]
	s_xor_b64 s[6:7], exec, s[8:9]
	s_cbranch_execnz .LBB4_3021
; %bb.973:
	s_or_saveexec_b64 s[6:7], s[6:7]
	v_mov_b32_e32 v6, s10
	s_xor_b64 exec, exec, s[6:7]
	s_cbranch_execnz .LBB4_3024
.LBB4_974:
	s_or_b64 exec, exec, s[6:7]
	s_and_saveexec_b64 s[6:7], s[4:5]
	s_cbranch_execz .LBB4_976
.LBB4_975:
	v_bfe_u32 v6, v4, 8, 3
	v_ffbh_u32_e32 v12, v6
	v_min_u32_e32 v12, 32, v12
	v_lshrrev_b16_e32 v7, 3, v3
	v_subrev_u32_e32 v13, 28, v12
	v_and_b32_e32 v7, 15, v7
	v_lshlrev_b32_e32 v3, v13, v3
	v_sub_u32_e32 v12, 29, v12
	v_and_b32_e32 v3, 7, v3
	v_cmp_eq_u16_e32 vcc, 0, v7
	v_cndmask_b32_e32 v3, v6, v3, vcc
	v_cndmask_b32_e32 v6, v7, v12, vcc
	v_lshlrev_b32_e32 v7, 16, v4
	v_mov_b32_e32 v12, 0x3b800000
	v_lshlrev_b32_e32 v3, 20, v3
	v_and_b32_e32 v7, 0x80000000, v7
	v_lshl_add_u32 v6, v6, 23, v12
	v_or3_b32 v6, v7, v6, v3
.LBB4_976:
	s_or_b64 exec, exec, s[6:7]
	s_nop 0
	v_mfma_f32_16x16x4f32 a[0:3], v2, v6, a[0:3]
	s_movk_i32 s4, 0xff
	v_and_b32_sdwa v3, v8, s4 dst_sel:DWORD dst_unused:UNUSED_PAD src0_sel:WORD_1 src1_sel:DWORD
	s_movk_i32 s4, 0x7f
	v_cmp_lt_i16_e32 vcc, s4, v3
	s_mov_b64 s[4:5], 0
                                        ; implicit-def: $sgpr10
	s_and_saveexec_b64 s[6:7], vcc
	s_xor_b64 s[6:7], exec, s[6:7]
	s_cbranch_execnz .LBB4_3025
; %bb.977:
	s_or_saveexec_b64 s[6:7], s[6:7]
	v_mov_b32_e32 v2, s10
	s_xor_b64 exec, exec, s[6:7]
	s_cbranch_execnz .LBB4_3028
.LBB4_978:
	s_or_b64 exec, exec, s[6:7]
	s_and_saveexec_b64 s[6:7], s[4:5]
	s_cbranch_execz .LBB4_980
.LBB4_979:
	v_bfe_u32 v2, v8, 16, 3
	v_ffbh_u32_e32 v7, v2
	v_min_u32_e32 v7, 32, v7
	v_lshrrev_b32_e32 v3, 19, v8
	v_subrev_u32_e32 v12, 28, v7
	v_and_b32_e32 v3, 15, v3
	v_lshlrev_b32_sdwa v12, v12, v8 dst_sel:DWORD dst_unused:UNUSED_PAD src0_sel:DWORD src1_sel:WORD_1
	v_bfe_u32 v6, v8, 19, 4
	v_sub_u32_e32 v7, 29, v7
	v_and_b32_e32 v12, 7, v12
	v_cmp_eq_u16_e32 vcc, 0, v3
	v_cndmask_b32_e32 v2, v2, v12, vcc
	v_cndmask_b32_e32 v3, v6, v7, vcc
	v_lshlrev_b32_e32 v6, 8, v8
	v_mov_b32_e32 v7, 0x3b800000
	v_lshlrev_b32_e32 v2, 20, v2
	v_and_b32_e32 v6, 0x80000000, v6
	v_lshl_add_u32 v3, v3, 23, v7
	v_or3_b32 v2, v6, v3, v2
.LBB4_980:
	s_or_b64 exec, exec, s[6:7]
	s_movk_i32 s4, 0xff
	v_and_b32_sdwa v3, v4, s4 dst_sel:DWORD dst_unused:UNUSED_PAD src0_sel:WORD_1 src1_sel:DWORD
	s_movk_i32 s4, 0x7f
	v_cmp_lt_i16_e32 vcc, s4, v3
	s_mov_b64 s[4:5], 0
                                        ; implicit-def: $sgpr10
	s_and_saveexec_b64 s[6:7], vcc
	s_xor_b64 s[6:7], exec, s[6:7]
	s_cbranch_execnz .LBB4_3029
; %bb.981:
	s_or_saveexec_b64 s[6:7], s[6:7]
	v_mov_b32_e32 v6, s10
	s_xor_b64 exec, exec, s[6:7]
	s_cbranch_execnz .LBB4_3032
.LBB4_982:
	s_or_b64 exec, exec, s[6:7]
	s_and_saveexec_b64 s[6:7], s[4:5]
	s_cbranch_execz .LBB4_984
.LBB4_983:
	v_bfe_u32 v3, v4, 16, 3
	v_ffbh_u32_e32 v12, v3
	v_min_u32_e32 v12, 32, v12
	v_lshrrev_b32_e32 v6, 19, v4
	v_subrev_u32_e32 v13, 28, v12
	v_and_b32_e32 v6, 15, v6
	v_lshlrev_b32_sdwa v13, v13, v4 dst_sel:DWORD dst_unused:UNUSED_PAD src0_sel:DWORD src1_sel:WORD_1
	v_bfe_u32 v7, v4, 19, 4
	v_sub_u32_e32 v12, 29, v12
	v_and_b32_e32 v13, 7, v13
	v_cmp_eq_u16_e32 vcc, 0, v6
	v_cndmask_b32_e32 v3, v3, v13, vcc
	v_cndmask_b32_e32 v6, v7, v12, vcc
	v_lshlrev_b32_e32 v7, 8, v4
	v_mov_b32_e32 v12, 0x3b800000
	v_lshlrev_b32_e32 v3, 20, v3
	v_and_b32_e32 v7, 0x80000000, v7
	v_lshl_add_u32 v6, v6, 23, v12
	v_or3_b32 v6, v7, v6, v3
.LBB4_984:
	s_or_b64 exec, exec, s[6:7]
	s_nop 0
	v_mfma_f32_16x16x4f32 a[0:3], v2, v6, a[0:3]
	s_movk_i32 s4, 0x7f
	v_cmp_gt_i16_sdwa s[6:7], v8, s4 src0_sel:BYTE_3 src1_sel:DWORD
	s_mov_b64 s[4:5], 0
                                        ; implicit-def: $sgpr10
	s_and_saveexec_b64 s[8:9], s[6:7]
	s_xor_b64 s[6:7], exec, s[8:9]
	s_cbranch_execnz .LBB4_3033
; %bb.985:
	s_or_saveexec_b64 s[6:7], s[6:7]
	v_mov_b32_e32 v2, s10
	s_xor_b64 exec, exec, s[6:7]
	s_cbranch_execnz .LBB4_3036
.LBB4_986:
	s_or_b64 exec, exec, s[6:7]
	s_and_saveexec_b64 s[6:7], s[4:5]
	s_cbranch_execz .LBB4_988
.LBB4_987:
	v_bfe_u32 v2, v8, 24, 3
	v_ffbh_u32_e32 v12, v2
	v_min_u32_e32 v12, 32, v12
	v_lshrrev_b32_e32 v6, 27, v8
	v_subrev_u32_e32 v13, 28, v12
	v_and_b32_e32 v3, 0x80000000, v8
	v_and_b32_e32 v6, 15, v6
	v_bfe_u32 v7, v8, 27, 4
	v_lshlrev_b32_sdwa v8, v13, v8 dst_sel:DWORD dst_unused:UNUSED_PAD src0_sel:DWORD src1_sel:BYTE_3
	v_sub_u32_e32 v12, 29, v12
	v_and_b32_e32 v8, 7, v8
	v_cmp_eq_u16_e32 vcc, 0, v6
	v_cndmask_b32_e32 v2, v2, v8, vcc
	v_cndmask_b32_e32 v6, v7, v12, vcc
	v_mov_b32_e32 v7, 0x3b800000
	v_lshlrev_b32_e32 v2, 20, v2
	v_lshl_add_u32 v6, v6, 23, v7
	v_or3_b32 v2, v3, v6, v2
.LBB4_988:
	s_or_b64 exec, exec, s[6:7]
	s_movk_i32 s4, 0x7f
	v_cmp_gt_i16_sdwa s[6:7], v4, s4 src0_sel:BYTE_3 src1_sel:DWORD
	s_mov_b64 s[4:5], 0
                                        ; implicit-def: $sgpr10
	s_and_saveexec_b64 s[8:9], s[6:7]
	s_xor_b64 s[6:7], exec, s[8:9]
	s_cbranch_execnz .LBB4_3037
; %bb.989:
	s_or_saveexec_b64 s[6:7], s[6:7]
	v_mov_b32_e32 v3, s10
	s_xor_b64 exec, exec, s[6:7]
	s_cbranch_execnz .LBB4_3040
.LBB4_990:
	s_or_b64 exec, exec, s[6:7]
	s_and_saveexec_b64 s[6:7], s[4:5]
	s_cbranch_execz .LBB4_992
.LBB4_991:
	v_bfe_u32 v3, v4, 24, 3
	v_ffbh_u32_e32 v12, v3
	v_min_u32_e32 v12, 32, v12
	v_lshrrev_b32_e32 v7, 27, v4
	v_subrev_u32_e32 v13, 28, v12
	v_and_b32_e32 v6, 0x80000000, v4
	v_and_b32_e32 v7, 15, v7
	v_bfe_u32 v8, v4, 27, 4
	v_lshlrev_b32_sdwa v4, v13, v4 dst_sel:DWORD dst_unused:UNUSED_PAD src0_sel:DWORD src1_sel:BYTE_3
	v_sub_u32_e32 v12, 29, v12
	v_and_b32_e32 v4, 7, v4
	v_cmp_eq_u16_e32 vcc, 0, v7
	v_cndmask_b32_e32 v3, v3, v4, vcc
	v_cndmask_b32_e32 v4, v8, v12, vcc
	v_mov_b32_e32 v7, 0x3b800000
	v_lshlrev_b32_e32 v3, 20, v3
	v_lshl_add_u32 v4, v4, 23, v7
	v_or3_b32 v3, v6, v4, v3
.LBB4_992:
	s_or_b64 exec, exec, s[6:7]
	s_nop 0
	v_mfma_f32_16x16x4f32 a[0:3], v2, v3, a[0:3]
	s_movk_i32 s4, 0x7f
	v_cmp_gt_i16_sdwa s[6:7], v9, s4 src0_sel:BYTE_0 src1_sel:DWORD
	s_mov_b64 s[4:5], 0
                                        ; implicit-def: $sgpr10
	s_and_saveexec_b64 s[8:9], s[6:7]
	s_xor_b64 s[6:7], exec, s[8:9]
	s_cbranch_execnz .LBB4_3041
; %bb.993:
	s_or_saveexec_b64 s[6:7], s[6:7]
	v_mov_b32_e32 v2, s10
	s_xor_b64 exec, exec, s[6:7]
	s_cbranch_execnz .LBB4_3044
.LBB4_994:
	s_or_b64 exec, exec, s[6:7]
	s_and_saveexec_b64 s[6:7], s[4:5]
	s_cbranch_execz .LBB4_996
.LBB4_995:
	v_mov_b32_e32 v2, 8
	v_and_b32_e32 v3, 7, v9
	v_lshrrev_b32_sdwa v2, v2, v9 dst_sel:BYTE_1 dst_unused:UNUSED_PAD src0_sel:DWORD src1_sel:DWORD
	v_ffbh_u32_e32 v4, v3
	v_or_b32_sdwa v2, v9, v2 dst_sel:DWORD dst_unused:UNUSED_PAD src0_sel:BYTE_0 src1_sel:DWORD
	v_min_u32_e32 v4, 32, v4
	v_lshrrev_b16_e32 v2, 3, v2
	v_subrev_u32_e32 v6, 28, v4
	v_and_b32_e32 v2, 15, v2
	v_lshlrev_b32_e32 v6, v6, v9
	v_sub_u32_e32 v4, 29, v4
	v_and_b32_e32 v6, 7, v6
	v_cmp_eq_u16_e32 vcc, 0, v2
	v_cndmask_b32_e32 v3, v3, v6, vcc
	v_cndmask_b32_e32 v2, v2, v4, vcc
	v_lshlrev_b32_e32 v4, 24, v9
	v_mov_b32_e32 v6, 0x3b800000
	v_lshlrev_b32_e32 v3, 20, v3
	v_and_b32_e32 v4, 0x80000000, v4
	v_lshl_add_u32 v2, v2, 23, v6
	v_or3_b32 v2, v4, v2, v3
.LBB4_996:
	s_or_b64 exec, exec, s[6:7]
	s_movk_i32 s4, 0x7f
	v_cmp_gt_i16_sdwa s[6:7], v5, s4 src0_sel:BYTE_0 src1_sel:DWORD
	s_mov_b64 s[4:5], 0
                                        ; implicit-def: $sgpr10
	s_and_saveexec_b64 s[8:9], s[6:7]
	s_xor_b64 s[6:7], exec, s[8:9]
	s_cbranch_execnz .LBB4_3045
; %bb.997:
	s_or_saveexec_b64 s[6:7], s[6:7]
	v_mov_b32_e32 v3, s10
	s_xor_b64 exec, exec, s[6:7]
	s_cbranch_execnz .LBB4_3048
.LBB4_998:
	s_or_b64 exec, exec, s[6:7]
	s_and_saveexec_b64 s[6:7], s[4:5]
	s_cbranch_execz .LBB4_1000
.LBB4_999:
	v_mov_b32_e32 v3, 8
	v_and_b32_e32 v4, 7, v5
	v_lshrrev_b32_sdwa v3, v3, v5 dst_sel:BYTE_1 dst_unused:UNUSED_PAD src0_sel:DWORD src1_sel:DWORD
	v_ffbh_u32_e32 v6, v4
	v_or_b32_sdwa v3, v5, v3 dst_sel:DWORD dst_unused:UNUSED_PAD src0_sel:BYTE_0 src1_sel:DWORD
	v_min_u32_e32 v6, 32, v6
	v_lshrrev_b16_e32 v3, 3, v3
	v_subrev_u32_e32 v7, 28, v6
	v_and_b32_e32 v3, 15, v3
	v_lshlrev_b32_e32 v7, v7, v5
	v_sub_u32_e32 v6, 29, v6
	v_and_b32_e32 v7, 7, v7
	v_cmp_eq_u16_e32 vcc, 0, v3
	v_cndmask_b32_e32 v4, v4, v7, vcc
	v_cndmask_b32_e32 v3, v3, v6, vcc
	v_lshlrev_b32_e32 v6, 24, v5
	v_mov_b32_e32 v7, 0x3b800000
	v_lshlrev_b32_e32 v4, 20, v4
	v_and_b32_e32 v6, 0x80000000, v6
	v_lshl_add_u32 v3, v3, 23, v7
	v_or3_b32 v3, v6, v3, v4
.LBB4_1000:
	s_or_b64 exec, exec, s[6:7]
	s_nop 0
	v_mfma_f32_16x16x4f32 a[0:3], v2, v3, a[0:3]
	v_lshrrev_b32_e32 v3, 8, v9
	s_movk_i32 s4, 0x7f
	v_cmp_gt_i16_sdwa s[6:7], v3, s4 src0_sel:BYTE_0 src1_sel:DWORD
	s_mov_b64 s[4:5], 0
                                        ; implicit-def: $sgpr10
	s_and_saveexec_b64 s[8:9], s[6:7]
	s_xor_b64 s[6:7], exec, s[8:9]
	s_cbranch_execnz .LBB4_3049
; %bb.1001:
	s_or_saveexec_b64 s[6:7], s[6:7]
	v_mov_b32_e32 v2, s10
	s_xor_b64 exec, exec, s[6:7]
	s_cbranch_execnz .LBB4_3052
.LBB4_1002:
	s_or_b64 exec, exec, s[6:7]
	s_and_saveexec_b64 s[6:7], s[4:5]
	s_cbranch_execz .LBB4_1004
.LBB4_1003:
	v_bfe_u32 v2, v9, 8, 3
	v_ffbh_u32_e32 v6, v2
	v_min_u32_e32 v6, 32, v6
	v_lshrrev_b16_e32 v4, 3, v3
	v_subrev_u32_e32 v7, 28, v6
	v_and_b32_e32 v4, 15, v4
	v_lshlrev_b32_e32 v3, v7, v3
	v_sub_u32_e32 v6, 29, v6
	v_and_b32_e32 v3, 7, v3
	v_cmp_eq_u16_e32 vcc, 0, v4
	v_cndmask_b32_e32 v2, v2, v3, vcc
	v_cndmask_b32_e32 v3, v4, v6, vcc
	v_lshlrev_b32_e32 v4, 16, v9
	v_mov_b32_e32 v6, 0x3b800000
	v_lshlrev_b32_e32 v2, 20, v2
	v_and_b32_e32 v4, 0x80000000, v4
	v_lshl_add_u32 v3, v3, 23, v6
	v_or3_b32 v2, v4, v3, v2
.LBB4_1004:
	s_or_b64 exec, exec, s[6:7]
	v_lshrrev_b32_e32 v3, 8, v5
	s_movk_i32 s4, 0x7f
	v_cmp_gt_i16_sdwa s[6:7], v3, s4 src0_sel:BYTE_0 src1_sel:DWORD
	s_mov_b64 s[4:5], 0
                                        ; implicit-def: $sgpr10
	s_and_saveexec_b64 s[8:9], s[6:7]
	s_xor_b64 s[6:7], exec, s[8:9]
	s_cbranch_execnz .LBB4_3053
; %bb.1005:
	s_or_saveexec_b64 s[6:7], s[6:7]
	v_mov_b32_e32 v4, s10
	s_xor_b64 exec, exec, s[6:7]
	s_cbranch_execnz .LBB4_3056
.LBB4_1006:
	s_or_b64 exec, exec, s[6:7]
	s_and_saveexec_b64 s[6:7], s[4:5]
	s_cbranch_execz .LBB4_1008
.LBB4_1007:
	v_bfe_u32 v4, v5, 8, 3
	v_ffbh_u32_e32 v7, v4
	v_min_u32_e32 v7, 32, v7
	v_lshrrev_b16_e32 v6, 3, v3
	v_subrev_u32_e32 v8, 28, v7
	v_and_b32_e32 v6, 15, v6
	v_lshlrev_b32_e32 v3, v8, v3
	v_sub_u32_e32 v7, 29, v7
	v_and_b32_e32 v3, 7, v3
	v_cmp_eq_u16_e32 vcc, 0, v6
	v_cndmask_b32_e32 v3, v4, v3, vcc
	v_cndmask_b32_e32 v4, v6, v7, vcc
	v_lshlrev_b32_e32 v6, 16, v5
	v_mov_b32_e32 v7, 0x3b800000
	v_lshlrev_b32_e32 v3, 20, v3
	v_and_b32_e32 v6, 0x80000000, v6
	v_lshl_add_u32 v4, v4, 23, v7
	v_or3_b32 v4, v6, v4, v3
.LBB4_1008:
	s_or_b64 exec, exec, s[6:7]
	s_nop 0
	v_mfma_f32_16x16x4f32 a[0:3], v2, v4, a[0:3]
	s_movk_i32 s4, 0xff
	v_and_b32_sdwa v3, v9, s4 dst_sel:DWORD dst_unused:UNUSED_PAD src0_sel:WORD_1 src1_sel:DWORD
	s_movk_i32 s4, 0x7f
	v_cmp_lt_i16_e32 vcc, s4, v3
	s_mov_b64 s[4:5], 0
                                        ; implicit-def: $sgpr10
	s_and_saveexec_b64 s[6:7], vcc
	s_xor_b64 s[6:7], exec, s[6:7]
	s_cbranch_execnz .LBB4_3057
; %bb.1009:
	s_or_saveexec_b64 s[6:7], s[6:7]
	v_mov_b32_e32 v2, s10
	s_xor_b64 exec, exec, s[6:7]
	s_cbranch_execnz .LBB4_3060
.LBB4_1010:
	s_or_b64 exec, exec, s[6:7]
	s_and_saveexec_b64 s[6:7], s[4:5]
	s_cbranch_execz .LBB4_1012
.LBB4_1011:
	v_bfe_u32 v2, v9, 16, 3
	v_ffbh_u32_e32 v6, v2
	v_min_u32_e32 v6, 32, v6
	v_lshrrev_b32_e32 v3, 19, v9
	v_subrev_u32_e32 v7, 28, v6
	v_and_b32_e32 v3, 15, v3
	v_lshlrev_b32_sdwa v7, v7, v9 dst_sel:DWORD dst_unused:UNUSED_PAD src0_sel:DWORD src1_sel:WORD_1
	v_bfe_u32 v4, v9, 19, 4
	v_sub_u32_e32 v6, 29, v6
	v_and_b32_e32 v7, 7, v7
	v_cmp_eq_u16_e32 vcc, 0, v3
	v_cndmask_b32_e32 v2, v2, v7, vcc
	v_cndmask_b32_e32 v3, v4, v6, vcc
	v_lshlrev_b32_e32 v4, 8, v9
	v_mov_b32_e32 v6, 0x3b800000
	v_lshlrev_b32_e32 v2, 20, v2
	v_and_b32_e32 v4, 0x80000000, v4
	v_lshl_add_u32 v3, v3, 23, v6
	v_or3_b32 v2, v4, v3, v2
.LBB4_1012:
	s_or_b64 exec, exec, s[6:7]
	s_movk_i32 s4, 0xff
	v_and_b32_sdwa v3, v5, s4 dst_sel:DWORD dst_unused:UNUSED_PAD src0_sel:WORD_1 src1_sel:DWORD
	s_movk_i32 s4, 0x7f
	v_cmp_lt_i16_e32 vcc, s4, v3
	s_mov_b64 s[4:5], 0
                                        ; implicit-def: $sgpr10
	s_and_saveexec_b64 s[6:7], vcc
	s_xor_b64 s[6:7], exec, s[6:7]
	s_cbranch_execnz .LBB4_3061
; %bb.1013:
	s_or_saveexec_b64 s[6:7], s[6:7]
	v_mov_b32_e32 v4, s10
	s_xor_b64 exec, exec, s[6:7]
	s_cbranch_execnz .LBB4_3064
.LBB4_1014:
	s_or_b64 exec, exec, s[6:7]
	s_and_saveexec_b64 s[6:7], s[4:5]
	s_cbranch_execz .LBB4_1016
.LBB4_1015:
	v_bfe_u32 v3, v5, 16, 3
	v_ffbh_u32_e32 v7, v3
	v_min_u32_e32 v7, 32, v7
	v_lshrrev_b32_e32 v4, 19, v5
	v_subrev_u32_e32 v8, 28, v7
	v_and_b32_e32 v4, 15, v4
	v_lshlrev_b32_sdwa v8, v8, v5 dst_sel:DWORD dst_unused:UNUSED_PAD src0_sel:DWORD src1_sel:WORD_1
	v_bfe_u32 v6, v5, 19, 4
	v_sub_u32_e32 v7, 29, v7
	v_and_b32_e32 v8, 7, v8
	v_cmp_eq_u16_e32 vcc, 0, v4
	v_cndmask_b32_e32 v3, v3, v8, vcc
	v_cndmask_b32_e32 v4, v6, v7, vcc
	v_lshlrev_b32_e32 v6, 8, v5
	v_mov_b32_e32 v7, 0x3b800000
	v_lshlrev_b32_e32 v3, 20, v3
	v_and_b32_e32 v6, 0x80000000, v6
	v_lshl_add_u32 v4, v4, 23, v7
	v_or3_b32 v4, v6, v4, v3
.LBB4_1016:
	s_or_b64 exec, exec, s[6:7]
	s_nop 0
	v_mfma_f32_16x16x4f32 a[0:3], v2, v4, a[0:3]
	s_movk_i32 s4, 0x7f
	v_cmp_gt_i16_sdwa s[6:7], v9, s4 src0_sel:BYTE_3 src1_sel:DWORD
	s_mov_b64 s[4:5], 0
                                        ; implicit-def: $sgpr10
	s_and_saveexec_b64 s[8:9], s[6:7]
	s_xor_b64 s[6:7], exec, s[8:9]
	s_cbranch_execnz .LBB4_3065
; %bb.1017:
	s_or_saveexec_b64 s[6:7], s[6:7]
	v_mov_b32_e32 v2, s10
	s_xor_b64 exec, exec, s[6:7]
	s_cbranch_execnz .LBB4_3068
.LBB4_1018:
	s_or_b64 exec, exec, s[6:7]
	s_and_saveexec_b64 s[6:7], s[4:5]
	s_cbranch_execz .LBB4_1020
.LBB4_1019:
	v_bfe_u32 v2, v9, 24, 3
	v_ffbh_u32_e32 v7, v2
	v_min_u32_e32 v7, 32, v7
	v_lshrrev_b32_e32 v4, 27, v9
	v_subrev_u32_e32 v8, 28, v7
	v_and_b32_e32 v4, 15, v4
	v_lshlrev_b32_sdwa v8, v8, v9 dst_sel:DWORD dst_unused:UNUSED_PAD src0_sel:DWORD src1_sel:BYTE_3
	v_bfe_u32 v6, v9, 27, 4
	v_sub_u32_e32 v7, 29, v7
	v_and_b32_e32 v8, 7, v8
	v_cmp_eq_u16_e32 vcc, 0, v4
	v_cndmask_b32_e32 v2, v2, v8, vcc
	v_cndmask_b32_e32 v4, v6, v7, vcc
	v_mov_b32_e32 v6, 0x3b800000
	v_and_b32_e32 v3, 0x80000000, v9
	v_lshlrev_b32_e32 v2, 20, v2
	v_lshl_add_u32 v4, v4, 23, v6
	v_or3_b32 v2, v3, v4, v2
.LBB4_1020:
	s_or_b64 exec, exec, s[6:7]
	s_movk_i32 s4, 0x7f
	v_cmp_gt_i16_sdwa s[6:7], v5, s4 src0_sel:BYTE_3 src1_sel:DWORD
	s_mov_b64 s[4:5], 0
                                        ; implicit-def: $sgpr10
	s_and_saveexec_b64 s[8:9], s[6:7]
	s_xor_b64 s[6:7], exec, s[8:9]
	s_cbranch_execnz .LBB4_3069
; %bb.1021:
	s_or_saveexec_b64 s[6:7], s[6:7]
	v_mov_b32_e32 v3, s10
	s_xor_b64 exec, exec, s[6:7]
	s_cbranch_execnz .LBB4_3072
.LBB4_1022:
	s_or_b64 exec, exec, s[6:7]
	s_and_saveexec_b64 s[6:7], s[4:5]
	s_cbranch_execz .LBB4_1024
.LBB4_1023:
	v_bfe_u32 v3, v5, 24, 3
	v_ffbh_u32_e32 v8, v3
	v_min_u32_e32 v8, 32, v8
	v_lshrrev_b32_e32 v6, 27, v5
	v_subrev_u32_e32 v9, 28, v8
	v_and_b32_e32 v4, 0x80000000, v5
	v_and_b32_e32 v6, 15, v6
	v_bfe_u32 v7, v5, 27, 4
	v_lshlrev_b32_sdwa v5, v9, v5 dst_sel:DWORD dst_unused:UNUSED_PAD src0_sel:DWORD src1_sel:BYTE_3
	v_sub_u32_e32 v8, 29, v8
	v_and_b32_e32 v5, 7, v5
	v_cmp_eq_u16_e32 vcc, 0, v6
	v_cndmask_b32_e32 v3, v3, v5, vcc
	v_cndmask_b32_e32 v5, v7, v8, vcc
	v_mov_b32_e32 v6, 0x3b800000
	v_lshlrev_b32_e32 v3, 20, v3
	v_lshl_add_u32 v5, v5, 23, v6
	v_or3_b32 v3, v4, v5, v3
.LBB4_1024:
	s_or_b64 exec, exec, s[6:7]
	s_nop 0
	v_mfma_f32_16x16x4f32 a[0:3], v2, v3, a[0:3]
	s_movk_i32 s4, 0x7f
                                        ; implicit-def: $sgpr10
	s_nop 7
	s_nop 1
	flat_store_dwordx4 v[10:11], a[0:3] offset:112
	flat_load_dwordx4 v[12:15], v[0:1] offset:8
	s_nop 0
	flat_load_dwordx2 v[10:11], v[0:1] offset:32
	s_waitcnt vmcnt(0) lgkmcnt(0)
	flat_load_dwordx4 v[6:9], v[12:13] offset:80
	flat_load_dwordx4 v[2:5], v[14:15] offset:16
	s_waitcnt vmcnt(0) lgkmcnt(0)
	v_cmp_gt_i16_sdwa s[6:7], v6, s4 src0_sel:BYTE_0 src1_sel:DWORD
	s_mov_b64 s[4:5], 0
	s_and_saveexec_b64 s[8:9], s[6:7]
	s_xor_b64 s[6:7], exec, s[8:9]
	s_cbranch_execnz .LBB4_3073
; %bb.1025:
	s_or_saveexec_b64 s[6:7], s[6:7]
	v_mov_b32_e32 v12, s10
	s_xor_b64 exec, exec, s[6:7]
	s_cbranch_execnz .LBB4_3076
.LBB4_1026:
	s_or_b64 exec, exec, s[6:7]
	s_and_saveexec_b64 s[6:7], s[4:5]
	s_cbranch_execz .LBB4_1028
.LBB4_1027:
	v_and_b32_e32 v12, 7, v6
	v_ffbh_u32_e32 v14, v12
	v_min_u32_e32 v14, 32, v14
	v_lshrrev_b16_e32 v13, 3, v6
	v_subrev_u32_e32 v15, 28, v14
	v_and_b32_e32 v13, 15, v13
	v_lshlrev_b32_e32 v15, v15, v6
	v_sub_u32_e32 v14, 29, v14
	v_and_b32_e32 v15, 7, v15
	v_cmp_eq_u16_e32 vcc, 0, v13
	v_cndmask_b32_e32 v12, v12, v15, vcc
	v_cndmask_b32_e32 v13, v13, v14, vcc
	v_lshlrev_b32_e32 v14, 24, v6
	v_mov_b32_e32 v15, 0x3b800000
	v_lshlrev_b32_e32 v12, 20, v12
	v_and_b32_e32 v14, 0x80000000, v14
	v_lshl_add_u32 v13, v13, 23, v15
	v_or3_b32 v12, v14, v13, v12
.LBB4_1028:
	s_or_b64 exec, exec, s[6:7]
	s_movk_i32 s4, 0x7f
	v_cmp_gt_i16_sdwa s[6:7], v2, s4 src0_sel:BYTE_0 src1_sel:DWORD
	s_mov_b64 s[4:5], 0
                                        ; implicit-def: $sgpr10
	s_and_saveexec_b64 s[8:9], s[6:7]
	s_xor_b64 s[6:7], exec, s[8:9]
	s_cbranch_execnz .LBB4_3077
; %bb.1029:
	s_or_saveexec_b64 s[6:7], s[6:7]
	v_mov_b32_e32 v13, s10
	s_xor_b64 exec, exec, s[6:7]
	s_cbranch_execnz .LBB4_3080
.LBB4_1030:
	s_or_b64 exec, exec, s[6:7]
	s_and_saveexec_b64 s[6:7], s[4:5]
	s_cbranch_execz .LBB4_1032
.LBB4_1031:
	v_and_b32_e32 v13, 7, v2
	v_ffbh_u32_e32 v15, v13
	v_min_u32_e32 v15, 32, v15
	v_lshrrev_b16_e32 v14, 3, v2
	v_subrev_u32_e32 v16, 28, v15
	v_and_b32_e32 v14, 15, v14
	v_lshlrev_b32_e32 v16, v16, v2
	v_sub_u32_e32 v15, 29, v15
	v_and_b32_e32 v16, 7, v16
	v_cmp_eq_u16_e32 vcc, 0, v14
	v_cndmask_b32_e32 v13, v13, v16, vcc
	v_cndmask_b32_e32 v14, v14, v15, vcc
	v_lshlrev_b32_e32 v15, 24, v2
	v_mov_b32_e32 v16, 0x3b800000
	v_lshlrev_b32_e32 v13, 20, v13
	v_and_b32_e32 v15, 0x80000000, v15
	v_lshl_add_u32 v14, v14, 23, v16
	v_or3_b32 v13, v15, v14, v13
.LBB4_1032:
	s_or_b64 exec, exec, s[6:7]
	flat_load_dwordx4 a[0:3], v[10:11] offset:128
	s_movk_i32 s4, 0x7f
                                        ; implicit-def: $sgpr10
	s_waitcnt vmcnt(0) lgkmcnt(0)
	v_mfma_f32_16x16x4f32 a[0:3], v12, v13, a[0:3]
	v_lshrrev_b32_e32 v13, 8, v6
	v_cmp_gt_i16_sdwa s[6:7], v13, s4 src0_sel:BYTE_0 src1_sel:DWORD
	s_mov_b64 s[4:5], 0
	s_and_saveexec_b64 s[8:9], s[6:7]
	s_xor_b64 s[6:7], exec, s[8:9]
	s_cbranch_execnz .LBB4_3081
; %bb.1033:
	s_or_saveexec_b64 s[6:7], s[6:7]
	v_mov_b32_e32 v12, s10
	s_xor_b64 exec, exec, s[6:7]
	s_cbranch_execnz .LBB4_3084
.LBB4_1034:
	s_or_b64 exec, exec, s[6:7]
	s_and_saveexec_b64 s[6:7], s[4:5]
	s_cbranch_execz .LBB4_1036
.LBB4_1035:
	v_bfe_u32 v12, v6, 8, 3
	v_ffbh_u32_e32 v15, v12
	v_min_u32_e32 v15, 32, v15
	v_lshrrev_b16_e32 v14, 3, v13
	v_subrev_u32_e32 v16, 28, v15
	v_and_b32_e32 v14, 15, v14
	v_lshlrev_b32_e32 v13, v16, v13
	v_sub_u32_e32 v15, 29, v15
	v_and_b32_e32 v13, 7, v13
	v_cmp_eq_u16_e32 vcc, 0, v14
	v_cndmask_b32_e32 v12, v12, v13, vcc
	v_cndmask_b32_e32 v13, v14, v15, vcc
	v_lshlrev_b32_e32 v14, 16, v6
	v_mov_b32_e32 v15, 0x3b800000
	v_lshlrev_b32_e32 v12, 20, v12
	v_and_b32_e32 v14, 0x80000000, v14
	v_lshl_add_u32 v13, v13, 23, v15
	v_or3_b32 v12, v14, v13, v12
.LBB4_1036:
	s_or_b64 exec, exec, s[6:7]
	v_lshrrev_b32_e32 v13, 8, v2
	s_movk_i32 s4, 0x7f
	v_cmp_gt_i16_sdwa s[6:7], v13, s4 src0_sel:BYTE_0 src1_sel:DWORD
	s_mov_b64 s[4:5], 0
                                        ; implicit-def: $sgpr10
	s_and_saveexec_b64 s[8:9], s[6:7]
	s_xor_b64 s[6:7], exec, s[8:9]
	s_cbranch_execnz .LBB4_3085
; %bb.1037:
	s_or_saveexec_b64 s[6:7], s[6:7]
	v_mov_b32_e32 v14, s10
	s_xor_b64 exec, exec, s[6:7]
	s_cbranch_execnz .LBB4_3088
.LBB4_1038:
	s_or_b64 exec, exec, s[6:7]
	s_and_saveexec_b64 s[6:7], s[4:5]
	s_cbranch_execz .LBB4_1040
.LBB4_1039:
	v_bfe_u32 v14, v2, 8, 3
	v_ffbh_u32_e32 v16, v14
	v_min_u32_e32 v16, 32, v16
	v_lshrrev_b16_e32 v15, 3, v13
	v_subrev_u32_e32 v17, 28, v16
	v_and_b32_e32 v15, 15, v15
	v_lshlrev_b32_e32 v13, v17, v13
	v_sub_u32_e32 v16, 29, v16
	v_and_b32_e32 v13, 7, v13
	v_cmp_eq_u16_e32 vcc, 0, v15
	v_cndmask_b32_e32 v13, v14, v13, vcc
	v_cndmask_b32_e32 v14, v15, v16, vcc
	v_lshlrev_b32_e32 v15, 16, v2
	v_mov_b32_e32 v16, 0x3b800000
	v_lshlrev_b32_e32 v13, 20, v13
	v_and_b32_e32 v15, 0x80000000, v15
	v_lshl_add_u32 v14, v14, 23, v16
	v_or3_b32 v14, v15, v14, v13
.LBB4_1040:
	s_or_b64 exec, exec, s[6:7]
	s_nop 0
	v_mfma_f32_16x16x4f32 a[0:3], v12, v14, a[0:3]
	s_movk_i32 s4, 0xff
	v_and_b32_sdwa v13, v6, s4 dst_sel:DWORD dst_unused:UNUSED_PAD src0_sel:WORD_1 src1_sel:DWORD
	s_movk_i32 s4, 0x7f
	v_cmp_lt_i16_e32 vcc, s4, v13
	s_mov_b64 s[4:5], 0
                                        ; implicit-def: $sgpr10
	s_and_saveexec_b64 s[6:7], vcc
	s_xor_b64 s[6:7], exec, s[6:7]
	s_cbranch_execnz .LBB4_3089
; %bb.1041:
	s_or_saveexec_b64 s[6:7], s[6:7]
	v_mov_b32_e32 v12, s10
	s_xor_b64 exec, exec, s[6:7]
	s_cbranch_execnz .LBB4_3092
.LBB4_1042:
	s_or_b64 exec, exec, s[6:7]
	s_and_saveexec_b64 s[6:7], s[4:5]
	s_cbranch_execz .LBB4_1044
.LBB4_1043:
	v_bfe_u32 v12, v6, 16, 3
	v_ffbh_u32_e32 v15, v12
	v_min_u32_e32 v15, 32, v15
	v_lshrrev_b32_e32 v13, 19, v6
	v_subrev_u32_e32 v16, 28, v15
	v_and_b32_e32 v13, 15, v13
	v_lshlrev_b32_sdwa v16, v16, v6 dst_sel:DWORD dst_unused:UNUSED_PAD src0_sel:DWORD src1_sel:WORD_1
	v_bfe_u32 v14, v6, 19, 4
	v_sub_u32_e32 v15, 29, v15
	v_and_b32_e32 v16, 7, v16
	v_cmp_eq_u16_e32 vcc, 0, v13
	v_cndmask_b32_e32 v12, v12, v16, vcc
	v_cndmask_b32_e32 v13, v14, v15, vcc
	v_lshlrev_b32_e32 v14, 8, v6
	v_mov_b32_e32 v15, 0x3b800000
	v_lshlrev_b32_e32 v12, 20, v12
	v_and_b32_e32 v14, 0x80000000, v14
	v_lshl_add_u32 v13, v13, 23, v15
	v_or3_b32 v12, v14, v13, v12
.LBB4_1044:
	s_or_b64 exec, exec, s[6:7]
	s_movk_i32 s4, 0xff
	v_and_b32_sdwa v13, v2, s4 dst_sel:DWORD dst_unused:UNUSED_PAD src0_sel:WORD_1 src1_sel:DWORD
	s_movk_i32 s4, 0x7f
	v_cmp_lt_i16_e32 vcc, s4, v13
	s_mov_b64 s[4:5], 0
                                        ; implicit-def: $sgpr10
	s_and_saveexec_b64 s[6:7], vcc
	s_xor_b64 s[6:7], exec, s[6:7]
	s_cbranch_execnz .LBB4_3093
; %bb.1045:
	s_or_saveexec_b64 s[6:7], s[6:7]
	v_mov_b32_e32 v14, s10
	s_xor_b64 exec, exec, s[6:7]
	s_cbranch_execnz .LBB4_3096
.LBB4_1046:
	s_or_b64 exec, exec, s[6:7]
	s_and_saveexec_b64 s[6:7], s[4:5]
	s_cbranch_execz .LBB4_1048
.LBB4_1047:
	v_bfe_u32 v13, v2, 16, 3
	v_ffbh_u32_e32 v16, v13
	v_min_u32_e32 v16, 32, v16
	v_lshrrev_b32_e32 v14, 19, v2
	v_subrev_u32_e32 v17, 28, v16
	v_and_b32_e32 v14, 15, v14
	v_lshlrev_b32_sdwa v17, v17, v2 dst_sel:DWORD dst_unused:UNUSED_PAD src0_sel:DWORD src1_sel:WORD_1
	v_bfe_u32 v15, v2, 19, 4
	v_sub_u32_e32 v16, 29, v16
	v_and_b32_e32 v17, 7, v17
	v_cmp_eq_u16_e32 vcc, 0, v14
	v_cndmask_b32_e32 v13, v13, v17, vcc
	v_cndmask_b32_e32 v14, v15, v16, vcc
	v_lshlrev_b32_e32 v15, 8, v2
	v_mov_b32_e32 v16, 0x3b800000
	v_lshlrev_b32_e32 v13, 20, v13
	v_and_b32_e32 v15, 0x80000000, v15
	v_lshl_add_u32 v14, v14, 23, v16
	v_or3_b32 v14, v15, v14, v13
.LBB4_1048:
	s_or_b64 exec, exec, s[6:7]
	s_nop 0
	v_mfma_f32_16x16x4f32 a[0:3], v12, v14, a[0:3]
	s_movk_i32 s4, 0x7f
	v_cmp_gt_i16_sdwa s[6:7], v6, s4 src0_sel:BYTE_3 src1_sel:DWORD
	s_mov_b64 s[4:5], 0
                                        ; implicit-def: $sgpr10
	s_and_saveexec_b64 s[8:9], s[6:7]
	s_xor_b64 s[6:7], exec, s[8:9]
	s_cbranch_execnz .LBB4_3097
; %bb.1049:
	s_or_saveexec_b64 s[6:7], s[6:7]
	v_mov_b32_e32 v12, s10
	s_xor_b64 exec, exec, s[6:7]
	s_cbranch_execnz .LBB4_3100
.LBB4_1050:
	s_or_b64 exec, exec, s[6:7]
	s_and_saveexec_b64 s[6:7], s[4:5]
	s_cbranch_execz .LBB4_1052
.LBB4_1051:
	v_bfe_u32 v12, v6, 24, 3
	v_ffbh_u32_e32 v16, v12
	v_min_u32_e32 v16, 32, v16
	v_lshrrev_b32_e32 v14, 27, v6
	v_subrev_u32_e32 v17, 28, v16
	v_and_b32_e32 v13, 0x80000000, v6
	v_and_b32_e32 v14, 15, v14
	v_bfe_u32 v15, v6, 27, 4
	v_lshlrev_b32_sdwa v6, v17, v6 dst_sel:DWORD dst_unused:UNUSED_PAD src0_sel:DWORD src1_sel:BYTE_3
	v_sub_u32_e32 v16, 29, v16
	v_and_b32_e32 v6, 7, v6
	v_cmp_eq_u16_e32 vcc, 0, v14
	v_cndmask_b32_e32 v6, v12, v6, vcc
	v_cndmask_b32_e32 v12, v15, v16, vcc
	v_mov_b32_e32 v14, 0x3b800000
	v_lshlrev_b32_e32 v6, 20, v6
	v_lshl_add_u32 v12, v12, 23, v14
	v_or3_b32 v12, v13, v12, v6
.LBB4_1052:
	s_or_b64 exec, exec, s[6:7]
	s_movk_i32 s4, 0x7f
	v_cmp_gt_i16_sdwa s[6:7], v2, s4 src0_sel:BYTE_3 src1_sel:DWORD
	s_mov_b64 s[4:5], 0
                                        ; implicit-def: $sgpr10
	s_and_saveexec_b64 s[8:9], s[6:7]
	s_xor_b64 s[6:7], exec, s[8:9]
	s_cbranch_execnz .LBB4_3101
; %bb.1053:
	s_or_saveexec_b64 s[6:7], s[6:7]
	v_mov_b32_e32 v6, s10
	s_xor_b64 exec, exec, s[6:7]
	s_cbranch_execnz .LBB4_3104
.LBB4_1054:
	s_or_b64 exec, exec, s[6:7]
	s_and_saveexec_b64 s[6:7], s[4:5]
	s_cbranch_execz .LBB4_1056
.LBB4_1055:
	v_bfe_u32 v6, v2, 24, 3
	v_ffbh_u32_e32 v16, v6
	v_min_u32_e32 v16, 32, v16
	v_lshrrev_b32_e32 v14, 27, v2
	v_subrev_u32_e32 v17, 28, v16
	v_and_b32_e32 v13, 0x80000000, v2
	v_and_b32_e32 v14, 15, v14
	v_bfe_u32 v15, v2, 27, 4
	v_lshlrev_b32_sdwa v2, v17, v2 dst_sel:DWORD dst_unused:UNUSED_PAD src0_sel:DWORD src1_sel:BYTE_3
	v_sub_u32_e32 v16, 29, v16
	v_and_b32_e32 v2, 7, v2
	v_cmp_eq_u16_e32 vcc, 0, v14
	v_cndmask_b32_e32 v2, v6, v2, vcc
	v_cndmask_b32_e32 v6, v15, v16, vcc
	v_mov_b32_e32 v14, 0x3b800000
	v_lshlrev_b32_e32 v2, 20, v2
	v_lshl_add_u32 v6, v6, 23, v14
	v_or3_b32 v6, v13, v6, v2
.LBB4_1056:
	s_or_b64 exec, exec, s[6:7]
	s_nop 0
	v_mfma_f32_16x16x4f32 a[0:3], v12, v6, a[0:3]
	s_movk_i32 s4, 0x7f
	v_cmp_gt_i16_sdwa s[6:7], v7, s4 src0_sel:BYTE_0 src1_sel:DWORD
	s_mov_b64 s[4:5], 0
                                        ; implicit-def: $sgpr10
	s_and_saveexec_b64 s[8:9], s[6:7]
	s_xor_b64 s[6:7], exec, s[8:9]
	s_cbranch_execnz .LBB4_3105
; %bb.1057:
	s_or_saveexec_b64 s[6:7], s[6:7]
	v_mov_b32_e32 v2, s10
	s_xor_b64 exec, exec, s[6:7]
	s_cbranch_execnz .LBB4_3108
.LBB4_1058:
	s_or_b64 exec, exec, s[6:7]
	s_and_saveexec_b64 s[6:7], s[4:5]
	s_cbranch_execz .LBB4_1060
.LBB4_1059:
	v_and_b32_e32 v2, 7, v7
	v_ffbh_u32_e32 v12, v2
	v_min_u32_e32 v12, 32, v12
	v_lshrrev_b16_e32 v6, 3, v7
	v_subrev_u32_e32 v13, 28, v12
	v_and_b32_e32 v6, 15, v6
	v_lshlrev_b32_e32 v13, v13, v7
	v_sub_u32_e32 v12, 29, v12
	v_and_b32_e32 v13, 7, v13
	v_cmp_eq_u16_e32 vcc, 0, v6
	v_cndmask_b32_e32 v2, v2, v13, vcc
	v_cndmask_b32_e32 v6, v6, v12, vcc
	v_lshlrev_b32_e32 v12, 24, v7
	v_mov_b32_e32 v13, 0x3b800000
	v_lshlrev_b32_e32 v2, 20, v2
	v_and_b32_e32 v12, 0x80000000, v12
	v_lshl_add_u32 v6, v6, 23, v13
	v_or3_b32 v2, v12, v6, v2
.LBB4_1060:
	s_or_b64 exec, exec, s[6:7]
	s_movk_i32 s4, 0x7f
	v_cmp_gt_i16_sdwa s[6:7], v3, s4 src0_sel:BYTE_0 src1_sel:DWORD
	s_mov_b64 s[4:5], 0
                                        ; implicit-def: $sgpr10
	s_and_saveexec_b64 s[8:9], s[6:7]
	s_xor_b64 s[6:7], exec, s[8:9]
	s_cbranch_execnz .LBB4_3109
; %bb.1061:
	s_or_saveexec_b64 s[6:7], s[6:7]
	v_mov_b32_e32 v6, s10
	s_xor_b64 exec, exec, s[6:7]
	s_cbranch_execnz .LBB4_3112
.LBB4_1062:
	s_or_b64 exec, exec, s[6:7]
	s_and_saveexec_b64 s[6:7], s[4:5]
	s_cbranch_execz .LBB4_1064
.LBB4_1063:
	v_and_b32_e32 v6, 7, v3
	v_ffbh_u32_e32 v13, v6
	v_min_u32_e32 v13, 32, v13
	v_lshrrev_b16_e32 v12, 3, v3
	v_subrev_u32_e32 v14, 28, v13
	v_and_b32_e32 v12, 15, v12
	v_lshlrev_b32_e32 v14, v14, v3
	v_sub_u32_e32 v13, 29, v13
	v_and_b32_e32 v14, 7, v14
	v_cmp_eq_u16_e32 vcc, 0, v12
	v_cndmask_b32_e32 v6, v6, v14, vcc
	v_cndmask_b32_e32 v12, v12, v13, vcc
	v_lshlrev_b32_e32 v13, 24, v3
	v_mov_b32_e32 v14, 0x3b800000
	v_lshlrev_b32_e32 v6, 20, v6
	v_and_b32_e32 v13, 0x80000000, v13
	v_lshl_add_u32 v12, v12, 23, v14
	v_or3_b32 v6, v13, v12, v6
.LBB4_1064:
	s_or_b64 exec, exec, s[6:7]
	s_nop 0
	v_mfma_f32_16x16x4f32 a[0:3], v2, v6, a[0:3]
	v_lshrrev_b32_e32 v6, 8, v7
	s_movk_i32 s4, 0x7f
	v_cmp_gt_i16_sdwa s[6:7], v6, s4 src0_sel:BYTE_0 src1_sel:DWORD
	s_mov_b64 s[4:5], 0
                                        ; implicit-def: $sgpr10
	s_and_saveexec_b64 s[8:9], s[6:7]
	s_xor_b64 s[6:7], exec, s[8:9]
	s_cbranch_execnz .LBB4_3113
; %bb.1065:
	s_or_saveexec_b64 s[6:7], s[6:7]
	v_mov_b32_e32 v2, s10
	s_xor_b64 exec, exec, s[6:7]
	s_cbranch_execnz .LBB4_3116
.LBB4_1066:
	s_or_b64 exec, exec, s[6:7]
	s_and_saveexec_b64 s[6:7], s[4:5]
	s_cbranch_execz .LBB4_1068
.LBB4_1067:
	v_bfe_u32 v2, v7, 8, 3
	v_ffbh_u32_e32 v13, v2
	v_min_u32_e32 v13, 32, v13
	v_lshrrev_b16_e32 v12, 3, v6
	v_subrev_u32_e32 v14, 28, v13
	v_and_b32_e32 v12, 15, v12
	v_lshlrev_b32_e32 v6, v14, v6
	v_sub_u32_e32 v13, 29, v13
	v_and_b32_e32 v6, 7, v6
	v_cmp_eq_u16_e32 vcc, 0, v12
	v_cndmask_b32_e32 v2, v2, v6, vcc
	v_cndmask_b32_e32 v6, v12, v13, vcc
	v_lshlrev_b32_e32 v12, 16, v7
	v_mov_b32_e32 v13, 0x3b800000
	v_lshlrev_b32_e32 v2, 20, v2
	v_and_b32_e32 v12, 0x80000000, v12
	v_lshl_add_u32 v6, v6, 23, v13
	v_or3_b32 v2, v12, v6, v2
.LBB4_1068:
	s_or_b64 exec, exec, s[6:7]
	v_lshrrev_b32_e32 v6, 8, v3
	s_movk_i32 s4, 0x7f
	v_cmp_gt_i16_sdwa s[6:7], v6, s4 src0_sel:BYTE_0 src1_sel:DWORD
	s_mov_b64 s[4:5], 0
                                        ; implicit-def: $sgpr10
	s_and_saveexec_b64 s[8:9], s[6:7]
	s_xor_b64 s[6:7], exec, s[8:9]
	s_cbranch_execnz .LBB4_3117
; %bb.1069:
	s_or_saveexec_b64 s[6:7], s[6:7]
	v_mov_b32_e32 v12, s10
	s_xor_b64 exec, exec, s[6:7]
	s_cbranch_execnz .LBB4_3120
.LBB4_1070:
	s_or_b64 exec, exec, s[6:7]
	s_and_saveexec_b64 s[6:7], s[4:5]
	s_cbranch_execz .LBB4_1072
.LBB4_1071:
	v_bfe_u32 v12, v3, 8, 3
	v_ffbh_u32_e32 v14, v12
	v_min_u32_e32 v14, 32, v14
	v_lshrrev_b16_e32 v13, 3, v6
	v_subrev_u32_e32 v15, 28, v14
	v_and_b32_e32 v13, 15, v13
	v_lshlrev_b32_e32 v6, v15, v6
	v_sub_u32_e32 v14, 29, v14
	v_and_b32_e32 v6, 7, v6
	v_cmp_eq_u16_e32 vcc, 0, v13
	v_cndmask_b32_e32 v6, v12, v6, vcc
	v_cndmask_b32_e32 v12, v13, v14, vcc
	v_lshlrev_b32_e32 v13, 16, v3
	v_mov_b32_e32 v14, 0x3b800000
	v_lshlrev_b32_e32 v6, 20, v6
	v_and_b32_e32 v13, 0x80000000, v13
	v_lshl_add_u32 v12, v12, 23, v14
	v_or3_b32 v12, v13, v12, v6
.LBB4_1072:
	s_or_b64 exec, exec, s[6:7]
	s_nop 0
	v_mfma_f32_16x16x4f32 a[0:3], v2, v12, a[0:3]
	s_movk_i32 s4, 0xff
	v_and_b32_sdwa v6, v7, s4 dst_sel:DWORD dst_unused:UNUSED_PAD src0_sel:WORD_1 src1_sel:DWORD
	s_movk_i32 s4, 0x7f
	v_cmp_lt_i16_e32 vcc, s4, v6
	s_mov_b64 s[4:5], 0
                                        ; implicit-def: $sgpr10
	s_and_saveexec_b64 s[6:7], vcc
	s_xor_b64 s[6:7], exec, s[6:7]
	s_cbranch_execnz .LBB4_3121
; %bb.1073:
	s_or_saveexec_b64 s[6:7], s[6:7]
	v_mov_b32_e32 v2, s10
	s_xor_b64 exec, exec, s[6:7]
	s_cbranch_execnz .LBB4_3124
.LBB4_1074:
	s_or_b64 exec, exec, s[6:7]
	s_and_saveexec_b64 s[6:7], s[4:5]
	s_cbranch_execz .LBB4_1076
.LBB4_1075:
	v_bfe_u32 v2, v7, 16, 3
	v_ffbh_u32_e32 v13, v2
	v_min_u32_e32 v13, 32, v13
	v_lshrrev_b32_e32 v6, 19, v7
	v_subrev_u32_e32 v14, 28, v13
	v_and_b32_e32 v6, 15, v6
	v_lshlrev_b32_sdwa v14, v14, v7 dst_sel:DWORD dst_unused:UNUSED_PAD src0_sel:DWORD src1_sel:WORD_1
	v_bfe_u32 v12, v7, 19, 4
	v_sub_u32_e32 v13, 29, v13
	v_and_b32_e32 v14, 7, v14
	v_cmp_eq_u16_e32 vcc, 0, v6
	v_cndmask_b32_e32 v2, v2, v14, vcc
	v_cndmask_b32_e32 v6, v12, v13, vcc
	v_lshlrev_b32_e32 v12, 8, v7
	v_mov_b32_e32 v13, 0x3b800000
	v_lshlrev_b32_e32 v2, 20, v2
	v_and_b32_e32 v12, 0x80000000, v12
	v_lshl_add_u32 v6, v6, 23, v13
	v_or3_b32 v2, v12, v6, v2
.LBB4_1076:
	s_or_b64 exec, exec, s[6:7]
	s_movk_i32 s4, 0xff
	v_and_b32_sdwa v6, v3, s4 dst_sel:DWORD dst_unused:UNUSED_PAD src0_sel:WORD_1 src1_sel:DWORD
	s_movk_i32 s4, 0x7f
	v_cmp_lt_i16_e32 vcc, s4, v6
	s_mov_b64 s[4:5], 0
                                        ; implicit-def: $sgpr10
	s_and_saveexec_b64 s[6:7], vcc
	s_xor_b64 s[6:7], exec, s[6:7]
	s_cbranch_execnz .LBB4_3125
; %bb.1077:
	s_or_saveexec_b64 s[6:7], s[6:7]
	v_mov_b32_e32 v12, s10
	s_xor_b64 exec, exec, s[6:7]
	s_cbranch_execnz .LBB4_3128
.LBB4_1078:
	s_or_b64 exec, exec, s[6:7]
	s_and_saveexec_b64 s[6:7], s[4:5]
	s_cbranch_execz .LBB4_1080
.LBB4_1079:
	v_bfe_u32 v6, v3, 16, 3
	v_ffbh_u32_e32 v14, v6
	v_min_u32_e32 v14, 32, v14
	v_lshrrev_b32_e32 v12, 19, v3
	v_subrev_u32_e32 v15, 28, v14
	v_and_b32_e32 v12, 15, v12
	v_lshlrev_b32_sdwa v15, v15, v3 dst_sel:DWORD dst_unused:UNUSED_PAD src0_sel:DWORD src1_sel:WORD_1
	v_bfe_u32 v13, v3, 19, 4
	v_sub_u32_e32 v14, 29, v14
	v_and_b32_e32 v15, 7, v15
	v_cmp_eq_u16_e32 vcc, 0, v12
	v_cndmask_b32_e32 v6, v6, v15, vcc
	v_cndmask_b32_e32 v12, v13, v14, vcc
	v_lshlrev_b32_e32 v13, 8, v3
	v_mov_b32_e32 v14, 0x3b800000
	v_lshlrev_b32_e32 v6, 20, v6
	v_and_b32_e32 v13, 0x80000000, v13
	v_lshl_add_u32 v12, v12, 23, v14
	v_or3_b32 v12, v13, v12, v6
.LBB4_1080:
	s_or_b64 exec, exec, s[6:7]
	s_nop 0
	v_mfma_f32_16x16x4f32 a[0:3], v2, v12, a[0:3]
	s_movk_i32 s4, 0x7f
	v_cmp_gt_i16_sdwa s[6:7], v7, s4 src0_sel:BYTE_3 src1_sel:DWORD
	s_mov_b64 s[4:5], 0
                                        ; implicit-def: $sgpr10
	s_and_saveexec_b64 s[8:9], s[6:7]
	s_xor_b64 s[6:7], exec, s[8:9]
	s_cbranch_execnz .LBB4_3129
; %bb.1081:
	s_or_saveexec_b64 s[6:7], s[6:7]
	v_mov_b32_e32 v2, s10
	s_xor_b64 exec, exec, s[6:7]
	s_cbranch_execnz .LBB4_3132
.LBB4_1082:
	s_or_b64 exec, exec, s[6:7]
	s_and_saveexec_b64 s[6:7], s[4:5]
	s_cbranch_execz .LBB4_1084
.LBB4_1083:
	v_bfe_u32 v2, v7, 24, 3
	v_ffbh_u32_e32 v14, v2
	v_min_u32_e32 v14, 32, v14
	v_lshrrev_b32_e32 v12, 27, v7
	v_subrev_u32_e32 v15, 28, v14
	v_and_b32_e32 v6, 0x80000000, v7
	v_and_b32_e32 v12, 15, v12
	v_bfe_u32 v13, v7, 27, 4
	v_lshlrev_b32_sdwa v7, v15, v7 dst_sel:DWORD dst_unused:UNUSED_PAD src0_sel:DWORD src1_sel:BYTE_3
	v_sub_u32_e32 v14, 29, v14
	v_and_b32_e32 v7, 7, v7
	v_cmp_eq_u16_e32 vcc, 0, v12
	v_cndmask_b32_e32 v2, v2, v7, vcc
	v_cndmask_b32_e32 v7, v13, v14, vcc
	v_mov_b32_e32 v12, 0x3b800000
	v_lshlrev_b32_e32 v2, 20, v2
	v_lshl_add_u32 v7, v7, 23, v12
	v_or3_b32 v2, v6, v7, v2
.LBB4_1084:
	s_or_b64 exec, exec, s[6:7]
	s_movk_i32 s4, 0x7f
	v_cmp_gt_i16_sdwa s[6:7], v3, s4 src0_sel:BYTE_3 src1_sel:DWORD
	s_mov_b64 s[4:5], 0
                                        ; implicit-def: $sgpr10
	s_and_saveexec_b64 s[8:9], s[6:7]
	s_xor_b64 s[6:7], exec, s[8:9]
	s_cbranch_execnz .LBB4_3133
; %bb.1085:
	s_or_saveexec_b64 s[6:7], s[6:7]
	v_mov_b32_e32 v6, s10
	s_xor_b64 exec, exec, s[6:7]
	s_cbranch_execnz .LBB4_3136
.LBB4_1086:
	s_or_b64 exec, exec, s[6:7]
	s_and_saveexec_b64 s[6:7], s[4:5]
	s_cbranch_execz .LBB4_1088
.LBB4_1087:
	v_bfe_u32 v6, v3, 24, 3
	v_ffbh_u32_e32 v14, v6
	v_min_u32_e32 v14, 32, v14
	v_lshrrev_b32_e32 v12, 27, v3
	v_subrev_u32_e32 v15, 28, v14
	v_and_b32_e32 v7, 0x80000000, v3
	v_and_b32_e32 v12, 15, v12
	v_bfe_u32 v13, v3, 27, 4
	v_lshlrev_b32_sdwa v3, v15, v3 dst_sel:DWORD dst_unused:UNUSED_PAD src0_sel:DWORD src1_sel:BYTE_3
	v_sub_u32_e32 v14, 29, v14
	v_and_b32_e32 v3, 7, v3
	v_cmp_eq_u16_e32 vcc, 0, v12
	v_cndmask_b32_e32 v3, v6, v3, vcc
	v_cndmask_b32_e32 v6, v13, v14, vcc
	v_mov_b32_e32 v12, 0x3b800000
	v_lshlrev_b32_e32 v3, 20, v3
	v_lshl_add_u32 v6, v6, 23, v12
	v_or3_b32 v6, v7, v6, v3
.LBB4_1088:
	s_or_b64 exec, exec, s[6:7]
	s_nop 0
	v_mfma_f32_16x16x4f32 a[0:3], v2, v6, a[0:3]
	s_movk_i32 s4, 0x7f
	v_cmp_gt_i16_sdwa s[6:7], v8, s4 src0_sel:BYTE_0 src1_sel:DWORD
	s_mov_b64 s[4:5], 0
                                        ; implicit-def: $sgpr10
	s_and_saveexec_b64 s[8:9], s[6:7]
	s_xor_b64 s[6:7], exec, s[8:9]
	s_cbranch_execnz .LBB4_3137
; %bb.1089:
	s_or_saveexec_b64 s[6:7], s[6:7]
	v_mov_b32_e32 v2, s10
	s_xor_b64 exec, exec, s[6:7]
	s_cbranch_execnz .LBB4_3140
.LBB4_1090:
	s_or_b64 exec, exec, s[6:7]
	s_and_saveexec_b64 s[6:7], s[4:5]
	s_cbranch_execz .LBB4_1092
.LBB4_1091:
	v_and_b32_e32 v2, 7, v8
	v_ffbh_u32_e32 v6, v2
	v_min_u32_e32 v6, 32, v6
	v_lshrrev_b16_e32 v3, 3, v8
	v_subrev_u32_e32 v7, 28, v6
	v_and_b32_e32 v3, 15, v3
	v_lshlrev_b32_e32 v7, v7, v8
	v_sub_u32_e32 v6, 29, v6
	v_and_b32_e32 v7, 7, v7
	v_cmp_eq_u16_e32 vcc, 0, v3
	v_cndmask_b32_e32 v2, v2, v7, vcc
	v_cndmask_b32_e32 v3, v3, v6, vcc
	v_lshlrev_b32_e32 v6, 24, v8
	v_mov_b32_e32 v7, 0x3b800000
	v_lshlrev_b32_e32 v2, 20, v2
	v_and_b32_e32 v6, 0x80000000, v6
	v_lshl_add_u32 v3, v3, 23, v7
	v_or3_b32 v2, v6, v3, v2
.LBB4_1092:
	s_or_b64 exec, exec, s[6:7]
	s_movk_i32 s4, 0x7f
	v_cmp_gt_i16_sdwa s[6:7], v4, s4 src0_sel:BYTE_0 src1_sel:DWORD
	s_mov_b64 s[4:5], 0
                                        ; implicit-def: $sgpr10
	s_and_saveexec_b64 s[8:9], s[6:7]
	s_xor_b64 s[6:7], exec, s[8:9]
	s_cbranch_execnz .LBB4_3141
; %bb.1093:
	s_or_saveexec_b64 s[6:7], s[6:7]
	v_mov_b32_e32 v3, s10
	s_xor_b64 exec, exec, s[6:7]
	s_cbranch_execnz .LBB4_3144
.LBB4_1094:
	s_or_b64 exec, exec, s[6:7]
	s_and_saveexec_b64 s[6:7], s[4:5]
	s_cbranch_execz .LBB4_1096
.LBB4_1095:
	v_and_b32_e32 v3, 7, v4
	v_ffbh_u32_e32 v7, v3
	v_min_u32_e32 v7, 32, v7
	v_lshrrev_b16_e32 v6, 3, v4
	v_subrev_u32_e32 v12, 28, v7
	v_and_b32_e32 v6, 15, v6
	v_lshlrev_b32_e32 v12, v12, v4
	v_sub_u32_e32 v7, 29, v7
	v_and_b32_e32 v12, 7, v12
	v_cmp_eq_u16_e32 vcc, 0, v6
	v_cndmask_b32_e32 v3, v3, v12, vcc
	v_cndmask_b32_e32 v6, v6, v7, vcc
	v_lshlrev_b32_e32 v7, 24, v4
	v_mov_b32_e32 v12, 0x3b800000
	v_lshlrev_b32_e32 v3, 20, v3
	v_and_b32_e32 v7, 0x80000000, v7
	v_lshl_add_u32 v6, v6, 23, v12
	v_or3_b32 v3, v7, v6, v3
.LBB4_1096:
	s_or_b64 exec, exec, s[6:7]
	s_nop 0
	v_mfma_f32_16x16x4f32 a[0:3], v2, v3, a[0:3]
	v_lshrrev_b32_e32 v3, 8, v8
	s_movk_i32 s4, 0x7f
	v_cmp_gt_i16_sdwa s[6:7], v3, s4 src0_sel:BYTE_0 src1_sel:DWORD
	s_mov_b64 s[4:5], 0
                                        ; implicit-def: $sgpr10
	s_and_saveexec_b64 s[8:9], s[6:7]
	s_xor_b64 s[6:7], exec, s[8:9]
	s_cbranch_execnz .LBB4_3145
; %bb.1097:
	s_or_saveexec_b64 s[6:7], s[6:7]
	v_mov_b32_e32 v2, s10
	s_xor_b64 exec, exec, s[6:7]
	s_cbranch_execnz .LBB4_3148
.LBB4_1098:
	s_or_b64 exec, exec, s[6:7]
	s_and_saveexec_b64 s[6:7], s[4:5]
	s_cbranch_execz .LBB4_1100
.LBB4_1099:
	v_bfe_u32 v2, v8, 8, 3
	v_ffbh_u32_e32 v7, v2
	v_min_u32_e32 v7, 32, v7
	v_lshrrev_b16_e32 v6, 3, v3
	v_subrev_u32_e32 v12, 28, v7
	v_and_b32_e32 v6, 15, v6
	v_lshlrev_b32_e32 v3, v12, v3
	v_sub_u32_e32 v7, 29, v7
	v_and_b32_e32 v3, 7, v3
	v_cmp_eq_u16_e32 vcc, 0, v6
	v_cndmask_b32_e32 v2, v2, v3, vcc
	v_cndmask_b32_e32 v3, v6, v7, vcc
	v_lshlrev_b32_e32 v6, 16, v8
	v_mov_b32_e32 v7, 0x3b800000
	v_lshlrev_b32_e32 v2, 20, v2
	v_and_b32_e32 v6, 0x80000000, v6
	v_lshl_add_u32 v3, v3, 23, v7
	v_or3_b32 v2, v6, v3, v2
.LBB4_1100:
	s_or_b64 exec, exec, s[6:7]
	v_lshrrev_b32_e32 v3, 8, v4
	s_movk_i32 s4, 0x7f
	v_cmp_gt_i16_sdwa s[6:7], v3, s4 src0_sel:BYTE_0 src1_sel:DWORD
	s_mov_b64 s[4:5], 0
                                        ; implicit-def: $sgpr10
	s_and_saveexec_b64 s[8:9], s[6:7]
	s_xor_b64 s[6:7], exec, s[8:9]
	s_cbranch_execnz .LBB4_3149
; %bb.1101:
	s_or_saveexec_b64 s[6:7], s[6:7]
	v_mov_b32_e32 v6, s10
	s_xor_b64 exec, exec, s[6:7]
	s_cbranch_execnz .LBB4_3152
.LBB4_1102:
	s_or_b64 exec, exec, s[6:7]
	s_and_saveexec_b64 s[6:7], s[4:5]
	s_cbranch_execz .LBB4_1104
.LBB4_1103:
	v_bfe_u32 v6, v4, 8, 3
	v_ffbh_u32_e32 v12, v6
	v_min_u32_e32 v12, 32, v12
	v_lshrrev_b16_e32 v7, 3, v3
	v_subrev_u32_e32 v13, 28, v12
	v_and_b32_e32 v7, 15, v7
	v_lshlrev_b32_e32 v3, v13, v3
	v_sub_u32_e32 v12, 29, v12
	v_and_b32_e32 v3, 7, v3
	v_cmp_eq_u16_e32 vcc, 0, v7
	v_cndmask_b32_e32 v3, v6, v3, vcc
	v_cndmask_b32_e32 v6, v7, v12, vcc
	v_lshlrev_b32_e32 v7, 16, v4
	v_mov_b32_e32 v12, 0x3b800000
	v_lshlrev_b32_e32 v3, 20, v3
	v_and_b32_e32 v7, 0x80000000, v7
	v_lshl_add_u32 v6, v6, 23, v12
	v_or3_b32 v6, v7, v6, v3
.LBB4_1104:
	s_or_b64 exec, exec, s[6:7]
	s_nop 0
	v_mfma_f32_16x16x4f32 a[0:3], v2, v6, a[0:3]
	s_movk_i32 s4, 0xff
	v_and_b32_sdwa v3, v8, s4 dst_sel:DWORD dst_unused:UNUSED_PAD src0_sel:WORD_1 src1_sel:DWORD
	s_movk_i32 s4, 0x7f
	v_cmp_lt_i16_e32 vcc, s4, v3
	s_mov_b64 s[4:5], 0
                                        ; implicit-def: $sgpr10
	s_and_saveexec_b64 s[6:7], vcc
	s_xor_b64 s[6:7], exec, s[6:7]
	s_cbranch_execnz .LBB4_3153
; %bb.1105:
	s_or_saveexec_b64 s[6:7], s[6:7]
	v_mov_b32_e32 v2, s10
	s_xor_b64 exec, exec, s[6:7]
	s_cbranch_execnz .LBB4_3156
.LBB4_1106:
	s_or_b64 exec, exec, s[6:7]
	s_and_saveexec_b64 s[6:7], s[4:5]
	s_cbranch_execz .LBB4_1108
.LBB4_1107:
	v_bfe_u32 v2, v8, 16, 3
	v_ffbh_u32_e32 v7, v2
	v_min_u32_e32 v7, 32, v7
	v_lshrrev_b32_e32 v3, 19, v8
	v_subrev_u32_e32 v12, 28, v7
	v_and_b32_e32 v3, 15, v3
	v_lshlrev_b32_sdwa v12, v12, v8 dst_sel:DWORD dst_unused:UNUSED_PAD src0_sel:DWORD src1_sel:WORD_1
	v_bfe_u32 v6, v8, 19, 4
	v_sub_u32_e32 v7, 29, v7
	v_and_b32_e32 v12, 7, v12
	v_cmp_eq_u16_e32 vcc, 0, v3
	v_cndmask_b32_e32 v2, v2, v12, vcc
	v_cndmask_b32_e32 v3, v6, v7, vcc
	v_lshlrev_b32_e32 v6, 8, v8
	v_mov_b32_e32 v7, 0x3b800000
	v_lshlrev_b32_e32 v2, 20, v2
	v_and_b32_e32 v6, 0x80000000, v6
	v_lshl_add_u32 v3, v3, 23, v7
	v_or3_b32 v2, v6, v3, v2
.LBB4_1108:
	s_or_b64 exec, exec, s[6:7]
	s_movk_i32 s4, 0xff
	v_and_b32_sdwa v3, v4, s4 dst_sel:DWORD dst_unused:UNUSED_PAD src0_sel:WORD_1 src1_sel:DWORD
	s_movk_i32 s4, 0x7f
	v_cmp_lt_i16_e32 vcc, s4, v3
	s_mov_b64 s[4:5], 0
                                        ; implicit-def: $sgpr10
	s_and_saveexec_b64 s[6:7], vcc
	s_xor_b64 s[6:7], exec, s[6:7]
	s_cbranch_execnz .LBB4_3157
; %bb.1109:
	s_or_saveexec_b64 s[6:7], s[6:7]
	v_mov_b32_e32 v6, s10
	s_xor_b64 exec, exec, s[6:7]
	s_cbranch_execnz .LBB4_3160
.LBB4_1110:
	s_or_b64 exec, exec, s[6:7]
	s_and_saveexec_b64 s[6:7], s[4:5]
	s_cbranch_execz .LBB4_1112
.LBB4_1111:
	v_bfe_u32 v3, v4, 16, 3
	v_ffbh_u32_e32 v12, v3
	v_min_u32_e32 v12, 32, v12
	v_lshrrev_b32_e32 v6, 19, v4
	v_subrev_u32_e32 v13, 28, v12
	v_and_b32_e32 v6, 15, v6
	v_lshlrev_b32_sdwa v13, v13, v4 dst_sel:DWORD dst_unused:UNUSED_PAD src0_sel:DWORD src1_sel:WORD_1
	v_bfe_u32 v7, v4, 19, 4
	v_sub_u32_e32 v12, 29, v12
	v_and_b32_e32 v13, 7, v13
	v_cmp_eq_u16_e32 vcc, 0, v6
	v_cndmask_b32_e32 v3, v3, v13, vcc
	v_cndmask_b32_e32 v6, v7, v12, vcc
	v_lshlrev_b32_e32 v7, 8, v4
	v_mov_b32_e32 v12, 0x3b800000
	v_lshlrev_b32_e32 v3, 20, v3
	v_and_b32_e32 v7, 0x80000000, v7
	v_lshl_add_u32 v6, v6, 23, v12
	v_or3_b32 v6, v7, v6, v3
.LBB4_1112:
	s_or_b64 exec, exec, s[6:7]
	s_nop 0
	v_mfma_f32_16x16x4f32 a[0:3], v2, v6, a[0:3]
	s_movk_i32 s4, 0x7f
	v_cmp_gt_i16_sdwa s[6:7], v8, s4 src0_sel:BYTE_3 src1_sel:DWORD
	s_mov_b64 s[4:5], 0
                                        ; implicit-def: $sgpr10
	s_and_saveexec_b64 s[8:9], s[6:7]
	s_xor_b64 s[6:7], exec, s[8:9]
	s_cbranch_execnz .LBB4_3161
; %bb.1113:
	s_or_saveexec_b64 s[6:7], s[6:7]
	v_mov_b32_e32 v2, s10
	s_xor_b64 exec, exec, s[6:7]
	s_cbranch_execnz .LBB4_3164
.LBB4_1114:
	s_or_b64 exec, exec, s[6:7]
	s_and_saveexec_b64 s[6:7], s[4:5]
	s_cbranch_execz .LBB4_1116
.LBB4_1115:
	v_bfe_u32 v2, v8, 24, 3
	v_ffbh_u32_e32 v12, v2
	v_min_u32_e32 v12, 32, v12
	v_lshrrev_b32_e32 v6, 27, v8
	v_subrev_u32_e32 v13, 28, v12
	v_and_b32_e32 v3, 0x80000000, v8
	v_and_b32_e32 v6, 15, v6
	v_bfe_u32 v7, v8, 27, 4
	v_lshlrev_b32_sdwa v8, v13, v8 dst_sel:DWORD dst_unused:UNUSED_PAD src0_sel:DWORD src1_sel:BYTE_3
	v_sub_u32_e32 v12, 29, v12
	v_and_b32_e32 v8, 7, v8
	v_cmp_eq_u16_e32 vcc, 0, v6
	v_cndmask_b32_e32 v2, v2, v8, vcc
	v_cndmask_b32_e32 v6, v7, v12, vcc
	v_mov_b32_e32 v7, 0x3b800000
	v_lshlrev_b32_e32 v2, 20, v2
	v_lshl_add_u32 v6, v6, 23, v7
	v_or3_b32 v2, v3, v6, v2
.LBB4_1116:
	s_or_b64 exec, exec, s[6:7]
	s_movk_i32 s4, 0x7f
	v_cmp_gt_i16_sdwa s[6:7], v4, s4 src0_sel:BYTE_3 src1_sel:DWORD
	s_mov_b64 s[4:5], 0
                                        ; implicit-def: $sgpr10
	s_and_saveexec_b64 s[8:9], s[6:7]
	s_xor_b64 s[6:7], exec, s[8:9]
	s_cbranch_execnz .LBB4_3165
; %bb.1117:
	s_or_saveexec_b64 s[6:7], s[6:7]
	v_mov_b32_e32 v3, s10
	s_xor_b64 exec, exec, s[6:7]
	s_cbranch_execnz .LBB4_3168
.LBB4_1118:
	s_or_b64 exec, exec, s[6:7]
	s_and_saveexec_b64 s[6:7], s[4:5]
	s_cbranch_execz .LBB4_1120
.LBB4_1119:
	v_bfe_u32 v3, v4, 24, 3
	v_ffbh_u32_e32 v12, v3
	v_min_u32_e32 v12, 32, v12
	v_lshrrev_b32_e32 v7, 27, v4
	v_subrev_u32_e32 v13, 28, v12
	v_and_b32_e32 v6, 0x80000000, v4
	v_and_b32_e32 v7, 15, v7
	v_bfe_u32 v8, v4, 27, 4
	v_lshlrev_b32_sdwa v4, v13, v4 dst_sel:DWORD dst_unused:UNUSED_PAD src0_sel:DWORD src1_sel:BYTE_3
	v_sub_u32_e32 v12, 29, v12
	v_and_b32_e32 v4, 7, v4
	v_cmp_eq_u16_e32 vcc, 0, v7
	v_cndmask_b32_e32 v3, v3, v4, vcc
	v_cndmask_b32_e32 v4, v8, v12, vcc
	v_mov_b32_e32 v7, 0x3b800000
	v_lshlrev_b32_e32 v3, 20, v3
	v_lshl_add_u32 v4, v4, 23, v7
	v_or3_b32 v3, v6, v4, v3
.LBB4_1120:
	s_or_b64 exec, exec, s[6:7]
	s_nop 0
	v_mfma_f32_16x16x4f32 a[0:3], v2, v3, a[0:3]
	s_movk_i32 s4, 0x7f
	v_cmp_gt_i16_sdwa s[6:7], v9, s4 src0_sel:BYTE_0 src1_sel:DWORD
	s_mov_b64 s[4:5], 0
                                        ; implicit-def: $sgpr10
	s_and_saveexec_b64 s[8:9], s[6:7]
	s_xor_b64 s[6:7], exec, s[8:9]
	s_cbranch_execnz .LBB4_3169
; %bb.1121:
	s_or_saveexec_b64 s[6:7], s[6:7]
	v_mov_b32_e32 v2, s10
	s_xor_b64 exec, exec, s[6:7]
	s_cbranch_execnz .LBB4_3172
.LBB4_1122:
	s_or_b64 exec, exec, s[6:7]
	s_and_saveexec_b64 s[6:7], s[4:5]
	s_cbranch_execz .LBB4_1124
.LBB4_1123:
	v_mov_b32_e32 v2, 8
	v_and_b32_e32 v3, 7, v9
	v_lshrrev_b32_sdwa v2, v2, v9 dst_sel:BYTE_1 dst_unused:UNUSED_PAD src0_sel:DWORD src1_sel:DWORD
	v_ffbh_u32_e32 v4, v3
	v_or_b32_sdwa v2, v9, v2 dst_sel:DWORD dst_unused:UNUSED_PAD src0_sel:BYTE_0 src1_sel:DWORD
	v_min_u32_e32 v4, 32, v4
	v_lshrrev_b16_e32 v2, 3, v2
	v_subrev_u32_e32 v6, 28, v4
	v_and_b32_e32 v2, 15, v2
	v_lshlrev_b32_e32 v6, v6, v9
	v_sub_u32_e32 v4, 29, v4
	v_and_b32_e32 v6, 7, v6
	v_cmp_eq_u16_e32 vcc, 0, v2
	v_cndmask_b32_e32 v3, v3, v6, vcc
	v_cndmask_b32_e32 v2, v2, v4, vcc
	v_lshlrev_b32_e32 v4, 24, v9
	v_mov_b32_e32 v6, 0x3b800000
	v_lshlrev_b32_e32 v3, 20, v3
	v_and_b32_e32 v4, 0x80000000, v4
	v_lshl_add_u32 v2, v2, 23, v6
	v_or3_b32 v2, v4, v2, v3
.LBB4_1124:
	s_or_b64 exec, exec, s[6:7]
	s_movk_i32 s4, 0x7f
	v_cmp_gt_i16_sdwa s[6:7], v5, s4 src0_sel:BYTE_0 src1_sel:DWORD
	s_mov_b64 s[4:5], 0
                                        ; implicit-def: $sgpr10
	s_and_saveexec_b64 s[8:9], s[6:7]
	s_xor_b64 s[6:7], exec, s[8:9]
	s_cbranch_execnz .LBB4_3173
; %bb.1125:
	s_or_saveexec_b64 s[6:7], s[6:7]
	v_mov_b32_e32 v3, s10
	s_xor_b64 exec, exec, s[6:7]
	s_cbranch_execnz .LBB4_3176
.LBB4_1126:
	s_or_b64 exec, exec, s[6:7]
	s_and_saveexec_b64 s[6:7], s[4:5]
	s_cbranch_execz .LBB4_1128
.LBB4_1127:
	v_mov_b32_e32 v3, 8
	v_and_b32_e32 v4, 7, v5
	v_lshrrev_b32_sdwa v3, v3, v5 dst_sel:BYTE_1 dst_unused:UNUSED_PAD src0_sel:DWORD src1_sel:DWORD
	v_ffbh_u32_e32 v6, v4
	v_or_b32_sdwa v3, v5, v3 dst_sel:DWORD dst_unused:UNUSED_PAD src0_sel:BYTE_0 src1_sel:DWORD
	v_min_u32_e32 v6, 32, v6
	v_lshrrev_b16_e32 v3, 3, v3
	v_subrev_u32_e32 v7, 28, v6
	v_and_b32_e32 v3, 15, v3
	v_lshlrev_b32_e32 v7, v7, v5
	v_sub_u32_e32 v6, 29, v6
	v_and_b32_e32 v7, 7, v7
	v_cmp_eq_u16_e32 vcc, 0, v3
	v_cndmask_b32_e32 v4, v4, v7, vcc
	v_cndmask_b32_e32 v3, v3, v6, vcc
	v_lshlrev_b32_e32 v6, 24, v5
	v_mov_b32_e32 v7, 0x3b800000
	v_lshlrev_b32_e32 v4, 20, v4
	v_and_b32_e32 v6, 0x80000000, v6
	v_lshl_add_u32 v3, v3, 23, v7
	v_or3_b32 v3, v6, v3, v4
.LBB4_1128:
	s_or_b64 exec, exec, s[6:7]
	s_nop 0
	v_mfma_f32_16x16x4f32 a[0:3], v2, v3, a[0:3]
	v_lshrrev_b32_e32 v3, 8, v9
	s_movk_i32 s4, 0x7f
	v_cmp_gt_i16_sdwa s[6:7], v3, s4 src0_sel:BYTE_0 src1_sel:DWORD
	s_mov_b64 s[4:5], 0
                                        ; implicit-def: $sgpr10
	s_and_saveexec_b64 s[8:9], s[6:7]
	s_xor_b64 s[6:7], exec, s[8:9]
	s_cbranch_execnz .LBB4_3177
; %bb.1129:
	s_or_saveexec_b64 s[6:7], s[6:7]
	v_mov_b32_e32 v2, s10
	s_xor_b64 exec, exec, s[6:7]
	s_cbranch_execnz .LBB4_3180
.LBB4_1130:
	s_or_b64 exec, exec, s[6:7]
	s_and_saveexec_b64 s[6:7], s[4:5]
	s_cbranch_execz .LBB4_1132
.LBB4_1131:
	v_bfe_u32 v2, v9, 8, 3
	v_ffbh_u32_e32 v6, v2
	v_min_u32_e32 v6, 32, v6
	v_lshrrev_b16_e32 v4, 3, v3
	v_subrev_u32_e32 v7, 28, v6
	v_and_b32_e32 v4, 15, v4
	v_lshlrev_b32_e32 v3, v7, v3
	v_sub_u32_e32 v6, 29, v6
	v_and_b32_e32 v3, 7, v3
	v_cmp_eq_u16_e32 vcc, 0, v4
	v_cndmask_b32_e32 v2, v2, v3, vcc
	v_cndmask_b32_e32 v3, v4, v6, vcc
	v_lshlrev_b32_e32 v4, 16, v9
	v_mov_b32_e32 v6, 0x3b800000
	v_lshlrev_b32_e32 v2, 20, v2
	v_and_b32_e32 v4, 0x80000000, v4
	v_lshl_add_u32 v3, v3, 23, v6
	v_or3_b32 v2, v4, v3, v2
.LBB4_1132:
	s_or_b64 exec, exec, s[6:7]
	v_lshrrev_b32_e32 v3, 8, v5
	s_movk_i32 s4, 0x7f
	v_cmp_gt_i16_sdwa s[6:7], v3, s4 src0_sel:BYTE_0 src1_sel:DWORD
	s_mov_b64 s[4:5], 0
                                        ; implicit-def: $sgpr10
	s_and_saveexec_b64 s[8:9], s[6:7]
	s_xor_b64 s[6:7], exec, s[8:9]
	s_cbranch_execnz .LBB4_3181
; %bb.1133:
	s_or_saveexec_b64 s[6:7], s[6:7]
	v_mov_b32_e32 v4, s10
	s_xor_b64 exec, exec, s[6:7]
	s_cbranch_execnz .LBB4_3184
.LBB4_1134:
	s_or_b64 exec, exec, s[6:7]
	s_and_saveexec_b64 s[6:7], s[4:5]
	s_cbranch_execz .LBB4_1136
.LBB4_1135:
	v_bfe_u32 v4, v5, 8, 3
	v_ffbh_u32_e32 v7, v4
	v_min_u32_e32 v7, 32, v7
	v_lshrrev_b16_e32 v6, 3, v3
	v_subrev_u32_e32 v8, 28, v7
	v_and_b32_e32 v6, 15, v6
	v_lshlrev_b32_e32 v3, v8, v3
	v_sub_u32_e32 v7, 29, v7
	v_and_b32_e32 v3, 7, v3
	v_cmp_eq_u16_e32 vcc, 0, v6
	v_cndmask_b32_e32 v3, v4, v3, vcc
	v_cndmask_b32_e32 v4, v6, v7, vcc
	v_lshlrev_b32_e32 v6, 16, v5
	v_mov_b32_e32 v7, 0x3b800000
	v_lshlrev_b32_e32 v3, 20, v3
	v_and_b32_e32 v6, 0x80000000, v6
	v_lshl_add_u32 v4, v4, 23, v7
	v_or3_b32 v4, v6, v4, v3
.LBB4_1136:
	s_or_b64 exec, exec, s[6:7]
	s_nop 0
	v_mfma_f32_16x16x4f32 a[0:3], v2, v4, a[0:3]
	s_movk_i32 s4, 0xff
	v_and_b32_sdwa v3, v9, s4 dst_sel:DWORD dst_unused:UNUSED_PAD src0_sel:WORD_1 src1_sel:DWORD
	s_movk_i32 s4, 0x7f
	v_cmp_lt_i16_e32 vcc, s4, v3
	s_mov_b64 s[4:5], 0
                                        ; implicit-def: $sgpr10
	s_and_saveexec_b64 s[6:7], vcc
	s_xor_b64 s[6:7], exec, s[6:7]
	s_cbranch_execnz .LBB4_3185
; %bb.1137:
	s_or_saveexec_b64 s[6:7], s[6:7]
	v_mov_b32_e32 v2, s10
	s_xor_b64 exec, exec, s[6:7]
	s_cbranch_execnz .LBB4_3188
.LBB4_1138:
	s_or_b64 exec, exec, s[6:7]
	s_and_saveexec_b64 s[6:7], s[4:5]
	s_cbranch_execz .LBB4_1140
.LBB4_1139:
	v_bfe_u32 v2, v9, 16, 3
	v_ffbh_u32_e32 v6, v2
	v_min_u32_e32 v6, 32, v6
	v_lshrrev_b32_e32 v3, 19, v9
	v_subrev_u32_e32 v7, 28, v6
	v_and_b32_e32 v3, 15, v3
	v_lshlrev_b32_sdwa v7, v7, v9 dst_sel:DWORD dst_unused:UNUSED_PAD src0_sel:DWORD src1_sel:WORD_1
	v_bfe_u32 v4, v9, 19, 4
	v_sub_u32_e32 v6, 29, v6
	v_and_b32_e32 v7, 7, v7
	v_cmp_eq_u16_e32 vcc, 0, v3
	v_cndmask_b32_e32 v2, v2, v7, vcc
	v_cndmask_b32_e32 v3, v4, v6, vcc
	v_lshlrev_b32_e32 v4, 8, v9
	v_mov_b32_e32 v6, 0x3b800000
	v_lshlrev_b32_e32 v2, 20, v2
	v_and_b32_e32 v4, 0x80000000, v4
	v_lshl_add_u32 v3, v3, 23, v6
	v_or3_b32 v2, v4, v3, v2
.LBB4_1140:
	s_or_b64 exec, exec, s[6:7]
	s_movk_i32 s4, 0xff
	v_and_b32_sdwa v3, v5, s4 dst_sel:DWORD dst_unused:UNUSED_PAD src0_sel:WORD_1 src1_sel:DWORD
	s_movk_i32 s4, 0x7f
	v_cmp_lt_i16_e32 vcc, s4, v3
	s_mov_b64 s[4:5], 0
                                        ; implicit-def: $sgpr10
	s_and_saveexec_b64 s[6:7], vcc
	s_xor_b64 s[6:7], exec, s[6:7]
	s_cbranch_execnz .LBB4_3189
; %bb.1141:
	s_or_saveexec_b64 s[6:7], s[6:7]
	v_mov_b32_e32 v4, s10
	s_xor_b64 exec, exec, s[6:7]
	s_cbranch_execnz .LBB4_3192
.LBB4_1142:
	s_or_b64 exec, exec, s[6:7]
	s_and_saveexec_b64 s[6:7], s[4:5]
	s_cbranch_execz .LBB4_1144
.LBB4_1143:
	v_bfe_u32 v3, v5, 16, 3
	v_ffbh_u32_e32 v7, v3
	v_min_u32_e32 v7, 32, v7
	v_lshrrev_b32_e32 v4, 19, v5
	v_subrev_u32_e32 v8, 28, v7
	v_and_b32_e32 v4, 15, v4
	v_lshlrev_b32_sdwa v8, v8, v5 dst_sel:DWORD dst_unused:UNUSED_PAD src0_sel:DWORD src1_sel:WORD_1
	v_bfe_u32 v6, v5, 19, 4
	v_sub_u32_e32 v7, 29, v7
	v_and_b32_e32 v8, 7, v8
	v_cmp_eq_u16_e32 vcc, 0, v4
	v_cndmask_b32_e32 v3, v3, v8, vcc
	v_cndmask_b32_e32 v4, v6, v7, vcc
	v_lshlrev_b32_e32 v6, 8, v5
	v_mov_b32_e32 v7, 0x3b800000
	v_lshlrev_b32_e32 v3, 20, v3
	v_and_b32_e32 v6, 0x80000000, v6
	v_lshl_add_u32 v4, v4, 23, v7
	v_or3_b32 v4, v6, v4, v3
.LBB4_1144:
	s_or_b64 exec, exec, s[6:7]
	s_nop 0
	v_mfma_f32_16x16x4f32 a[0:3], v2, v4, a[0:3]
	s_movk_i32 s4, 0x7f
	v_cmp_gt_i16_sdwa s[6:7], v9, s4 src0_sel:BYTE_3 src1_sel:DWORD
	s_mov_b64 s[4:5], 0
                                        ; implicit-def: $sgpr10
	s_and_saveexec_b64 s[8:9], s[6:7]
	s_xor_b64 s[6:7], exec, s[8:9]
	s_cbranch_execnz .LBB4_3193
; %bb.1145:
	s_or_saveexec_b64 s[6:7], s[6:7]
	v_mov_b32_e32 v2, s10
	s_xor_b64 exec, exec, s[6:7]
	s_cbranch_execnz .LBB4_3196
.LBB4_1146:
	s_or_b64 exec, exec, s[6:7]
	s_and_saveexec_b64 s[6:7], s[4:5]
	s_cbranch_execz .LBB4_1148
.LBB4_1147:
	v_bfe_u32 v2, v9, 24, 3
	v_ffbh_u32_e32 v7, v2
	v_min_u32_e32 v7, 32, v7
	v_lshrrev_b32_e32 v4, 27, v9
	v_subrev_u32_e32 v8, 28, v7
	v_and_b32_e32 v4, 15, v4
	v_lshlrev_b32_sdwa v8, v8, v9 dst_sel:DWORD dst_unused:UNUSED_PAD src0_sel:DWORD src1_sel:BYTE_3
	v_bfe_u32 v6, v9, 27, 4
	v_sub_u32_e32 v7, 29, v7
	v_and_b32_e32 v8, 7, v8
	v_cmp_eq_u16_e32 vcc, 0, v4
	v_cndmask_b32_e32 v2, v2, v8, vcc
	v_cndmask_b32_e32 v4, v6, v7, vcc
	v_mov_b32_e32 v6, 0x3b800000
	v_and_b32_e32 v3, 0x80000000, v9
	v_lshlrev_b32_e32 v2, 20, v2
	v_lshl_add_u32 v4, v4, 23, v6
	v_or3_b32 v2, v3, v4, v2
.LBB4_1148:
	s_or_b64 exec, exec, s[6:7]
	s_movk_i32 s4, 0x7f
	v_cmp_gt_i16_sdwa s[6:7], v5, s4 src0_sel:BYTE_3 src1_sel:DWORD
	s_mov_b64 s[4:5], 0
                                        ; implicit-def: $sgpr10
	s_and_saveexec_b64 s[8:9], s[6:7]
	s_xor_b64 s[6:7], exec, s[8:9]
	s_cbranch_execnz .LBB4_3197
; %bb.1149:
	s_or_saveexec_b64 s[6:7], s[6:7]
	v_mov_b32_e32 v3, s10
	s_xor_b64 exec, exec, s[6:7]
	s_cbranch_execnz .LBB4_3200
.LBB4_1150:
	s_or_b64 exec, exec, s[6:7]
	s_and_saveexec_b64 s[6:7], s[4:5]
	s_cbranch_execz .LBB4_1152
.LBB4_1151:
	v_bfe_u32 v3, v5, 24, 3
	v_ffbh_u32_e32 v8, v3
	v_min_u32_e32 v8, 32, v8
	v_lshrrev_b32_e32 v6, 27, v5
	v_subrev_u32_e32 v9, 28, v8
	v_and_b32_e32 v4, 0x80000000, v5
	v_and_b32_e32 v6, 15, v6
	v_bfe_u32 v7, v5, 27, 4
	v_lshlrev_b32_sdwa v5, v9, v5 dst_sel:DWORD dst_unused:UNUSED_PAD src0_sel:DWORD src1_sel:BYTE_3
	v_sub_u32_e32 v8, 29, v8
	v_and_b32_e32 v5, 7, v5
	v_cmp_eq_u16_e32 vcc, 0, v6
	v_cndmask_b32_e32 v3, v3, v5, vcc
	v_cndmask_b32_e32 v5, v7, v8, vcc
	v_mov_b32_e32 v6, 0x3b800000
	v_lshlrev_b32_e32 v3, 20, v3
	v_lshl_add_u32 v5, v5, 23, v6
	v_or3_b32 v3, v4, v5, v3
.LBB4_1152:
	s_or_b64 exec, exec, s[6:7]
	s_nop 0
	v_mfma_f32_16x16x4f32 a[0:3], v2, v3, a[0:3]
	s_movk_i32 s4, 0x7f
                                        ; implicit-def: $sgpr10
	s_nop 7
	s_nop 1
	flat_store_dwordx4 v[10:11], a[0:3] offset:128
	flat_load_dwordx4 v[12:15], v[0:1] offset:8
	s_nop 0
	flat_load_dwordx2 v[10:11], v[0:1] offset:32
	s_waitcnt vmcnt(0) lgkmcnt(0)
	flat_load_dwordx4 v[6:9], v[12:13] offset:80
	flat_load_dwordx4 v[2:5], v[14:15] offset:48
	s_waitcnt vmcnt(0) lgkmcnt(0)
	v_cmp_gt_i16_sdwa s[6:7], v6, s4 src0_sel:BYTE_0 src1_sel:DWORD
	s_mov_b64 s[4:5], 0
	s_and_saveexec_b64 s[8:9], s[6:7]
	s_xor_b64 s[6:7], exec, s[8:9]
	s_cbranch_execnz .LBB4_3201
; %bb.1153:
	s_or_saveexec_b64 s[6:7], s[6:7]
	v_mov_b32_e32 v12, s10
	s_xor_b64 exec, exec, s[6:7]
	s_cbranch_execnz .LBB4_3204
.LBB4_1154:
	s_or_b64 exec, exec, s[6:7]
	s_and_saveexec_b64 s[6:7], s[4:5]
	s_cbranch_execz .LBB4_1156
.LBB4_1155:
	v_and_b32_e32 v12, 7, v6
	v_ffbh_u32_e32 v14, v12
	v_min_u32_e32 v14, 32, v14
	v_lshrrev_b16_e32 v13, 3, v6
	v_subrev_u32_e32 v15, 28, v14
	v_and_b32_e32 v13, 15, v13
	v_lshlrev_b32_e32 v15, v15, v6
	v_sub_u32_e32 v14, 29, v14
	v_and_b32_e32 v15, 7, v15
	v_cmp_eq_u16_e32 vcc, 0, v13
	v_cndmask_b32_e32 v12, v12, v15, vcc
	v_cndmask_b32_e32 v13, v13, v14, vcc
	v_lshlrev_b32_e32 v14, 24, v6
	v_mov_b32_e32 v15, 0x3b800000
	v_lshlrev_b32_e32 v12, 20, v12
	v_and_b32_e32 v14, 0x80000000, v14
	v_lshl_add_u32 v13, v13, 23, v15
	v_or3_b32 v12, v14, v13, v12
.LBB4_1156:
	s_or_b64 exec, exec, s[6:7]
	s_movk_i32 s4, 0x7f
	v_cmp_gt_i16_sdwa s[6:7], v2, s4 src0_sel:BYTE_0 src1_sel:DWORD
	s_mov_b64 s[4:5], 0
                                        ; implicit-def: $sgpr10
	s_and_saveexec_b64 s[8:9], s[6:7]
	s_xor_b64 s[6:7], exec, s[8:9]
	s_cbranch_execnz .LBB4_3205
; %bb.1157:
	s_or_saveexec_b64 s[6:7], s[6:7]
	v_mov_b32_e32 v13, s10
	s_xor_b64 exec, exec, s[6:7]
	s_cbranch_execnz .LBB4_3208
.LBB4_1158:
	s_or_b64 exec, exec, s[6:7]
	s_and_saveexec_b64 s[6:7], s[4:5]
	s_cbranch_execz .LBB4_1160
.LBB4_1159:
	v_and_b32_e32 v13, 7, v2
	v_ffbh_u32_e32 v15, v13
	v_min_u32_e32 v15, 32, v15
	v_lshrrev_b16_e32 v14, 3, v2
	v_subrev_u32_e32 v16, 28, v15
	v_and_b32_e32 v14, 15, v14
	v_lshlrev_b32_e32 v16, v16, v2
	v_sub_u32_e32 v15, 29, v15
	v_and_b32_e32 v16, 7, v16
	v_cmp_eq_u16_e32 vcc, 0, v14
	v_cndmask_b32_e32 v13, v13, v16, vcc
	v_cndmask_b32_e32 v14, v14, v15, vcc
	v_lshlrev_b32_e32 v15, 24, v2
	v_mov_b32_e32 v16, 0x3b800000
	v_lshlrev_b32_e32 v13, 20, v13
	v_and_b32_e32 v15, 0x80000000, v15
	v_lshl_add_u32 v14, v14, 23, v16
	v_or3_b32 v13, v15, v14, v13
.LBB4_1160:
	s_or_b64 exec, exec, s[6:7]
	flat_load_dwordx4 a[0:3], v[10:11] offset:144
	s_movk_i32 s4, 0x7f
                                        ; implicit-def: $sgpr10
	s_waitcnt vmcnt(0) lgkmcnt(0)
	v_mfma_f32_16x16x4f32 a[0:3], v12, v13, a[0:3]
	v_lshrrev_b32_e32 v13, 8, v6
	v_cmp_gt_i16_sdwa s[6:7], v13, s4 src0_sel:BYTE_0 src1_sel:DWORD
	s_mov_b64 s[4:5], 0
	s_and_saveexec_b64 s[8:9], s[6:7]
	s_xor_b64 s[6:7], exec, s[8:9]
	s_cbranch_execnz .LBB4_3209
; %bb.1161:
	s_or_saveexec_b64 s[6:7], s[6:7]
	v_mov_b32_e32 v12, s10
	s_xor_b64 exec, exec, s[6:7]
	s_cbranch_execnz .LBB4_3212
.LBB4_1162:
	s_or_b64 exec, exec, s[6:7]
	s_and_saveexec_b64 s[6:7], s[4:5]
	s_cbranch_execz .LBB4_1164
.LBB4_1163:
	v_bfe_u32 v12, v6, 8, 3
	v_ffbh_u32_e32 v15, v12
	v_min_u32_e32 v15, 32, v15
	v_lshrrev_b16_e32 v14, 3, v13
	v_subrev_u32_e32 v16, 28, v15
	v_and_b32_e32 v14, 15, v14
	v_lshlrev_b32_e32 v13, v16, v13
	v_sub_u32_e32 v15, 29, v15
	v_and_b32_e32 v13, 7, v13
	v_cmp_eq_u16_e32 vcc, 0, v14
	v_cndmask_b32_e32 v12, v12, v13, vcc
	v_cndmask_b32_e32 v13, v14, v15, vcc
	v_lshlrev_b32_e32 v14, 16, v6
	v_mov_b32_e32 v15, 0x3b800000
	v_lshlrev_b32_e32 v12, 20, v12
	v_and_b32_e32 v14, 0x80000000, v14
	v_lshl_add_u32 v13, v13, 23, v15
	v_or3_b32 v12, v14, v13, v12
.LBB4_1164:
	s_or_b64 exec, exec, s[6:7]
	v_lshrrev_b32_e32 v13, 8, v2
	s_movk_i32 s4, 0x7f
	v_cmp_gt_i16_sdwa s[6:7], v13, s4 src0_sel:BYTE_0 src1_sel:DWORD
	s_mov_b64 s[4:5], 0
                                        ; implicit-def: $sgpr10
	s_and_saveexec_b64 s[8:9], s[6:7]
	s_xor_b64 s[6:7], exec, s[8:9]
	s_cbranch_execnz .LBB4_3213
; %bb.1165:
	s_or_saveexec_b64 s[6:7], s[6:7]
	v_mov_b32_e32 v14, s10
	s_xor_b64 exec, exec, s[6:7]
	s_cbranch_execnz .LBB4_3216
.LBB4_1166:
	s_or_b64 exec, exec, s[6:7]
	s_and_saveexec_b64 s[6:7], s[4:5]
	s_cbranch_execz .LBB4_1168
.LBB4_1167:
	v_bfe_u32 v14, v2, 8, 3
	v_ffbh_u32_e32 v16, v14
	v_min_u32_e32 v16, 32, v16
	v_lshrrev_b16_e32 v15, 3, v13
	v_subrev_u32_e32 v17, 28, v16
	v_and_b32_e32 v15, 15, v15
	v_lshlrev_b32_e32 v13, v17, v13
	v_sub_u32_e32 v16, 29, v16
	v_and_b32_e32 v13, 7, v13
	v_cmp_eq_u16_e32 vcc, 0, v15
	v_cndmask_b32_e32 v13, v14, v13, vcc
	v_cndmask_b32_e32 v14, v15, v16, vcc
	v_lshlrev_b32_e32 v15, 16, v2
	v_mov_b32_e32 v16, 0x3b800000
	v_lshlrev_b32_e32 v13, 20, v13
	v_and_b32_e32 v15, 0x80000000, v15
	v_lshl_add_u32 v14, v14, 23, v16
	v_or3_b32 v14, v15, v14, v13
.LBB4_1168:
	s_or_b64 exec, exec, s[6:7]
	s_nop 0
	v_mfma_f32_16x16x4f32 a[0:3], v12, v14, a[0:3]
	s_movk_i32 s4, 0xff
	v_and_b32_sdwa v13, v6, s4 dst_sel:DWORD dst_unused:UNUSED_PAD src0_sel:WORD_1 src1_sel:DWORD
	s_movk_i32 s4, 0x7f
	v_cmp_lt_i16_e32 vcc, s4, v13
	s_mov_b64 s[4:5], 0
                                        ; implicit-def: $sgpr10
	s_and_saveexec_b64 s[6:7], vcc
	s_xor_b64 s[6:7], exec, s[6:7]
	s_cbranch_execnz .LBB4_3217
; %bb.1169:
	s_or_saveexec_b64 s[6:7], s[6:7]
	v_mov_b32_e32 v12, s10
	s_xor_b64 exec, exec, s[6:7]
	s_cbranch_execnz .LBB4_3220
.LBB4_1170:
	s_or_b64 exec, exec, s[6:7]
	s_and_saveexec_b64 s[6:7], s[4:5]
	s_cbranch_execz .LBB4_1172
.LBB4_1171:
	v_bfe_u32 v12, v6, 16, 3
	v_ffbh_u32_e32 v15, v12
	v_min_u32_e32 v15, 32, v15
	v_lshrrev_b32_e32 v13, 19, v6
	v_subrev_u32_e32 v16, 28, v15
	v_and_b32_e32 v13, 15, v13
	v_lshlrev_b32_sdwa v16, v16, v6 dst_sel:DWORD dst_unused:UNUSED_PAD src0_sel:DWORD src1_sel:WORD_1
	v_bfe_u32 v14, v6, 19, 4
	v_sub_u32_e32 v15, 29, v15
	v_and_b32_e32 v16, 7, v16
	v_cmp_eq_u16_e32 vcc, 0, v13
	v_cndmask_b32_e32 v12, v12, v16, vcc
	v_cndmask_b32_e32 v13, v14, v15, vcc
	v_lshlrev_b32_e32 v14, 8, v6
	v_mov_b32_e32 v15, 0x3b800000
	v_lshlrev_b32_e32 v12, 20, v12
	v_and_b32_e32 v14, 0x80000000, v14
	v_lshl_add_u32 v13, v13, 23, v15
	v_or3_b32 v12, v14, v13, v12
.LBB4_1172:
	s_or_b64 exec, exec, s[6:7]
	s_movk_i32 s4, 0xff
	v_and_b32_sdwa v13, v2, s4 dst_sel:DWORD dst_unused:UNUSED_PAD src0_sel:WORD_1 src1_sel:DWORD
	s_movk_i32 s4, 0x7f
	v_cmp_lt_i16_e32 vcc, s4, v13
	s_mov_b64 s[4:5], 0
                                        ; implicit-def: $sgpr10
	s_and_saveexec_b64 s[6:7], vcc
	s_xor_b64 s[6:7], exec, s[6:7]
	s_cbranch_execnz .LBB4_3221
; %bb.1173:
	s_or_saveexec_b64 s[6:7], s[6:7]
	v_mov_b32_e32 v14, s10
	s_xor_b64 exec, exec, s[6:7]
	s_cbranch_execnz .LBB4_3224
.LBB4_1174:
	s_or_b64 exec, exec, s[6:7]
	s_and_saveexec_b64 s[6:7], s[4:5]
	s_cbranch_execz .LBB4_1176
.LBB4_1175:
	v_bfe_u32 v13, v2, 16, 3
	v_ffbh_u32_e32 v16, v13
	v_min_u32_e32 v16, 32, v16
	v_lshrrev_b32_e32 v14, 19, v2
	v_subrev_u32_e32 v17, 28, v16
	v_and_b32_e32 v14, 15, v14
	v_lshlrev_b32_sdwa v17, v17, v2 dst_sel:DWORD dst_unused:UNUSED_PAD src0_sel:DWORD src1_sel:WORD_1
	v_bfe_u32 v15, v2, 19, 4
	v_sub_u32_e32 v16, 29, v16
	v_and_b32_e32 v17, 7, v17
	v_cmp_eq_u16_e32 vcc, 0, v14
	v_cndmask_b32_e32 v13, v13, v17, vcc
	v_cndmask_b32_e32 v14, v15, v16, vcc
	v_lshlrev_b32_e32 v15, 8, v2
	v_mov_b32_e32 v16, 0x3b800000
	v_lshlrev_b32_e32 v13, 20, v13
	v_and_b32_e32 v15, 0x80000000, v15
	v_lshl_add_u32 v14, v14, 23, v16
	v_or3_b32 v14, v15, v14, v13
.LBB4_1176:
	s_or_b64 exec, exec, s[6:7]
	s_nop 0
	v_mfma_f32_16x16x4f32 a[0:3], v12, v14, a[0:3]
	s_movk_i32 s4, 0x7f
	v_cmp_gt_i16_sdwa s[6:7], v6, s4 src0_sel:BYTE_3 src1_sel:DWORD
	s_mov_b64 s[4:5], 0
                                        ; implicit-def: $sgpr10
	s_and_saveexec_b64 s[8:9], s[6:7]
	s_xor_b64 s[6:7], exec, s[8:9]
	s_cbranch_execnz .LBB4_3225
; %bb.1177:
	s_or_saveexec_b64 s[6:7], s[6:7]
	v_mov_b32_e32 v12, s10
	s_xor_b64 exec, exec, s[6:7]
	s_cbranch_execnz .LBB4_3228
.LBB4_1178:
	s_or_b64 exec, exec, s[6:7]
	s_and_saveexec_b64 s[6:7], s[4:5]
	s_cbranch_execz .LBB4_1180
.LBB4_1179:
	v_bfe_u32 v12, v6, 24, 3
	v_ffbh_u32_e32 v16, v12
	v_min_u32_e32 v16, 32, v16
	v_lshrrev_b32_e32 v14, 27, v6
	v_subrev_u32_e32 v17, 28, v16
	v_and_b32_e32 v13, 0x80000000, v6
	v_and_b32_e32 v14, 15, v14
	v_bfe_u32 v15, v6, 27, 4
	v_lshlrev_b32_sdwa v6, v17, v6 dst_sel:DWORD dst_unused:UNUSED_PAD src0_sel:DWORD src1_sel:BYTE_3
	v_sub_u32_e32 v16, 29, v16
	v_and_b32_e32 v6, 7, v6
	v_cmp_eq_u16_e32 vcc, 0, v14
	v_cndmask_b32_e32 v6, v12, v6, vcc
	v_cndmask_b32_e32 v12, v15, v16, vcc
	v_mov_b32_e32 v14, 0x3b800000
	v_lshlrev_b32_e32 v6, 20, v6
	v_lshl_add_u32 v12, v12, 23, v14
	v_or3_b32 v12, v13, v12, v6
.LBB4_1180:
	s_or_b64 exec, exec, s[6:7]
	s_movk_i32 s4, 0x7f
	v_cmp_gt_i16_sdwa s[6:7], v2, s4 src0_sel:BYTE_3 src1_sel:DWORD
	s_mov_b64 s[4:5], 0
                                        ; implicit-def: $sgpr10
	s_and_saveexec_b64 s[8:9], s[6:7]
	s_xor_b64 s[6:7], exec, s[8:9]
	s_cbranch_execnz .LBB4_3229
; %bb.1181:
	s_or_saveexec_b64 s[6:7], s[6:7]
	v_mov_b32_e32 v6, s10
	s_xor_b64 exec, exec, s[6:7]
	s_cbranch_execnz .LBB4_3232
.LBB4_1182:
	s_or_b64 exec, exec, s[6:7]
	s_and_saveexec_b64 s[6:7], s[4:5]
	s_cbranch_execz .LBB4_1184
.LBB4_1183:
	v_bfe_u32 v6, v2, 24, 3
	v_ffbh_u32_e32 v16, v6
	v_min_u32_e32 v16, 32, v16
	v_lshrrev_b32_e32 v14, 27, v2
	v_subrev_u32_e32 v17, 28, v16
	v_and_b32_e32 v13, 0x80000000, v2
	v_and_b32_e32 v14, 15, v14
	v_bfe_u32 v15, v2, 27, 4
	v_lshlrev_b32_sdwa v2, v17, v2 dst_sel:DWORD dst_unused:UNUSED_PAD src0_sel:DWORD src1_sel:BYTE_3
	v_sub_u32_e32 v16, 29, v16
	v_and_b32_e32 v2, 7, v2
	v_cmp_eq_u16_e32 vcc, 0, v14
	v_cndmask_b32_e32 v2, v6, v2, vcc
	v_cndmask_b32_e32 v6, v15, v16, vcc
	v_mov_b32_e32 v14, 0x3b800000
	v_lshlrev_b32_e32 v2, 20, v2
	v_lshl_add_u32 v6, v6, 23, v14
	v_or3_b32 v6, v13, v6, v2
.LBB4_1184:
	s_or_b64 exec, exec, s[6:7]
	s_nop 0
	v_mfma_f32_16x16x4f32 a[0:3], v12, v6, a[0:3]
	s_movk_i32 s4, 0x7f
	v_cmp_gt_i16_sdwa s[6:7], v7, s4 src0_sel:BYTE_0 src1_sel:DWORD
	s_mov_b64 s[4:5], 0
                                        ; implicit-def: $sgpr10
	s_and_saveexec_b64 s[8:9], s[6:7]
	s_xor_b64 s[6:7], exec, s[8:9]
	s_cbranch_execnz .LBB4_3233
; %bb.1185:
	s_or_saveexec_b64 s[6:7], s[6:7]
	v_mov_b32_e32 v2, s10
	s_xor_b64 exec, exec, s[6:7]
	s_cbranch_execnz .LBB4_3236
.LBB4_1186:
	s_or_b64 exec, exec, s[6:7]
	s_and_saveexec_b64 s[6:7], s[4:5]
	s_cbranch_execz .LBB4_1188
.LBB4_1187:
	v_and_b32_e32 v2, 7, v7
	v_ffbh_u32_e32 v12, v2
	v_min_u32_e32 v12, 32, v12
	v_lshrrev_b16_e32 v6, 3, v7
	v_subrev_u32_e32 v13, 28, v12
	v_and_b32_e32 v6, 15, v6
	v_lshlrev_b32_e32 v13, v13, v7
	v_sub_u32_e32 v12, 29, v12
	v_and_b32_e32 v13, 7, v13
	v_cmp_eq_u16_e32 vcc, 0, v6
	v_cndmask_b32_e32 v2, v2, v13, vcc
	v_cndmask_b32_e32 v6, v6, v12, vcc
	v_lshlrev_b32_e32 v12, 24, v7
	v_mov_b32_e32 v13, 0x3b800000
	v_lshlrev_b32_e32 v2, 20, v2
	v_and_b32_e32 v12, 0x80000000, v12
	v_lshl_add_u32 v6, v6, 23, v13
	v_or3_b32 v2, v12, v6, v2
.LBB4_1188:
	s_or_b64 exec, exec, s[6:7]
	s_movk_i32 s4, 0x7f
	v_cmp_gt_i16_sdwa s[6:7], v3, s4 src0_sel:BYTE_0 src1_sel:DWORD
	s_mov_b64 s[4:5], 0
                                        ; implicit-def: $sgpr10
	s_and_saveexec_b64 s[8:9], s[6:7]
	s_xor_b64 s[6:7], exec, s[8:9]
	s_cbranch_execnz .LBB4_3237
; %bb.1189:
	s_or_saveexec_b64 s[6:7], s[6:7]
	v_mov_b32_e32 v6, s10
	s_xor_b64 exec, exec, s[6:7]
	s_cbranch_execnz .LBB4_3240
.LBB4_1190:
	s_or_b64 exec, exec, s[6:7]
	s_and_saveexec_b64 s[6:7], s[4:5]
	s_cbranch_execz .LBB4_1192
.LBB4_1191:
	v_and_b32_e32 v6, 7, v3
	v_ffbh_u32_e32 v13, v6
	v_min_u32_e32 v13, 32, v13
	v_lshrrev_b16_e32 v12, 3, v3
	v_subrev_u32_e32 v14, 28, v13
	v_and_b32_e32 v12, 15, v12
	v_lshlrev_b32_e32 v14, v14, v3
	v_sub_u32_e32 v13, 29, v13
	v_and_b32_e32 v14, 7, v14
	v_cmp_eq_u16_e32 vcc, 0, v12
	v_cndmask_b32_e32 v6, v6, v14, vcc
	v_cndmask_b32_e32 v12, v12, v13, vcc
	v_lshlrev_b32_e32 v13, 24, v3
	v_mov_b32_e32 v14, 0x3b800000
	v_lshlrev_b32_e32 v6, 20, v6
	v_and_b32_e32 v13, 0x80000000, v13
	v_lshl_add_u32 v12, v12, 23, v14
	v_or3_b32 v6, v13, v12, v6
.LBB4_1192:
	s_or_b64 exec, exec, s[6:7]
	s_nop 0
	v_mfma_f32_16x16x4f32 a[0:3], v2, v6, a[0:3]
	v_lshrrev_b32_e32 v6, 8, v7
	s_movk_i32 s4, 0x7f
	v_cmp_gt_i16_sdwa s[6:7], v6, s4 src0_sel:BYTE_0 src1_sel:DWORD
	s_mov_b64 s[4:5], 0
                                        ; implicit-def: $sgpr10
	s_and_saveexec_b64 s[8:9], s[6:7]
	s_xor_b64 s[6:7], exec, s[8:9]
	s_cbranch_execnz .LBB4_3241
; %bb.1193:
	s_or_saveexec_b64 s[6:7], s[6:7]
	v_mov_b32_e32 v2, s10
	s_xor_b64 exec, exec, s[6:7]
	s_cbranch_execnz .LBB4_3244
.LBB4_1194:
	s_or_b64 exec, exec, s[6:7]
	s_and_saveexec_b64 s[6:7], s[4:5]
	s_cbranch_execz .LBB4_1196
.LBB4_1195:
	v_bfe_u32 v2, v7, 8, 3
	v_ffbh_u32_e32 v13, v2
	v_min_u32_e32 v13, 32, v13
	v_lshrrev_b16_e32 v12, 3, v6
	v_subrev_u32_e32 v14, 28, v13
	v_and_b32_e32 v12, 15, v12
	v_lshlrev_b32_e32 v6, v14, v6
	v_sub_u32_e32 v13, 29, v13
	v_and_b32_e32 v6, 7, v6
	v_cmp_eq_u16_e32 vcc, 0, v12
	v_cndmask_b32_e32 v2, v2, v6, vcc
	v_cndmask_b32_e32 v6, v12, v13, vcc
	v_lshlrev_b32_e32 v12, 16, v7
	v_mov_b32_e32 v13, 0x3b800000
	v_lshlrev_b32_e32 v2, 20, v2
	v_and_b32_e32 v12, 0x80000000, v12
	v_lshl_add_u32 v6, v6, 23, v13
	v_or3_b32 v2, v12, v6, v2
.LBB4_1196:
	s_or_b64 exec, exec, s[6:7]
	v_lshrrev_b32_e32 v6, 8, v3
	s_movk_i32 s4, 0x7f
	v_cmp_gt_i16_sdwa s[6:7], v6, s4 src0_sel:BYTE_0 src1_sel:DWORD
	s_mov_b64 s[4:5], 0
                                        ; implicit-def: $sgpr10
	s_and_saveexec_b64 s[8:9], s[6:7]
	s_xor_b64 s[6:7], exec, s[8:9]
	s_cbranch_execnz .LBB4_3245
; %bb.1197:
	s_or_saveexec_b64 s[6:7], s[6:7]
	v_mov_b32_e32 v12, s10
	s_xor_b64 exec, exec, s[6:7]
	s_cbranch_execnz .LBB4_3248
.LBB4_1198:
	s_or_b64 exec, exec, s[6:7]
	s_and_saveexec_b64 s[6:7], s[4:5]
	s_cbranch_execz .LBB4_1200
.LBB4_1199:
	v_bfe_u32 v12, v3, 8, 3
	v_ffbh_u32_e32 v14, v12
	v_min_u32_e32 v14, 32, v14
	v_lshrrev_b16_e32 v13, 3, v6
	v_subrev_u32_e32 v15, 28, v14
	v_and_b32_e32 v13, 15, v13
	v_lshlrev_b32_e32 v6, v15, v6
	v_sub_u32_e32 v14, 29, v14
	v_and_b32_e32 v6, 7, v6
	v_cmp_eq_u16_e32 vcc, 0, v13
	v_cndmask_b32_e32 v6, v12, v6, vcc
	v_cndmask_b32_e32 v12, v13, v14, vcc
	v_lshlrev_b32_e32 v13, 16, v3
	v_mov_b32_e32 v14, 0x3b800000
	v_lshlrev_b32_e32 v6, 20, v6
	v_and_b32_e32 v13, 0x80000000, v13
	v_lshl_add_u32 v12, v12, 23, v14
	v_or3_b32 v12, v13, v12, v6
.LBB4_1200:
	s_or_b64 exec, exec, s[6:7]
	s_nop 0
	v_mfma_f32_16x16x4f32 a[0:3], v2, v12, a[0:3]
	s_movk_i32 s4, 0xff
	v_and_b32_sdwa v6, v7, s4 dst_sel:DWORD dst_unused:UNUSED_PAD src0_sel:WORD_1 src1_sel:DWORD
	s_movk_i32 s4, 0x7f
	v_cmp_lt_i16_e32 vcc, s4, v6
	s_mov_b64 s[4:5], 0
                                        ; implicit-def: $sgpr10
	s_and_saveexec_b64 s[6:7], vcc
	s_xor_b64 s[6:7], exec, s[6:7]
	s_cbranch_execnz .LBB4_3249
; %bb.1201:
	s_or_saveexec_b64 s[6:7], s[6:7]
	v_mov_b32_e32 v2, s10
	s_xor_b64 exec, exec, s[6:7]
	s_cbranch_execnz .LBB4_3252
.LBB4_1202:
	s_or_b64 exec, exec, s[6:7]
	s_and_saveexec_b64 s[6:7], s[4:5]
	s_cbranch_execz .LBB4_1204
.LBB4_1203:
	v_bfe_u32 v2, v7, 16, 3
	v_ffbh_u32_e32 v13, v2
	v_min_u32_e32 v13, 32, v13
	v_lshrrev_b32_e32 v6, 19, v7
	v_subrev_u32_e32 v14, 28, v13
	v_and_b32_e32 v6, 15, v6
	v_lshlrev_b32_sdwa v14, v14, v7 dst_sel:DWORD dst_unused:UNUSED_PAD src0_sel:DWORD src1_sel:WORD_1
	v_bfe_u32 v12, v7, 19, 4
	v_sub_u32_e32 v13, 29, v13
	v_and_b32_e32 v14, 7, v14
	v_cmp_eq_u16_e32 vcc, 0, v6
	v_cndmask_b32_e32 v2, v2, v14, vcc
	v_cndmask_b32_e32 v6, v12, v13, vcc
	v_lshlrev_b32_e32 v12, 8, v7
	v_mov_b32_e32 v13, 0x3b800000
	v_lshlrev_b32_e32 v2, 20, v2
	v_and_b32_e32 v12, 0x80000000, v12
	v_lshl_add_u32 v6, v6, 23, v13
	v_or3_b32 v2, v12, v6, v2
.LBB4_1204:
	s_or_b64 exec, exec, s[6:7]
	s_movk_i32 s4, 0xff
	v_and_b32_sdwa v6, v3, s4 dst_sel:DWORD dst_unused:UNUSED_PAD src0_sel:WORD_1 src1_sel:DWORD
	s_movk_i32 s4, 0x7f
	v_cmp_lt_i16_e32 vcc, s4, v6
	s_mov_b64 s[4:5], 0
                                        ; implicit-def: $sgpr10
	s_and_saveexec_b64 s[6:7], vcc
	s_xor_b64 s[6:7], exec, s[6:7]
	s_cbranch_execnz .LBB4_3253
; %bb.1205:
	s_or_saveexec_b64 s[6:7], s[6:7]
	v_mov_b32_e32 v12, s10
	s_xor_b64 exec, exec, s[6:7]
	s_cbranch_execnz .LBB4_3256
.LBB4_1206:
	s_or_b64 exec, exec, s[6:7]
	s_and_saveexec_b64 s[6:7], s[4:5]
	s_cbranch_execz .LBB4_1208
.LBB4_1207:
	v_bfe_u32 v6, v3, 16, 3
	v_ffbh_u32_e32 v14, v6
	v_min_u32_e32 v14, 32, v14
	v_lshrrev_b32_e32 v12, 19, v3
	v_subrev_u32_e32 v15, 28, v14
	v_and_b32_e32 v12, 15, v12
	v_lshlrev_b32_sdwa v15, v15, v3 dst_sel:DWORD dst_unused:UNUSED_PAD src0_sel:DWORD src1_sel:WORD_1
	v_bfe_u32 v13, v3, 19, 4
	v_sub_u32_e32 v14, 29, v14
	v_and_b32_e32 v15, 7, v15
	v_cmp_eq_u16_e32 vcc, 0, v12
	v_cndmask_b32_e32 v6, v6, v15, vcc
	v_cndmask_b32_e32 v12, v13, v14, vcc
	v_lshlrev_b32_e32 v13, 8, v3
	v_mov_b32_e32 v14, 0x3b800000
	v_lshlrev_b32_e32 v6, 20, v6
	v_and_b32_e32 v13, 0x80000000, v13
	v_lshl_add_u32 v12, v12, 23, v14
	v_or3_b32 v12, v13, v12, v6
.LBB4_1208:
	s_or_b64 exec, exec, s[6:7]
	s_nop 0
	v_mfma_f32_16x16x4f32 a[0:3], v2, v12, a[0:3]
	s_movk_i32 s4, 0x7f
	v_cmp_gt_i16_sdwa s[6:7], v7, s4 src0_sel:BYTE_3 src1_sel:DWORD
	s_mov_b64 s[4:5], 0
                                        ; implicit-def: $sgpr10
	s_and_saveexec_b64 s[8:9], s[6:7]
	s_xor_b64 s[6:7], exec, s[8:9]
	s_cbranch_execnz .LBB4_3257
; %bb.1209:
	s_or_saveexec_b64 s[6:7], s[6:7]
	v_mov_b32_e32 v2, s10
	s_xor_b64 exec, exec, s[6:7]
	s_cbranch_execnz .LBB4_3260
.LBB4_1210:
	s_or_b64 exec, exec, s[6:7]
	s_and_saveexec_b64 s[6:7], s[4:5]
	s_cbranch_execz .LBB4_1212
.LBB4_1211:
	v_bfe_u32 v2, v7, 24, 3
	v_ffbh_u32_e32 v14, v2
	v_min_u32_e32 v14, 32, v14
	v_lshrrev_b32_e32 v12, 27, v7
	v_subrev_u32_e32 v15, 28, v14
	v_and_b32_e32 v6, 0x80000000, v7
	v_and_b32_e32 v12, 15, v12
	v_bfe_u32 v13, v7, 27, 4
	v_lshlrev_b32_sdwa v7, v15, v7 dst_sel:DWORD dst_unused:UNUSED_PAD src0_sel:DWORD src1_sel:BYTE_3
	v_sub_u32_e32 v14, 29, v14
	v_and_b32_e32 v7, 7, v7
	v_cmp_eq_u16_e32 vcc, 0, v12
	v_cndmask_b32_e32 v2, v2, v7, vcc
	v_cndmask_b32_e32 v7, v13, v14, vcc
	v_mov_b32_e32 v12, 0x3b800000
	v_lshlrev_b32_e32 v2, 20, v2
	v_lshl_add_u32 v7, v7, 23, v12
	v_or3_b32 v2, v6, v7, v2
.LBB4_1212:
	s_or_b64 exec, exec, s[6:7]
	s_movk_i32 s4, 0x7f
	v_cmp_gt_i16_sdwa s[6:7], v3, s4 src0_sel:BYTE_3 src1_sel:DWORD
	s_mov_b64 s[4:5], 0
                                        ; implicit-def: $sgpr10
	s_and_saveexec_b64 s[8:9], s[6:7]
	s_xor_b64 s[6:7], exec, s[8:9]
	s_cbranch_execnz .LBB4_3261
; %bb.1213:
	s_or_saveexec_b64 s[6:7], s[6:7]
	v_mov_b32_e32 v6, s10
	s_xor_b64 exec, exec, s[6:7]
	s_cbranch_execnz .LBB4_3264
.LBB4_1214:
	s_or_b64 exec, exec, s[6:7]
	s_and_saveexec_b64 s[6:7], s[4:5]
	s_cbranch_execz .LBB4_1216
.LBB4_1215:
	v_bfe_u32 v6, v3, 24, 3
	v_ffbh_u32_e32 v14, v6
	v_min_u32_e32 v14, 32, v14
	v_lshrrev_b32_e32 v12, 27, v3
	v_subrev_u32_e32 v15, 28, v14
	v_and_b32_e32 v7, 0x80000000, v3
	v_and_b32_e32 v12, 15, v12
	v_bfe_u32 v13, v3, 27, 4
	v_lshlrev_b32_sdwa v3, v15, v3 dst_sel:DWORD dst_unused:UNUSED_PAD src0_sel:DWORD src1_sel:BYTE_3
	v_sub_u32_e32 v14, 29, v14
	v_and_b32_e32 v3, 7, v3
	v_cmp_eq_u16_e32 vcc, 0, v12
	v_cndmask_b32_e32 v3, v6, v3, vcc
	v_cndmask_b32_e32 v6, v13, v14, vcc
	v_mov_b32_e32 v12, 0x3b800000
	v_lshlrev_b32_e32 v3, 20, v3
	v_lshl_add_u32 v6, v6, 23, v12
	v_or3_b32 v6, v7, v6, v3
.LBB4_1216:
	s_or_b64 exec, exec, s[6:7]
	s_nop 0
	v_mfma_f32_16x16x4f32 a[0:3], v2, v6, a[0:3]
	s_movk_i32 s4, 0x7f
	v_cmp_gt_i16_sdwa s[6:7], v8, s4 src0_sel:BYTE_0 src1_sel:DWORD
	s_mov_b64 s[4:5], 0
                                        ; implicit-def: $sgpr10
	s_and_saveexec_b64 s[8:9], s[6:7]
	s_xor_b64 s[6:7], exec, s[8:9]
	s_cbranch_execnz .LBB4_3265
; %bb.1217:
	s_or_saveexec_b64 s[6:7], s[6:7]
	v_mov_b32_e32 v2, s10
	s_xor_b64 exec, exec, s[6:7]
	s_cbranch_execnz .LBB4_3268
.LBB4_1218:
	s_or_b64 exec, exec, s[6:7]
	s_and_saveexec_b64 s[6:7], s[4:5]
	s_cbranch_execz .LBB4_1220
.LBB4_1219:
	v_and_b32_e32 v2, 7, v8
	v_ffbh_u32_e32 v6, v2
	v_min_u32_e32 v6, 32, v6
	v_lshrrev_b16_e32 v3, 3, v8
	v_subrev_u32_e32 v7, 28, v6
	v_and_b32_e32 v3, 15, v3
	v_lshlrev_b32_e32 v7, v7, v8
	v_sub_u32_e32 v6, 29, v6
	v_and_b32_e32 v7, 7, v7
	v_cmp_eq_u16_e32 vcc, 0, v3
	v_cndmask_b32_e32 v2, v2, v7, vcc
	v_cndmask_b32_e32 v3, v3, v6, vcc
	v_lshlrev_b32_e32 v6, 24, v8
	v_mov_b32_e32 v7, 0x3b800000
	v_lshlrev_b32_e32 v2, 20, v2
	v_and_b32_e32 v6, 0x80000000, v6
	v_lshl_add_u32 v3, v3, 23, v7
	v_or3_b32 v2, v6, v3, v2
.LBB4_1220:
	s_or_b64 exec, exec, s[6:7]
	s_movk_i32 s4, 0x7f
	v_cmp_gt_i16_sdwa s[6:7], v4, s4 src0_sel:BYTE_0 src1_sel:DWORD
	s_mov_b64 s[4:5], 0
                                        ; implicit-def: $sgpr10
	s_and_saveexec_b64 s[8:9], s[6:7]
	s_xor_b64 s[6:7], exec, s[8:9]
	s_cbranch_execnz .LBB4_3269
; %bb.1221:
	s_or_saveexec_b64 s[6:7], s[6:7]
	v_mov_b32_e32 v3, s10
	s_xor_b64 exec, exec, s[6:7]
	s_cbranch_execnz .LBB4_3272
.LBB4_1222:
	s_or_b64 exec, exec, s[6:7]
	s_and_saveexec_b64 s[6:7], s[4:5]
	s_cbranch_execz .LBB4_1224
.LBB4_1223:
	v_and_b32_e32 v3, 7, v4
	v_ffbh_u32_e32 v7, v3
	v_min_u32_e32 v7, 32, v7
	v_lshrrev_b16_e32 v6, 3, v4
	v_subrev_u32_e32 v12, 28, v7
	v_and_b32_e32 v6, 15, v6
	v_lshlrev_b32_e32 v12, v12, v4
	v_sub_u32_e32 v7, 29, v7
	v_and_b32_e32 v12, 7, v12
	v_cmp_eq_u16_e32 vcc, 0, v6
	v_cndmask_b32_e32 v3, v3, v12, vcc
	v_cndmask_b32_e32 v6, v6, v7, vcc
	v_lshlrev_b32_e32 v7, 24, v4
	v_mov_b32_e32 v12, 0x3b800000
	v_lshlrev_b32_e32 v3, 20, v3
	v_and_b32_e32 v7, 0x80000000, v7
	v_lshl_add_u32 v6, v6, 23, v12
	v_or3_b32 v3, v7, v6, v3
.LBB4_1224:
	s_or_b64 exec, exec, s[6:7]
	s_nop 0
	v_mfma_f32_16x16x4f32 a[0:3], v2, v3, a[0:3]
	v_lshrrev_b32_e32 v3, 8, v8
	s_movk_i32 s4, 0x7f
	v_cmp_gt_i16_sdwa s[6:7], v3, s4 src0_sel:BYTE_0 src1_sel:DWORD
	s_mov_b64 s[4:5], 0
                                        ; implicit-def: $sgpr10
	s_and_saveexec_b64 s[8:9], s[6:7]
	s_xor_b64 s[6:7], exec, s[8:9]
	s_cbranch_execnz .LBB4_3273
; %bb.1225:
	s_or_saveexec_b64 s[6:7], s[6:7]
	v_mov_b32_e32 v2, s10
	s_xor_b64 exec, exec, s[6:7]
	s_cbranch_execnz .LBB4_3276
.LBB4_1226:
	s_or_b64 exec, exec, s[6:7]
	s_and_saveexec_b64 s[6:7], s[4:5]
	s_cbranch_execz .LBB4_1228
.LBB4_1227:
	v_bfe_u32 v2, v8, 8, 3
	v_ffbh_u32_e32 v7, v2
	v_min_u32_e32 v7, 32, v7
	v_lshrrev_b16_e32 v6, 3, v3
	v_subrev_u32_e32 v12, 28, v7
	v_and_b32_e32 v6, 15, v6
	v_lshlrev_b32_e32 v3, v12, v3
	v_sub_u32_e32 v7, 29, v7
	v_and_b32_e32 v3, 7, v3
	v_cmp_eq_u16_e32 vcc, 0, v6
	v_cndmask_b32_e32 v2, v2, v3, vcc
	v_cndmask_b32_e32 v3, v6, v7, vcc
	v_lshlrev_b32_e32 v6, 16, v8
	v_mov_b32_e32 v7, 0x3b800000
	v_lshlrev_b32_e32 v2, 20, v2
	v_and_b32_e32 v6, 0x80000000, v6
	v_lshl_add_u32 v3, v3, 23, v7
	v_or3_b32 v2, v6, v3, v2
.LBB4_1228:
	s_or_b64 exec, exec, s[6:7]
	v_lshrrev_b32_e32 v3, 8, v4
	s_movk_i32 s4, 0x7f
	v_cmp_gt_i16_sdwa s[6:7], v3, s4 src0_sel:BYTE_0 src1_sel:DWORD
	s_mov_b64 s[4:5], 0
                                        ; implicit-def: $sgpr10
	s_and_saveexec_b64 s[8:9], s[6:7]
	s_xor_b64 s[6:7], exec, s[8:9]
	s_cbranch_execnz .LBB4_3277
; %bb.1229:
	s_or_saveexec_b64 s[6:7], s[6:7]
	v_mov_b32_e32 v6, s10
	s_xor_b64 exec, exec, s[6:7]
	s_cbranch_execnz .LBB4_3280
.LBB4_1230:
	s_or_b64 exec, exec, s[6:7]
	s_and_saveexec_b64 s[6:7], s[4:5]
	s_cbranch_execz .LBB4_1232
.LBB4_1231:
	v_bfe_u32 v6, v4, 8, 3
	v_ffbh_u32_e32 v12, v6
	v_min_u32_e32 v12, 32, v12
	v_lshrrev_b16_e32 v7, 3, v3
	v_subrev_u32_e32 v13, 28, v12
	v_and_b32_e32 v7, 15, v7
	v_lshlrev_b32_e32 v3, v13, v3
	v_sub_u32_e32 v12, 29, v12
	v_and_b32_e32 v3, 7, v3
	v_cmp_eq_u16_e32 vcc, 0, v7
	v_cndmask_b32_e32 v3, v6, v3, vcc
	v_cndmask_b32_e32 v6, v7, v12, vcc
	v_lshlrev_b32_e32 v7, 16, v4
	v_mov_b32_e32 v12, 0x3b800000
	v_lshlrev_b32_e32 v3, 20, v3
	v_and_b32_e32 v7, 0x80000000, v7
	v_lshl_add_u32 v6, v6, 23, v12
	v_or3_b32 v6, v7, v6, v3
.LBB4_1232:
	s_or_b64 exec, exec, s[6:7]
	s_nop 0
	v_mfma_f32_16x16x4f32 a[0:3], v2, v6, a[0:3]
	s_movk_i32 s4, 0xff
	v_and_b32_sdwa v3, v8, s4 dst_sel:DWORD dst_unused:UNUSED_PAD src0_sel:WORD_1 src1_sel:DWORD
	s_movk_i32 s4, 0x7f
	v_cmp_lt_i16_e32 vcc, s4, v3
	s_mov_b64 s[4:5], 0
                                        ; implicit-def: $sgpr10
	s_and_saveexec_b64 s[6:7], vcc
	s_xor_b64 s[6:7], exec, s[6:7]
	s_cbranch_execnz .LBB4_3281
; %bb.1233:
	s_or_saveexec_b64 s[6:7], s[6:7]
	v_mov_b32_e32 v2, s10
	s_xor_b64 exec, exec, s[6:7]
	s_cbranch_execnz .LBB4_3284
.LBB4_1234:
	s_or_b64 exec, exec, s[6:7]
	s_and_saveexec_b64 s[6:7], s[4:5]
	s_cbranch_execz .LBB4_1236
.LBB4_1235:
	v_bfe_u32 v2, v8, 16, 3
	v_ffbh_u32_e32 v7, v2
	v_min_u32_e32 v7, 32, v7
	v_lshrrev_b32_e32 v3, 19, v8
	v_subrev_u32_e32 v12, 28, v7
	v_and_b32_e32 v3, 15, v3
	v_lshlrev_b32_sdwa v12, v12, v8 dst_sel:DWORD dst_unused:UNUSED_PAD src0_sel:DWORD src1_sel:WORD_1
	v_bfe_u32 v6, v8, 19, 4
	v_sub_u32_e32 v7, 29, v7
	v_and_b32_e32 v12, 7, v12
	v_cmp_eq_u16_e32 vcc, 0, v3
	v_cndmask_b32_e32 v2, v2, v12, vcc
	v_cndmask_b32_e32 v3, v6, v7, vcc
	v_lshlrev_b32_e32 v6, 8, v8
	v_mov_b32_e32 v7, 0x3b800000
	v_lshlrev_b32_e32 v2, 20, v2
	v_and_b32_e32 v6, 0x80000000, v6
	v_lshl_add_u32 v3, v3, 23, v7
	v_or3_b32 v2, v6, v3, v2
.LBB4_1236:
	s_or_b64 exec, exec, s[6:7]
	s_movk_i32 s4, 0xff
	v_and_b32_sdwa v3, v4, s4 dst_sel:DWORD dst_unused:UNUSED_PAD src0_sel:WORD_1 src1_sel:DWORD
	s_movk_i32 s4, 0x7f
	v_cmp_lt_i16_e32 vcc, s4, v3
	s_mov_b64 s[4:5], 0
                                        ; implicit-def: $sgpr10
	s_and_saveexec_b64 s[6:7], vcc
	s_xor_b64 s[6:7], exec, s[6:7]
	s_cbranch_execnz .LBB4_3285
; %bb.1237:
	s_or_saveexec_b64 s[6:7], s[6:7]
	v_mov_b32_e32 v6, s10
	s_xor_b64 exec, exec, s[6:7]
	s_cbranch_execnz .LBB4_3288
.LBB4_1238:
	s_or_b64 exec, exec, s[6:7]
	s_and_saveexec_b64 s[6:7], s[4:5]
	s_cbranch_execz .LBB4_1240
.LBB4_1239:
	v_bfe_u32 v3, v4, 16, 3
	v_ffbh_u32_e32 v12, v3
	v_min_u32_e32 v12, 32, v12
	v_lshrrev_b32_e32 v6, 19, v4
	v_subrev_u32_e32 v13, 28, v12
	v_and_b32_e32 v6, 15, v6
	v_lshlrev_b32_sdwa v13, v13, v4 dst_sel:DWORD dst_unused:UNUSED_PAD src0_sel:DWORD src1_sel:WORD_1
	v_bfe_u32 v7, v4, 19, 4
	v_sub_u32_e32 v12, 29, v12
	v_and_b32_e32 v13, 7, v13
	v_cmp_eq_u16_e32 vcc, 0, v6
	v_cndmask_b32_e32 v3, v3, v13, vcc
	v_cndmask_b32_e32 v6, v7, v12, vcc
	v_lshlrev_b32_e32 v7, 8, v4
	v_mov_b32_e32 v12, 0x3b800000
	v_lshlrev_b32_e32 v3, 20, v3
	v_and_b32_e32 v7, 0x80000000, v7
	v_lshl_add_u32 v6, v6, 23, v12
	v_or3_b32 v6, v7, v6, v3
.LBB4_1240:
	s_or_b64 exec, exec, s[6:7]
	s_nop 0
	v_mfma_f32_16x16x4f32 a[0:3], v2, v6, a[0:3]
	s_movk_i32 s4, 0x7f
	v_cmp_gt_i16_sdwa s[6:7], v8, s4 src0_sel:BYTE_3 src1_sel:DWORD
	s_mov_b64 s[4:5], 0
                                        ; implicit-def: $sgpr10
	s_and_saveexec_b64 s[8:9], s[6:7]
	s_xor_b64 s[6:7], exec, s[8:9]
	s_cbranch_execnz .LBB4_3289
; %bb.1241:
	s_or_saveexec_b64 s[6:7], s[6:7]
	v_mov_b32_e32 v2, s10
	s_xor_b64 exec, exec, s[6:7]
	s_cbranch_execnz .LBB4_3292
.LBB4_1242:
	s_or_b64 exec, exec, s[6:7]
	s_and_saveexec_b64 s[6:7], s[4:5]
	s_cbranch_execz .LBB4_1244
.LBB4_1243:
	v_bfe_u32 v2, v8, 24, 3
	v_ffbh_u32_e32 v12, v2
	v_min_u32_e32 v12, 32, v12
	v_lshrrev_b32_e32 v6, 27, v8
	v_subrev_u32_e32 v13, 28, v12
	v_and_b32_e32 v3, 0x80000000, v8
	v_and_b32_e32 v6, 15, v6
	v_bfe_u32 v7, v8, 27, 4
	v_lshlrev_b32_sdwa v8, v13, v8 dst_sel:DWORD dst_unused:UNUSED_PAD src0_sel:DWORD src1_sel:BYTE_3
	v_sub_u32_e32 v12, 29, v12
	v_and_b32_e32 v8, 7, v8
	v_cmp_eq_u16_e32 vcc, 0, v6
	v_cndmask_b32_e32 v2, v2, v8, vcc
	v_cndmask_b32_e32 v6, v7, v12, vcc
	v_mov_b32_e32 v7, 0x3b800000
	v_lshlrev_b32_e32 v2, 20, v2
	v_lshl_add_u32 v6, v6, 23, v7
	v_or3_b32 v2, v3, v6, v2
.LBB4_1244:
	s_or_b64 exec, exec, s[6:7]
	s_movk_i32 s4, 0x7f
	v_cmp_gt_i16_sdwa s[6:7], v4, s4 src0_sel:BYTE_3 src1_sel:DWORD
	s_mov_b64 s[4:5], 0
                                        ; implicit-def: $sgpr10
	s_and_saveexec_b64 s[8:9], s[6:7]
	s_xor_b64 s[6:7], exec, s[8:9]
	s_cbranch_execnz .LBB4_3293
; %bb.1245:
	s_or_saveexec_b64 s[6:7], s[6:7]
	v_mov_b32_e32 v3, s10
	s_xor_b64 exec, exec, s[6:7]
	s_cbranch_execnz .LBB4_3296
.LBB4_1246:
	s_or_b64 exec, exec, s[6:7]
	s_and_saveexec_b64 s[6:7], s[4:5]
	s_cbranch_execz .LBB4_1248
.LBB4_1247:
	v_bfe_u32 v3, v4, 24, 3
	v_ffbh_u32_e32 v12, v3
	v_min_u32_e32 v12, 32, v12
	v_lshrrev_b32_e32 v7, 27, v4
	v_subrev_u32_e32 v13, 28, v12
	v_and_b32_e32 v6, 0x80000000, v4
	v_and_b32_e32 v7, 15, v7
	v_bfe_u32 v8, v4, 27, 4
	v_lshlrev_b32_sdwa v4, v13, v4 dst_sel:DWORD dst_unused:UNUSED_PAD src0_sel:DWORD src1_sel:BYTE_3
	v_sub_u32_e32 v12, 29, v12
	v_and_b32_e32 v4, 7, v4
	v_cmp_eq_u16_e32 vcc, 0, v7
	v_cndmask_b32_e32 v3, v3, v4, vcc
	v_cndmask_b32_e32 v4, v8, v12, vcc
	v_mov_b32_e32 v7, 0x3b800000
	v_lshlrev_b32_e32 v3, 20, v3
	v_lshl_add_u32 v4, v4, 23, v7
	v_or3_b32 v3, v6, v4, v3
.LBB4_1248:
	s_or_b64 exec, exec, s[6:7]
	s_nop 0
	v_mfma_f32_16x16x4f32 a[0:3], v2, v3, a[0:3]
	s_movk_i32 s4, 0x7f
	v_cmp_gt_i16_sdwa s[6:7], v9, s4 src0_sel:BYTE_0 src1_sel:DWORD
	s_mov_b64 s[4:5], 0
                                        ; implicit-def: $sgpr10
	s_and_saveexec_b64 s[8:9], s[6:7]
	s_xor_b64 s[6:7], exec, s[8:9]
	s_cbranch_execnz .LBB4_3297
; %bb.1249:
	s_or_saveexec_b64 s[6:7], s[6:7]
	v_mov_b32_e32 v2, s10
	s_xor_b64 exec, exec, s[6:7]
	s_cbranch_execnz .LBB4_3300
.LBB4_1250:
	s_or_b64 exec, exec, s[6:7]
	s_and_saveexec_b64 s[6:7], s[4:5]
	s_cbranch_execz .LBB4_1252
.LBB4_1251:
	v_mov_b32_e32 v2, 8
	v_and_b32_e32 v3, 7, v9
	v_lshrrev_b32_sdwa v2, v2, v9 dst_sel:BYTE_1 dst_unused:UNUSED_PAD src0_sel:DWORD src1_sel:DWORD
	v_ffbh_u32_e32 v4, v3
	v_or_b32_sdwa v2, v9, v2 dst_sel:DWORD dst_unused:UNUSED_PAD src0_sel:BYTE_0 src1_sel:DWORD
	v_min_u32_e32 v4, 32, v4
	v_lshrrev_b16_e32 v2, 3, v2
	v_subrev_u32_e32 v6, 28, v4
	v_and_b32_e32 v2, 15, v2
	v_lshlrev_b32_e32 v6, v6, v9
	v_sub_u32_e32 v4, 29, v4
	v_and_b32_e32 v6, 7, v6
	v_cmp_eq_u16_e32 vcc, 0, v2
	v_cndmask_b32_e32 v3, v3, v6, vcc
	v_cndmask_b32_e32 v2, v2, v4, vcc
	v_lshlrev_b32_e32 v4, 24, v9
	v_mov_b32_e32 v6, 0x3b800000
	v_lshlrev_b32_e32 v3, 20, v3
	v_and_b32_e32 v4, 0x80000000, v4
	v_lshl_add_u32 v2, v2, 23, v6
	v_or3_b32 v2, v4, v2, v3
.LBB4_1252:
	s_or_b64 exec, exec, s[6:7]
	s_movk_i32 s4, 0x7f
	v_cmp_gt_i16_sdwa s[6:7], v5, s4 src0_sel:BYTE_0 src1_sel:DWORD
	s_mov_b64 s[4:5], 0
                                        ; implicit-def: $sgpr10
	s_and_saveexec_b64 s[8:9], s[6:7]
	s_xor_b64 s[6:7], exec, s[8:9]
	s_cbranch_execnz .LBB4_3301
; %bb.1253:
	s_or_saveexec_b64 s[6:7], s[6:7]
	v_mov_b32_e32 v3, s10
	s_xor_b64 exec, exec, s[6:7]
	s_cbranch_execnz .LBB4_3304
.LBB4_1254:
	s_or_b64 exec, exec, s[6:7]
	s_and_saveexec_b64 s[6:7], s[4:5]
	s_cbranch_execz .LBB4_1256
.LBB4_1255:
	v_mov_b32_e32 v3, 8
	v_and_b32_e32 v4, 7, v5
	v_lshrrev_b32_sdwa v3, v3, v5 dst_sel:BYTE_1 dst_unused:UNUSED_PAD src0_sel:DWORD src1_sel:DWORD
	v_ffbh_u32_e32 v6, v4
	v_or_b32_sdwa v3, v5, v3 dst_sel:DWORD dst_unused:UNUSED_PAD src0_sel:BYTE_0 src1_sel:DWORD
	v_min_u32_e32 v6, 32, v6
	v_lshrrev_b16_e32 v3, 3, v3
	v_subrev_u32_e32 v7, 28, v6
	v_and_b32_e32 v3, 15, v3
	v_lshlrev_b32_e32 v7, v7, v5
	v_sub_u32_e32 v6, 29, v6
	v_and_b32_e32 v7, 7, v7
	v_cmp_eq_u16_e32 vcc, 0, v3
	v_cndmask_b32_e32 v4, v4, v7, vcc
	v_cndmask_b32_e32 v3, v3, v6, vcc
	v_lshlrev_b32_e32 v6, 24, v5
	v_mov_b32_e32 v7, 0x3b800000
	v_lshlrev_b32_e32 v4, 20, v4
	v_and_b32_e32 v6, 0x80000000, v6
	v_lshl_add_u32 v3, v3, 23, v7
	v_or3_b32 v3, v6, v3, v4
.LBB4_1256:
	s_or_b64 exec, exec, s[6:7]
	s_nop 0
	v_mfma_f32_16x16x4f32 a[0:3], v2, v3, a[0:3]
	v_lshrrev_b32_e32 v3, 8, v9
	s_movk_i32 s4, 0x7f
	v_cmp_gt_i16_sdwa s[6:7], v3, s4 src0_sel:BYTE_0 src1_sel:DWORD
	s_mov_b64 s[4:5], 0
                                        ; implicit-def: $sgpr10
	s_and_saveexec_b64 s[8:9], s[6:7]
	s_xor_b64 s[6:7], exec, s[8:9]
	s_cbranch_execnz .LBB4_3305
; %bb.1257:
	s_or_saveexec_b64 s[6:7], s[6:7]
	v_mov_b32_e32 v2, s10
	s_xor_b64 exec, exec, s[6:7]
	s_cbranch_execnz .LBB4_3308
.LBB4_1258:
	s_or_b64 exec, exec, s[6:7]
	s_and_saveexec_b64 s[6:7], s[4:5]
	s_cbranch_execz .LBB4_1260
.LBB4_1259:
	v_bfe_u32 v2, v9, 8, 3
	v_ffbh_u32_e32 v6, v2
	v_min_u32_e32 v6, 32, v6
	v_lshrrev_b16_e32 v4, 3, v3
	v_subrev_u32_e32 v7, 28, v6
	v_and_b32_e32 v4, 15, v4
	v_lshlrev_b32_e32 v3, v7, v3
	v_sub_u32_e32 v6, 29, v6
	v_and_b32_e32 v3, 7, v3
	v_cmp_eq_u16_e32 vcc, 0, v4
	v_cndmask_b32_e32 v2, v2, v3, vcc
	v_cndmask_b32_e32 v3, v4, v6, vcc
	v_lshlrev_b32_e32 v4, 16, v9
	v_mov_b32_e32 v6, 0x3b800000
	v_lshlrev_b32_e32 v2, 20, v2
	v_and_b32_e32 v4, 0x80000000, v4
	v_lshl_add_u32 v3, v3, 23, v6
	v_or3_b32 v2, v4, v3, v2
.LBB4_1260:
	s_or_b64 exec, exec, s[6:7]
	v_lshrrev_b32_e32 v3, 8, v5
	s_movk_i32 s4, 0x7f
	v_cmp_gt_i16_sdwa s[6:7], v3, s4 src0_sel:BYTE_0 src1_sel:DWORD
	s_mov_b64 s[4:5], 0
                                        ; implicit-def: $sgpr10
	s_and_saveexec_b64 s[8:9], s[6:7]
	s_xor_b64 s[6:7], exec, s[8:9]
	s_cbranch_execnz .LBB4_3309
; %bb.1261:
	s_or_saveexec_b64 s[6:7], s[6:7]
	v_mov_b32_e32 v4, s10
	s_xor_b64 exec, exec, s[6:7]
	s_cbranch_execnz .LBB4_3312
.LBB4_1262:
	s_or_b64 exec, exec, s[6:7]
	s_and_saveexec_b64 s[6:7], s[4:5]
	s_cbranch_execz .LBB4_1264
.LBB4_1263:
	v_bfe_u32 v4, v5, 8, 3
	v_ffbh_u32_e32 v7, v4
	v_min_u32_e32 v7, 32, v7
	v_lshrrev_b16_e32 v6, 3, v3
	v_subrev_u32_e32 v8, 28, v7
	v_and_b32_e32 v6, 15, v6
	v_lshlrev_b32_e32 v3, v8, v3
	v_sub_u32_e32 v7, 29, v7
	v_and_b32_e32 v3, 7, v3
	v_cmp_eq_u16_e32 vcc, 0, v6
	v_cndmask_b32_e32 v3, v4, v3, vcc
	v_cndmask_b32_e32 v4, v6, v7, vcc
	v_lshlrev_b32_e32 v6, 16, v5
	v_mov_b32_e32 v7, 0x3b800000
	v_lshlrev_b32_e32 v3, 20, v3
	v_and_b32_e32 v6, 0x80000000, v6
	v_lshl_add_u32 v4, v4, 23, v7
	v_or3_b32 v4, v6, v4, v3
.LBB4_1264:
	s_or_b64 exec, exec, s[6:7]
	s_nop 0
	v_mfma_f32_16x16x4f32 a[0:3], v2, v4, a[0:3]
	s_movk_i32 s4, 0xff
	v_and_b32_sdwa v3, v9, s4 dst_sel:DWORD dst_unused:UNUSED_PAD src0_sel:WORD_1 src1_sel:DWORD
	s_movk_i32 s4, 0x7f
	v_cmp_lt_i16_e32 vcc, s4, v3
	s_mov_b64 s[4:5], 0
                                        ; implicit-def: $sgpr10
	s_and_saveexec_b64 s[6:7], vcc
	s_xor_b64 s[6:7], exec, s[6:7]
	s_cbranch_execnz .LBB4_3313
; %bb.1265:
	s_or_saveexec_b64 s[6:7], s[6:7]
	v_mov_b32_e32 v2, s10
	s_xor_b64 exec, exec, s[6:7]
	s_cbranch_execnz .LBB4_3316
.LBB4_1266:
	s_or_b64 exec, exec, s[6:7]
	s_and_saveexec_b64 s[6:7], s[4:5]
	s_cbranch_execz .LBB4_1268
.LBB4_1267:
	v_bfe_u32 v2, v9, 16, 3
	v_ffbh_u32_e32 v6, v2
	v_min_u32_e32 v6, 32, v6
	v_lshrrev_b32_e32 v3, 19, v9
	v_subrev_u32_e32 v7, 28, v6
	v_and_b32_e32 v3, 15, v3
	v_lshlrev_b32_sdwa v7, v7, v9 dst_sel:DWORD dst_unused:UNUSED_PAD src0_sel:DWORD src1_sel:WORD_1
	v_bfe_u32 v4, v9, 19, 4
	v_sub_u32_e32 v6, 29, v6
	v_and_b32_e32 v7, 7, v7
	v_cmp_eq_u16_e32 vcc, 0, v3
	v_cndmask_b32_e32 v2, v2, v7, vcc
	v_cndmask_b32_e32 v3, v4, v6, vcc
	v_lshlrev_b32_e32 v4, 8, v9
	v_mov_b32_e32 v6, 0x3b800000
	v_lshlrev_b32_e32 v2, 20, v2
	v_and_b32_e32 v4, 0x80000000, v4
	v_lshl_add_u32 v3, v3, 23, v6
	v_or3_b32 v2, v4, v3, v2
.LBB4_1268:
	s_or_b64 exec, exec, s[6:7]
	s_movk_i32 s4, 0xff
	v_and_b32_sdwa v3, v5, s4 dst_sel:DWORD dst_unused:UNUSED_PAD src0_sel:WORD_1 src1_sel:DWORD
	s_movk_i32 s4, 0x7f
	v_cmp_lt_i16_e32 vcc, s4, v3
	s_mov_b64 s[4:5], 0
                                        ; implicit-def: $sgpr10
	s_and_saveexec_b64 s[6:7], vcc
	s_xor_b64 s[6:7], exec, s[6:7]
	s_cbranch_execnz .LBB4_3317
; %bb.1269:
	s_or_saveexec_b64 s[6:7], s[6:7]
	v_mov_b32_e32 v4, s10
	s_xor_b64 exec, exec, s[6:7]
	s_cbranch_execnz .LBB4_3320
.LBB4_1270:
	s_or_b64 exec, exec, s[6:7]
	s_and_saveexec_b64 s[6:7], s[4:5]
	s_cbranch_execz .LBB4_1272
.LBB4_1271:
	v_bfe_u32 v3, v5, 16, 3
	v_ffbh_u32_e32 v7, v3
	v_min_u32_e32 v7, 32, v7
	v_lshrrev_b32_e32 v4, 19, v5
	v_subrev_u32_e32 v8, 28, v7
	v_and_b32_e32 v4, 15, v4
	v_lshlrev_b32_sdwa v8, v8, v5 dst_sel:DWORD dst_unused:UNUSED_PAD src0_sel:DWORD src1_sel:WORD_1
	v_bfe_u32 v6, v5, 19, 4
	v_sub_u32_e32 v7, 29, v7
	v_and_b32_e32 v8, 7, v8
	v_cmp_eq_u16_e32 vcc, 0, v4
	v_cndmask_b32_e32 v3, v3, v8, vcc
	v_cndmask_b32_e32 v4, v6, v7, vcc
	v_lshlrev_b32_e32 v6, 8, v5
	v_mov_b32_e32 v7, 0x3b800000
	v_lshlrev_b32_e32 v3, 20, v3
	v_and_b32_e32 v6, 0x80000000, v6
	v_lshl_add_u32 v4, v4, 23, v7
	v_or3_b32 v4, v6, v4, v3
.LBB4_1272:
	s_or_b64 exec, exec, s[6:7]
	s_nop 0
	v_mfma_f32_16x16x4f32 a[0:3], v2, v4, a[0:3]
	s_movk_i32 s4, 0x7f
	v_cmp_gt_i16_sdwa s[6:7], v9, s4 src0_sel:BYTE_3 src1_sel:DWORD
	s_mov_b64 s[4:5], 0
                                        ; implicit-def: $sgpr10
	s_and_saveexec_b64 s[8:9], s[6:7]
	s_xor_b64 s[6:7], exec, s[8:9]
	s_cbranch_execnz .LBB4_3321
; %bb.1273:
	s_or_saveexec_b64 s[6:7], s[6:7]
	v_mov_b32_e32 v2, s10
	s_xor_b64 exec, exec, s[6:7]
	s_cbranch_execnz .LBB4_3324
.LBB4_1274:
	s_or_b64 exec, exec, s[6:7]
	s_and_saveexec_b64 s[6:7], s[4:5]
	s_cbranch_execz .LBB4_1276
.LBB4_1275:
	v_bfe_u32 v2, v9, 24, 3
	v_ffbh_u32_e32 v7, v2
	v_min_u32_e32 v7, 32, v7
	v_lshrrev_b32_e32 v4, 27, v9
	v_subrev_u32_e32 v8, 28, v7
	v_and_b32_e32 v4, 15, v4
	v_lshlrev_b32_sdwa v8, v8, v9 dst_sel:DWORD dst_unused:UNUSED_PAD src0_sel:DWORD src1_sel:BYTE_3
	v_bfe_u32 v6, v9, 27, 4
	v_sub_u32_e32 v7, 29, v7
	v_and_b32_e32 v8, 7, v8
	v_cmp_eq_u16_e32 vcc, 0, v4
	v_cndmask_b32_e32 v2, v2, v8, vcc
	v_cndmask_b32_e32 v4, v6, v7, vcc
	v_mov_b32_e32 v6, 0x3b800000
	v_and_b32_e32 v3, 0x80000000, v9
	v_lshlrev_b32_e32 v2, 20, v2
	v_lshl_add_u32 v4, v4, 23, v6
	v_or3_b32 v2, v3, v4, v2
.LBB4_1276:
	s_or_b64 exec, exec, s[6:7]
	s_movk_i32 s4, 0x7f
	v_cmp_gt_i16_sdwa s[6:7], v5, s4 src0_sel:BYTE_3 src1_sel:DWORD
	s_mov_b64 s[4:5], 0
                                        ; implicit-def: $sgpr10
	s_and_saveexec_b64 s[8:9], s[6:7]
	s_xor_b64 s[6:7], exec, s[8:9]
	s_cbranch_execnz .LBB4_3325
; %bb.1277:
	s_or_saveexec_b64 s[6:7], s[6:7]
	v_mov_b32_e32 v3, s10
	s_xor_b64 exec, exec, s[6:7]
	s_cbranch_execnz .LBB4_3328
.LBB4_1278:
	s_or_b64 exec, exec, s[6:7]
	s_and_saveexec_b64 s[6:7], s[4:5]
	s_cbranch_execz .LBB4_1280
.LBB4_1279:
	v_bfe_u32 v3, v5, 24, 3
	v_ffbh_u32_e32 v8, v3
	v_min_u32_e32 v8, 32, v8
	v_lshrrev_b32_e32 v6, 27, v5
	v_subrev_u32_e32 v9, 28, v8
	v_and_b32_e32 v4, 0x80000000, v5
	v_and_b32_e32 v6, 15, v6
	v_bfe_u32 v7, v5, 27, 4
	v_lshlrev_b32_sdwa v5, v9, v5 dst_sel:DWORD dst_unused:UNUSED_PAD src0_sel:DWORD src1_sel:BYTE_3
	v_sub_u32_e32 v8, 29, v8
	v_and_b32_e32 v5, 7, v5
	v_cmp_eq_u16_e32 vcc, 0, v6
	v_cndmask_b32_e32 v3, v3, v5, vcc
	v_cndmask_b32_e32 v5, v7, v8, vcc
	v_mov_b32_e32 v6, 0x3b800000
	v_lshlrev_b32_e32 v3, 20, v3
	v_lshl_add_u32 v5, v5, 23, v6
	v_or3_b32 v3, v4, v5, v3
.LBB4_1280:
	s_or_b64 exec, exec, s[6:7]
	s_nop 0
	v_mfma_f32_16x16x4f32 a[0:3], v2, v3, a[0:3]
	s_movk_i32 s4, 0x7f
                                        ; implicit-def: $sgpr10
	s_nop 7
	s_nop 1
	flat_store_dwordx4 v[10:11], a[0:3] offset:144
	flat_load_dwordx4 v[12:15], v[0:1] offset:8
	s_nop 0
	flat_load_dwordx2 v[10:11], v[0:1] offset:32
	s_waitcnt vmcnt(0) lgkmcnt(0)
	flat_load_dwordx4 v[6:9], v[12:13] offset:80
	flat_load_dwordx4 v[2:5], v[14:15] offset:80
	s_waitcnt vmcnt(0) lgkmcnt(0)
	v_cmp_gt_i16_sdwa s[6:7], v6, s4 src0_sel:BYTE_0 src1_sel:DWORD
	s_mov_b64 s[4:5], 0
	s_and_saveexec_b64 s[8:9], s[6:7]
	s_xor_b64 s[6:7], exec, s[8:9]
	s_cbranch_execnz .LBB4_3329
; %bb.1281:
	s_or_saveexec_b64 s[6:7], s[6:7]
	v_mov_b32_e32 v12, s10
	s_xor_b64 exec, exec, s[6:7]
	s_cbranch_execnz .LBB4_3332
.LBB4_1282:
	s_or_b64 exec, exec, s[6:7]
	s_and_saveexec_b64 s[6:7], s[4:5]
	s_cbranch_execz .LBB4_1284
.LBB4_1283:
	v_and_b32_e32 v12, 7, v6
	v_ffbh_u32_e32 v14, v12
	v_min_u32_e32 v14, 32, v14
	v_lshrrev_b16_e32 v13, 3, v6
	v_subrev_u32_e32 v15, 28, v14
	v_and_b32_e32 v13, 15, v13
	v_lshlrev_b32_e32 v15, v15, v6
	v_sub_u32_e32 v14, 29, v14
	v_and_b32_e32 v15, 7, v15
	v_cmp_eq_u16_e32 vcc, 0, v13
	v_cndmask_b32_e32 v12, v12, v15, vcc
	v_cndmask_b32_e32 v13, v13, v14, vcc
	v_lshlrev_b32_e32 v14, 24, v6
	v_mov_b32_e32 v15, 0x3b800000
	v_lshlrev_b32_e32 v12, 20, v12
	v_and_b32_e32 v14, 0x80000000, v14
	v_lshl_add_u32 v13, v13, 23, v15
	v_or3_b32 v12, v14, v13, v12
.LBB4_1284:
	s_or_b64 exec, exec, s[6:7]
	s_movk_i32 s4, 0x7f
	v_cmp_gt_i16_sdwa s[6:7], v2, s4 src0_sel:BYTE_0 src1_sel:DWORD
	s_mov_b64 s[4:5], 0
                                        ; implicit-def: $sgpr10
	s_and_saveexec_b64 s[8:9], s[6:7]
	s_xor_b64 s[6:7], exec, s[8:9]
	s_cbranch_execnz .LBB4_3333
; %bb.1285:
	s_or_saveexec_b64 s[6:7], s[6:7]
	v_mov_b32_e32 v13, s10
	s_xor_b64 exec, exec, s[6:7]
	s_cbranch_execnz .LBB4_3336
.LBB4_1286:
	s_or_b64 exec, exec, s[6:7]
	s_and_saveexec_b64 s[6:7], s[4:5]
	s_cbranch_execz .LBB4_1288
.LBB4_1287:
	v_and_b32_e32 v13, 7, v2
	v_ffbh_u32_e32 v15, v13
	v_min_u32_e32 v15, 32, v15
	v_lshrrev_b16_e32 v14, 3, v2
	v_subrev_u32_e32 v16, 28, v15
	v_and_b32_e32 v14, 15, v14
	v_lshlrev_b32_e32 v16, v16, v2
	v_sub_u32_e32 v15, 29, v15
	v_and_b32_e32 v16, 7, v16
	v_cmp_eq_u16_e32 vcc, 0, v14
	v_cndmask_b32_e32 v13, v13, v16, vcc
	v_cndmask_b32_e32 v14, v14, v15, vcc
	v_lshlrev_b32_e32 v15, 24, v2
	v_mov_b32_e32 v16, 0x3b800000
	v_lshlrev_b32_e32 v13, 20, v13
	v_and_b32_e32 v15, 0x80000000, v15
	v_lshl_add_u32 v14, v14, 23, v16
	v_or3_b32 v13, v15, v14, v13
.LBB4_1288:
	s_or_b64 exec, exec, s[6:7]
	flat_load_dwordx4 a[0:3], v[10:11] offset:160
	s_movk_i32 s4, 0x7f
                                        ; implicit-def: $sgpr10
	s_waitcnt vmcnt(0) lgkmcnt(0)
	v_mfma_f32_16x16x4f32 a[0:3], v12, v13, a[0:3]
	v_lshrrev_b32_e32 v13, 8, v6
	v_cmp_gt_i16_sdwa s[6:7], v13, s4 src0_sel:BYTE_0 src1_sel:DWORD
	s_mov_b64 s[4:5], 0
	s_and_saveexec_b64 s[8:9], s[6:7]
	s_xor_b64 s[6:7], exec, s[8:9]
	s_cbranch_execnz .LBB4_3337
; %bb.1289:
	s_or_saveexec_b64 s[6:7], s[6:7]
	v_mov_b32_e32 v12, s10
	s_xor_b64 exec, exec, s[6:7]
	s_cbranch_execnz .LBB4_3340
.LBB4_1290:
	s_or_b64 exec, exec, s[6:7]
	s_and_saveexec_b64 s[6:7], s[4:5]
	s_cbranch_execz .LBB4_1292
.LBB4_1291:
	v_bfe_u32 v12, v6, 8, 3
	v_ffbh_u32_e32 v15, v12
	v_min_u32_e32 v15, 32, v15
	v_lshrrev_b16_e32 v14, 3, v13
	v_subrev_u32_e32 v16, 28, v15
	v_and_b32_e32 v14, 15, v14
	v_lshlrev_b32_e32 v13, v16, v13
	v_sub_u32_e32 v15, 29, v15
	v_and_b32_e32 v13, 7, v13
	v_cmp_eq_u16_e32 vcc, 0, v14
	v_cndmask_b32_e32 v12, v12, v13, vcc
	v_cndmask_b32_e32 v13, v14, v15, vcc
	v_lshlrev_b32_e32 v14, 16, v6
	v_mov_b32_e32 v15, 0x3b800000
	v_lshlrev_b32_e32 v12, 20, v12
	v_and_b32_e32 v14, 0x80000000, v14
	v_lshl_add_u32 v13, v13, 23, v15
	v_or3_b32 v12, v14, v13, v12
.LBB4_1292:
	s_or_b64 exec, exec, s[6:7]
	v_lshrrev_b32_e32 v13, 8, v2
	s_movk_i32 s4, 0x7f
	v_cmp_gt_i16_sdwa s[6:7], v13, s4 src0_sel:BYTE_0 src1_sel:DWORD
	s_mov_b64 s[4:5], 0
                                        ; implicit-def: $sgpr10
	s_and_saveexec_b64 s[8:9], s[6:7]
	s_xor_b64 s[6:7], exec, s[8:9]
	s_cbranch_execnz .LBB4_3341
; %bb.1293:
	s_or_saveexec_b64 s[6:7], s[6:7]
	v_mov_b32_e32 v14, s10
	s_xor_b64 exec, exec, s[6:7]
	s_cbranch_execnz .LBB4_3344
.LBB4_1294:
	s_or_b64 exec, exec, s[6:7]
	s_and_saveexec_b64 s[6:7], s[4:5]
	s_cbranch_execz .LBB4_1296
.LBB4_1295:
	v_bfe_u32 v14, v2, 8, 3
	v_ffbh_u32_e32 v16, v14
	v_min_u32_e32 v16, 32, v16
	v_lshrrev_b16_e32 v15, 3, v13
	v_subrev_u32_e32 v17, 28, v16
	v_and_b32_e32 v15, 15, v15
	v_lshlrev_b32_e32 v13, v17, v13
	v_sub_u32_e32 v16, 29, v16
	v_and_b32_e32 v13, 7, v13
	v_cmp_eq_u16_e32 vcc, 0, v15
	v_cndmask_b32_e32 v13, v14, v13, vcc
	v_cndmask_b32_e32 v14, v15, v16, vcc
	v_lshlrev_b32_e32 v15, 16, v2
	v_mov_b32_e32 v16, 0x3b800000
	v_lshlrev_b32_e32 v13, 20, v13
	v_and_b32_e32 v15, 0x80000000, v15
	v_lshl_add_u32 v14, v14, 23, v16
	v_or3_b32 v14, v15, v14, v13
.LBB4_1296:
	s_or_b64 exec, exec, s[6:7]
	s_nop 0
	v_mfma_f32_16x16x4f32 a[0:3], v12, v14, a[0:3]
	s_movk_i32 s4, 0xff
	v_and_b32_sdwa v13, v6, s4 dst_sel:DWORD dst_unused:UNUSED_PAD src0_sel:WORD_1 src1_sel:DWORD
	s_movk_i32 s4, 0x7f
	v_cmp_lt_i16_e32 vcc, s4, v13
	s_mov_b64 s[4:5], 0
                                        ; implicit-def: $sgpr10
	s_and_saveexec_b64 s[6:7], vcc
	s_xor_b64 s[6:7], exec, s[6:7]
	s_cbranch_execnz .LBB4_3345
; %bb.1297:
	s_or_saveexec_b64 s[6:7], s[6:7]
	v_mov_b32_e32 v12, s10
	s_xor_b64 exec, exec, s[6:7]
	s_cbranch_execnz .LBB4_3348
.LBB4_1298:
	s_or_b64 exec, exec, s[6:7]
	s_and_saveexec_b64 s[6:7], s[4:5]
	s_cbranch_execz .LBB4_1300
.LBB4_1299:
	v_bfe_u32 v12, v6, 16, 3
	v_ffbh_u32_e32 v15, v12
	v_min_u32_e32 v15, 32, v15
	v_lshrrev_b32_e32 v13, 19, v6
	v_subrev_u32_e32 v16, 28, v15
	v_and_b32_e32 v13, 15, v13
	v_lshlrev_b32_sdwa v16, v16, v6 dst_sel:DWORD dst_unused:UNUSED_PAD src0_sel:DWORD src1_sel:WORD_1
	v_bfe_u32 v14, v6, 19, 4
	v_sub_u32_e32 v15, 29, v15
	v_and_b32_e32 v16, 7, v16
	v_cmp_eq_u16_e32 vcc, 0, v13
	v_cndmask_b32_e32 v12, v12, v16, vcc
	v_cndmask_b32_e32 v13, v14, v15, vcc
	v_lshlrev_b32_e32 v14, 8, v6
	v_mov_b32_e32 v15, 0x3b800000
	v_lshlrev_b32_e32 v12, 20, v12
	v_and_b32_e32 v14, 0x80000000, v14
	v_lshl_add_u32 v13, v13, 23, v15
	v_or3_b32 v12, v14, v13, v12
.LBB4_1300:
	s_or_b64 exec, exec, s[6:7]
	s_movk_i32 s4, 0xff
	v_and_b32_sdwa v13, v2, s4 dst_sel:DWORD dst_unused:UNUSED_PAD src0_sel:WORD_1 src1_sel:DWORD
	s_movk_i32 s4, 0x7f
	v_cmp_lt_i16_e32 vcc, s4, v13
	s_mov_b64 s[4:5], 0
                                        ; implicit-def: $sgpr10
	s_and_saveexec_b64 s[6:7], vcc
	s_xor_b64 s[6:7], exec, s[6:7]
	s_cbranch_execnz .LBB4_3349
; %bb.1301:
	s_or_saveexec_b64 s[6:7], s[6:7]
	v_mov_b32_e32 v14, s10
	s_xor_b64 exec, exec, s[6:7]
	s_cbranch_execnz .LBB4_3352
.LBB4_1302:
	s_or_b64 exec, exec, s[6:7]
	s_and_saveexec_b64 s[6:7], s[4:5]
	s_cbranch_execz .LBB4_1304
.LBB4_1303:
	v_bfe_u32 v13, v2, 16, 3
	v_ffbh_u32_e32 v16, v13
	v_min_u32_e32 v16, 32, v16
	v_lshrrev_b32_e32 v14, 19, v2
	v_subrev_u32_e32 v17, 28, v16
	v_and_b32_e32 v14, 15, v14
	v_lshlrev_b32_sdwa v17, v17, v2 dst_sel:DWORD dst_unused:UNUSED_PAD src0_sel:DWORD src1_sel:WORD_1
	v_bfe_u32 v15, v2, 19, 4
	v_sub_u32_e32 v16, 29, v16
	v_and_b32_e32 v17, 7, v17
	v_cmp_eq_u16_e32 vcc, 0, v14
	v_cndmask_b32_e32 v13, v13, v17, vcc
	v_cndmask_b32_e32 v14, v15, v16, vcc
	v_lshlrev_b32_e32 v15, 8, v2
	v_mov_b32_e32 v16, 0x3b800000
	v_lshlrev_b32_e32 v13, 20, v13
	v_and_b32_e32 v15, 0x80000000, v15
	v_lshl_add_u32 v14, v14, 23, v16
	v_or3_b32 v14, v15, v14, v13
.LBB4_1304:
	s_or_b64 exec, exec, s[6:7]
	s_nop 0
	v_mfma_f32_16x16x4f32 a[0:3], v12, v14, a[0:3]
	s_movk_i32 s4, 0x7f
	v_cmp_gt_i16_sdwa s[6:7], v6, s4 src0_sel:BYTE_3 src1_sel:DWORD
	s_mov_b64 s[4:5], 0
                                        ; implicit-def: $sgpr10
	s_and_saveexec_b64 s[8:9], s[6:7]
	s_xor_b64 s[6:7], exec, s[8:9]
	s_cbranch_execnz .LBB4_3353
; %bb.1305:
	s_or_saveexec_b64 s[6:7], s[6:7]
	v_mov_b32_e32 v12, s10
	s_xor_b64 exec, exec, s[6:7]
	s_cbranch_execnz .LBB4_3356
.LBB4_1306:
	s_or_b64 exec, exec, s[6:7]
	s_and_saveexec_b64 s[6:7], s[4:5]
	s_cbranch_execz .LBB4_1308
.LBB4_1307:
	v_bfe_u32 v12, v6, 24, 3
	v_ffbh_u32_e32 v16, v12
	v_min_u32_e32 v16, 32, v16
	v_lshrrev_b32_e32 v14, 27, v6
	v_subrev_u32_e32 v17, 28, v16
	v_and_b32_e32 v13, 0x80000000, v6
	v_and_b32_e32 v14, 15, v14
	v_bfe_u32 v15, v6, 27, 4
	v_lshlrev_b32_sdwa v6, v17, v6 dst_sel:DWORD dst_unused:UNUSED_PAD src0_sel:DWORD src1_sel:BYTE_3
	v_sub_u32_e32 v16, 29, v16
	v_and_b32_e32 v6, 7, v6
	v_cmp_eq_u16_e32 vcc, 0, v14
	v_cndmask_b32_e32 v6, v12, v6, vcc
	v_cndmask_b32_e32 v12, v15, v16, vcc
	v_mov_b32_e32 v14, 0x3b800000
	v_lshlrev_b32_e32 v6, 20, v6
	v_lshl_add_u32 v12, v12, 23, v14
	v_or3_b32 v12, v13, v12, v6
.LBB4_1308:
	s_or_b64 exec, exec, s[6:7]
	s_movk_i32 s4, 0x7f
	v_cmp_gt_i16_sdwa s[6:7], v2, s4 src0_sel:BYTE_3 src1_sel:DWORD
	s_mov_b64 s[4:5], 0
                                        ; implicit-def: $sgpr10
	s_and_saveexec_b64 s[8:9], s[6:7]
	s_xor_b64 s[6:7], exec, s[8:9]
	s_cbranch_execnz .LBB4_3357
; %bb.1309:
	s_or_saveexec_b64 s[6:7], s[6:7]
	v_mov_b32_e32 v6, s10
	s_xor_b64 exec, exec, s[6:7]
	s_cbranch_execnz .LBB4_3360
.LBB4_1310:
	s_or_b64 exec, exec, s[6:7]
	s_and_saveexec_b64 s[6:7], s[4:5]
	s_cbranch_execz .LBB4_1312
.LBB4_1311:
	v_bfe_u32 v6, v2, 24, 3
	v_ffbh_u32_e32 v16, v6
	v_min_u32_e32 v16, 32, v16
	v_lshrrev_b32_e32 v14, 27, v2
	v_subrev_u32_e32 v17, 28, v16
	v_and_b32_e32 v13, 0x80000000, v2
	v_and_b32_e32 v14, 15, v14
	v_bfe_u32 v15, v2, 27, 4
	v_lshlrev_b32_sdwa v2, v17, v2 dst_sel:DWORD dst_unused:UNUSED_PAD src0_sel:DWORD src1_sel:BYTE_3
	v_sub_u32_e32 v16, 29, v16
	v_and_b32_e32 v2, 7, v2
	v_cmp_eq_u16_e32 vcc, 0, v14
	v_cndmask_b32_e32 v2, v6, v2, vcc
	v_cndmask_b32_e32 v6, v15, v16, vcc
	v_mov_b32_e32 v14, 0x3b800000
	v_lshlrev_b32_e32 v2, 20, v2
	v_lshl_add_u32 v6, v6, 23, v14
	v_or3_b32 v6, v13, v6, v2
.LBB4_1312:
	s_or_b64 exec, exec, s[6:7]
	s_nop 0
	v_mfma_f32_16x16x4f32 a[0:3], v12, v6, a[0:3]
	s_movk_i32 s4, 0x7f
	v_cmp_gt_i16_sdwa s[6:7], v7, s4 src0_sel:BYTE_0 src1_sel:DWORD
	s_mov_b64 s[4:5], 0
                                        ; implicit-def: $sgpr10
	s_and_saveexec_b64 s[8:9], s[6:7]
	s_xor_b64 s[6:7], exec, s[8:9]
	s_cbranch_execnz .LBB4_3361
; %bb.1313:
	s_or_saveexec_b64 s[6:7], s[6:7]
	v_mov_b32_e32 v2, s10
	s_xor_b64 exec, exec, s[6:7]
	s_cbranch_execnz .LBB4_3364
.LBB4_1314:
	s_or_b64 exec, exec, s[6:7]
	s_and_saveexec_b64 s[6:7], s[4:5]
	s_cbranch_execz .LBB4_1316
.LBB4_1315:
	v_and_b32_e32 v2, 7, v7
	v_ffbh_u32_e32 v12, v2
	v_min_u32_e32 v12, 32, v12
	v_lshrrev_b16_e32 v6, 3, v7
	v_subrev_u32_e32 v13, 28, v12
	v_and_b32_e32 v6, 15, v6
	v_lshlrev_b32_e32 v13, v13, v7
	v_sub_u32_e32 v12, 29, v12
	v_and_b32_e32 v13, 7, v13
	v_cmp_eq_u16_e32 vcc, 0, v6
	v_cndmask_b32_e32 v2, v2, v13, vcc
	v_cndmask_b32_e32 v6, v6, v12, vcc
	v_lshlrev_b32_e32 v12, 24, v7
	v_mov_b32_e32 v13, 0x3b800000
	v_lshlrev_b32_e32 v2, 20, v2
	v_and_b32_e32 v12, 0x80000000, v12
	v_lshl_add_u32 v6, v6, 23, v13
	v_or3_b32 v2, v12, v6, v2
.LBB4_1316:
	s_or_b64 exec, exec, s[6:7]
	s_movk_i32 s4, 0x7f
	v_cmp_gt_i16_sdwa s[6:7], v3, s4 src0_sel:BYTE_0 src1_sel:DWORD
	s_mov_b64 s[4:5], 0
                                        ; implicit-def: $sgpr10
	s_and_saveexec_b64 s[8:9], s[6:7]
	s_xor_b64 s[6:7], exec, s[8:9]
	s_cbranch_execnz .LBB4_3365
; %bb.1317:
	s_or_saveexec_b64 s[6:7], s[6:7]
	v_mov_b32_e32 v6, s10
	s_xor_b64 exec, exec, s[6:7]
	s_cbranch_execnz .LBB4_3368
.LBB4_1318:
	s_or_b64 exec, exec, s[6:7]
	s_and_saveexec_b64 s[6:7], s[4:5]
	s_cbranch_execz .LBB4_1320
.LBB4_1319:
	v_and_b32_e32 v6, 7, v3
	v_ffbh_u32_e32 v13, v6
	v_min_u32_e32 v13, 32, v13
	v_lshrrev_b16_e32 v12, 3, v3
	v_subrev_u32_e32 v14, 28, v13
	v_and_b32_e32 v12, 15, v12
	v_lshlrev_b32_e32 v14, v14, v3
	v_sub_u32_e32 v13, 29, v13
	v_and_b32_e32 v14, 7, v14
	v_cmp_eq_u16_e32 vcc, 0, v12
	v_cndmask_b32_e32 v6, v6, v14, vcc
	v_cndmask_b32_e32 v12, v12, v13, vcc
	v_lshlrev_b32_e32 v13, 24, v3
	v_mov_b32_e32 v14, 0x3b800000
	v_lshlrev_b32_e32 v6, 20, v6
	v_and_b32_e32 v13, 0x80000000, v13
	v_lshl_add_u32 v12, v12, 23, v14
	v_or3_b32 v6, v13, v12, v6
.LBB4_1320:
	s_or_b64 exec, exec, s[6:7]
	s_nop 0
	v_mfma_f32_16x16x4f32 a[0:3], v2, v6, a[0:3]
	v_lshrrev_b32_e32 v6, 8, v7
	s_movk_i32 s4, 0x7f
	v_cmp_gt_i16_sdwa s[6:7], v6, s4 src0_sel:BYTE_0 src1_sel:DWORD
	s_mov_b64 s[4:5], 0
                                        ; implicit-def: $sgpr10
	s_and_saveexec_b64 s[8:9], s[6:7]
	s_xor_b64 s[6:7], exec, s[8:9]
	s_cbranch_execnz .LBB4_3369
; %bb.1321:
	s_or_saveexec_b64 s[6:7], s[6:7]
	v_mov_b32_e32 v2, s10
	s_xor_b64 exec, exec, s[6:7]
	s_cbranch_execnz .LBB4_3372
.LBB4_1322:
	s_or_b64 exec, exec, s[6:7]
	s_and_saveexec_b64 s[6:7], s[4:5]
	s_cbranch_execz .LBB4_1324
.LBB4_1323:
	v_bfe_u32 v2, v7, 8, 3
	v_ffbh_u32_e32 v13, v2
	v_min_u32_e32 v13, 32, v13
	v_lshrrev_b16_e32 v12, 3, v6
	v_subrev_u32_e32 v14, 28, v13
	v_and_b32_e32 v12, 15, v12
	v_lshlrev_b32_e32 v6, v14, v6
	v_sub_u32_e32 v13, 29, v13
	v_and_b32_e32 v6, 7, v6
	v_cmp_eq_u16_e32 vcc, 0, v12
	v_cndmask_b32_e32 v2, v2, v6, vcc
	v_cndmask_b32_e32 v6, v12, v13, vcc
	v_lshlrev_b32_e32 v12, 16, v7
	v_mov_b32_e32 v13, 0x3b800000
	v_lshlrev_b32_e32 v2, 20, v2
	v_and_b32_e32 v12, 0x80000000, v12
	v_lshl_add_u32 v6, v6, 23, v13
	v_or3_b32 v2, v12, v6, v2
.LBB4_1324:
	s_or_b64 exec, exec, s[6:7]
	v_lshrrev_b32_e32 v6, 8, v3
	s_movk_i32 s4, 0x7f
	v_cmp_gt_i16_sdwa s[6:7], v6, s4 src0_sel:BYTE_0 src1_sel:DWORD
	s_mov_b64 s[4:5], 0
                                        ; implicit-def: $sgpr10
	s_and_saveexec_b64 s[8:9], s[6:7]
	s_xor_b64 s[6:7], exec, s[8:9]
	s_cbranch_execnz .LBB4_3373
; %bb.1325:
	s_or_saveexec_b64 s[6:7], s[6:7]
	v_mov_b32_e32 v12, s10
	s_xor_b64 exec, exec, s[6:7]
	s_cbranch_execnz .LBB4_3376
.LBB4_1326:
	s_or_b64 exec, exec, s[6:7]
	s_and_saveexec_b64 s[6:7], s[4:5]
	s_cbranch_execz .LBB4_1328
.LBB4_1327:
	v_bfe_u32 v12, v3, 8, 3
	v_ffbh_u32_e32 v14, v12
	v_min_u32_e32 v14, 32, v14
	v_lshrrev_b16_e32 v13, 3, v6
	v_subrev_u32_e32 v15, 28, v14
	v_and_b32_e32 v13, 15, v13
	v_lshlrev_b32_e32 v6, v15, v6
	v_sub_u32_e32 v14, 29, v14
	v_and_b32_e32 v6, 7, v6
	v_cmp_eq_u16_e32 vcc, 0, v13
	v_cndmask_b32_e32 v6, v12, v6, vcc
	v_cndmask_b32_e32 v12, v13, v14, vcc
	v_lshlrev_b32_e32 v13, 16, v3
	v_mov_b32_e32 v14, 0x3b800000
	v_lshlrev_b32_e32 v6, 20, v6
	v_and_b32_e32 v13, 0x80000000, v13
	v_lshl_add_u32 v12, v12, 23, v14
	v_or3_b32 v12, v13, v12, v6
.LBB4_1328:
	s_or_b64 exec, exec, s[6:7]
	s_nop 0
	v_mfma_f32_16x16x4f32 a[0:3], v2, v12, a[0:3]
	s_movk_i32 s4, 0xff
	v_and_b32_sdwa v6, v7, s4 dst_sel:DWORD dst_unused:UNUSED_PAD src0_sel:WORD_1 src1_sel:DWORD
	s_movk_i32 s4, 0x7f
	v_cmp_lt_i16_e32 vcc, s4, v6
	s_mov_b64 s[4:5], 0
                                        ; implicit-def: $sgpr10
	s_and_saveexec_b64 s[6:7], vcc
	s_xor_b64 s[6:7], exec, s[6:7]
	s_cbranch_execnz .LBB4_3377
; %bb.1329:
	s_or_saveexec_b64 s[6:7], s[6:7]
	v_mov_b32_e32 v2, s10
	s_xor_b64 exec, exec, s[6:7]
	s_cbranch_execnz .LBB4_3380
.LBB4_1330:
	s_or_b64 exec, exec, s[6:7]
	s_and_saveexec_b64 s[6:7], s[4:5]
	s_cbranch_execz .LBB4_1332
.LBB4_1331:
	v_bfe_u32 v2, v7, 16, 3
	v_ffbh_u32_e32 v13, v2
	v_min_u32_e32 v13, 32, v13
	v_lshrrev_b32_e32 v6, 19, v7
	v_subrev_u32_e32 v14, 28, v13
	v_and_b32_e32 v6, 15, v6
	v_lshlrev_b32_sdwa v14, v14, v7 dst_sel:DWORD dst_unused:UNUSED_PAD src0_sel:DWORD src1_sel:WORD_1
	v_bfe_u32 v12, v7, 19, 4
	v_sub_u32_e32 v13, 29, v13
	v_and_b32_e32 v14, 7, v14
	v_cmp_eq_u16_e32 vcc, 0, v6
	v_cndmask_b32_e32 v2, v2, v14, vcc
	v_cndmask_b32_e32 v6, v12, v13, vcc
	v_lshlrev_b32_e32 v12, 8, v7
	v_mov_b32_e32 v13, 0x3b800000
	v_lshlrev_b32_e32 v2, 20, v2
	v_and_b32_e32 v12, 0x80000000, v12
	v_lshl_add_u32 v6, v6, 23, v13
	v_or3_b32 v2, v12, v6, v2
.LBB4_1332:
	s_or_b64 exec, exec, s[6:7]
	s_movk_i32 s4, 0xff
	v_and_b32_sdwa v6, v3, s4 dst_sel:DWORD dst_unused:UNUSED_PAD src0_sel:WORD_1 src1_sel:DWORD
	s_movk_i32 s4, 0x7f
	v_cmp_lt_i16_e32 vcc, s4, v6
	s_mov_b64 s[4:5], 0
                                        ; implicit-def: $sgpr10
	s_and_saveexec_b64 s[6:7], vcc
	s_xor_b64 s[6:7], exec, s[6:7]
	s_cbranch_execnz .LBB4_3381
; %bb.1333:
	s_or_saveexec_b64 s[6:7], s[6:7]
	v_mov_b32_e32 v12, s10
	s_xor_b64 exec, exec, s[6:7]
	s_cbranch_execnz .LBB4_3384
.LBB4_1334:
	s_or_b64 exec, exec, s[6:7]
	s_and_saveexec_b64 s[6:7], s[4:5]
	s_cbranch_execz .LBB4_1336
.LBB4_1335:
	v_bfe_u32 v6, v3, 16, 3
	v_ffbh_u32_e32 v14, v6
	v_min_u32_e32 v14, 32, v14
	v_lshrrev_b32_e32 v12, 19, v3
	v_subrev_u32_e32 v15, 28, v14
	v_and_b32_e32 v12, 15, v12
	v_lshlrev_b32_sdwa v15, v15, v3 dst_sel:DWORD dst_unused:UNUSED_PAD src0_sel:DWORD src1_sel:WORD_1
	v_bfe_u32 v13, v3, 19, 4
	v_sub_u32_e32 v14, 29, v14
	v_and_b32_e32 v15, 7, v15
	v_cmp_eq_u16_e32 vcc, 0, v12
	v_cndmask_b32_e32 v6, v6, v15, vcc
	v_cndmask_b32_e32 v12, v13, v14, vcc
	v_lshlrev_b32_e32 v13, 8, v3
	v_mov_b32_e32 v14, 0x3b800000
	v_lshlrev_b32_e32 v6, 20, v6
	v_and_b32_e32 v13, 0x80000000, v13
	v_lshl_add_u32 v12, v12, 23, v14
	v_or3_b32 v12, v13, v12, v6
.LBB4_1336:
	s_or_b64 exec, exec, s[6:7]
	s_nop 0
	v_mfma_f32_16x16x4f32 a[0:3], v2, v12, a[0:3]
	s_movk_i32 s4, 0x7f
	v_cmp_gt_i16_sdwa s[6:7], v7, s4 src0_sel:BYTE_3 src1_sel:DWORD
	s_mov_b64 s[4:5], 0
                                        ; implicit-def: $sgpr10
	s_and_saveexec_b64 s[8:9], s[6:7]
	s_xor_b64 s[6:7], exec, s[8:9]
	s_cbranch_execnz .LBB4_3385
; %bb.1337:
	s_or_saveexec_b64 s[6:7], s[6:7]
	v_mov_b32_e32 v2, s10
	s_xor_b64 exec, exec, s[6:7]
	s_cbranch_execnz .LBB4_3388
.LBB4_1338:
	s_or_b64 exec, exec, s[6:7]
	s_and_saveexec_b64 s[6:7], s[4:5]
	s_cbranch_execz .LBB4_1340
.LBB4_1339:
	v_bfe_u32 v2, v7, 24, 3
	v_ffbh_u32_e32 v14, v2
	v_min_u32_e32 v14, 32, v14
	v_lshrrev_b32_e32 v12, 27, v7
	v_subrev_u32_e32 v15, 28, v14
	v_and_b32_e32 v6, 0x80000000, v7
	v_and_b32_e32 v12, 15, v12
	v_bfe_u32 v13, v7, 27, 4
	v_lshlrev_b32_sdwa v7, v15, v7 dst_sel:DWORD dst_unused:UNUSED_PAD src0_sel:DWORD src1_sel:BYTE_3
	v_sub_u32_e32 v14, 29, v14
	v_and_b32_e32 v7, 7, v7
	v_cmp_eq_u16_e32 vcc, 0, v12
	v_cndmask_b32_e32 v2, v2, v7, vcc
	v_cndmask_b32_e32 v7, v13, v14, vcc
	v_mov_b32_e32 v12, 0x3b800000
	v_lshlrev_b32_e32 v2, 20, v2
	v_lshl_add_u32 v7, v7, 23, v12
	v_or3_b32 v2, v6, v7, v2
.LBB4_1340:
	s_or_b64 exec, exec, s[6:7]
	s_movk_i32 s4, 0x7f
	v_cmp_gt_i16_sdwa s[6:7], v3, s4 src0_sel:BYTE_3 src1_sel:DWORD
	s_mov_b64 s[4:5], 0
                                        ; implicit-def: $sgpr10
	s_and_saveexec_b64 s[8:9], s[6:7]
	s_xor_b64 s[6:7], exec, s[8:9]
	s_cbranch_execnz .LBB4_3389
; %bb.1341:
	s_or_saveexec_b64 s[6:7], s[6:7]
	v_mov_b32_e32 v6, s10
	s_xor_b64 exec, exec, s[6:7]
	s_cbranch_execnz .LBB4_3392
.LBB4_1342:
	s_or_b64 exec, exec, s[6:7]
	s_and_saveexec_b64 s[6:7], s[4:5]
	s_cbranch_execz .LBB4_1344
.LBB4_1343:
	v_bfe_u32 v6, v3, 24, 3
	v_ffbh_u32_e32 v14, v6
	v_min_u32_e32 v14, 32, v14
	v_lshrrev_b32_e32 v12, 27, v3
	v_subrev_u32_e32 v15, 28, v14
	v_and_b32_e32 v7, 0x80000000, v3
	v_and_b32_e32 v12, 15, v12
	v_bfe_u32 v13, v3, 27, 4
	v_lshlrev_b32_sdwa v3, v15, v3 dst_sel:DWORD dst_unused:UNUSED_PAD src0_sel:DWORD src1_sel:BYTE_3
	v_sub_u32_e32 v14, 29, v14
	v_and_b32_e32 v3, 7, v3
	v_cmp_eq_u16_e32 vcc, 0, v12
	v_cndmask_b32_e32 v3, v6, v3, vcc
	v_cndmask_b32_e32 v6, v13, v14, vcc
	v_mov_b32_e32 v12, 0x3b800000
	v_lshlrev_b32_e32 v3, 20, v3
	v_lshl_add_u32 v6, v6, 23, v12
	v_or3_b32 v6, v7, v6, v3
.LBB4_1344:
	s_or_b64 exec, exec, s[6:7]
	s_nop 0
	v_mfma_f32_16x16x4f32 a[0:3], v2, v6, a[0:3]
	s_movk_i32 s4, 0x7f
	v_cmp_gt_i16_sdwa s[6:7], v8, s4 src0_sel:BYTE_0 src1_sel:DWORD
	s_mov_b64 s[4:5], 0
                                        ; implicit-def: $sgpr10
	s_and_saveexec_b64 s[8:9], s[6:7]
	s_xor_b64 s[6:7], exec, s[8:9]
	s_cbranch_execnz .LBB4_3393
; %bb.1345:
	s_or_saveexec_b64 s[6:7], s[6:7]
	v_mov_b32_e32 v2, s10
	s_xor_b64 exec, exec, s[6:7]
	s_cbranch_execnz .LBB4_3396
.LBB4_1346:
	s_or_b64 exec, exec, s[6:7]
	s_and_saveexec_b64 s[6:7], s[4:5]
	s_cbranch_execz .LBB4_1348
.LBB4_1347:
	v_and_b32_e32 v2, 7, v8
	v_ffbh_u32_e32 v6, v2
	v_min_u32_e32 v6, 32, v6
	v_lshrrev_b16_e32 v3, 3, v8
	v_subrev_u32_e32 v7, 28, v6
	v_and_b32_e32 v3, 15, v3
	v_lshlrev_b32_e32 v7, v7, v8
	v_sub_u32_e32 v6, 29, v6
	v_and_b32_e32 v7, 7, v7
	v_cmp_eq_u16_e32 vcc, 0, v3
	v_cndmask_b32_e32 v2, v2, v7, vcc
	v_cndmask_b32_e32 v3, v3, v6, vcc
	v_lshlrev_b32_e32 v6, 24, v8
	v_mov_b32_e32 v7, 0x3b800000
	v_lshlrev_b32_e32 v2, 20, v2
	v_and_b32_e32 v6, 0x80000000, v6
	v_lshl_add_u32 v3, v3, 23, v7
	v_or3_b32 v2, v6, v3, v2
.LBB4_1348:
	s_or_b64 exec, exec, s[6:7]
	s_movk_i32 s4, 0x7f
	v_cmp_gt_i16_sdwa s[6:7], v4, s4 src0_sel:BYTE_0 src1_sel:DWORD
	s_mov_b64 s[4:5], 0
                                        ; implicit-def: $sgpr10
	s_and_saveexec_b64 s[8:9], s[6:7]
	s_xor_b64 s[6:7], exec, s[8:9]
	s_cbranch_execnz .LBB4_3397
; %bb.1349:
	s_or_saveexec_b64 s[6:7], s[6:7]
	v_mov_b32_e32 v3, s10
	s_xor_b64 exec, exec, s[6:7]
	s_cbranch_execnz .LBB4_3400
.LBB4_1350:
	s_or_b64 exec, exec, s[6:7]
	s_and_saveexec_b64 s[6:7], s[4:5]
	s_cbranch_execz .LBB4_1352
.LBB4_1351:
	v_and_b32_e32 v3, 7, v4
	v_ffbh_u32_e32 v7, v3
	v_min_u32_e32 v7, 32, v7
	v_lshrrev_b16_e32 v6, 3, v4
	v_subrev_u32_e32 v12, 28, v7
	v_and_b32_e32 v6, 15, v6
	v_lshlrev_b32_e32 v12, v12, v4
	v_sub_u32_e32 v7, 29, v7
	v_and_b32_e32 v12, 7, v12
	v_cmp_eq_u16_e32 vcc, 0, v6
	v_cndmask_b32_e32 v3, v3, v12, vcc
	v_cndmask_b32_e32 v6, v6, v7, vcc
	v_lshlrev_b32_e32 v7, 24, v4
	v_mov_b32_e32 v12, 0x3b800000
	v_lshlrev_b32_e32 v3, 20, v3
	v_and_b32_e32 v7, 0x80000000, v7
	v_lshl_add_u32 v6, v6, 23, v12
	v_or3_b32 v3, v7, v6, v3
.LBB4_1352:
	s_or_b64 exec, exec, s[6:7]
	s_nop 0
	v_mfma_f32_16x16x4f32 a[0:3], v2, v3, a[0:3]
	v_lshrrev_b32_e32 v3, 8, v8
	s_movk_i32 s4, 0x7f
	v_cmp_gt_i16_sdwa s[6:7], v3, s4 src0_sel:BYTE_0 src1_sel:DWORD
	s_mov_b64 s[4:5], 0
                                        ; implicit-def: $sgpr10
	s_and_saveexec_b64 s[8:9], s[6:7]
	s_xor_b64 s[6:7], exec, s[8:9]
	s_cbranch_execnz .LBB4_3401
; %bb.1353:
	s_or_saveexec_b64 s[6:7], s[6:7]
	v_mov_b32_e32 v2, s10
	s_xor_b64 exec, exec, s[6:7]
	s_cbranch_execnz .LBB4_3404
.LBB4_1354:
	s_or_b64 exec, exec, s[6:7]
	s_and_saveexec_b64 s[6:7], s[4:5]
	s_cbranch_execz .LBB4_1356
.LBB4_1355:
	v_bfe_u32 v2, v8, 8, 3
	v_ffbh_u32_e32 v7, v2
	v_min_u32_e32 v7, 32, v7
	v_lshrrev_b16_e32 v6, 3, v3
	v_subrev_u32_e32 v12, 28, v7
	v_and_b32_e32 v6, 15, v6
	v_lshlrev_b32_e32 v3, v12, v3
	v_sub_u32_e32 v7, 29, v7
	v_and_b32_e32 v3, 7, v3
	v_cmp_eq_u16_e32 vcc, 0, v6
	v_cndmask_b32_e32 v2, v2, v3, vcc
	v_cndmask_b32_e32 v3, v6, v7, vcc
	v_lshlrev_b32_e32 v6, 16, v8
	v_mov_b32_e32 v7, 0x3b800000
	v_lshlrev_b32_e32 v2, 20, v2
	v_and_b32_e32 v6, 0x80000000, v6
	v_lshl_add_u32 v3, v3, 23, v7
	v_or3_b32 v2, v6, v3, v2
.LBB4_1356:
	s_or_b64 exec, exec, s[6:7]
	v_lshrrev_b32_e32 v3, 8, v4
	s_movk_i32 s4, 0x7f
	v_cmp_gt_i16_sdwa s[6:7], v3, s4 src0_sel:BYTE_0 src1_sel:DWORD
	s_mov_b64 s[4:5], 0
                                        ; implicit-def: $sgpr10
	s_and_saveexec_b64 s[8:9], s[6:7]
	s_xor_b64 s[6:7], exec, s[8:9]
	s_cbranch_execnz .LBB4_3405
; %bb.1357:
	s_or_saveexec_b64 s[6:7], s[6:7]
	v_mov_b32_e32 v6, s10
	s_xor_b64 exec, exec, s[6:7]
	s_cbranch_execnz .LBB4_3408
.LBB4_1358:
	s_or_b64 exec, exec, s[6:7]
	s_and_saveexec_b64 s[6:7], s[4:5]
	s_cbranch_execz .LBB4_1360
.LBB4_1359:
	v_bfe_u32 v6, v4, 8, 3
	v_ffbh_u32_e32 v12, v6
	v_min_u32_e32 v12, 32, v12
	v_lshrrev_b16_e32 v7, 3, v3
	v_subrev_u32_e32 v13, 28, v12
	v_and_b32_e32 v7, 15, v7
	v_lshlrev_b32_e32 v3, v13, v3
	v_sub_u32_e32 v12, 29, v12
	v_and_b32_e32 v3, 7, v3
	v_cmp_eq_u16_e32 vcc, 0, v7
	v_cndmask_b32_e32 v3, v6, v3, vcc
	v_cndmask_b32_e32 v6, v7, v12, vcc
	v_lshlrev_b32_e32 v7, 16, v4
	v_mov_b32_e32 v12, 0x3b800000
	v_lshlrev_b32_e32 v3, 20, v3
	v_and_b32_e32 v7, 0x80000000, v7
	v_lshl_add_u32 v6, v6, 23, v12
	v_or3_b32 v6, v7, v6, v3
.LBB4_1360:
	s_or_b64 exec, exec, s[6:7]
	s_nop 0
	v_mfma_f32_16x16x4f32 a[0:3], v2, v6, a[0:3]
	s_movk_i32 s4, 0xff
	v_and_b32_sdwa v3, v8, s4 dst_sel:DWORD dst_unused:UNUSED_PAD src0_sel:WORD_1 src1_sel:DWORD
	s_movk_i32 s4, 0x7f
	v_cmp_lt_i16_e32 vcc, s4, v3
	s_mov_b64 s[4:5], 0
                                        ; implicit-def: $sgpr10
	s_and_saveexec_b64 s[6:7], vcc
	s_xor_b64 s[6:7], exec, s[6:7]
	s_cbranch_execnz .LBB4_3409
; %bb.1361:
	s_or_saveexec_b64 s[6:7], s[6:7]
	v_mov_b32_e32 v2, s10
	s_xor_b64 exec, exec, s[6:7]
	s_cbranch_execnz .LBB4_3412
.LBB4_1362:
	s_or_b64 exec, exec, s[6:7]
	s_and_saveexec_b64 s[6:7], s[4:5]
	s_cbranch_execz .LBB4_1364
.LBB4_1363:
	v_bfe_u32 v2, v8, 16, 3
	v_ffbh_u32_e32 v7, v2
	v_min_u32_e32 v7, 32, v7
	v_lshrrev_b32_e32 v3, 19, v8
	v_subrev_u32_e32 v12, 28, v7
	v_and_b32_e32 v3, 15, v3
	v_lshlrev_b32_sdwa v12, v12, v8 dst_sel:DWORD dst_unused:UNUSED_PAD src0_sel:DWORD src1_sel:WORD_1
	v_bfe_u32 v6, v8, 19, 4
	v_sub_u32_e32 v7, 29, v7
	v_and_b32_e32 v12, 7, v12
	v_cmp_eq_u16_e32 vcc, 0, v3
	v_cndmask_b32_e32 v2, v2, v12, vcc
	v_cndmask_b32_e32 v3, v6, v7, vcc
	v_lshlrev_b32_e32 v6, 8, v8
	v_mov_b32_e32 v7, 0x3b800000
	v_lshlrev_b32_e32 v2, 20, v2
	v_and_b32_e32 v6, 0x80000000, v6
	v_lshl_add_u32 v3, v3, 23, v7
	v_or3_b32 v2, v6, v3, v2
.LBB4_1364:
	s_or_b64 exec, exec, s[6:7]
	s_movk_i32 s4, 0xff
	v_and_b32_sdwa v3, v4, s4 dst_sel:DWORD dst_unused:UNUSED_PAD src0_sel:WORD_1 src1_sel:DWORD
	s_movk_i32 s4, 0x7f
	v_cmp_lt_i16_e32 vcc, s4, v3
	s_mov_b64 s[4:5], 0
                                        ; implicit-def: $sgpr10
	s_and_saveexec_b64 s[6:7], vcc
	s_xor_b64 s[6:7], exec, s[6:7]
	s_cbranch_execnz .LBB4_3413
; %bb.1365:
	s_or_saveexec_b64 s[6:7], s[6:7]
	v_mov_b32_e32 v6, s10
	s_xor_b64 exec, exec, s[6:7]
	s_cbranch_execnz .LBB4_3416
.LBB4_1366:
	s_or_b64 exec, exec, s[6:7]
	s_and_saveexec_b64 s[6:7], s[4:5]
	s_cbranch_execz .LBB4_1368
.LBB4_1367:
	v_bfe_u32 v3, v4, 16, 3
	v_ffbh_u32_e32 v12, v3
	v_min_u32_e32 v12, 32, v12
	v_lshrrev_b32_e32 v6, 19, v4
	v_subrev_u32_e32 v13, 28, v12
	v_and_b32_e32 v6, 15, v6
	v_lshlrev_b32_sdwa v13, v13, v4 dst_sel:DWORD dst_unused:UNUSED_PAD src0_sel:DWORD src1_sel:WORD_1
	v_bfe_u32 v7, v4, 19, 4
	v_sub_u32_e32 v12, 29, v12
	v_and_b32_e32 v13, 7, v13
	v_cmp_eq_u16_e32 vcc, 0, v6
	v_cndmask_b32_e32 v3, v3, v13, vcc
	v_cndmask_b32_e32 v6, v7, v12, vcc
	v_lshlrev_b32_e32 v7, 8, v4
	v_mov_b32_e32 v12, 0x3b800000
	v_lshlrev_b32_e32 v3, 20, v3
	v_and_b32_e32 v7, 0x80000000, v7
	v_lshl_add_u32 v6, v6, 23, v12
	v_or3_b32 v6, v7, v6, v3
.LBB4_1368:
	s_or_b64 exec, exec, s[6:7]
	s_nop 0
	v_mfma_f32_16x16x4f32 a[0:3], v2, v6, a[0:3]
	s_movk_i32 s4, 0x7f
	v_cmp_gt_i16_sdwa s[6:7], v8, s4 src0_sel:BYTE_3 src1_sel:DWORD
	s_mov_b64 s[4:5], 0
                                        ; implicit-def: $sgpr10
	s_and_saveexec_b64 s[8:9], s[6:7]
	s_xor_b64 s[6:7], exec, s[8:9]
	s_cbranch_execnz .LBB4_3417
; %bb.1369:
	s_or_saveexec_b64 s[6:7], s[6:7]
	v_mov_b32_e32 v2, s10
	s_xor_b64 exec, exec, s[6:7]
	s_cbranch_execnz .LBB4_3420
.LBB4_1370:
	s_or_b64 exec, exec, s[6:7]
	s_and_saveexec_b64 s[6:7], s[4:5]
	s_cbranch_execz .LBB4_1372
.LBB4_1371:
	v_bfe_u32 v2, v8, 24, 3
	v_ffbh_u32_e32 v12, v2
	v_min_u32_e32 v12, 32, v12
	v_lshrrev_b32_e32 v6, 27, v8
	v_subrev_u32_e32 v13, 28, v12
	v_and_b32_e32 v3, 0x80000000, v8
	v_and_b32_e32 v6, 15, v6
	v_bfe_u32 v7, v8, 27, 4
	v_lshlrev_b32_sdwa v8, v13, v8 dst_sel:DWORD dst_unused:UNUSED_PAD src0_sel:DWORD src1_sel:BYTE_3
	v_sub_u32_e32 v12, 29, v12
	v_and_b32_e32 v8, 7, v8
	v_cmp_eq_u16_e32 vcc, 0, v6
	v_cndmask_b32_e32 v2, v2, v8, vcc
	v_cndmask_b32_e32 v6, v7, v12, vcc
	v_mov_b32_e32 v7, 0x3b800000
	v_lshlrev_b32_e32 v2, 20, v2
	v_lshl_add_u32 v6, v6, 23, v7
	v_or3_b32 v2, v3, v6, v2
.LBB4_1372:
	s_or_b64 exec, exec, s[6:7]
	s_movk_i32 s4, 0x7f
	v_cmp_gt_i16_sdwa s[6:7], v4, s4 src0_sel:BYTE_3 src1_sel:DWORD
	s_mov_b64 s[4:5], 0
                                        ; implicit-def: $sgpr10
	s_and_saveexec_b64 s[8:9], s[6:7]
	s_xor_b64 s[6:7], exec, s[8:9]
	s_cbranch_execnz .LBB4_3421
; %bb.1373:
	s_or_saveexec_b64 s[6:7], s[6:7]
	v_mov_b32_e32 v3, s10
	s_xor_b64 exec, exec, s[6:7]
	s_cbranch_execnz .LBB4_3424
.LBB4_1374:
	s_or_b64 exec, exec, s[6:7]
	s_and_saveexec_b64 s[6:7], s[4:5]
	s_cbranch_execz .LBB4_1376
.LBB4_1375:
	v_bfe_u32 v3, v4, 24, 3
	v_ffbh_u32_e32 v12, v3
	v_min_u32_e32 v12, 32, v12
	v_lshrrev_b32_e32 v7, 27, v4
	v_subrev_u32_e32 v13, 28, v12
	v_and_b32_e32 v6, 0x80000000, v4
	v_and_b32_e32 v7, 15, v7
	v_bfe_u32 v8, v4, 27, 4
	v_lshlrev_b32_sdwa v4, v13, v4 dst_sel:DWORD dst_unused:UNUSED_PAD src0_sel:DWORD src1_sel:BYTE_3
	v_sub_u32_e32 v12, 29, v12
	v_and_b32_e32 v4, 7, v4
	v_cmp_eq_u16_e32 vcc, 0, v7
	v_cndmask_b32_e32 v3, v3, v4, vcc
	v_cndmask_b32_e32 v4, v8, v12, vcc
	v_mov_b32_e32 v7, 0x3b800000
	v_lshlrev_b32_e32 v3, 20, v3
	v_lshl_add_u32 v4, v4, 23, v7
	v_or3_b32 v3, v6, v4, v3
.LBB4_1376:
	s_or_b64 exec, exec, s[6:7]
	s_nop 0
	v_mfma_f32_16x16x4f32 a[0:3], v2, v3, a[0:3]
	s_movk_i32 s4, 0x7f
	v_cmp_gt_i16_sdwa s[6:7], v9, s4 src0_sel:BYTE_0 src1_sel:DWORD
	s_mov_b64 s[4:5], 0
                                        ; implicit-def: $sgpr10
	s_and_saveexec_b64 s[8:9], s[6:7]
	s_xor_b64 s[6:7], exec, s[8:9]
	s_cbranch_execnz .LBB4_3425
; %bb.1377:
	s_or_saveexec_b64 s[6:7], s[6:7]
	v_mov_b32_e32 v2, s10
	s_xor_b64 exec, exec, s[6:7]
	s_cbranch_execnz .LBB4_3428
.LBB4_1378:
	s_or_b64 exec, exec, s[6:7]
	s_and_saveexec_b64 s[6:7], s[4:5]
	s_cbranch_execz .LBB4_1380
.LBB4_1379:
	v_mov_b32_e32 v2, 8
	v_and_b32_e32 v3, 7, v9
	v_lshrrev_b32_sdwa v2, v2, v9 dst_sel:BYTE_1 dst_unused:UNUSED_PAD src0_sel:DWORD src1_sel:DWORD
	v_ffbh_u32_e32 v4, v3
	v_or_b32_sdwa v2, v9, v2 dst_sel:DWORD dst_unused:UNUSED_PAD src0_sel:BYTE_0 src1_sel:DWORD
	v_min_u32_e32 v4, 32, v4
	v_lshrrev_b16_e32 v2, 3, v2
	v_subrev_u32_e32 v6, 28, v4
	v_and_b32_e32 v2, 15, v2
	v_lshlrev_b32_e32 v6, v6, v9
	v_sub_u32_e32 v4, 29, v4
	v_and_b32_e32 v6, 7, v6
	v_cmp_eq_u16_e32 vcc, 0, v2
	v_cndmask_b32_e32 v3, v3, v6, vcc
	v_cndmask_b32_e32 v2, v2, v4, vcc
	v_lshlrev_b32_e32 v4, 24, v9
	v_mov_b32_e32 v6, 0x3b800000
	v_lshlrev_b32_e32 v3, 20, v3
	v_and_b32_e32 v4, 0x80000000, v4
	v_lshl_add_u32 v2, v2, 23, v6
	v_or3_b32 v2, v4, v2, v3
.LBB4_1380:
	s_or_b64 exec, exec, s[6:7]
	s_movk_i32 s4, 0x7f
	v_cmp_gt_i16_sdwa s[6:7], v5, s4 src0_sel:BYTE_0 src1_sel:DWORD
	s_mov_b64 s[4:5], 0
                                        ; implicit-def: $sgpr10
	s_and_saveexec_b64 s[8:9], s[6:7]
	s_xor_b64 s[6:7], exec, s[8:9]
	s_cbranch_execnz .LBB4_3429
; %bb.1381:
	s_or_saveexec_b64 s[6:7], s[6:7]
	v_mov_b32_e32 v3, s10
	s_xor_b64 exec, exec, s[6:7]
	s_cbranch_execnz .LBB4_3432
.LBB4_1382:
	s_or_b64 exec, exec, s[6:7]
	s_and_saveexec_b64 s[6:7], s[4:5]
	s_cbranch_execz .LBB4_1384
.LBB4_1383:
	v_mov_b32_e32 v3, 8
	v_and_b32_e32 v4, 7, v5
	v_lshrrev_b32_sdwa v3, v3, v5 dst_sel:BYTE_1 dst_unused:UNUSED_PAD src0_sel:DWORD src1_sel:DWORD
	v_ffbh_u32_e32 v6, v4
	v_or_b32_sdwa v3, v5, v3 dst_sel:DWORD dst_unused:UNUSED_PAD src0_sel:BYTE_0 src1_sel:DWORD
	v_min_u32_e32 v6, 32, v6
	v_lshrrev_b16_e32 v3, 3, v3
	v_subrev_u32_e32 v7, 28, v6
	v_and_b32_e32 v3, 15, v3
	v_lshlrev_b32_e32 v7, v7, v5
	v_sub_u32_e32 v6, 29, v6
	v_and_b32_e32 v7, 7, v7
	v_cmp_eq_u16_e32 vcc, 0, v3
	v_cndmask_b32_e32 v4, v4, v7, vcc
	v_cndmask_b32_e32 v3, v3, v6, vcc
	v_lshlrev_b32_e32 v6, 24, v5
	v_mov_b32_e32 v7, 0x3b800000
	v_lshlrev_b32_e32 v4, 20, v4
	v_and_b32_e32 v6, 0x80000000, v6
	v_lshl_add_u32 v3, v3, 23, v7
	v_or3_b32 v3, v6, v3, v4
.LBB4_1384:
	s_or_b64 exec, exec, s[6:7]
	s_nop 0
	v_mfma_f32_16x16x4f32 a[0:3], v2, v3, a[0:3]
	v_lshrrev_b32_e32 v3, 8, v9
	s_movk_i32 s4, 0x7f
	v_cmp_gt_i16_sdwa s[6:7], v3, s4 src0_sel:BYTE_0 src1_sel:DWORD
	s_mov_b64 s[4:5], 0
                                        ; implicit-def: $sgpr10
	s_and_saveexec_b64 s[8:9], s[6:7]
	s_xor_b64 s[6:7], exec, s[8:9]
	s_cbranch_execnz .LBB4_3433
; %bb.1385:
	s_or_saveexec_b64 s[6:7], s[6:7]
	v_mov_b32_e32 v2, s10
	s_xor_b64 exec, exec, s[6:7]
	s_cbranch_execnz .LBB4_3436
.LBB4_1386:
	s_or_b64 exec, exec, s[6:7]
	s_and_saveexec_b64 s[6:7], s[4:5]
	s_cbranch_execz .LBB4_1388
.LBB4_1387:
	v_bfe_u32 v2, v9, 8, 3
	v_ffbh_u32_e32 v6, v2
	v_min_u32_e32 v6, 32, v6
	v_lshrrev_b16_e32 v4, 3, v3
	v_subrev_u32_e32 v7, 28, v6
	v_and_b32_e32 v4, 15, v4
	v_lshlrev_b32_e32 v3, v7, v3
	v_sub_u32_e32 v6, 29, v6
	v_and_b32_e32 v3, 7, v3
	v_cmp_eq_u16_e32 vcc, 0, v4
	v_cndmask_b32_e32 v2, v2, v3, vcc
	v_cndmask_b32_e32 v3, v4, v6, vcc
	v_lshlrev_b32_e32 v4, 16, v9
	v_mov_b32_e32 v6, 0x3b800000
	v_lshlrev_b32_e32 v2, 20, v2
	v_and_b32_e32 v4, 0x80000000, v4
	v_lshl_add_u32 v3, v3, 23, v6
	v_or3_b32 v2, v4, v3, v2
.LBB4_1388:
	s_or_b64 exec, exec, s[6:7]
	v_lshrrev_b32_e32 v3, 8, v5
	s_movk_i32 s4, 0x7f
	v_cmp_gt_i16_sdwa s[6:7], v3, s4 src0_sel:BYTE_0 src1_sel:DWORD
	s_mov_b64 s[4:5], 0
                                        ; implicit-def: $sgpr10
	s_and_saveexec_b64 s[8:9], s[6:7]
	s_xor_b64 s[6:7], exec, s[8:9]
	s_cbranch_execnz .LBB4_3437
; %bb.1389:
	s_or_saveexec_b64 s[6:7], s[6:7]
	v_mov_b32_e32 v4, s10
	s_xor_b64 exec, exec, s[6:7]
	s_cbranch_execnz .LBB4_3440
.LBB4_1390:
	s_or_b64 exec, exec, s[6:7]
	s_and_saveexec_b64 s[6:7], s[4:5]
	s_cbranch_execz .LBB4_1392
.LBB4_1391:
	v_bfe_u32 v4, v5, 8, 3
	v_ffbh_u32_e32 v7, v4
	v_min_u32_e32 v7, 32, v7
	v_lshrrev_b16_e32 v6, 3, v3
	v_subrev_u32_e32 v8, 28, v7
	v_and_b32_e32 v6, 15, v6
	v_lshlrev_b32_e32 v3, v8, v3
	v_sub_u32_e32 v7, 29, v7
	v_and_b32_e32 v3, 7, v3
	v_cmp_eq_u16_e32 vcc, 0, v6
	v_cndmask_b32_e32 v3, v4, v3, vcc
	v_cndmask_b32_e32 v4, v6, v7, vcc
	v_lshlrev_b32_e32 v6, 16, v5
	v_mov_b32_e32 v7, 0x3b800000
	v_lshlrev_b32_e32 v3, 20, v3
	v_and_b32_e32 v6, 0x80000000, v6
	v_lshl_add_u32 v4, v4, 23, v7
	v_or3_b32 v4, v6, v4, v3
.LBB4_1392:
	s_or_b64 exec, exec, s[6:7]
	s_nop 0
	v_mfma_f32_16x16x4f32 a[0:3], v2, v4, a[0:3]
	s_movk_i32 s4, 0xff
	v_and_b32_sdwa v3, v9, s4 dst_sel:DWORD dst_unused:UNUSED_PAD src0_sel:WORD_1 src1_sel:DWORD
	s_movk_i32 s4, 0x7f
	v_cmp_lt_i16_e32 vcc, s4, v3
	s_mov_b64 s[4:5], 0
                                        ; implicit-def: $sgpr10
	s_and_saveexec_b64 s[6:7], vcc
	s_xor_b64 s[6:7], exec, s[6:7]
	s_cbranch_execnz .LBB4_3441
; %bb.1393:
	s_or_saveexec_b64 s[6:7], s[6:7]
	v_mov_b32_e32 v2, s10
	s_xor_b64 exec, exec, s[6:7]
	s_cbranch_execnz .LBB4_3444
.LBB4_1394:
	s_or_b64 exec, exec, s[6:7]
	s_and_saveexec_b64 s[6:7], s[4:5]
	s_cbranch_execz .LBB4_1396
.LBB4_1395:
	v_bfe_u32 v2, v9, 16, 3
	v_ffbh_u32_e32 v6, v2
	v_min_u32_e32 v6, 32, v6
	v_lshrrev_b32_e32 v3, 19, v9
	v_subrev_u32_e32 v7, 28, v6
	v_and_b32_e32 v3, 15, v3
	v_lshlrev_b32_sdwa v7, v7, v9 dst_sel:DWORD dst_unused:UNUSED_PAD src0_sel:DWORD src1_sel:WORD_1
	v_bfe_u32 v4, v9, 19, 4
	v_sub_u32_e32 v6, 29, v6
	v_and_b32_e32 v7, 7, v7
	v_cmp_eq_u16_e32 vcc, 0, v3
	v_cndmask_b32_e32 v2, v2, v7, vcc
	v_cndmask_b32_e32 v3, v4, v6, vcc
	v_lshlrev_b32_e32 v4, 8, v9
	v_mov_b32_e32 v6, 0x3b800000
	v_lshlrev_b32_e32 v2, 20, v2
	v_and_b32_e32 v4, 0x80000000, v4
	v_lshl_add_u32 v3, v3, 23, v6
	v_or3_b32 v2, v4, v3, v2
.LBB4_1396:
	s_or_b64 exec, exec, s[6:7]
	s_movk_i32 s4, 0xff
	v_and_b32_sdwa v3, v5, s4 dst_sel:DWORD dst_unused:UNUSED_PAD src0_sel:WORD_1 src1_sel:DWORD
	s_movk_i32 s4, 0x7f
	v_cmp_lt_i16_e32 vcc, s4, v3
	s_mov_b64 s[4:5], 0
                                        ; implicit-def: $sgpr10
	s_and_saveexec_b64 s[6:7], vcc
	s_xor_b64 s[6:7], exec, s[6:7]
	s_cbranch_execnz .LBB4_3445
; %bb.1397:
	s_or_saveexec_b64 s[6:7], s[6:7]
	v_mov_b32_e32 v4, s10
	s_xor_b64 exec, exec, s[6:7]
	s_cbranch_execnz .LBB4_3448
.LBB4_1398:
	s_or_b64 exec, exec, s[6:7]
	s_and_saveexec_b64 s[6:7], s[4:5]
	s_cbranch_execz .LBB4_1400
.LBB4_1399:
	v_bfe_u32 v3, v5, 16, 3
	v_ffbh_u32_e32 v7, v3
	v_min_u32_e32 v7, 32, v7
	v_lshrrev_b32_e32 v4, 19, v5
	v_subrev_u32_e32 v8, 28, v7
	v_and_b32_e32 v4, 15, v4
	v_lshlrev_b32_sdwa v8, v8, v5 dst_sel:DWORD dst_unused:UNUSED_PAD src0_sel:DWORD src1_sel:WORD_1
	v_bfe_u32 v6, v5, 19, 4
	v_sub_u32_e32 v7, 29, v7
	v_and_b32_e32 v8, 7, v8
	v_cmp_eq_u16_e32 vcc, 0, v4
	v_cndmask_b32_e32 v3, v3, v8, vcc
	v_cndmask_b32_e32 v4, v6, v7, vcc
	v_lshlrev_b32_e32 v6, 8, v5
	v_mov_b32_e32 v7, 0x3b800000
	v_lshlrev_b32_e32 v3, 20, v3
	v_and_b32_e32 v6, 0x80000000, v6
	v_lshl_add_u32 v4, v4, 23, v7
	v_or3_b32 v4, v6, v4, v3
.LBB4_1400:
	s_or_b64 exec, exec, s[6:7]
	s_nop 0
	v_mfma_f32_16x16x4f32 a[0:3], v2, v4, a[0:3]
	s_movk_i32 s4, 0x7f
	v_cmp_gt_i16_sdwa s[6:7], v9, s4 src0_sel:BYTE_3 src1_sel:DWORD
	s_mov_b64 s[4:5], 0
                                        ; implicit-def: $sgpr10
	s_and_saveexec_b64 s[8:9], s[6:7]
	s_xor_b64 s[6:7], exec, s[8:9]
	s_cbranch_execnz .LBB4_3449
; %bb.1401:
	s_or_saveexec_b64 s[6:7], s[6:7]
	v_mov_b32_e32 v2, s10
	s_xor_b64 exec, exec, s[6:7]
	s_cbranch_execnz .LBB4_3452
.LBB4_1402:
	s_or_b64 exec, exec, s[6:7]
	s_and_saveexec_b64 s[6:7], s[4:5]
	s_cbranch_execz .LBB4_1404
.LBB4_1403:
	v_bfe_u32 v2, v9, 24, 3
	v_ffbh_u32_e32 v7, v2
	v_min_u32_e32 v7, 32, v7
	v_lshrrev_b32_e32 v4, 27, v9
	v_subrev_u32_e32 v8, 28, v7
	v_and_b32_e32 v4, 15, v4
	v_lshlrev_b32_sdwa v8, v8, v9 dst_sel:DWORD dst_unused:UNUSED_PAD src0_sel:DWORD src1_sel:BYTE_3
	v_bfe_u32 v6, v9, 27, 4
	v_sub_u32_e32 v7, 29, v7
	v_and_b32_e32 v8, 7, v8
	v_cmp_eq_u16_e32 vcc, 0, v4
	v_cndmask_b32_e32 v2, v2, v8, vcc
	v_cndmask_b32_e32 v4, v6, v7, vcc
	v_mov_b32_e32 v6, 0x3b800000
	v_and_b32_e32 v3, 0x80000000, v9
	v_lshlrev_b32_e32 v2, 20, v2
	v_lshl_add_u32 v4, v4, 23, v6
	v_or3_b32 v2, v3, v4, v2
.LBB4_1404:
	s_or_b64 exec, exec, s[6:7]
	s_movk_i32 s4, 0x7f
	v_cmp_gt_i16_sdwa s[6:7], v5, s4 src0_sel:BYTE_3 src1_sel:DWORD
	s_mov_b64 s[4:5], 0
                                        ; implicit-def: $sgpr10
	s_and_saveexec_b64 s[8:9], s[6:7]
	s_xor_b64 s[6:7], exec, s[8:9]
	s_cbranch_execnz .LBB4_3453
; %bb.1405:
	s_or_saveexec_b64 s[6:7], s[6:7]
	v_mov_b32_e32 v3, s10
	s_xor_b64 exec, exec, s[6:7]
	s_cbranch_execnz .LBB4_3456
.LBB4_1406:
	s_or_b64 exec, exec, s[6:7]
	s_and_saveexec_b64 s[6:7], s[4:5]
	s_cbranch_execz .LBB4_1408
.LBB4_1407:
	v_bfe_u32 v3, v5, 24, 3
	v_ffbh_u32_e32 v8, v3
	v_min_u32_e32 v8, 32, v8
	v_lshrrev_b32_e32 v6, 27, v5
	v_subrev_u32_e32 v9, 28, v8
	v_and_b32_e32 v4, 0x80000000, v5
	v_and_b32_e32 v6, 15, v6
	v_bfe_u32 v7, v5, 27, 4
	v_lshlrev_b32_sdwa v5, v9, v5 dst_sel:DWORD dst_unused:UNUSED_PAD src0_sel:DWORD src1_sel:BYTE_3
	v_sub_u32_e32 v8, 29, v8
	v_and_b32_e32 v5, 7, v5
	v_cmp_eq_u16_e32 vcc, 0, v6
	v_cndmask_b32_e32 v3, v3, v5, vcc
	v_cndmask_b32_e32 v5, v7, v8, vcc
	v_mov_b32_e32 v6, 0x3b800000
	v_lshlrev_b32_e32 v3, 20, v3
	v_lshl_add_u32 v5, v5, 23, v6
	v_or3_b32 v3, v4, v5, v3
.LBB4_1408:
	s_or_b64 exec, exec, s[6:7]
	s_nop 0
	v_mfma_f32_16x16x4f32 a[0:3], v2, v3, a[0:3]
	s_movk_i32 s4, 0x7f
                                        ; implicit-def: $sgpr10
	s_nop 7
	s_nop 1
	flat_store_dwordx4 v[10:11], a[0:3] offset:160
	flat_load_dwordx4 v[12:15], v[0:1] offset:8
	s_nop 0
	flat_load_dwordx2 v[10:11], v[0:1] offset:32
	s_waitcnt vmcnt(0) lgkmcnt(0)
	flat_load_dwordx4 v[6:9], v[12:13] offset:80
	flat_load_dwordx4 v[2:5], v[14:15] offset:112
	s_waitcnt vmcnt(0) lgkmcnt(0)
	v_cmp_gt_i16_sdwa s[6:7], v6, s4 src0_sel:BYTE_0 src1_sel:DWORD
	s_mov_b64 s[4:5], 0
	s_and_saveexec_b64 s[8:9], s[6:7]
	s_xor_b64 s[6:7], exec, s[8:9]
	s_cbranch_execnz .LBB4_3457
; %bb.1409:
	s_or_saveexec_b64 s[6:7], s[6:7]
	v_mov_b32_e32 v12, s10
	s_xor_b64 exec, exec, s[6:7]
	s_cbranch_execnz .LBB4_3460
.LBB4_1410:
	s_or_b64 exec, exec, s[6:7]
	s_and_saveexec_b64 s[6:7], s[4:5]
	s_cbranch_execz .LBB4_1412
.LBB4_1411:
	v_and_b32_e32 v12, 7, v6
	v_ffbh_u32_e32 v14, v12
	v_min_u32_e32 v14, 32, v14
	v_lshrrev_b16_e32 v13, 3, v6
	v_subrev_u32_e32 v15, 28, v14
	v_and_b32_e32 v13, 15, v13
	v_lshlrev_b32_e32 v15, v15, v6
	v_sub_u32_e32 v14, 29, v14
	v_and_b32_e32 v15, 7, v15
	v_cmp_eq_u16_e32 vcc, 0, v13
	v_cndmask_b32_e32 v12, v12, v15, vcc
	v_cndmask_b32_e32 v13, v13, v14, vcc
	v_lshlrev_b32_e32 v14, 24, v6
	v_mov_b32_e32 v15, 0x3b800000
	v_lshlrev_b32_e32 v12, 20, v12
	v_and_b32_e32 v14, 0x80000000, v14
	v_lshl_add_u32 v13, v13, 23, v15
	v_or3_b32 v12, v14, v13, v12
.LBB4_1412:
	s_or_b64 exec, exec, s[6:7]
	s_movk_i32 s4, 0x7f
	v_cmp_gt_i16_sdwa s[6:7], v2, s4 src0_sel:BYTE_0 src1_sel:DWORD
	s_mov_b64 s[4:5], 0
                                        ; implicit-def: $sgpr10
	s_and_saveexec_b64 s[8:9], s[6:7]
	s_xor_b64 s[6:7], exec, s[8:9]
	s_cbranch_execnz .LBB4_3461
; %bb.1413:
	s_or_saveexec_b64 s[6:7], s[6:7]
	v_mov_b32_e32 v13, s10
	s_xor_b64 exec, exec, s[6:7]
	s_cbranch_execnz .LBB4_3464
.LBB4_1414:
	s_or_b64 exec, exec, s[6:7]
	s_and_saveexec_b64 s[6:7], s[4:5]
	s_cbranch_execz .LBB4_1416
.LBB4_1415:
	v_and_b32_e32 v13, 7, v2
	v_ffbh_u32_e32 v15, v13
	v_min_u32_e32 v15, 32, v15
	v_lshrrev_b16_e32 v14, 3, v2
	v_subrev_u32_e32 v16, 28, v15
	v_and_b32_e32 v14, 15, v14
	v_lshlrev_b32_e32 v16, v16, v2
	v_sub_u32_e32 v15, 29, v15
	v_and_b32_e32 v16, 7, v16
	v_cmp_eq_u16_e32 vcc, 0, v14
	v_cndmask_b32_e32 v13, v13, v16, vcc
	v_cndmask_b32_e32 v14, v14, v15, vcc
	v_lshlrev_b32_e32 v15, 24, v2
	v_mov_b32_e32 v16, 0x3b800000
	v_lshlrev_b32_e32 v13, 20, v13
	v_and_b32_e32 v15, 0x80000000, v15
	v_lshl_add_u32 v14, v14, 23, v16
	v_or3_b32 v13, v15, v14, v13
.LBB4_1416:
	s_or_b64 exec, exec, s[6:7]
	flat_load_dwordx4 a[0:3], v[10:11] offset:176
	s_movk_i32 s4, 0x7f
                                        ; implicit-def: $sgpr10
	s_waitcnt vmcnt(0) lgkmcnt(0)
	v_mfma_f32_16x16x4f32 a[0:3], v12, v13, a[0:3]
	v_lshrrev_b32_e32 v13, 8, v6
	v_cmp_gt_i16_sdwa s[6:7], v13, s4 src0_sel:BYTE_0 src1_sel:DWORD
	s_mov_b64 s[4:5], 0
	s_and_saveexec_b64 s[8:9], s[6:7]
	s_xor_b64 s[6:7], exec, s[8:9]
	s_cbranch_execnz .LBB4_3465
; %bb.1417:
	s_or_saveexec_b64 s[6:7], s[6:7]
	v_mov_b32_e32 v12, s10
	s_xor_b64 exec, exec, s[6:7]
	s_cbranch_execnz .LBB4_3468
.LBB4_1418:
	s_or_b64 exec, exec, s[6:7]
	s_and_saveexec_b64 s[6:7], s[4:5]
	s_cbranch_execz .LBB4_1420
.LBB4_1419:
	v_bfe_u32 v12, v6, 8, 3
	v_ffbh_u32_e32 v15, v12
	v_min_u32_e32 v15, 32, v15
	v_lshrrev_b16_e32 v14, 3, v13
	v_subrev_u32_e32 v16, 28, v15
	v_and_b32_e32 v14, 15, v14
	v_lshlrev_b32_e32 v13, v16, v13
	v_sub_u32_e32 v15, 29, v15
	v_and_b32_e32 v13, 7, v13
	v_cmp_eq_u16_e32 vcc, 0, v14
	v_cndmask_b32_e32 v12, v12, v13, vcc
	v_cndmask_b32_e32 v13, v14, v15, vcc
	v_lshlrev_b32_e32 v14, 16, v6
	v_mov_b32_e32 v15, 0x3b800000
	v_lshlrev_b32_e32 v12, 20, v12
	v_and_b32_e32 v14, 0x80000000, v14
	v_lshl_add_u32 v13, v13, 23, v15
	v_or3_b32 v12, v14, v13, v12
.LBB4_1420:
	s_or_b64 exec, exec, s[6:7]
	v_lshrrev_b32_e32 v13, 8, v2
	s_movk_i32 s4, 0x7f
	v_cmp_gt_i16_sdwa s[6:7], v13, s4 src0_sel:BYTE_0 src1_sel:DWORD
	s_mov_b64 s[4:5], 0
                                        ; implicit-def: $sgpr10
	s_and_saveexec_b64 s[8:9], s[6:7]
	s_xor_b64 s[6:7], exec, s[8:9]
	s_cbranch_execnz .LBB4_3469
; %bb.1421:
	s_or_saveexec_b64 s[6:7], s[6:7]
	v_mov_b32_e32 v14, s10
	s_xor_b64 exec, exec, s[6:7]
	s_cbranch_execnz .LBB4_3472
.LBB4_1422:
	s_or_b64 exec, exec, s[6:7]
	s_and_saveexec_b64 s[6:7], s[4:5]
	s_cbranch_execz .LBB4_1424
.LBB4_1423:
	v_bfe_u32 v14, v2, 8, 3
	v_ffbh_u32_e32 v16, v14
	v_min_u32_e32 v16, 32, v16
	v_lshrrev_b16_e32 v15, 3, v13
	v_subrev_u32_e32 v17, 28, v16
	v_and_b32_e32 v15, 15, v15
	v_lshlrev_b32_e32 v13, v17, v13
	v_sub_u32_e32 v16, 29, v16
	v_and_b32_e32 v13, 7, v13
	v_cmp_eq_u16_e32 vcc, 0, v15
	v_cndmask_b32_e32 v13, v14, v13, vcc
	v_cndmask_b32_e32 v14, v15, v16, vcc
	v_lshlrev_b32_e32 v15, 16, v2
	v_mov_b32_e32 v16, 0x3b800000
	v_lshlrev_b32_e32 v13, 20, v13
	v_and_b32_e32 v15, 0x80000000, v15
	v_lshl_add_u32 v14, v14, 23, v16
	v_or3_b32 v14, v15, v14, v13
.LBB4_1424:
	s_or_b64 exec, exec, s[6:7]
	s_nop 0
	v_mfma_f32_16x16x4f32 a[0:3], v12, v14, a[0:3]
	s_movk_i32 s4, 0xff
	v_and_b32_sdwa v13, v6, s4 dst_sel:DWORD dst_unused:UNUSED_PAD src0_sel:WORD_1 src1_sel:DWORD
	s_movk_i32 s4, 0x7f
	v_cmp_lt_i16_e32 vcc, s4, v13
	s_mov_b64 s[4:5], 0
                                        ; implicit-def: $sgpr10
	s_and_saveexec_b64 s[6:7], vcc
	s_xor_b64 s[6:7], exec, s[6:7]
	s_cbranch_execnz .LBB4_3473
; %bb.1425:
	s_or_saveexec_b64 s[6:7], s[6:7]
	v_mov_b32_e32 v12, s10
	s_xor_b64 exec, exec, s[6:7]
	s_cbranch_execnz .LBB4_3476
.LBB4_1426:
	s_or_b64 exec, exec, s[6:7]
	s_and_saveexec_b64 s[6:7], s[4:5]
	s_cbranch_execz .LBB4_1428
.LBB4_1427:
	v_bfe_u32 v12, v6, 16, 3
	v_ffbh_u32_e32 v15, v12
	v_min_u32_e32 v15, 32, v15
	v_lshrrev_b32_e32 v13, 19, v6
	v_subrev_u32_e32 v16, 28, v15
	v_and_b32_e32 v13, 15, v13
	v_lshlrev_b32_sdwa v16, v16, v6 dst_sel:DWORD dst_unused:UNUSED_PAD src0_sel:DWORD src1_sel:WORD_1
	v_bfe_u32 v14, v6, 19, 4
	v_sub_u32_e32 v15, 29, v15
	v_and_b32_e32 v16, 7, v16
	v_cmp_eq_u16_e32 vcc, 0, v13
	v_cndmask_b32_e32 v12, v12, v16, vcc
	v_cndmask_b32_e32 v13, v14, v15, vcc
	v_lshlrev_b32_e32 v14, 8, v6
	v_mov_b32_e32 v15, 0x3b800000
	v_lshlrev_b32_e32 v12, 20, v12
	v_and_b32_e32 v14, 0x80000000, v14
	v_lshl_add_u32 v13, v13, 23, v15
	v_or3_b32 v12, v14, v13, v12
.LBB4_1428:
	s_or_b64 exec, exec, s[6:7]
	s_movk_i32 s4, 0xff
	v_and_b32_sdwa v13, v2, s4 dst_sel:DWORD dst_unused:UNUSED_PAD src0_sel:WORD_1 src1_sel:DWORD
	s_movk_i32 s4, 0x7f
	v_cmp_lt_i16_e32 vcc, s4, v13
	s_mov_b64 s[4:5], 0
                                        ; implicit-def: $sgpr10
	s_and_saveexec_b64 s[6:7], vcc
	s_xor_b64 s[6:7], exec, s[6:7]
	s_cbranch_execnz .LBB4_3477
; %bb.1429:
	s_or_saveexec_b64 s[6:7], s[6:7]
	v_mov_b32_e32 v14, s10
	s_xor_b64 exec, exec, s[6:7]
	s_cbranch_execnz .LBB4_3480
.LBB4_1430:
	s_or_b64 exec, exec, s[6:7]
	s_and_saveexec_b64 s[6:7], s[4:5]
	s_cbranch_execz .LBB4_1432
.LBB4_1431:
	v_bfe_u32 v13, v2, 16, 3
	v_ffbh_u32_e32 v16, v13
	v_min_u32_e32 v16, 32, v16
	v_lshrrev_b32_e32 v14, 19, v2
	v_subrev_u32_e32 v17, 28, v16
	v_and_b32_e32 v14, 15, v14
	v_lshlrev_b32_sdwa v17, v17, v2 dst_sel:DWORD dst_unused:UNUSED_PAD src0_sel:DWORD src1_sel:WORD_1
	v_bfe_u32 v15, v2, 19, 4
	v_sub_u32_e32 v16, 29, v16
	v_and_b32_e32 v17, 7, v17
	v_cmp_eq_u16_e32 vcc, 0, v14
	v_cndmask_b32_e32 v13, v13, v17, vcc
	v_cndmask_b32_e32 v14, v15, v16, vcc
	v_lshlrev_b32_e32 v15, 8, v2
	v_mov_b32_e32 v16, 0x3b800000
	v_lshlrev_b32_e32 v13, 20, v13
	v_and_b32_e32 v15, 0x80000000, v15
	v_lshl_add_u32 v14, v14, 23, v16
	v_or3_b32 v14, v15, v14, v13
.LBB4_1432:
	s_or_b64 exec, exec, s[6:7]
	s_nop 0
	v_mfma_f32_16x16x4f32 a[0:3], v12, v14, a[0:3]
	s_movk_i32 s4, 0x7f
	v_cmp_gt_i16_sdwa s[6:7], v6, s4 src0_sel:BYTE_3 src1_sel:DWORD
	s_mov_b64 s[4:5], 0
                                        ; implicit-def: $sgpr10
	s_and_saveexec_b64 s[8:9], s[6:7]
	s_xor_b64 s[6:7], exec, s[8:9]
	s_cbranch_execnz .LBB4_3481
; %bb.1433:
	s_or_saveexec_b64 s[6:7], s[6:7]
	v_mov_b32_e32 v12, s10
	s_xor_b64 exec, exec, s[6:7]
	s_cbranch_execnz .LBB4_3484
.LBB4_1434:
	s_or_b64 exec, exec, s[6:7]
	s_and_saveexec_b64 s[6:7], s[4:5]
	s_cbranch_execz .LBB4_1436
.LBB4_1435:
	v_bfe_u32 v12, v6, 24, 3
	v_ffbh_u32_e32 v16, v12
	v_min_u32_e32 v16, 32, v16
	v_lshrrev_b32_e32 v14, 27, v6
	v_subrev_u32_e32 v17, 28, v16
	v_and_b32_e32 v13, 0x80000000, v6
	v_and_b32_e32 v14, 15, v14
	v_bfe_u32 v15, v6, 27, 4
	v_lshlrev_b32_sdwa v6, v17, v6 dst_sel:DWORD dst_unused:UNUSED_PAD src0_sel:DWORD src1_sel:BYTE_3
	v_sub_u32_e32 v16, 29, v16
	v_and_b32_e32 v6, 7, v6
	v_cmp_eq_u16_e32 vcc, 0, v14
	v_cndmask_b32_e32 v6, v12, v6, vcc
	v_cndmask_b32_e32 v12, v15, v16, vcc
	v_mov_b32_e32 v14, 0x3b800000
	v_lshlrev_b32_e32 v6, 20, v6
	v_lshl_add_u32 v12, v12, 23, v14
	v_or3_b32 v12, v13, v12, v6
.LBB4_1436:
	s_or_b64 exec, exec, s[6:7]
	s_movk_i32 s4, 0x7f
	v_cmp_gt_i16_sdwa s[6:7], v2, s4 src0_sel:BYTE_3 src1_sel:DWORD
	s_mov_b64 s[4:5], 0
                                        ; implicit-def: $sgpr10
	s_and_saveexec_b64 s[8:9], s[6:7]
	s_xor_b64 s[6:7], exec, s[8:9]
	s_cbranch_execnz .LBB4_3485
; %bb.1437:
	s_or_saveexec_b64 s[6:7], s[6:7]
	v_mov_b32_e32 v6, s10
	s_xor_b64 exec, exec, s[6:7]
	s_cbranch_execnz .LBB4_3488
.LBB4_1438:
	s_or_b64 exec, exec, s[6:7]
	s_and_saveexec_b64 s[6:7], s[4:5]
	s_cbranch_execz .LBB4_1440
.LBB4_1439:
	v_bfe_u32 v6, v2, 24, 3
	v_ffbh_u32_e32 v16, v6
	v_min_u32_e32 v16, 32, v16
	v_lshrrev_b32_e32 v14, 27, v2
	v_subrev_u32_e32 v17, 28, v16
	v_and_b32_e32 v13, 0x80000000, v2
	v_and_b32_e32 v14, 15, v14
	v_bfe_u32 v15, v2, 27, 4
	v_lshlrev_b32_sdwa v2, v17, v2 dst_sel:DWORD dst_unused:UNUSED_PAD src0_sel:DWORD src1_sel:BYTE_3
	v_sub_u32_e32 v16, 29, v16
	v_and_b32_e32 v2, 7, v2
	v_cmp_eq_u16_e32 vcc, 0, v14
	v_cndmask_b32_e32 v2, v6, v2, vcc
	v_cndmask_b32_e32 v6, v15, v16, vcc
	v_mov_b32_e32 v14, 0x3b800000
	v_lshlrev_b32_e32 v2, 20, v2
	v_lshl_add_u32 v6, v6, 23, v14
	v_or3_b32 v6, v13, v6, v2
.LBB4_1440:
	s_or_b64 exec, exec, s[6:7]
	s_nop 0
	v_mfma_f32_16x16x4f32 a[0:3], v12, v6, a[0:3]
	s_movk_i32 s4, 0x7f
	v_cmp_gt_i16_sdwa s[6:7], v7, s4 src0_sel:BYTE_0 src1_sel:DWORD
	s_mov_b64 s[4:5], 0
                                        ; implicit-def: $sgpr10
	s_and_saveexec_b64 s[8:9], s[6:7]
	s_xor_b64 s[6:7], exec, s[8:9]
	s_cbranch_execnz .LBB4_3489
; %bb.1441:
	s_or_saveexec_b64 s[6:7], s[6:7]
	v_mov_b32_e32 v2, s10
	s_xor_b64 exec, exec, s[6:7]
	s_cbranch_execnz .LBB4_3492
.LBB4_1442:
	s_or_b64 exec, exec, s[6:7]
	s_and_saveexec_b64 s[6:7], s[4:5]
	s_cbranch_execz .LBB4_1444
.LBB4_1443:
	v_and_b32_e32 v2, 7, v7
	v_ffbh_u32_e32 v12, v2
	v_min_u32_e32 v12, 32, v12
	v_lshrrev_b16_e32 v6, 3, v7
	v_subrev_u32_e32 v13, 28, v12
	v_and_b32_e32 v6, 15, v6
	v_lshlrev_b32_e32 v13, v13, v7
	v_sub_u32_e32 v12, 29, v12
	v_and_b32_e32 v13, 7, v13
	v_cmp_eq_u16_e32 vcc, 0, v6
	v_cndmask_b32_e32 v2, v2, v13, vcc
	v_cndmask_b32_e32 v6, v6, v12, vcc
	v_lshlrev_b32_e32 v12, 24, v7
	v_mov_b32_e32 v13, 0x3b800000
	v_lshlrev_b32_e32 v2, 20, v2
	v_and_b32_e32 v12, 0x80000000, v12
	v_lshl_add_u32 v6, v6, 23, v13
	v_or3_b32 v2, v12, v6, v2
.LBB4_1444:
	s_or_b64 exec, exec, s[6:7]
	s_movk_i32 s4, 0x7f
	v_cmp_gt_i16_sdwa s[6:7], v3, s4 src0_sel:BYTE_0 src1_sel:DWORD
	s_mov_b64 s[4:5], 0
                                        ; implicit-def: $sgpr10
	s_and_saveexec_b64 s[8:9], s[6:7]
	s_xor_b64 s[6:7], exec, s[8:9]
	s_cbranch_execnz .LBB4_3493
; %bb.1445:
	s_or_saveexec_b64 s[6:7], s[6:7]
	v_mov_b32_e32 v6, s10
	s_xor_b64 exec, exec, s[6:7]
	s_cbranch_execnz .LBB4_3496
.LBB4_1446:
	s_or_b64 exec, exec, s[6:7]
	s_and_saveexec_b64 s[6:7], s[4:5]
	s_cbranch_execz .LBB4_1448
.LBB4_1447:
	v_and_b32_e32 v6, 7, v3
	v_ffbh_u32_e32 v13, v6
	v_min_u32_e32 v13, 32, v13
	v_lshrrev_b16_e32 v12, 3, v3
	v_subrev_u32_e32 v14, 28, v13
	v_and_b32_e32 v12, 15, v12
	v_lshlrev_b32_e32 v14, v14, v3
	v_sub_u32_e32 v13, 29, v13
	v_and_b32_e32 v14, 7, v14
	v_cmp_eq_u16_e32 vcc, 0, v12
	v_cndmask_b32_e32 v6, v6, v14, vcc
	v_cndmask_b32_e32 v12, v12, v13, vcc
	v_lshlrev_b32_e32 v13, 24, v3
	v_mov_b32_e32 v14, 0x3b800000
	v_lshlrev_b32_e32 v6, 20, v6
	v_and_b32_e32 v13, 0x80000000, v13
	v_lshl_add_u32 v12, v12, 23, v14
	v_or3_b32 v6, v13, v12, v6
.LBB4_1448:
	s_or_b64 exec, exec, s[6:7]
	s_nop 0
	v_mfma_f32_16x16x4f32 a[0:3], v2, v6, a[0:3]
	v_lshrrev_b32_e32 v6, 8, v7
	s_movk_i32 s4, 0x7f
	v_cmp_gt_i16_sdwa s[6:7], v6, s4 src0_sel:BYTE_0 src1_sel:DWORD
	s_mov_b64 s[4:5], 0
                                        ; implicit-def: $sgpr10
	s_and_saveexec_b64 s[8:9], s[6:7]
	s_xor_b64 s[6:7], exec, s[8:9]
	s_cbranch_execnz .LBB4_3497
; %bb.1449:
	s_or_saveexec_b64 s[6:7], s[6:7]
	v_mov_b32_e32 v2, s10
	s_xor_b64 exec, exec, s[6:7]
	s_cbranch_execnz .LBB4_3500
.LBB4_1450:
	s_or_b64 exec, exec, s[6:7]
	s_and_saveexec_b64 s[6:7], s[4:5]
	s_cbranch_execz .LBB4_1452
.LBB4_1451:
	v_bfe_u32 v2, v7, 8, 3
	v_ffbh_u32_e32 v13, v2
	v_min_u32_e32 v13, 32, v13
	v_lshrrev_b16_e32 v12, 3, v6
	v_subrev_u32_e32 v14, 28, v13
	v_and_b32_e32 v12, 15, v12
	v_lshlrev_b32_e32 v6, v14, v6
	v_sub_u32_e32 v13, 29, v13
	v_and_b32_e32 v6, 7, v6
	v_cmp_eq_u16_e32 vcc, 0, v12
	v_cndmask_b32_e32 v2, v2, v6, vcc
	v_cndmask_b32_e32 v6, v12, v13, vcc
	v_lshlrev_b32_e32 v12, 16, v7
	v_mov_b32_e32 v13, 0x3b800000
	v_lshlrev_b32_e32 v2, 20, v2
	v_and_b32_e32 v12, 0x80000000, v12
	v_lshl_add_u32 v6, v6, 23, v13
	v_or3_b32 v2, v12, v6, v2
.LBB4_1452:
	s_or_b64 exec, exec, s[6:7]
	v_lshrrev_b32_e32 v6, 8, v3
	s_movk_i32 s4, 0x7f
	v_cmp_gt_i16_sdwa s[6:7], v6, s4 src0_sel:BYTE_0 src1_sel:DWORD
	s_mov_b64 s[4:5], 0
                                        ; implicit-def: $sgpr10
	s_and_saveexec_b64 s[8:9], s[6:7]
	s_xor_b64 s[6:7], exec, s[8:9]
	s_cbranch_execnz .LBB4_3501
; %bb.1453:
	s_or_saveexec_b64 s[6:7], s[6:7]
	v_mov_b32_e32 v12, s10
	s_xor_b64 exec, exec, s[6:7]
	s_cbranch_execnz .LBB4_3504
.LBB4_1454:
	s_or_b64 exec, exec, s[6:7]
	s_and_saveexec_b64 s[6:7], s[4:5]
	s_cbranch_execz .LBB4_1456
.LBB4_1455:
	v_bfe_u32 v12, v3, 8, 3
	v_ffbh_u32_e32 v14, v12
	v_min_u32_e32 v14, 32, v14
	v_lshrrev_b16_e32 v13, 3, v6
	v_subrev_u32_e32 v15, 28, v14
	v_and_b32_e32 v13, 15, v13
	v_lshlrev_b32_e32 v6, v15, v6
	v_sub_u32_e32 v14, 29, v14
	v_and_b32_e32 v6, 7, v6
	v_cmp_eq_u16_e32 vcc, 0, v13
	v_cndmask_b32_e32 v6, v12, v6, vcc
	v_cndmask_b32_e32 v12, v13, v14, vcc
	v_lshlrev_b32_e32 v13, 16, v3
	v_mov_b32_e32 v14, 0x3b800000
	v_lshlrev_b32_e32 v6, 20, v6
	v_and_b32_e32 v13, 0x80000000, v13
	v_lshl_add_u32 v12, v12, 23, v14
	v_or3_b32 v12, v13, v12, v6
.LBB4_1456:
	s_or_b64 exec, exec, s[6:7]
	s_nop 0
	v_mfma_f32_16x16x4f32 a[0:3], v2, v12, a[0:3]
	s_movk_i32 s4, 0xff
	v_and_b32_sdwa v6, v7, s4 dst_sel:DWORD dst_unused:UNUSED_PAD src0_sel:WORD_1 src1_sel:DWORD
	s_movk_i32 s4, 0x7f
	v_cmp_lt_i16_e32 vcc, s4, v6
	s_mov_b64 s[4:5], 0
                                        ; implicit-def: $sgpr10
	s_and_saveexec_b64 s[6:7], vcc
	s_xor_b64 s[6:7], exec, s[6:7]
	s_cbranch_execnz .LBB4_3505
; %bb.1457:
	s_or_saveexec_b64 s[6:7], s[6:7]
	v_mov_b32_e32 v2, s10
	s_xor_b64 exec, exec, s[6:7]
	s_cbranch_execnz .LBB4_3508
.LBB4_1458:
	s_or_b64 exec, exec, s[6:7]
	s_and_saveexec_b64 s[6:7], s[4:5]
	s_cbranch_execz .LBB4_1460
.LBB4_1459:
	v_bfe_u32 v2, v7, 16, 3
	v_ffbh_u32_e32 v13, v2
	v_min_u32_e32 v13, 32, v13
	v_lshrrev_b32_e32 v6, 19, v7
	v_subrev_u32_e32 v14, 28, v13
	v_and_b32_e32 v6, 15, v6
	v_lshlrev_b32_sdwa v14, v14, v7 dst_sel:DWORD dst_unused:UNUSED_PAD src0_sel:DWORD src1_sel:WORD_1
	v_bfe_u32 v12, v7, 19, 4
	v_sub_u32_e32 v13, 29, v13
	v_and_b32_e32 v14, 7, v14
	v_cmp_eq_u16_e32 vcc, 0, v6
	v_cndmask_b32_e32 v2, v2, v14, vcc
	v_cndmask_b32_e32 v6, v12, v13, vcc
	v_lshlrev_b32_e32 v12, 8, v7
	v_mov_b32_e32 v13, 0x3b800000
	v_lshlrev_b32_e32 v2, 20, v2
	v_and_b32_e32 v12, 0x80000000, v12
	v_lshl_add_u32 v6, v6, 23, v13
	v_or3_b32 v2, v12, v6, v2
.LBB4_1460:
	s_or_b64 exec, exec, s[6:7]
	s_movk_i32 s4, 0xff
	v_and_b32_sdwa v6, v3, s4 dst_sel:DWORD dst_unused:UNUSED_PAD src0_sel:WORD_1 src1_sel:DWORD
	s_movk_i32 s4, 0x7f
	v_cmp_lt_i16_e32 vcc, s4, v6
	s_mov_b64 s[4:5], 0
                                        ; implicit-def: $sgpr10
	s_and_saveexec_b64 s[6:7], vcc
	s_xor_b64 s[6:7], exec, s[6:7]
	s_cbranch_execnz .LBB4_3509
; %bb.1461:
	s_or_saveexec_b64 s[6:7], s[6:7]
	v_mov_b32_e32 v12, s10
	s_xor_b64 exec, exec, s[6:7]
	s_cbranch_execnz .LBB4_3512
.LBB4_1462:
	s_or_b64 exec, exec, s[6:7]
	s_and_saveexec_b64 s[6:7], s[4:5]
	s_cbranch_execz .LBB4_1464
.LBB4_1463:
	v_bfe_u32 v6, v3, 16, 3
	v_ffbh_u32_e32 v14, v6
	v_min_u32_e32 v14, 32, v14
	v_lshrrev_b32_e32 v12, 19, v3
	v_subrev_u32_e32 v15, 28, v14
	v_and_b32_e32 v12, 15, v12
	v_lshlrev_b32_sdwa v15, v15, v3 dst_sel:DWORD dst_unused:UNUSED_PAD src0_sel:DWORD src1_sel:WORD_1
	v_bfe_u32 v13, v3, 19, 4
	v_sub_u32_e32 v14, 29, v14
	v_and_b32_e32 v15, 7, v15
	v_cmp_eq_u16_e32 vcc, 0, v12
	v_cndmask_b32_e32 v6, v6, v15, vcc
	v_cndmask_b32_e32 v12, v13, v14, vcc
	v_lshlrev_b32_e32 v13, 8, v3
	v_mov_b32_e32 v14, 0x3b800000
	v_lshlrev_b32_e32 v6, 20, v6
	v_and_b32_e32 v13, 0x80000000, v13
	v_lshl_add_u32 v12, v12, 23, v14
	v_or3_b32 v12, v13, v12, v6
.LBB4_1464:
	s_or_b64 exec, exec, s[6:7]
	s_nop 0
	v_mfma_f32_16x16x4f32 a[0:3], v2, v12, a[0:3]
	s_movk_i32 s4, 0x7f
	v_cmp_gt_i16_sdwa s[6:7], v7, s4 src0_sel:BYTE_3 src1_sel:DWORD
	s_mov_b64 s[4:5], 0
                                        ; implicit-def: $sgpr10
	s_and_saveexec_b64 s[8:9], s[6:7]
	s_xor_b64 s[6:7], exec, s[8:9]
	s_cbranch_execnz .LBB4_3513
; %bb.1465:
	s_or_saveexec_b64 s[6:7], s[6:7]
	v_mov_b32_e32 v2, s10
	s_xor_b64 exec, exec, s[6:7]
	s_cbranch_execnz .LBB4_3516
.LBB4_1466:
	s_or_b64 exec, exec, s[6:7]
	s_and_saveexec_b64 s[6:7], s[4:5]
	s_cbranch_execz .LBB4_1468
.LBB4_1467:
	v_bfe_u32 v2, v7, 24, 3
	v_ffbh_u32_e32 v14, v2
	v_min_u32_e32 v14, 32, v14
	v_lshrrev_b32_e32 v12, 27, v7
	v_subrev_u32_e32 v15, 28, v14
	v_and_b32_e32 v6, 0x80000000, v7
	v_and_b32_e32 v12, 15, v12
	v_bfe_u32 v13, v7, 27, 4
	v_lshlrev_b32_sdwa v7, v15, v7 dst_sel:DWORD dst_unused:UNUSED_PAD src0_sel:DWORD src1_sel:BYTE_3
	v_sub_u32_e32 v14, 29, v14
	v_and_b32_e32 v7, 7, v7
	v_cmp_eq_u16_e32 vcc, 0, v12
	v_cndmask_b32_e32 v2, v2, v7, vcc
	v_cndmask_b32_e32 v7, v13, v14, vcc
	v_mov_b32_e32 v12, 0x3b800000
	v_lshlrev_b32_e32 v2, 20, v2
	v_lshl_add_u32 v7, v7, 23, v12
	v_or3_b32 v2, v6, v7, v2
.LBB4_1468:
	s_or_b64 exec, exec, s[6:7]
	s_movk_i32 s4, 0x7f
	v_cmp_gt_i16_sdwa s[6:7], v3, s4 src0_sel:BYTE_3 src1_sel:DWORD
	s_mov_b64 s[4:5], 0
                                        ; implicit-def: $sgpr10
	s_and_saveexec_b64 s[8:9], s[6:7]
	s_xor_b64 s[6:7], exec, s[8:9]
	s_cbranch_execnz .LBB4_3517
; %bb.1469:
	s_or_saveexec_b64 s[6:7], s[6:7]
	v_mov_b32_e32 v6, s10
	s_xor_b64 exec, exec, s[6:7]
	s_cbranch_execnz .LBB4_3520
.LBB4_1470:
	s_or_b64 exec, exec, s[6:7]
	s_and_saveexec_b64 s[6:7], s[4:5]
	s_cbranch_execz .LBB4_1472
.LBB4_1471:
	v_bfe_u32 v6, v3, 24, 3
	v_ffbh_u32_e32 v14, v6
	v_min_u32_e32 v14, 32, v14
	v_lshrrev_b32_e32 v12, 27, v3
	v_subrev_u32_e32 v15, 28, v14
	v_and_b32_e32 v7, 0x80000000, v3
	v_and_b32_e32 v12, 15, v12
	v_bfe_u32 v13, v3, 27, 4
	v_lshlrev_b32_sdwa v3, v15, v3 dst_sel:DWORD dst_unused:UNUSED_PAD src0_sel:DWORD src1_sel:BYTE_3
	v_sub_u32_e32 v14, 29, v14
	v_and_b32_e32 v3, 7, v3
	v_cmp_eq_u16_e32 vcc, 0, v12
	v_cndmask_b32_e32 v3, v6, v3, vcc
	v_cndmask_b32_e32 v6, v13, v14, vcc
	v_mov_b32_e32 v12, 0x3b800000
	v_lshlrev_b32_e32 v3, 20, v3
	v_lshl_add_u32 v6, v6, 23, v12
	v_or3_b32 v6, v7, v6, v3
.LBB4_1472:
	s_or_b64 exec, exec, s[6:7]
	s_nop 0
	v_mfma_f32_16x16x4f32 a[0:3], v2, v6, a[0:3]
	s_movk_i32 s4, 0x7f
	v_cmp_gt_i16_sdwa s[6:7], v8, s4 src0_sel:BYTE_0 src1_sel:DWORD
	s_mov_b64 s[4:5], 0
                                        ; implicit-def: $sgpr10
	s_and_saveexec_b64 s[8:9], s[6:7]
	s_xor_b64 s[6:7], exec, s[8:9]
	s_cbranch_execnz .LBB4_3521
; %bb.1473:
	s_or_saveexec_b64 s[6:7], s[6:7]
	v_mov_b32_e32 v2, s10
	s_xor_b64 exec, exec, s[6:7]
	s_cbranch_execnz .LBB4_3524
.LBB4_1474:
	s_or_b64 exec, exec, s[6:7]
	s_and_saveexec_b64 s[6:7], s[4:5]
	s_cbranch_execz .LBB4_1476
.LBB4_1475:
	v_and_b32_e32 v2, 7, v8
	v_ffbh_u32_e32 v6, v2
	v_min_u32_e32 v6, 32, v6
	v_lshrrev_b16_e32 v3, 3, v8
	v_subrev_u32_e32 v7, 28, v6
	v_and_b32_e32 v3, 15, v3
	v_lshlrev_b32_e32 v7, v7, v8
	v_sub_u32_e32 v6, 29, v6
	v_and_b32_e32 v7, 7, v7
	v_cmp_eq_u16_e32 vcc, 0, v3
	v_cndmask_b32_e32 v2, v2, v7, vcc
	v_cndmask_b32_e32 v3, v3, v6, vcc
	v_lshlrev_b32_e32 v6, 24, v8
	v_mov_b32_e32 v7, 0x3b800000
	v_lshlrev_b32_e32 v2, 20, v2
	v_and_b32_e32 v6, 0x80000000, v6
	v_lshl_add_u32 v3, v3, 23, v7
	v_or3_b32 v2, v6, v3, v2
.LBB4_1476:
	s_or_b64 exec, exec, s[6:7]
	s_movk_i32 s4, 0x7f
	v_cmp_gt_i16_sdwa s[6:7], v4, s4 src0_sel:BYTE_0 src1_sel:DWORD
	s_mov_b64 s[4:5], 0
                                        ; implicit-def: $sgpr10
	s_and_saveexec_b64 s[8:9], s[6:7]
	s_xor_b64 s[6:7], exec, s[8:9]
	s_cbranch_execnz .LBB4_3525
; %bb.1477:
	s_or_saveexec_b64 s[6:7], s[6:7]
	v_mov_b32_e32 v3, s10
	s_xor_b64 exec, exec, s[6:7]
	s_cbranch_execnz .LBB4_3528
.LBB4_1478:
	s_or_b64 exec, exec, s[6:7]
	s_and_saveexec_b64 s[6:7], s[4:5]
	s_cbranch_execz .LBB4_1480
.LBB4_1479:
	v_and_b32_e32 v3, 7, v4
	v_ffbh_u32_e32 v7, v3
	v_min_u32_e32 v7, 32, v7
	v_lshrrev_b16_e32 v6, 3, v4
	v_subrev_u32_e32 v12, 28, v7
	v_and_b32_e32 v6, 15, v6
	v_lshlrev_b32_e32 v12, v12, v4
	v_sub_u32_e32 v7, 29, v7
	v_and_b32_e32 v12, 7, v12
	v_cmp_eq_u16_e32 vcc, 0, v6
	v_cndmask_b32_e32 v3, v3, v12, vcc
	v_cndmask_b32_e32 v6, v6, v7, vcc
	v_lshlrev_b32_e32 v7, 24, v4
	v_mov_b32_e32 v12, 0x3b800000
	v_lshlrev_b32_e32 v3, 20, v3
	v_and_b32_e32 v7, 0x80000000, v7
	v_lshl_add_u32 v6, v6, 23, v12
	v_or3_b32 v3, v7, v6, v3
.LBB4_1480:
	s_or_b64 exec, exec, s[6:7]
	s_nop 0
	v_mfma_f32_16x16x4f32 a[0:3], v2, v3, a[0:3]
	v_lshrrev_b32_e32 v3, 8, v8
	s_movk_i32 s4, 0x7f
	v_cmp_gt_i16_sdwa s[6:7], v3, s4 src0_sel:BYTE_0 src1_sel:DWORD
	s_mov_b64 s[4:5], 0
                                        ; implicit-def: $sgpr10
	s_and_saveexec_b64 s[8:9], s[6:7]
	s_xor_b64 s[6:7], exec, s[8:9]
	s_cbranch_execnz .LBB4_3529
; %bb.1481:
	s_or_saveexec_b64 s[6:7], s[6:7]
	v_mov_b32_e32 v2, s10
	s_xor_b64 exec, exec, s[6:7]
	s_cbranch_execnz .LBB4_3532
.LBB4_1482:
	s_or_b64 exec, exec, s[6:7]
	s_and_saveexec_b64 s[6:7], s[4:5]
	s_cbranch_execz .LBB4_1484
.LBB4_1483:
	v_bfe_u32 v2, v8, 8, 3
	v_ffbh_u32_e32 v7, v2
	v_min_u32_e32 v7, 32, v7
	v_lshrrev_b16_e32 v6, 3, v3
	v_subrev_u32_e32 v12, 28, v7
	v_and_b32_e32 v6, 15, v6
	v_lshlrev_b32_e32 v3, v12, v3
	v_sub_u32_e32 v7, 29, v7
	v_and_b32_e32 v3, 7, v3
	v_cmp_eq_u16_e32 vcc, 0, v6
	v_cndmask_b32_e32 v2, v2, v3, vcc
	v_cndmask_b32_e32 v3, v6, v7, vcc
	v_lshlrev_b32_e32 v6, 16, v8
	v_mov_b32_e32 v7, 0x3b800000
	v_lshlrev_b32_e32 v2, 20, v2
	v_and_b32_e32 v6, 0x80000000, v6
	v_lshl_add_u32 v3, v3, 23, v7
	v_or3_b32 v2, v6, v3, v2
.LBB4_1484:
	s_or_b64 exec, exec, s[6:7]
	v_lshrrev_b32_e32 v3, 8, v4
	s_movk_i32 s4, 0x7f
	v_cmp_gt_i16_sdwa s[6:7], v3, s4 src0_sel:BYTE_0 src1_sel:DWORD
	s_mov_b64 s[4:5], 0
                                        ; implicit-def: $sgpr10
	s_and_saveexec_b64 s[8:9], s[6:7]
	s_xor_b64 s[6:7], exec, s[8:9]
	s_cbranch_execnz .LBB4_3533
; %bb.1485:
	s_or_saveexec_b64 s[6:7], s[6:7]
	v_mov_b32_e32 v6, s10
	s_xor_b64 exec, exec, s[6:7]
	s_cbranch_execnz .LBB4_3536
.LBB4_1486:
	s_or_b64 exec, exec, s[6:7]
	s_and_saveexec_b64 s[6:7], s[4:5]
	s_cbranch_execz .LBB4_1488
.LBB4_1487:
	v_bfe_u32 v6, v4, 8, 3
	v_ffbh_u32_e32 v12, v6
	v_min_u32_e32 v12, 32, v12
	v_lshrrev_b16_e32 v7, 3, v3
	v_subrev_u32_e32 v13, 28, v12
	v_and_b32_e32 v7, 15, v7
	v_lshlrev_b32_e32 v3, v13, v3
	v_sub_u32_e32 v12, 29, v12
	v_and_b32_e32 v3, 7, v3
	v_cmp_eq_u16_e32 vcc, 0, v7
	v_cndmask_b32_e32 v3, v6, v3, vcc
	v_cndmask_b32_e32 v6, v7, v12, vcc
	v_lshlrev_b32_e32 v7, 16, v4
	v_mov_b32_e32 v12, 0x3b800000
	v_lshlrev_b32_e32 v3, 20, v3
	v_and_b32_e32 v7, 0x80000000, v7
	v_lshl_add_u32 v6, v6, 23, v12
	v_or3_b32 v6, v7, v6, v3
.LBB4_1488:
	s_or_b64 exec, exec, s[6:7]
	s_nop 0
	v_mfma_f32_16x16x4f32 a[0:3], v2, v6, a[0:3]
	s_movk_i32 s4, 0xff
	v_and_b32_sdwa v3, v8, s4 dst_sel:DWORD dst_unused:UNUSED_PAD src0_sel:WORD_1 src1_sel:DWORD
	s_movk_i32 s4, 0x7f
	v_cmp_lt_i16_e32 vcc, s4, v3
	s_mov_b64 s[4:5], 0
                                        ; implicit-def: $sgpr10
	s_and_saveexec_b64 s[6:7], vcc
	s_xor_b64 s[6:7], exec, s[6:7]
	s_cbranch_execnz .LBB4_3537
; %bb.1489:
	s_or_saveexec_b64 s[6:7], s[6:7]
	v_mov_b32_e32 v2, s10
	s_xor_b64 exec, exec, s[6:7]
	s_cbranch_execnz .LBB4_3540
.LBB4_1490:
	s_or_b64 exec, exec, s[6:7]
	s_and_saveexec_b64 s[6:7], s[4:5]
	s_cbranch_execz .LBB4_1492
.LBB4_1491:
	v_bfe_u32 v2, v8, 16, 3
	v_ffbh_u32_e32 v7, v2
	v_min_u32_e32 v7, 32, v7
	v_lshrrev_b32_e32 v3, 19, v8
	v_subrev_u32_e32 v12, 28, v7
	v_and_b32_e32 v3, 15, v3
	v_lshlrev_b32_sdwa v12, v12, v8 dst_sel:DWORD dst_unused:UNUSED_PAD src0_sel:DWORD src1_sel:WORD_1
	v_bfe_u32 v6, v8, 19, 4
	v_sub_u32_e32 v7, 29, v7
	v_and_b32_e32 v12, 7, v12
	v_cmp_eq_u16_e32 vcc, 0, v3
	v_cndmask_b32_e32 v2, v2, v12, vcc
	v_cndmask_b32_e32 v3, v6, v7, vcc
	v_lshlrev_b32_e32 v6, 8, v8
	v_mov_b32_e32 v7, 0x3b800000
	v_lshlrev_b32_e32 v2, 20, v2
	v_and_b32_e32 v6, 0x80000000, v6
	v_lshl_add_u32 v3, v3, 23, v7
	v_or3_b32 v2, v6, v3, v2
.LBB4_1492:
	s_or_b64 exec, exec, s[6:7]
	s_movk_i32 s4, 0xff
	v_and_b32_sdwa v3, v4, s4 dst_sel:DWORD dst_unused:UNUSED_PAD src0_sel:WORD_1 src1_sel:DWORD
	s_movk_i32 s4, 0x7f
	v_cmp_lt_i16_e32 vcc, s4, v3
	s_mov_b64 s[4:5], 0
                                        ; implicit-def: $sgpr10
	s_and_saveexec_b64 s[6:7], vcc
	s_xor_b64 s[6:7], exec, s[6:7]
	s_cbranch_execnz .LBB4_3541
; %bb.1493:
	s_or_saveexec_b64 s[6:7], s[6:7]
	v_mov_b32_e32 v6, s10
	s_xor_b64 exec, exec, s[6:7]
	s_cbranch_execnz .LBB4_3544
.LBB4_1494:
	s_or_b64 exec, exec, s[6:7]
	s_and_saveexec_b64 s[6:7], s[4:5]
	s_cbranch_execz .LBB4_1496
.LBB4_1495:
	v_bfe_u32 v3, v4, 16, 3
	v_ffbh_u32_e32 v12, v3
	v_min_u32_e32 v12, 32, v12
	v_lshrrev_b32_e32 v6, 19, v4
	v_subrev_u32_e32 v13, 28, v12
	v_and_b32_e32 v6, 15, v6
	v_lshlrev_b32_sdwa v13, v13, v4 dst_sel:DWORD dst_unused:UNUSED_PAD src0_sel:DWORD src1_sel:WORD_1
	v_bfe_u32 v7, v4, 19, 4
	v_sub_u32_e32 v12, 29, v12
	v_and_b32_e32 v13, 7, v13
	v_cmp_eq_u16_e32 vcc, 0, v6
	v_cndmask_b32_e32 v3, v3, v13, vcc
	v_cndmask_b32_e32 v6, v7, v12, vcc
	v_lshlrev_b32_e32 v7, 8, v4
	v_mov_b32_e32 v12, 0x3b800000
	v_lshlrev_b32_e32 v3, 20, v3
	v_and_b32_e32 v7, 0x80000000, v7
	v_lshl_add_u32 v6, v6, 23, v12
	v_or3_b32 v6, v7, v6, v3
.LBB4_1496:
	s_or_b64 exec, exec, s[6:7]
	s_nop 0
	v_mfma_f32_16x16x4f32 a[0:3], v2, v6, a[0:3]
	s_movk_i32 s4, 0x7f
	v_cmp_gt_i16_sdwa s[6:7], v8, s4 src0_sel:BYTE_3 src1_sel:DWORD
	s_mov_b64 s[4:5], 0
                                        ; implicit-def: $sgpr10
	s_and_saveexec_b64 s[8:9], s[6:7]
	s_xor_b64 s[6:7], exec, s[8:9]
	s_cbranch_execnz .LBB4_3545
; %bb.1497:
	s_or_saveexec_b64 s[6:7], s[6:7]
	v_mov_b32_e32 v2, s10
	s_xor_b64 exec, exec, s[6:7]
	s_cbranch_execnz .LBB4_3548
.LBB4_1498:
	s_or_b64 exec, exec, s[6:7]
	s_and_saveexec_b64 s[6:7], s[4:5]
	s_cbranch_execz .LBB4_1500
.LBB4_1499:
	v_bfe_u32 v2, v8, 24, 3
	v_ffbh_u32_e32 v12, v2
	v_min_u32_e32 v12, 32, v12
	v_lshrrev_b32_e32 v6, 27, v8
	v_subrev_u32_e32 v13, 28, v12
	v_and_b32_e32 v3, 0x80000000, v8
	v_and_b32_e32 v6, 15, v6
	v_bfe_u32 v7, v8, 27, 4
	v_lshlrev_b32_sdwa v8, v13, v8 dst_sel:DWORD dst_unused:UNUSED_PAD src0_sel:DWORD src1_sel:BYTE_3
	v_sub_u32_e32 v12, 29, v12
	v_and_b32_e32 v8, 7, v8
	v_cmp_eq_u16_e32 vcc, 0, v6
	v_cndmask_b32_e32 v2, v2, v8, vcc
	v_cndmask_b32_e32 v6, v7, v12, vcc
	v_mov_b32_e32 v7, 0x3b800000
	v_lshlrev_b32_e32 v2, 20, v2
	v_lshl_add_u32 v6, v6, 23, v7
	v_or3_b32 v2, v3, v6, v2
.LBB4_1500:
	s_or_b64 exec, exec, s[6:7]
	s_movk_i32 s4, 0x7f
	v_cmp_gt_i16_sdwa s[6:7], v4, s4 src0_sel:BYTE_3 src1_sel:DWORD
	s_mov_b64 s[4:5], 0
                                        ; implicit-def: $sgpr10
	s_and_saveexec_b64 s[8:9], s[6:7]
	s_xor_b64 s[6:7], exec, s[8:9]
	s_cbranch_execnz .LBB4_3549
; %bb.1501:
	s_or_saveexec_b64 s[6:7], s[6:7]
	v_mov_b32_e32 v3, s10
	s_xor_b64 exec, exec, s[6:7]
	s_cbranch_execnz .LBB4_3552
.LBB4_1502:
	s_or_b64 exec, exec, s[6:7]
	s_and_saveexec_b64 s[6:7], s[4:5]
	s_cbranch_execz .LBB4_1504
.LBB4_1503:
	v_bfe_u32 v3, v4, 24, 3
	v_ffbh_u32_e32 v12, v3
	v_min_u32_e32 v12, 32, v12
	v_lshrrev_b32_e32 v7, 27, v4
	v_subrev_u32_e32 v13, 28, v12
	v_and_b32_e32 v6, 0x80000000, v4
	v_and_b32_e32 v7, 15, v7
	v_bfe_u32 v8, v4, 27, 4
	v_lshlrev_b32_sdwa v4, v13, v4 dst_sel:DWORD dst_unused:UNUSED_PAD src0_sel:DWORD src1_sel:BYTE_3
	v_sub_u32_e32 v12, 29, v12
	v_and_b32_e32 v4, 7, v4
	v_cmp_eq_u16_e32 vcc, 0, v7
	v_cndmask_b32_e32 v3, v3, v4, vcc
	v_cndmask_b32_e32 v4, v8, v12, vcc
	v_mov_b32_e32 v7, 0x3b800000
	v_lshlrev_b32_e32 v3, 20, v3
	v_lshl_add_u32 v4, v4, 23, v7
	v_or3_b32 v3, v6, v4, v3
.LBB4_1504:
	s_or_b64 exec, exec, s[6:7]
	s_nop 0
	v_mfma_f32_16x16x4f32 a[0:3], v2, v3, a[0:3]
	s_movk_i32 s4, 0x7f
	v_cmp_gt_i16_sdwa s[6:7], v9, s4 src0_sel:BYTE_0 src1_sel:DWORD
	s_mov_b64 s[4:5], 0
                                        ; implicit-def: $sgpr10
	s_and_saveexec_b64 s[8:9], s[6:7]
	s_xor_b64 s[6:7], exec, s[8:9]
	s_cbranch_execnz .LBB4_3553
; %bb.1505:
	s_or_saveexec_b64 s[6:7], s[6:7]
	v_mov_b32_e32 v2, s10
	s_xor_b64 exec, exec, s[6:7]
	s_cbranch_execnz .LBB4_3556
.LBB4_1506:
	s_or_b64 exec, exec, s[6:7]
	s_and_saveexec_b64 s[6:7], s[4:5]
	s_cbranch_execz .LBB4_1508
.LBB4_1507:
	v_mov_b32_e32 v2, 8
	v_and_b32_e32 v3, 7, v9
	v_lshrrev_b32_sdwa v2, v2, v9 dst_sel:BYTE_1 dst_unused:UNUSED_PAD src0_sel:DWORD src1_sel:DWORD
	v_ffbh_u32_e32 v4, v3
	v_or_b32_sdwa v2, v9, v2 dst_sel:DWORD dst_unused:UNUSED_PAD src0_sel:BYTE_0 src1_sel:DWORD
	v_min_u32_e32 v4, 32, v4
	v_lshrrev_b16_e32 v2, 3, v2
	v_subrev_u32_e32 v6, 28, v4
	v_and_b32_e32 v2, 15, v2
	v_lshlrev_b32_e32 v6, v6, v9
	v_sub_u32_e32 v4, 29, v4
	v_and_b32_e32 v6, 7, v6
	v_cmp_eq_u16_e32 vcc, 0, v2
	v_cndmask_b32_e32 v3, v3, v6, vcc
	v_cndmask_b32_e32 v2, v2, v4, vcc
	v_lshlrev_b32_e32 v4, 24, v9
	v_mov_b32_e32 v6, 0x3b800000
	v_lshlrev_b32_e32 v3, 20, v3
	v_and_b32_e32 v4, 0x80000000, v4
	v_lshl_add_u32 v2, v2, 23, v6
	v_or3_b32 v2, v4, v2, v3
.LBB4_1508:
	s_or_b64 exec, exec, s[6:7]
	s_movk_i32 s4, 0x7f
	v_cmp_gt_i16_sdwa s[6:7], v5, s4 src0_sel:BYTE_0 src1_sel:DWORD
	s_mov_b64 s[4:5], 0
                                        ; implicit-def: $sgpr10
	s_and_saveexec_b64 s[8:9], s[6:7]
	s_xor_b64 s[6:7], exec, s[8:9]
	s_cbranch_execnz .LBB4_3557
; %bb.1509:
	s_or_saveexec_b64 s[6:7], s[6:7]
	v_mov_b32_e32 v3, s10
	s_xor_b64 exec, exec, s[6:7]
	s_cbranch_execnz .LBB4_3560
.LBB4_1510:
	s_or_b64 exec, exec, s[6:7]
	s_and_saveexec_b64 s[6:7], s[4:5]
	s_cbranch_execz .LBB4_1512
.LBB4_1511:
	v_mov_b32_e32 v3, 8
	v_and_b32_e32 v4, 7, v5
	v_lshrrev_b32_sdwa v3, v3, v5 dst_sel:BYTE_1 dst_unused:UNUSED_PAD src0_sel:DWORD src1_sel:DWORD
	v_ffbh_u32_e32 v6, v4
	v_or_b32_sdwa v3, v5, v3 dst_sel:DWORD dst_unused:UNUSED_PAD src0_sel:BYTE_0 src1_sel:DWORD
	v_min_u32_e32 v6, 32, v6
	v_lshrrev_b16_e32 v3, 3, v3
	v_subrev_u32_e32 v7, 28, v6
	v_and_b32_e32 v3, 15, v3
	v_lshlrev_b32_e32 v7, v7, v5
	v_sub_u32_e32 v6, 29, v6
	v_and_b32_e32 v7, 7, v7
	v_cmp_eq_u16_e32 vcc, 0, v3
	v_cndmask_b32_e32 v4, v4, v7, vcc
	v_cndmask_b32_e32 v3, v3, v6, vcc
	v_lshlrev_b32_e32 v6, 24, v5
	v_mov_b32_e32 v7, 0x3b800000
	v_lshlrev_b32_e32 v4, 20, v4
	v_and_b32_e32 v6, 0x80000000, v6
	v_lshl_add_u32 v3, v3, 23, v7
	v_or3_b32 v3, v6, v3, v4
.LBB4_1512:
	s_or_b64 exec, exec, s[6:7]
	s_nop 0
	v_mfma_f32_16x16x4f32 a[0:3], v2, v3, a[0:3]
	v_lshrrev_b32_e32 v3, 8, v9
	s_movk_i32 s4, 0x7f
	v_cmp_gt_i16_sdwa s[6:7], v3, s4 src0_sel:BYTE_0 src1_sel:DWORD
	s_mov_b64 s[4:5], 0
                                        ; implicit-def: $sgpr10
	s_and_saveexec_b64 s[8:9], s[6:7]
	s_xor_b64 s[6:7], exec, s[8:9]
	s_cbranch_execnz .LBB4_3561
; %bb.1513:
	s_or_saveexec_b64 s[6:7], s[6:7]
	v_mov_b32_e32 v2, s10
	s_xor_b64 exec, exec, s[6:7]
	s_cbranch_execnz .LBB4_3564
.LBB4_1514:
	s_or_b64 exec, exec, s[6:7]
	s_and_saveexec_b64 s[6:7], s[4:5]
	s_cbranch_execz .LBB4_1516
.LBB4_1515:
	v_bfe_u32 v2, v9, 8, 3
	v_ffbh_u32_e32 v6, v2
	v_min_u32_e32 v6, 32, v6
	v_lshrrev_b16_e32 v4, 3, v3
	v_subrev_u32_e32 v7, 28, v6
	v_and_b32_e32 v4, 15, v4
	v_lshlrev_b32_e32 v3, v7, v3
	v_sub_u32_e32 v6, 29, v6
	v_and_b32_e32 v3, 7, v3
	v_cmp_eq_u16_e32 vcc, 0, v4
	v_cndmask_b32_e32 v2, v2, v3, vcc
	v_cndmask_b32_e32 v3, v4, v6, vcc
	v_lshlrev_b32_e32 v4, 16, v9
	v_mov_b32_e32 v6, 0x3b800000
	v_lshlrev_b32_e32 v2, 20, v2
	v_and_b32_e32 v4, 0x80000000, v4
	v_lshl_add_u32 v3, v3, 23, v6
	v_or3_b32 v2, v4, v3, v2
.LBB4_1516:
	s_or_b64 exec, exec, s[6:7]
	v_lshrrev_b32_e32 v3, 8, v5
	s_movk_i32 s4, 0x7f
	v_cmp_gt_i16_sdwa s[6:7], v3, s4 src0_sel:BYTE_0 src1_sel:DWORD
	s_mov_b64 s[4:5], 0
                                        ; implicit-def: $sgpr10
	s_and_saveexec_b64 s[8:9], s[6:7]
	s_xor_b64 s[6:7], exec, s[8:9]
	s_cbranch_execnz .LBB4_3565
; %bb.1517:
	s_or_saveexec_b64 s[6:7], s[6:7]
	v_mov_b32_e32 v4, s10
	s_xor_b64 exec, exec, s[6:7]
	s_cbranch_execnz .LBB4_3568
.LBB4_1518:
	s_or_b64 exec, exec, s[6:7]
	s_and_saveexec_b64 s[6:7], s[4:5]
	s_cbranch_execz .LBB4_1520
.LBB4_1519:
	v_bfe_u32 v4, v5, 8, 3
	v_ffbh_u32_e32 v7, v4
	v_min_u32_e32 v7, 32, v7
	v_lshrrev_b16_e32 v6, 3, v3
	v_subrev_u32_e32 v8, 28, v7
	v_and_b32_e32 v6, 15, v6
	v_lshlrev_b32_e32 v3, v8, v3
	v_sub_u32_e32 v7, 29, v7
	v_and_b32_e32 v3, 7, v3
	v_cmp_eq_u16_e32 vcc, 0, v6
	v_cndmask_b32_e32 v3, v4, v3, vcc
	v_cndmask_b32_e32 v4, v6, v7, vcc
	v_lshlrev_b32_e32 v6, 16, v5
	v_mov_b32_e32 v7, 0x3b800000
	v_lshlrev_b32_e32 v3, 20, v3
	v_and_b32_e32 v6, 0x80000000, v6
	v_lshl_add_u32 v4, v4, 23, v7
	v_or3_b32 v4, v6, v4, v3
.LBB4_1520:
	s_or_b64 exec, exec, s[6:7]
	s_nop 0
	v_mfma_f32_16x16x4f32 a[0:3], v2, v4, a[0:3]
	s_movk_i32 s4, 0xff
	v_and_b32_sdwa v3, v9, s4 dst_sel:DWORD dst_unused:UNUSED_PAD src0_sel:WORD_1 src1_sel:DWORD
	s_movk_i32 s4, 0x7f
	v_cmp_lt_i16_e32 vcc, s4, v3
	s_mov_b64 s[4:5], 0
                                        ; implicit-def: $sgpr10
	s_and_saveexec_b64 s[6:7], vcc
	s_xor_b64 s[6:7], exec, s[6:7]
	s_cbranch_execnz .LBB4_3569
; %bb.1521:
	s_or_saveexec_b64 s[6:7], s[6:7]
	v_mov_b32_e32 v2, s10
	s_xor_b64 exec, exec, s[6:7]
	s_cbranch_execnz .LBB4_3572
.LBB4_1522:
	s_or_b64 exec, exec, s[6:7]
	s_and_saveexec_b64 s[6:7], s[4:5]
	s_cbranch_execz .LBB4_1524
.LBB4_1523:
	v_bfe_u32 v2, v9, 16, 3
	v_ffbh_u32_e32 v6, v2
	v_min_u32_e32 v6, 32, v6
	v_lshrrev_b32_e32 v3, 19, v9
	v_subrev_u32_e32 v7, 28, v6
	v_and_b32_e32 v3, 15, v3
	v_lshlrev_b32_sdwa v7, v7, v9 dst_sel:DWORD dst_unused:UNUSED_PAD src0_sel:DWORD src1_sel:WORD_1
	v_bfe_u32 v4, v9, 19, 4
	v_sub_u32_e32 v6, 29, v6
	v_and_b32_e32 v7, 7, v7
	v_cmp_eq_u16_e32 vcc, 0, v3
	v_cndmask_b32_e32 v2, v2, v7, vcc
	v_cndmask_b32_e32 v3, v4, v6, vcc
	v_lshlrev_b32_e32 v4, 8, v9
	v_mov_b32_e32 v6, 0x3b800000
	v_lshlrev_b32_e32 v2, 20, v2
	v_and_b32_e32 v4, 0x80000000, v4
	v_lshl_add_u32 v3, v3, 23, v6
	v_or3_b32 v2, v4, v3, v2
.LBB4_1524:
	s_or_b64 exec, exec, s[6:7]
	s_movk_i32 s4, 0xff
	v_and_b32_sdwa v3, v5, s4 dst_sel:DWORD dst_unused:UNUSED_PAD src0_sel:WORD_1 src1_sel:DWORD
	s_movk_i32 s4, 0x7f
	v_cmp_lt_i16_e32 vcc, s4, v3
	s_mov_b64 s[4:5], 0
                                        ; implicit-def: $sgpr10
	s_and_saveexec_b64 s[6:7], vcc
	s_xor_b64 s[6:7], exec, s[6:7]
	s_cbranch_execnz .LBB4_3573
; %bb.1525:
	s_or_saveexec_b64 s[6:7], s[6:7]
	v_mov_b32_e32 v4, s10
	s_xor_b64 exec, exec, s[6:7]
	s_cbranch_execnz .LBB4_3576
.LBB4_1526:
	s_or_b64 exec, exec, s[6:7]
	s_and_saveexec_b64 s[6:7], s[4:5]
	s_cbranch_execz .LBB4_1528
.LBB4_1527:
	v_bfe_u32 v3, v5, 16, 3
	v_ffbh_u32_e32 v7, v3
	v_min_u32_e32 v7, 32, v7
	v_lshrrev_b32_e32 v4, 19, v5
	v_subrev_u32_e32 v8, 28, v7
	v_and_b32_e32 v4, 15, v4
	v_lshlrev_b32_sdwa v8, v8, v5 dst_sel:DWORD dst_unused:UNUSED_PAD src0_sel:DWORD src1_sel:WORD_1
	v_bfe_u32 v6, v5, 19, 4
	v_sub_u32_e32 v7, 29, v7
	v_and_b32_e32 v8, 7, v8
	v_cmp_eq_u16_e32 vcc, 0, v4
	v_cndmask_b32_e32 v3, v3, v8, vcc
	v_cndmask_b32_e32 v4, v6, v7, vcc
	v_lshlrev_b32_e32 v6, 8, v5
	v_mov_b32_e32 v7, 0x3b800000
	v_lshlrev_b32_e32 v3, 20, v3
	v_and_b32_e32 v6, 0x80000000, v6
	v_lshl_add_u32 v4, v4, 23, v7
	v_or3_b32 v4, v6, v4, v3
.LBB4_1528:
	s_or_b64 exec, exec, s[6:7]
	s_nop 0
	v_mfma_f32_16x16x4f32 a[0:3], v2, v4, a[0:3]
	s_movk_i32 s4, 0x7f
	v_cmp_gt_i16_sdwa s[6:7], v9, s4 src0_sel:BYTE_3 src1_sel:DWORD
	s_mov_b64 s[4:5], 0
                                        ; implicit-def: $sgpr10
	s_and_saveexec_b64 s[8:9], s[6:7]
	s_xor_b64 s[6:7], exec, s[8:9]
	s_cbranch_execnz .LBB4_3577
; %bb.1529:
	s_or_saveexec_b64 s[6:7], s[6:7]
	v_mov_b32_e32 v2, s10
	s_xor_b64 exec, exec, s[6:7]
	s_cbranch_execnz .LBB4_3580
.LBB4_1530:
	s_or_b64 exec, exec, s[6:7]
	s_and_saveexec_b64 s[6:7], s[4:5]
	s_cbranch_execz .LBB4_1532
.LBB4_1531:
	v_bfe_u32 v2, v9, 24, 3
	v_ffbh_u32_e32 v7, v2
	v_min_u32_e32 v7, 32, v7
	v_lshrrev_b32_e32 v4, 27, v9
	v_subrev_u32_e32 v8, 28, v7
	v_and_b32_e32 v4, 15, v4
	v_lshlrev_b32_sdwa v8, v8, v9 dst_sel:DWORD dst_unused:UNUSED_PAD src0_sel:DWORD src1_sel:BYTE_3
	v_bfe_u32 v6, v9, 27, 4
	v_sub_u32_e32 v7, 29, v7
	v_and_b32_e32 v8, 7, v8
	v_cmp_eq_u16_e32 vcc, 0, v4
	v_cndmask_b32_e32 v2, v2, v8, vcc
	v_cndmask_b32_e32 v4, v6, v7, vcc
	v_mov_b32_e32 v6, 0x3b800000
	v_and_b32_e32 v3, 0x80000000, v9
	v_lshlrev_b32_e32 v2, 20, v2
	v_lshl_add_u32 v4, v4, 23, v6
	v_or3_b32 v2, v3, v4, v2
.LBB4_1532:
	s_or_b64 exec, exec, s[6:7]
	s_movk_i32 s4, 0x7f
	v_cmp_gt_i16_sdwa s[6:7], v5, s4 src0_sel:BYTE_3 src1_sel:DWORD
	s_mov_b64 s[4:5], 0
                                        ; implicit-def: $sgpr10
	s_and_saveexec_b64 s[8:9], s[6:7]
	s_xor_b64 s[6:7], exec, s[8:9]
	s_cbranch_execnz .LBB4_3581
; %bb.1533:
	s_or_saveexec_b64 s[6:7], s[6:7]
	v_mov_b32_e32 v3, s10
	s_xor_b64 exec, exec, s[6:7]
	s_cbranch_execnz .LBB4_3584
.LBB4_1534:
	s_or_b64 exec, exec, s[6:7]
	s_and_saveexec_b64 s[6:7], s[4:5]
	s_cbranch_execz .LBB4_1536
.LBB4_1535:
	v_bfe_u32 v3, v5, 24, 3
	v_ffbh_u32_e32 v8, v3
	v_min_u32_e32 v8, 32, v8
	v_lshrrev_b32_e32 v6, 27, v5
	v_subrev_u32_e32 v9, 28, v8
	v_and_b32_e32 v4, 0x80000000, v5
	v_and_b32_e32 v6, 15, v6
	v_bfe_u32 v7, v5, 27, 4
	v_lshlrev_b32_sdwa v5, v9, v5 dst_sel:DWORD dst_unused:UNUSED_PAD src0_sel:DWORD src1_sel:BYTE_3
	v_sub_u32_e32 v8, 29, v8
	v_and_b32_e32 v5, 7, v5
	v_cmp_eq_u16_e32 vcc, 0, v6
	v_cndmask_b32_e32 v3, v3, v5, vcc
	v_cndmask_b32_e32 v5, v7, v8, vcc
	v_mov_b32_e32 v6, 0x3b800000
	v_lshlrev_b32_e32 v3, 20, v3
	v_lshl_add_u32 v5, v5, 23, v6
	v_or3_b32 v3, v4, v5, v3
.LBB4_1536:
	s_or_b64 exec, exec, s[6:7]
	s_nop 0
	v_mfma_f32_16x16x4f32 a[0:3], v2, v3, a[0:3]
	s_movk_i32 s4, 0x7f
                                        ; implicit-def: $sgpr10
	s_nop 7
	s_nop 1
	flat_store_dwordx4 v[10:11], a[0:3] offset:176
	flat_load_dwordx4 v[12:15], v[0:1] offset:8
	s_nop 0
	flat_load_dwordx2 v[10:11], v[0:1] offset:32
	s_waitcnt vmcnt(0) lgkmcnt(0)
	flat_load_dwordx4 v[6:9], v[12:13] offset:112
	flat_load_dwordx4 v[2:5], v[14:15] offset:16
	s_waitcnt vmcnt(0) lgkmcnt(0)
	v_cmp_gt_i16_sdwa s[6:7], v6, s4 src0_sel:BYTE_0 src1_sel:DWORD
	s_mov_b64 s[4:5], 0
	s_and_saveexec_b64 s[8:9], s[6:7]
	s_xor_b64 s[6:7], exec, s[8:9]
	s_cbranch_execnz .LBB4_3585
; %bb.1537:
	s_or_saveexec_b64 s[6:7], s[6:7]
	v_mov_b32_e32 v12, s10
	s_xor_b64 exec, exec, s[6:7]
	s_cbranch_execnz .LBB4_3588
.LBB4_1538:
	s_or_b64 exec, exec, s[6:7]
	s_and_saveexec_b64 s[6:7], s[4:5]
	s_cbranch_execz .LBB4_1540
.LBB4_1539:
	v_and_b32_e32 v12, 7, v6
	v_ffbh_u32_e32 v14, v12
	v_min_u32_e32 v14, 32, v14
	v_lshrrev_b16_e32 v13, 3, v6
	v_subrev_u32_e32 v15, 28, v14
	v_and_b32_e32 v13, 15, v13
	v_lshlrev_b32_e32 v15, v15, v6
	v_sub_u32_e32 v14, 29, v14
	v_and_b32_e32 v15, 7, v15
	v_cmp_eq_u16_e32 vcc, 0, v13
	v_cndmask_b32_e32 v12, v12, v15, vcc
	v_cndmask_b32_e32 v13, v13, v14, vcc
	v_lshlrev_b32_e32 v14, 24, v6
	v_mov_b32_e32 v15, 0x3b800000
	v_lshlrev_b32_e32 v12, 20, v12
	v_and_b32_e32 v14, 0x80000000, v14
	v_lshl_add_u32 v13, v13, 23, v15
	v_or3_b32 v12, v14, v13, v12
.LBB4_1540:
	s_or_b64 exec, exec, s[6:7]
	s_movk_i32 s4, 0x7f
	v_cmp_gt_i16_sdwa s[6:7], v2, s4 src0_sel:BYTE_0 src1_sel:DWORD
	s_mov_b64 s[4:5], 0
                                        ; implicit-def: $sgpr10
	s_and_saveexec_b64 s[8:9], s[6:7]
	s_xor_b64 s[6:7], exec, s[8:9]
	s_cbranch_execnz .LBB4_3589
; %bb.1541:
	s_or_saveexec_b64 s[6:7], s[6:7]
	v_mov_b32_e32 v13, s10
	s_xor_b64 exec, exec, s[6:7]
	s_cbranch_execnz .LBB4_3592
.LBB4_1542:
	s_or_b64 exec, exec, s[6:7]
	s_and_saveexec_b64 s[6:7], s[4:5]
	s_cbranch_execz .LBB4_1544
.LBB4_1543:
	v_and_b32_e32 v13, 7, v2
	v_ffbh_u32_e32 v15, v13
	v_min_u32_e32 v15, 32, v15
	v_lshrrev_b16_e32 v14, 3, v2
	v_subrev_u32_e32 v16, 28, v15
	v_and_b32_e32 v14, 15, v14
	v_lshlrev_b32_e32 v16, v16, v2
	v_sub_u32_e32 v15, 29, v15
	v_and_b32_e32 v16, 7, v16
	v_cmp_eq_u16_e32 vcc, 0, v14
	v_cndmask_b32_e32 v13, v13, v16, vcc
	v_cndmask_b32_e32 v14, v14, v15, vcc
	v_lshlrev_b32_e32 v15, 24, v2
	v_mov_b32_e32 v16, 0x3b800000
	v_lshlrev_b32_e32 v13, 20, v13
	v_and_b32_e32 v15, 0x80000000, v15
	v_lshl_add_u32 v14, v14, 23, v16
	v_or3_b32 v13, v15, v14, v13
.LBB4_1544:
	s_or_b64 exec, exec, s[6:7]
	flat_load_dwordx4 a[0:3], v[10:11] offset:192
	s_movk_i32 s4, 0x7f
                                        ; implicit-def: $sgpr10
	s_waitcnt vmcnt(0) lgkmcnt(0)
	v_mfma_f32_16x16x4f32 a[0:3], v12, v13, a[0:3]
	v_lshrrev_b32_e32 v13, 8, v6
	v_cmp_gt_i16_sdwa s[6:7], v13, s4 src0_sel:BYTE_0 src1_sel:DWORD
	s_mov_b64 s[4:5], 0
	s_and_saveexec_b64 s[8:9], s[6:7]
	s_xor_b64 s[6:7], exec, s[8:9]
	s_cbranch_execnz .LBB4_3593
; %bb.1545:
	s_or_saveexec_b64 s[6:7], s[6:7]
	v_mov_b32_e32 v12, s10
	s_xor_b64 exec, exec, s[6:7]
	s_cbranch_execnz .LBB4_3596
.LBB4_1546:
	s_or_b64 exec, exec, s[6:7]
	s_and_saveexec_b64 s[6:7], s[4:5]
	s_cbranch_execz .LBB4_1548
.LBB4_1547:
	v_bfe_u32 v12, v6, 8, 3
	v_ffbh_u32_e32 v15, v12
	v_min_u32_e32 v15, 32, v15
	v_lshrrev_b16_e32 v14, 3, v13
	v_subrev_u32_e32 v16, 28, v15
	v_and_b32_e32 v14, 15, v14
	v_lshlrev_b32_e32 v13, v16, v13
	v_sub_u32_e32 v15, 29, v15
	v_and_b32_e32 v13, 7, v13
	v_cmp_eq_u16_e32 vcc, 0, v14
	v_cndmask_b32_e32 v12, v12, v13, vcc
	v_cndmask_b32_e32 v13, v14, v15, vcc
	v_lshlrev_b32_e32 v14, 16, v6
	v_mov_b32_e32 v15, 0x3b800000
	v_lshlrev_b32_e32 v12, 20, v12
	v_and_b32_e32 v14, 0x80000000, v14
	v_lshl_add_u32 v13, v13, 23, v15
	v_or3_b32 v12, v14, v13, v12
.LBB4_1548:
	s_or_b64 exec, exec, s[6:7]
	v_lshrrev_b32_e32 v13, 8, v2
	s_movk_i32 s4, 0x7f
	v_cmp_gt_i16_sdwa s[6:7], v13, s4 src0_sel:BYTE_0 src1_sel:DWORD
	s_mov_b64 s[4:5], 0
                                        ; implicit-def: $sgpr10
	s_and_saveexec_b64 s[8:9], s[6:7]
	s_xor_b64 s[6:7], exec, s[8:9]
	s_cbranch_execnz .LBB4_3597
; %bb.1549:
	s_or_saveexec_b64 s[6:7], s[6:7]
	v_mov_b32_e32 v14, s10
	s_xor_b64 exec, exec, s[6:7]
	s_cbranch_execnz .LBB4_3600
.LBB4_1550:
	s_or_b64 exec, exec, s[6:7]
	s_and_saveexec_b64 s[6:7], s[4:5]
	s_cbranch_execz .LBB4_1552
.LBB4_1551:
	v_bfe_u32 v14, v2, 8, 3
	v_ffbh_u32_e32 v16, v14
	v_min_u32_e32 v16, 32, v16
	v_lshrrev_b16_e32 v15, 3, v13
	v_subrev_u32_e32 v17, 28, v16
	v_and_b32_e32 v15, 15, v15
	v_lshlrev_b32_e32 v13, v17, v13
	v_sub_u32_e32 v16, 29, v16
	v_and_b32_e32 v13, 7, v13
	v_cmp_eq_u16_e32 vcc, 0, v15
	v_cndmask_b32_e32 v13, v14, v13, vcc
	v_cndmask_b32_e32 v14, v15, v16, vcc
	v_lshlrev_b32_e32 v15, 16, v2
	v_mov_b32_e32 v16, 0x3b800000
	v_lshlrev_b32_e32 v13, 20, v13
	v_and_b32_e32 v15, 0x80000000, v15
	v_lshl_add_u32 v14, v14, 23, v16
	v_or3_b32 v14, v15, v14, v13
.LBB4_1552:
	s_or_b64 exec, exec, s[6:7]
	s_nop 0
	v_mfma_f32_16x16x4f32 a[0:3], v12, v14, a[0:3]
	s_movk_i32 s4, 0xff
	v_and_b32_sdwa v13, v6, s4 dst_sel:DWORD dst_unused:UNUSED_PAD src0_sel:WORD_1 src1_sel:DWORD
	s_movk_i32 s4, 0x7f
	v_cmp_lt_i16_e32 vcc, s4, v13
	s_mov_b64 s[4:5], 0
                                        ; implicit-def: $sgpr10
	s_and_saveexec_b64 s[6:7], vcc
	s_xor_b64 s[6:7], exec, s[6:7]
	s_cbranch_execnz .LBB4_3601
; %bb.1553:
	s_or_saveexec_b64 s[6:7], s[6:7]
	v_mov_b32_e32 v12, s10
	s_xor_b64 exec, exec, s[6:7]
	s_cbranch_execnz .LBB4_3604
.LBB4_1554:
	s_or_b64 exec, exec, s[6:7]
	s_and_saveexec_b64 s[6:7], s[4:5]
	s_cbranch_execz .LBB4_1556
.LBB4_1555:
	v_bfe_u32 v12, v6, 16, 3
	v_ffbh_u32_e32 v15, v12
	v_min_u32_e32 v15, 32, v15
	v_lshrrev_b32_e32 v13, 19, v6
	v_subrev_u32_e32 v16, 28, v15
	v_and_b32_e32 v13, 15, v13
	v_lshlrev_b32_sdwa v16, v16, v6 dst_sel:DWORD dst_unused:UNUSED_PAD src0_sel:DWORD src1_sel:WORD_1
	v_bfe_u32 v14, v6, 19, 4
	v_sub_u32_e32 v15, 29, v15
	v_and_b32_e32 v16, 7, v16
	v_cmp_eq_u16_e32 vcc, 0, v13
	v_cndmask_b32_e32 v12, v12, v16, vcc
	v_cndmask_b32_e32 v13, v14, v15, vcc
	v_lshlrev_b32_e32 v14, 8, v6
	v_mov_b32_e32 v15, 0x3b800000
	v_lshlrev_b32_e32 v12, 20, v12
	v_and_b32_e32 v14, 0x80000000, v14
	v_lshl_add_u32 v13, v13, 23, v15
	v_or3_b32 v12, v14, v13, v12
.LBB4_1556:
	s_or_b64 exec, exec, s[6:7]
	s_movk_i32 s4, 0xff
	v_and_b32_sdwa v13, v2, s4 dst_sel:DWORD dst_unused:UNUSED_PAD src0_sel:WORD_1 src1_sel:DWORD
	s_movk_i32 s4, 0x7f
	v_cmp_lt_i16_e32 vcc, s4, v13
	s_mov_b64 s[4:5], 0
                                        ; implicit-def: $sgpr10
	s_and_saveexec_b64 s[6:7], vcc
	s_xor_b64 s[6:7], exec, s[6:7]
	s_cbranch_execnz .LBB4_3605
; %bb.1557:
	s_or_saveexec_b64 s[6:7], s[6:7]
	v_mov_b32_e32 v14, s10
	s_xor_b64 exec, exec, s[6:7]
	s_cbranch_execnz .LBB4_3608
.LBB4_1558:
	s_or_b64 exec, exec, s[6:7]
	s_and_saveexec_b64 s[6:7], s[4:5]
	s_cbranch_execz .LBB4_1560
.LBB4_1559:
	v_bfe_u32 v13, v2, 16, 3
	v_ffbh_u32_e32 v16, v13
	v_min_u32_e32 v16, 32, v16
	v_lshrrev_b32_e32 v14, 19, v2
	v_subrev_u32_e32 v17, 28, v16
	v_and_b32_e32 v14, 15, v14
	v_lshlrev_b32_sdwa v17, v17, v2 dst_sel:DWORD dst_unused:UNUSED_PAD src0_sel:DWORD src1_sel:WORD_1
	v_bfe_u32 v15, v2, 19, 4
	v_sub_u32_e32 v16, 29, v16
	v_and_b32_e32 v17, 7, v17
	v_cmp_eq_u16_e32 vcc, 0, v14
	v_cndmask_b32_e32 v13, v13, v17, vcc
	v_cndmask_b32_e32 v14, v15, v16, vcc
	v_lshlrev_b32_e32 v15, 8, v2
	v_mov_b32_e32 v16, 0x3b800000
	v_lshlrev_b32_e32 v13, 20, v13
	v_and_b32_e32 v15, 0x80000000, v15
	v_lshl_add_u32 v14, v14, 23, v16
	v_or3_b32 v14, v15, v14, v13
.LBB4_1560:
	s_or_b64 exec, exec, s[6:7]
	s_nop 0
	v_mfma_f32_16x16x4f32 a[0:3], v12, v14, a[0:3]
	s_movk_i32 s4, 0x7f
	v_cmp_gt_i16_sdwa s[6:7], v6, s4 src0_sel:BYTE_3 src1_sel:DWORD
	s_mov_b64 s[4:5], 0
                                        ; implicit-def: $sgpr10
	s_and_saveexec_b64 s[8:9], s[6:7]
	s_xor_b64 s[6:7], exec, s[8:9]
	s_cbranch_execnz .LBB4_3609
; %bb.1561:
	s_or_saveexec_b64 s[6:7], s[6:7]
	v_mov_b32_e32 v12, s10
	s_xor_b64 exec, exec, s[6:7]
	s_cbranch_execnz .LBB4_3612
.LBB4_1562:
	s_or_b64 exec, exec, s[6:7]
	s_and_saveexec_b64 s[6:7], s[4:5]
	s_cbranch_execz .LBB4_1564
.LBB4_1563:
	v_bfe_u32 v12, v6, 24, 3
	v_ffbh_u32_e32 v16, v12
	v_min_u32_e32 v16, 32, v16
	v_lshrrev_b32_e32 v14, 27, v6
	v_subrev_u32_e32 v17, 28, v16
	v_and_b32_e32 v13, 0x80000000, v6
	v_and_b32_e32 v14, 15, v14
	v_bfe_u32 v15, v6, 27, 4
	v_lshlrev_b32_sdwa v6, v17, v6 dst_sel:DWORD dst_unused:UNUSED_PAD src0_sel:DWORD src1_sel:BYTE_3
	v_sub_u32_e32 v16, 29, v16
	v_and_b32_e32 v6, 7, v6
	v_cmp_eq_u16_e32 vcc, 0, v14
	v_cndmask_b32_e32 v6, v12, v6, vcc
	v_cndmask_b32_e32 v12, v15, v16, vcc
	v_mov_b32_e32 v14, 0x3b800000
	v_lshlrev_b32_e32 v6, 20, v6
	v_lshl_add_u32 v12, v12, 23, v14
	v_or3_b32 v12, v13, v12, v6
.LBB4_1564:
	s_or_b64 exec, exec, s[6:7]
	s_movk_i32 s4, 0x7f
	v_cmp_gt_i16_sdwa s[6:7], v2, s4 src0_sel:BYTE_3 src1_sel:DWORD
	s_mov_b64 s[4:5], 0
                                        ; implicit-def: $sgpr10
	s_and_saveexec_b64 s[8:9], s[6:7]
	s_xor_b64 s[6:7], exec, s[8:9]
	s_cbranch_execnz .LBB4_3613
; %bb.1565:
	s_or_saveexec_b64 s[6:7], s[6:7]
	v_mov_b32_e32 v6, s10
	s_xor_b64 exec, exec, s[6:7]
	s_cbranch_execnz .LBB4_3616
.LBB4_1566:
	s_or_b64 exec, exec, s[6:7]
	s_and_saveexec_b64 s[6:7], s[4:5]
	s_cbranch_execz .LBB4_1568
.LBB4_1567:
	v_bfe_u32 v6, v2, 24, 3
	v_ffbh_u32_e32 v16, v6
	v_min_u32_e32 v16, 32, v16
	v_lshrrev_b32_e32 v14, 27, v2
	v_subrev_u32_e32 v17, 28, v16
	v_and_b32_e32 v13, 0x80000000, v2
	v_and_b32_e32 v14, 15, v14
	v_bfe_u32 v15, v2, 27, 4
	v_lshlrev_b32_sdwa v2, v17, v2 dst_sel:DWORD dst_unused:UNUSED_PAD src0_sel:DWORD src1_sel:BYTE_3
	v_sub_u32_e32 v16, 29, v16
	v_and_b32_e32 v2, 7, v2
	v_cmp_eq_u16_e32 vcc, 0, v14
	v_cndmask_b32_e32 v2, v6, v2, vcc
	v_cndmask_b32_e32 v6, v15, v16, vcc
	v_mov_b32_e32 v14, 0x3b800000
	v_lshlrev_b32_e32 v2, 20, v2
	v_lshl_add_u32 v6, v6, 23, v14
	v_or3_b32 v6, v13, v6, v2
.LBB4_1568:
	s_or_b64 exec, exec, s[6:7]
	s_nop 0
	v_mfma_f32_16x16x4f32 a[0:3], v12, v6, a[0:3]
	s_movk_i32 s4, 0x7f
	v_cmp_gt_i16_sdwa s[6:7], v7, s4 src0_sel:BYTE_0 src1_sel:DWORD
	s_mov_b64 s[4:5], 0
                                        ; implicit-def: $sgpr10
	s_and_saveexec_b64 s[8:9], s[6:7]
	s_xor_b64 s[6:7], exec, s[8:9]
	s_cbranch_execnz .LBB4_3617
; %bb.1569:
	s_or_saveexec_b64 s[6:7], s[6:7]
	v_mov_b32_e32 v2, s10
	s_xor_b64 exec, exec, s[6:7]
	s_cbranch_execnz .LBB4_3620
.LBB4_1570:
	s_or_b64 exec, exec, s[6:7]
	s_and_saveexec_b64 s[6:7], s[4:5]
	s_cbranch_execz .LBB4_1572
.LBB4_1571:
	v_and_b32_e32 v2, 7, v7
	v_ffbh_u32_e32 v12, v2
	v_min_u32_e32 v12, 32, v12
	v_lshrrev_b16_e32 v6, 3, v7
	v_subrev_u32_e32 v13, 28, v12
	v_and_b32_e32 v6, 15, v6
	v_lshlrev_b32_e32 v13, v13, v7
	v_sub_u32_e32 v12, 29, v12
	v_and_b32_e32 v13, 7, v13
	v_cmp_eq_u16_e32 vcc, 0, v6
	v_cndmask_b32_e32 v2, v2, v13, vcc
	v_cndmask_b32_e32 v6, v6, v12, vcc
	v_lshlrev_b32_e32 v12, 24, v7
	v_mov_b32_e32 v13, 0x3b800000
	v_lshlrev_b32_e32 v2, 20, v2
	v_and_b32_e32 v12, 0x80000000, v12
	v_lshl_add_u32 v6, v6, 23, v13
	v_or3_b32 v2, v12, v6, v2
.LBB4_1572:
	s_or_b64 exec, exec, s[6:7]
	s_movk_i32 s4, 0x7f
	v_cmp_gt_i16_sdwa s[6:7], v3, s4 src0_sel:BYTE_0 src1_sel:DWORD
	s_mov_b64 s[4:5], 0
                                        ; implicit-def: $sgpr10
	s_and_saveexec_b64 s[8:9], s[6:7]
	s_xor_b64 s[6:7], exec, s[8:9]
	s_cbranch_execnz .LBB4_3621
; %bb.1573:
	s_or_saveexec_b64 s[6:7], s[6:7]
	v_mov_b32_e32 v6, s10
	s_xor_b64 exec, exec, s[6:7]
	s_cbranch_execnz .LBB4_3624
.LBB4_1574:
	s_or_b64 exec, exec, s[6:7]
	s_and_saveexec_b64 s[6:7], s[4:5]
	s_cbranch_execz .LBB4_1576
.LBB4_1575:
	v_and_b32_e32 v6, 7, v3
	v_ffbh_u32_e32 v13, v6
	v_min_u32_e32 v13, 32, v13
	v_lshrrev_b16_e32 v12, 3, v3
	v_subrev_u32_e32 v14, 28, v13
	v_and_b32_e32 v12, 15, v12
	v_lshlrev_b32_e32 v14, v14, v3
	v_sub_u32_e32 v13, 29, v13
	v_and_b32_e32 v14, 7, v14
	v_cmp_eq_u16_e32 vcc, 0, v12
	v_cndmask_b32_e32 v6, v6, v14, vcc
	v_cndmask_b32_e32 v12, v12, v13, vcc
	v_lshlrev_b32_e32 v13, 24, v3
	v_mov_b32_e32 v14, 0x3b800000
	v_lshlrev_b32_e32 v6, 20, v6
	v_and_b32_e32 v13, 0x80000000, v13
	v_lshl_add_u32 v12, v12, 23, v14
	v_or3_b32 v6, v13, v12, v6
.LBB4_1576:
	s_or_b64 exec, exec, s[6:7]
	s_nop 0
	v_mfma_f32_16x16x4f32 a[0:3], v2, v6, a[0:3]
	v_lshrrev_b32_e32 v6, 8, v7
	s_movk_i32 s4, 0x7f
	v_cmp_gt_i16_sdwa s[6:7], v6, s4 src0_sel:BYTE_0 src1_sel:DWORD
	s_mov_b64 s[4:5], 0
                                        ; implicit-def: $sgpr10
	s_and_saveexec_b64 s[8:9], s[6:7]
	s_xor_b64 s[6:7], exec, s[8:9]
	s_cbranch_execnz .LBB4_3625
; %bb.1577:
	s_or_saveexec_b64 s[6:7], s[6:7]
	v_mov_b32_e32 v2, s10
	s_xor_b64 exec, exec, s[6:7]
	s_cbranch_execnz .LBB4_3628
.LBB4_1578:
	s_or_b64 exec, exec, s[6:7]
	s_and_saveexec_b64 s[6:7], s[4:5]
	s_cbranch_execz .LBB4_1580
.LBB4_1579:
	v_bfe_u32 v2, v7, 8, 3
	v_ffbh_u32_e32 v13, v2
	v_min_u32_e32 v13, 32, v13
	v_lshrrev_b16_e32 v12, 3, v6
	v_subrev_u32_e32 v14, 28, v13
	v_and_b32_e32 v12, 15, v12
	v_lshlrev_b32_e32 v6, v14, v6
	v_sub_u32_e32 v13, 29, v13
	v_and_b32_e32 v6, 7, v6
	v_cmp_eq_u16_e32 vcc, 0, v12
	v_cndmask_b32_e32 v2, v2, v6, vcc
	v_cndmask_b32_e32 v6, v12, v13, vcc
	v_lshlrev_b32_e32 v12, 16, v7
	v_mov_b32_e32 v13, 0x3b800000
	v_lshlrev_b32_e32 v2, 20, v2
	v_and_b32_e32 v12, 0x80000000, v12
	v_lshl_add_u32 v6, v6, 23, v13
	v_or3_b32 v2, v12, v6, v2
.LBB4_1580:
	s_or_b64 exec, exec, s[6:7]
	v_lshrrev_b32_e32 v6, 8, v3
	s_movk_i32 s4, 0x7f
	v_cmp_gt_i16_sdwa s[6:7], v6, s4 src0_sel:BYTE_0 src1_sel:DWORD
	s_mov_b64 s[4:5], 0
                                        ; implicit-def: $sgpr10
	s_and_saveexec_b64 s[8:9], s[6:7]
	s_xor_b64 s[6:7], exec, s[8:9]
	s_cbranch_execnz .LBB4_3629
; %bb.1581:
	s_or_saveexec_b64 s[6:7], s[6:7]
	v_mov_b32_e32 v12, s10
	s_xor_b64 exec, exec, s[6:7]
	s_cbranch_execnz .LBB4_3632
.LBB4_1582:
	s_or_b64 exec, exec, s[6:7]
	s_and_saveexec_b64 s[6:7], s[4:5]
	s_cbranch_execz .LBB4_1584
.LBB4_1583:
	v_bfe_u32 v12, v3, 8, 3
	v_ffbh_u32_e32 v14, v12
	v_min_u32_e32 v14, 32, v14
	v_lshrrev_b16_e32 v13, 3, v6
	v_subrev_u32_e32 v15, 28, v14
	v_and_b32_e32 v13, 15, v13
	v_lshlrev_b32_e32 v6, v15, v6
	v_sub_u32_e32 v14, 29, v14
	v_and_b32_e32 v6, 7, v6
	v_cmp_eq_u16_e32 vcc, 0, v13
	v_cndmask_b32_e32 v6, v12, v6, vcc
	v_cndmask_b32_e32 v12, v13, v14, vcc
	v_lshlrev_b32_e32 v13, 16, v3
	v_mov_b32_e32 v14, 0x3b800000
	v_lshlrev_b32_e32 v6, 20, v6
	v_and_b32_e32 v13, 0x80000000, v13
	v_lshl_add_u32 v12, v12, 23, v14
	v_or3_b32 v12, v13, v12, v6
.LBB4_1584:
	s_or_b64 exec, exec, s[6:7]
	s_nop 0
	v_mfma_f32_16x16x4f32 a[0:3], v2, v12, a[0:3]
	s_movk_i32 s4, 0xff
	v_and_b32_sdwa v6, v7, s4 dst_sel:DWORD dst_unused:UNUSED_PAD src0_sel:WORD_1 src1_sel:DWORD
	s_movk_i32 s4, 0x7f
	v_cmp_lt_i16_e32 vcc, s4, v6
	s_mov_b64 s[4:5], 0
                                        ; implicit-def: $sgpr10
	s_and_saveexec_b64 s[6:7], vcc
	s_xor_b64 s[6:7], exec, s[6:7]
	s_cbranch_execnz .LBB4_3633
; %bb.1585:
	s_or_saveexec_b64 s[6:7], s[6:7]
	v_mov_b32_e32 v2, s10
	s_xor_b64 exec, exec, s[6:7]
	s_cbranch_execnz .LBB4_3636
.LBB4_1586:
	s_or_b64 exec, exec, s[6:7]
	s_and_saveexec_b64 s[6:7], s[4:5]
	s_cbranch_execz .LBB4_1588
.LBB4_1587:
	v_bfe_u32 v2, v7, 16, 3
	v_ffbh_u32_e32 v13, v2
	v_min_u32_e32 v13, 32, v13
	v_lshrrev_b32_e32 v6, 19, v7
	v_subrev_u32_e32 v14, 28, v13
	v_and_b32_e32 v6, 15, v6
	v_lshlrev_b32_sdwa v14, v14, v7 dst_sel:DWORD dst_unused:UNUSED_PAD src0_sel:DWORD src1_sel:WORD_1
	v_bfe_u32 v12, v7, 19, 4
	v_sub_u32_e32 v13, 29, v13
	v_and_b32_e32 v14, 7, v14
	v_cmp_eq_u16_e32 vcc, 0, v6
	v_cndmask_b32_e32 v2, v2, v14, vcc
	v_cndmask_b32_e32 v6, v12, v13, vcc
	v_lshlrev_b32_e32 v12, 8, v7
	v_mov_b32_e32 v13, 0x3b800000
	v_lshlrev_b32_e32 v2, 20, v2
	v_and_b32_e32 v12, 0x80000000, v12
	v_lshl_add_u32 v6, v6, 23, v13
	v_or3_b32 v2, v12, v6, v2
.LBB4_1588:
	s_or_b64 exec, exec, s[6:7]
	s_movk_i32 s4, 0xff
	v_and_b32_sdwa v6, v3, s4 dst_sel:DWORD dst_unused:UNUSED_PAD src0_sel:WORD_1 src1_sel:DWORD
	s_movk_i32 s4, 0x7f
	v_cmp_lt_i16_e32 vcc, s4, v6
	s_mov_b64 s[4:5], 0
                                        ; implicit-def: $sgpr10
	s_and_saveexec_b64 s[6:7], vcc
	s_xor_b64 s[6:7], exec, s[6:7]
	s_cbranch_execnz .LBB4_3637
; %bb.1589:
	s_or_saveexec_b64 s[6:7], s[6:7]
	v_mov_b32_e32 v12, s10
	s_xor_b64 exec, exec, s[6:7]
	s_cbranch_execnz .LBB4_3640
.LBB4_1590:
	s_or_b64 exec, exec, s[6:7]
	s_and_saveexec_b64 s[6:7], s[4:5]
	s_cbranch_execz .LBB4_1592
.LBB4_1591:
	v_bfe_u32 v6, v3, 16, 3
	v_ffbh_u32_e32 v14, v6
	v_min_u32_e32 v14, 32, v14
	v_lshrrev_b32_e32 v12, 19, v3
	v_subrev_u32_e32 v15, 28, v14
	v_and_b32_e32 v12, 15, v12
	v_lshlrev_b32_sdwa v15, v15, v3 dst_sel:DWORD dst_unused:UNUSED_PAD src0_sel:DWORD src1_sel:WORD_1
	v_bfe_u32 v13, v3, 19, 4
	v_sub_u32_e32 v14, 29, v14
	v_and_b32_e32 v15, 7, v15
	v_cmp_eq_u16_e32 vcc, 0, v12
	v_cndmask_b32_e32 v6, v6, v15, vcc
	v_cndmask_b32_e32 v12, v13, v14, vcc
	v_lshlrev_b32_e32 v13, 8, v3
	v_mov_b32_e32 v14, 0x3b800000
	v_lshlrev_b32_e32 v6, 20, v6
	v_and_b32_e32 v13, 0x80000000, v13
	v_lshl_add_u32 v12, v12, 23, v14
	v_or3_b32 v12, v13, v12, v6
.LBB4_1592:
	s_or_b64 exec, exec, s[6:7]
	s_nop 0
	v_mfma_f32_16x16x4f32 a[0:3], v2, v12, a[0:3]
	s_movk_i32 s4, 0x7f
	v_cmp_gt_i16_sdwa s[6:7], v7, s4 src0_sel:BYTE_3 src1_sel:DWORD
	s_mov_b64 s[4:5], 0
                                        ; implicit-def: $sgpr10
	s_and_saveexec_b64 s[8:9], s[6:7]
	s_xor_b64 s[6:7], exec, s[8:9]
	s_cbranch_execnz .LBB4_3641
; %bb.1593:
	s_or_saveexec_b64 s[6:7], s[6:7]
	v_mov_b32_e32 v2, s10
	s_xor_b64 exec, exec, s[6:7]
	s_cbranch_execnz .LBB4_3644
.LBB4_1594:
	s_or_b64 exec, exec, s[6:7]
	s_and_saveexec_b64 s[6:7], s[4:5]
	s_cbranch_execz .LBB4_1596
.LBB4_1595:
	v_bfe_u32 v2, v7, 24, 3
	v_ffbh_u32_e32 v14, v2
	v_min_u32_e32 v14, 32, v14
	v_lshrrev_b32_e32 v12, 27, v7
	v_subrev_u32_e32 v15, 28, v14
	v_and_b32_e32 v6, 0x80000000, v7
	v_and_b32_e32 v12, 15, v12
	v_bfe_u32 v13, v7, 27, 4
	v_lshlrev_b32_sdwa v7, v15, v7 dst_sel:DWORD dst_unused:UNUSED_PAD src0_sel:DWORD src1_sel:BYTE_3
	v_sub_u32_e32 v14, 29, v14
	v_and_b32_e32 v7, 7, v7
	v_cmp_eq_u16_e32 vcc, 0, v12
	v_cndmask_b32_e32 v2, v2, v7, vcc
	v_cndmask_b32_e32 v7, v13, v14, vcc
	v_mov_b32_e32 v12, 0x3b800000
	v_lshlrev_b32_e32 v2, 20, v2
	v_lshl_add_u32 v7, v7, 23, v12
	v_or3_b32 v2, v6, v7, v2
.LBB4_1596:
	s_or_b64 exec, exec, s[6:7]
	s_movk_i32 s4, 0x7f
	v_cmp_gt_i16_sdwa s[6:7], v3, s4 src0_sel:BYTE_3 src1_sel:DWORD
	s_mov_b64 s[4:5], 0
                                        ; implicit-def: $sgpr10
	s_and_saveexec_b64 s[8:9], s[6:7]
	s_xor_b64 s[6:7], exec, s[8:9]
	s_cbranch_execnz .LBB4_3645
; %bb.1597:
	s_or_saveexec_b64 s[6:7], s[6:7]
	v_mov_b32_e32 v6, s10
	s_xor_b64 exec, exec, s[6:7]
	s_cbranch_execnz .LBB4_3648
.LBB4_1598:
	s_or_b64 exec, exec, s[6:7]
	s_and_saveexec_b64 s[6:7], s[4:5]
	s_cbranch_execz .LBB4_1600
.LBB4_1599:
	v_bfe_u32 v6, v3, 24, 3
	v_ffbh_u32_e32 v14, v6
	v_min_u32_e32 v14, 32, v14
	v_lshrrev_b32_e32 v12, 27, v3
	v_subrev_u32_e32 v15, 28, v14
	v_and_b32_e32 v7, 0x80000000, v3
	v_and_b32_e32 v12, 15, v12
	v_bfe_u32 v13, v3, 27, 4
	v_lshlrev_b32_sdwa v3, v15, v3 dst_sel:DWORD dst_unused:UNUSED_PAD src0_sel:DWORD src1_sel:BYTE_3
	v_sub_u32_e32 v14, 29, v14
	v_and_b32_e32 v3, 7, v3
	v_cmp_eq_u16_e32 vcc, 0, v12
	v_cndmask_b32_e32 v3, v6, v3, vcc
	v_cndmask_b32_e32 v6, v13, v14, vcc
	v_mov_b32_e32 v12, 0x3b800000
	v_lshlrev_b32_e32 v3, 20, v3
	v_lshl_add_u32 v6, v6, 23, v12
	v_or3_b32 v6, v7, v6, v3
.LBB4_1600:
	s_or_b64 exec, exec, s[6:7]
	s_nop 0
	v_mfma_f32_16x16x4f32 a[0:3], v2, v6, a[0:3]
	s_movk_i32 s4, 0x7f
	v_cmp_gt_i16_sdwa s[6:7], v8, s4 src0_sel:BYTE_0 src1_sel:DWORD
	s_mov_b64 s[4:5], 0
                                        ; implicit-def: $sgpr10
	s_and_saveexec_b64 s[8:9], s[6:7]
	s_xor_b64 s[6:7], exec, s[8:9]
	s_cbranch_execnz .LBB4_3649
; %bb.1601:
	s_or_saveexec_b64 s[6:7], s[6:7]
	v_mov_b32_e32 v2, s10
	s_xor_b64 exec, exec, s[6:7]
	s_cbranch_execnz .LBB4_3652
.LBB4_1602:
	s_or_b64 exec, exec, s[6:7]
	s_and_saveexec_b64 s[6:7], s[4:5]
	s_cbranch_execz .LBB4_1604
.LBB4_1603:
	v_and_b32_e32 v2, 7, v8
	v_ffbh_u32_e32 v6, v2
	v_min_u32_e32 v6, 32, v6
	v_lshrrev_b16_e32 v3, 3, v8
	v_subrev_u32_e32 v7, 28, v6
	v_and_b32_e32 v3, 15, v3
	v_lshlrev_b32_e32 v7, v7, v8
	v_sub_u32_e32 v6, 29, v6
	v_and_b32_e32 v7, 7, v7
	v_cmp_eq_u16_e32 vcc, 0, v3
	v_cndmask_b32_e32 v2, v2, v7, vcc
	v_cndmask_b32_e32 v3, v3, v6, vcc
	v_lshlrev_b32_e32 v6, 24, v8
	v_mov_b32_e32 v7, 0x3b800000
	v_lshlrev_b32_e32 v2, 20, v2
	v_and_b32_e32 v6, 0x80000000, v6
	v_lshl_add_u32 v3, v3, 23, v7
	v_or3_b32 v2, v6, v3, v2
.LBB4_1604:
	s_or_b64 exec, exec, s[6:7]
	s_movk_i32 s4, 0x7f
	v_cmp_gt_i16_sdwa s[6:7], v4, s4 src0_sel:BYTE_0 src1_sel:DWORD
	s_mov_b64 s[4:5], 0
                                        ; implicit-def: $sgpr10
	s_and_saveexec_b64 s[8:9], s[6:7]
	s_xor_b64 s[6:7], exec, s[8:9]
	s_cbranch_execnz .LBB4_3653
; %bb.1605:
	s_or_saveexec_b64 s[6:7], s[6:7]
	v_mov_b32_e32 v3, s10
	s_xor_b64 exec, exec, s[6:7]
	s_cbranch_execnz .LBB4_3656
.LBB4_1606:
	s_or_b64 exec, exec, s[6:7]
	s_and_saveexec_b64 s[6:7], s[4:5]
	s_cbranch_execz .LBB4_1608
.LBB4_1607:
	v_and_b32_e32 v3, 7, v4
	v_ffbh_u32_e32 v7, v3
	v_min_u32_e32 v7, 32, v7
	v_lshrrev_b16_e32 v6, 3, v4
	v_subrev_u32_e32 v12, 28, v7
	v_and_b32_e32 v6, 15, v6
	v_lshlrev_b32_e32 v12, v12, v4
	v_sub_u32_e32 v7, 29, v7
	v_and_b32_e32 v12, 7, v12
	v_cmp_eq_u16_e32 vcc, 0, v6
	v_cndmask_b32_e32 v3, v3, v12, vcc
	v_cndmask_b32_e32 v6, v6, v7, vcc
	v_lshlrev_b32_e32 v7, 24, v4
	v_mov_b32_e32 v12, 0x3b800000
	v_lshlrev_b32_e32 v3, 20, v3
	v_and_b32_e32 v7, 0x80000000, v7
	v_lshl_add_u32 v6, v6, 23, v12
	v_or3_b32 v3, v7, v6, v3
.LBB4_1608:
	s_or_b64 exec, exec, s[6:7]
	s_nop 0
	v_mfma_f32_16x16x4f32 a[0:3], v2, v3, a[0:3]
	v_lshrrev_b32_e32 v3, 8, v8
	s_movk_i32 s4, 0x7f
	v_cmp_gt_i16_sdwa s[6:7], v3, s4 src0_sel:BYTE_0 src1_sel:DWORD
	s_mov_b64 s[4:5], 0
                                        ; implicit-def: $sgpr10
	s_and_saveexec_b64 s[8:9], s[6:7]
	s_xor_b64 s[6:7], exec, s[8:9]
	s_cbranch_execnz .LBB4_3657
; %bb.1609:
	s_or_saveexec_b64 s[6:7], s[6:7]
	v_mov_b32_e32 v2, s10
	s_xor_b64 exec, exec, s[6:7]
	s_cbranch_execnz .LBB4_3660
.LBB4_1610:
	s_or_b64 exec, exec, s[6:7]
	s_and_saveexec_b64 s[6:7], s[4:5]
	s_cbranch_execz .LBB4_1612
.LBB4_1611:
	v_bfe_u32 v2, v8, 8, 3
	v_ffbh_u32_e32 v7, v2
	v_min_u32_e32 v7, 32, v7
	v_lshrrev_b16_e32 v6, 3, v3
	v_subrev_u32_e32 v12, 28, v7
	v_and_b32_e32 v6, 15, v6
	v_lshlrev_b32_e32 v3, v12, v3
	v_sub_u32_e32 v7, 29, v7
	v_and_b32_e32 v3, 7, v3
	v_cmp_eq_u16_e32 vcc, 0, v6
	v_cndmask_b32_e32 v2, v2, v3, vcc
	v_cndmask_b32_e32 v3, v6, v7, vcc
	v_lshlrev_b32_e32 v6, 16, v8
	v_mov_b32_e32 v7, 0x3b800000
	v_lshlrev_b32_e32 v2, 20, v2
	v_and_b32_e32 v6, 0x80000000, v6
	v_lshl_add_u32 v3, v3, 23, v7
	v_or3_b32 v2, v6, v3, v2
.LBB4_1612:
	s_or_b64 exec, exec, s[6:7]
	v_lshrrev_b32_e32 v3, 8, v4
	s_movk_i32 s4, 0x7f
	v_cmp_gt_i16_sdwa s[6:7], v3, s4 src0_sel:BYTE_0 src1_sel:DWORD
	s_mov_b64 s[4:5], 0
                                        ; implicit-def: $sgpr10
	s_and_saveexec_b64 s[8:9], s[6:7]
	s_xor_b64 s[6:7], exec, s[8:9]
	s_cbranch_execnz .LBB4_3661
; %bb.1613:
	s_or_saveexec_b64 s[6:7], s[6:7]
	v_mov_b32_e32 v6, s10
	s_xor_b64 exec, exec, s[6:7]
	s_cbranch_execnz .LBB4_3664
.LBB4_1614:
	s_or_b64 exec, exec, s[6:7]
	s_and_saveexec_b64 s[6:7], s[4:5]
	s_cbranch_execz .LBB4_1616
.LBB4_1615:
	v_bfe_u32 v6, v4, 8, 3
	v_ffbh_u32_e32 v12, v6
	v_min_u32_e32 v12, 32, v12
	v_lshrrev_b16_e32 v7, 3, v3
	v_subrev_u32_e32 v13, 28, v12
	v_and_b32_e32 v7, 15, v7
	v_lshlrev_b32_e32 v3, v13, v3
	v_sub_u32_e32 v12, 29, v12
	v_and_b32_e32 v3, 7, v3
	v_cmp_eq_u16_e32 vcc, 0, v7
	v_cndmask_b32_e32 v3, v6, v3, vcc
	v_cndmask_b32_e32 v6, v7, v12, vcc
	v_lshlrev_b32_e32 v7, 16, v4
	v_mov_b32_e32 v12, 0x3b800000
	v_lshlrev_b32_e32 v3, 20, v3
	v_and_b32_e32 v7, 0x80000000, v7
	v_lshl_add_u32 v6, v6, 23, v12
	v_or3_b32 v6, v7, v6, v3
.LBB4_1616:
	s_or_b64 exec, exec, s[6:7]
	s_nop 0
	v_mfma_f32_16x16x4f32 a[0:3], v2, v6, a[0:3]
	s_movk_i32 s4, 0xff
	v_and_b32_sdwa v3, v8, s4 dst_sel:DWORD dst_unused:UNUSED_PAD src0_sel:WORD_1 src1_sel:DWORD
	s_movk_i32 s4, 0x7f
	v_cmp_lt_i16_e32 vcc, s4, v3
	s_mov_b64 s[4:5], 0
                                        ; implicit-def: $sgpr10
	s_and_saveexec_b64 s[6:7], vcc
	s_xor_b64 s[6:7], exec, s[6:7]
	s_cbranch_execnz .LBB4_3665
; %bb.1617:
	s_or_saveexec_b64 s[6:7], s[6:7]
	v_mov_b32_e32 v2, s10
	s_xor_b64 exec, exec, s[6:7]
	s_cbranch_execnz .LBB4_3668
.LBB4_1618:
	s_or_b64 exec, exec, s[6:7]
	s_and_saveexec_b64 s[6:7], s[4:5]
	s_cbranch_execz .LBB4_1620
.LBB4_1619:
	v_bfe_u32 v2, v8, 16, 3
	v_ffbh_u32_e32 v7, v2
	v_min_u32_e32 v7, 32, v7
	v_lshrrev_b32_e32 v3, 19, v8
	v_subrev_u32_e32 v12, 28, v7
	v_and_b32_e32 v3, 15, v3
	v_lshlrev_b32_sdwa v12, v12, v8 dst_sel:DWORD dst_unused:UNUSED_PAD src0_sel:DWORD src1_sel:WORD_1
	v_bfe_u32 v6, v8, 19, 4
	v_sub_u32_e32 v7, 29, v7
	v_and_b32_e32 v12, 7, v12
	v_cmp_eq_u16_e32 vcc, 0, v3
	v_cndmask_b32_e32 v2, v2, v12, vcc
	v_cndmask_b32_e32 v3, v6, v7, vcc
	v_lshlrev_b32_e32 v6, 8, v8
	v_mov_b32_e32 v7, 0x3b800000
	v_lshlrev_b32_e32 v2, 20, v2
	v_and_b32_e32 v6, 0x80000000, v6
	v_lshl_add_u32 v3, v3, 23, v7
	v_or3_b32 v2, v6, v3, v2
.LBB4_1620:
	s_or_b64 exec, exec, s[6:7]
	s_movk_i32 s4, 0xff
	v_and_b32_sdwa v3, v4, s4 dst_sel:DWORD dst_unused:UNUSED_PAD src0_sel:WORD_1 src1_sel:DWORD
	s_movk_i32 s4, 0x7f
	v_cmp_lt_i16_e32 vcc, s4, v3
	s_mov_b64 s[4:5], 0
                                        ; implicit-def: $sgpr10
	s_and_saveexec_b64 s[6:7], vcc
	s_xor_b64 s[6:7], exec, s[6:7]
	s_cbranch_execnz .LBB4_3669
; %bb.1621:
	s_or_saveexec_b64 s[6:7], s[6:7]
	v_mov_b32_e32 v6, s10
	s_xor_b64 exec, exec, s[6:7]
	s_cbranch_execnz .LBB4_3672
.LBB4_1622:
	s_or_b64 exec, exec, s[6:7]
	s_and_saveexec_b64 s[6:7], s[4:5]
	s_cbranch_execz .LBB4_1624
.LBB4_1623:
	v_bfe_u32 v3, v4, 16, 3
	v_ffbh_u32_e32 v12, v3
	v_min_u32_e32 v12, 32, v12
	v_lshrrev_b32_e32 v6, 19, v4
	v_subrev_u32_e32 v13, 28, v12
	v_and_b32_e32 v6, 15, v6
	v_lshlrev_b32_sdwa v13, v13, v4 dst_sel:DWORD dst_unused:UNUSED_PAD src0_sel:DWORD src1_sel:WORD_1
	v_bfe_u32 v7, v4, 19, 4
	v_sub_u32_e32 v12, 29, v12
	v_and_b32_e32 v13, 7, v13
	v_cmp_eq_u16_e32 vcc, 0, v6
	v_cndmask_b32_e32 v3, v3, v13, vcc
	v_cndmask_b32_e32 v6, v7, v12, vcc
	v_lshlrev_b32_e32 v7, 8, v4
	v_mov_b32_e32 v12, 0x3b800000
	v_lshlrev_b32_e32 v3, 20, v3
	v_and_b32_e32 v7, 0x80000000, v7
	v_lshl_add_u32 v6, v6, 23, v12
	v_or3_b32 v6, v7, v6, v3
.LBB4_1624:
	s_or_b64 exec, exec, s[6:7]
	s_nop 0
	v_mfma_f32_16x16x4f32 a[0:3], v2, v6, a[0:3]
	s_movk_i32 s4, 0x7f
	v_cmp_gt_i16_sdwa s[6:7], v8, s4 src0_sel:BYTE_3 src1_sel:DWORD
	s_mov_b64 s[4:5], 0
                                        ; implicit-def: $sgpr10
	s_and_saveexec_b64 s[8:9], s[6:7]
	s_xor_b64 s[6:7], exec, s[8:9]
	s_cbranch_execnz .LBB4_3673
; %bb.1625:
	s_or_saveexec_b64 s[6:7], s[6:7]
	v_mov_b32_e32 v2, s10
	s_xor_b64 exec, exec, s[6:7]
	s_cbranch_execnz .LBB4_3676
.LBB4_1626:
	s_or_b64 exec, exec, s[6:7]
	s_and_saveexec_b64 s[6:7], s[4:5]
	s_cbranch_execz .LBB4_1628
.LBB4_1627:
	v_bfe_u32 v2, v8, 24, 3
	v_ffbh_u32_e32 v12, v2
	v_min_u32_e32 v12, 32, v12
	v_lshrrev_b32_e32 v6, 27, v8
	v_subrev_u32_e32 v13, 28, v12
	v_and_b32_e32 v3, 0x80000000, v8
	v_and_b32_e32 v6, 15, v6
	v_bfe_u32 v7, v8, 27, 4
	v_lshlrev_b32_sdwa v8, v13, v8 dst_sel:DWORD dst_unused:UNUSED_PAD src0_sel:DWORD src1_sel:BYTE_3
	v_sub_u32_e32 v12, 29, v12
	v_and_b32_e32 v8, 7, v8
	v_cmp_eq_u16_e32 vcc, 0, v6
	v_cndmask_b32_e32 v2, v2, v8, vcc
	v_cndmask_b32_e32 v6, v7, v12, vcc
	v_mov_b32_e32 v7, 0x3b800000
	v_lshlrev_b32_e32 v2, 20, v2
	v_lshl_add_u32 v6, v6, 23, v7
	v_or3_b32 v2, v3, v6, v2
.LBB4_1628:
	s_or_b64 exec, exec, s[6:7]
	s_movk_i32 s4, 0x7f
	v_cmp_gt_i16_sdwa s[6:7], v4, s4 src0_sel:BYTE_3 src1_sel:DWORD
	s_mov_b64 s[4:5], 0
                                        ; implicit-def: $sgpr10
	s_and_saveexec_b64 s[8:9], s[6:7]
	s_xor_b64 s[6:7], exec, s[8:9]
	s_cbranch_execnz .LBB4_3677
; %bb.1629:
	s_or_saveexec_b64 s[6:7], s[6:7]
	v_mov_b32_e32 v3, s10
	s_xor_b64 exec, exec, s[6:7]
	s_cbranch_execnz .LBB4_3680
.LBB4_1630:
	s_or_b64 exec, exec, s[6:7]
	s_and_saveexec_b64 s[6:7], s[4:5]
	s_cbranch_execz .LBB4_1632
.LBB4_1631:
	v_bfe_u32 v3, v4, 24, 3
	v_ffbh_u32_e32 v12, v3
	v_min_u32_e32 v12, 32, v12
	v_lshrrev_b32_e32 v7, 27, v4
	v_subrev_u32_e32 v13, 28, v12
	v_and_b32_e32 v6, 0x80000000, v4
	v_and_b32_e32 v7, 15, v7
	v_bfe_u32 v8, v4, 27, 4
	v_lshlrev_b32_sdwa v4, v13, v4 dst_sel:DWORD dst_unused:UNUSED_PAD src0_sel:DWORD src1_sel:BYTE_3
	v_sub_u32_e32 v12, 29, v12
	v_and_b32_e32 v4, 7, v4
	v_cmp_eq_u16_e32 vcc, 0, v7
	v_cndmask_b32_e32 v3, v3, v4, vcc
	v_cndmask_b32_e32 v4, v8, v12, vcc
	v_mov_b32_e32 v7, 0x3b800000
	v_lshlrev_b32_e32 v3, 20, v3
	v_lshl_add_u32 v4, v4, 23, v7
	v_or3_b32 v3, v6, v4, v3
.LBB4_1632:
	s_or_b64 exec, exec, s[6:7]
	s_nop 0
	v_mfma_f32_16x16x4f32 a[0:3], v2, v3, a[0:3]
	s_movk_i32 s4, 0x7f
	v_cmp_gt_i16_sdwa s[6:7], v9, s4 src0_sel:BYTE_0 src1_sel:DWORD
	s_mov_b64 s[4:5], 0
                                        ; implicit-def: $sgpr10
	s_and_saveexec_b64 s[8:9], s[6:7]
	s_xor_b64 s[6:7], exec, s[8:9]
	s_cbranch_execnz .LBB4_3681
; %bb.1633:
	s_or_saveexec_b64 s[6:7], s[6:7]
	v_mov_b32_e32 v2, s10
	s_xor_b64 exec, exec, s[6:7]
	s_cbranch_execnz .LBB4_3684
.LBB4_1634:
	s_or_b64 exec, exec, s[6:7]
	s_and_saveexec_b64 s[6:7], s[4:5]
	s_cbranch_execz .LBB4_1636
.LBB4_1635:
	v_mov_b32_e32 v2, 8
	v_and_b32_e32 v3, 7, v9
	v_lshrrev_b32_sdwa v2, v2, v9 dst_sel:BYTE_1 dst_unused:UNUSED_PAD src0_sel:DWORD src1_sel:DWORD
	v_ffbh_u32_e32 v4, v3
	v_or_b32_sdwa v2, v9, v2 dst_sel:DWORD dst_unused:UNUSED_PAD src0_sel:BYTE_0 src1_sel:DWORD
	v_min_u32_e32 v4, 32, v4
	v_lshrrev_b16_e32 v2, 3, v2
	v_subrev_u32_e32 v6, 28, v4
	v_and_b32_e32 v2, 15, v2
	v_lshlrev_b32_e32 v6, v6, v9
	v_sub_u32_e32 v4, 29, v4
	v_and_b32_e32 v6, 7, v6
	v_cmp_eq_u16_e32 vcc, 0, v2
	v_cndmask_b32_e32 v3, v3, v6, vcc
	v_cndmask_b32_e32 v2, v2, v4, vcc
	v_lshlrev_b32_e32 v4, 24, v9
	v_mov_b32_e32 v6, 0x3b800000
	v_lshlrev_b32_e32 v3, 20, v3
	v_and_b32_e32 v4, 0x80000000, v4
	v_lshl_add_u32 v2, v2, 23, v6
	v_or3_b32 v2, v4, v2, v3
.LBB4_1636:
	s_or_b64 exec, exec, s[6:7]
	s_movk_i32 s4, 0x7f
	v_cmp_gt_i16_sdwa s[6:7], v5, s4 src0_sel:BYTE_0 src1_sel:DWORD
	s_mov_b64 s[4:5], 0
                                        ; implicit-def: $sgpr10
	s_and_saveexec_b64 s[8:9], s[6:7]
	s_xor_b64 s[6:7], exec, s[8:9]
	s_cbranch_execnz .LBB4_3685
; %bb.1637:
	s_or_saveexec_b64 s[6:7], s[6:7]
	v_mov_b32_e32 v3, s10
	s_xor_b64 exec, exec, s[6:7]
	s_cbranch_execnz .LBB4_3688
.LBB4_1638:
	s_or_b64 exec, exec, s[6:7]
	s_and_saveexec_b64 s[6:7], s[4:5]
	s_cbranch_execz .LBB4_1640
.LBB4_1639:
	v_mov_b32_e32 v3, 8
	v_and_b32_e32 v4, 7, v5
	v_lshrrev_b32_sdwa v3, v3, v5 dst_sel:BYTE_1 dst_unused:UNUSED_PAD src0_sel:DWORD src1_sel:DWORD
	v_ffbh_u32_e32 v6, v4
	v_or_b32_sdwa v3, v5, v3 dst_sel:DWORD dst_unused:UNUSED_PAD src0_sel:BYTE_0 src1_sel:DWORD
	v_min_u32_e32 v6, 32, v6
	v_lshrrev_b16_e32 v3, 3, v3
	v_subrev_u32_e32 v7, 28, v6
	v_and_b32_e32 v3, 15, v3
	v_lshlrev_b32_e32 v7, v7, v5
	v_sub_u32_e32 v6, 29, v6
	v_and_b32_e32 v7, 7, v7
	v_cmp_eq_u16_e32 vcc, 0, v3
	v_cndmask_b32_e32 v4, v4, v7, vcc
	v_cndmask_b32_e32 v3, v3, v6, vcc
	v_lshlrev_b32_e32 v6, 24, v5
	v_mov_b32_e32 v7, 0x3b800000
	v_lshlrev_b32_e32 v4, 20, v4
	v_and_b32_e32 v6, 0x80000000, v6
	v_lshl_add_u32 v3, v3, 23, v7
	v_or3_b32 v3, v6, v3, v4
.LBB4_1640:
	s_or_b64 exec, exec, s[6:7]
	s_nop 0
	v_mfma_f32_16x16x4f32 a[0:3], v2, v3, a[0:3]
	v_lshrrev_b32_e32 v3, 8, v9
	s_movk_i32 s4, 0x7f
	v_cmp_gt_i16_sdwa s[6:7], v3, s4 src0_sel:BYTE_0 src1_sel:DWORD
	s_mov_b64 s[4:5], 0
                                        ; implicit-def: $sgpr10
	s_and_saveexec_b64 s[8:9], s[6:7]
	s_xor_b64 s[6:7], exec, s[8:9]
	s_cbranch_execnz .LBB4_3689
; %bb.1641:
	s_or_saveexec_b64 s[6:7], s[6:7]
	v_mov_b32_e32 v2, s10
	s_xor_b64 exec, exec, s[6:7]
	s_cbranch_execnz .LBB4_3692
.LBB4_1642:
	s_or_b64 exec, exec, s[6:7]
	s_and_saveexec_b64 s[6:7], s[4:5]
	s_cbranch_execz .LBB4_1644
.LBB4_1643:
	v_bfe_u32 v2, v9, 8, 3
	v_ffbh_u32_e32 v6, v2
	v_min_u32_e32 v6, 32, v6
	v_lshrrev_b16_e32 v4, 3, v3
	v_subrev_u32_e32 v7, 28, v6
	v_and_b32_e32 v4, 15, v4
	v_lshlrev_b32_e32 v3, v7, v3
	v_sub_u32_e32 v6, 29, v6
	v_and_b32_e32 v3, 7, v3
	v_cmp_eq_u16_e32 vcc, 0, v4
	v_cndmask_b32_e32 v2, v2, v3, vcc
	v_cndmask_b32_e32 v3, v4, v6, vcc
	v_lshlrev_b32_e32 v4, 16, v9
	v_mov_b32_e32 v6, 0x3b800000
	v_lshlrev_b32_e32 v2, 20, v2
	v_and_b32_e32 v4, 0x80000000, v4
	v_lshl_add_u32 v3, v3, 23, v6
	v_or3_b32 v2, v4, v3, v2
.LBB4_1644:
	s_or_b64 exec, exec, s[6:7]
	v_lshrrev_b32_e32 v3, 8, v5
	s_movk_i32 s4, 0x7f
	v_cmp_gt_i16_sdwa s[6:7], v3, s4 src0_sel:BYTE_0 src1_sel:DWORD
	s_mov_b64 s[4:5], 0
                                        ; implicit-def: $sgpr10
	s_and_saveexec_b64 s[8:9], s[6:7]
	s_xor_b64 s[6:7], exec, s[8:9]
	s_cbranch_execnz .LBB4_3693
; %bb.1645:
	s_or_saveexec_b64 s[6:7], s[6:7]
	v_mov_b32_e32 v4, s10
	s_xor_b64 exec, exec, s[6:7]
	s_cbranch_execnz .LBB4_3696
.LBB4_1646:
	s_or_b64 exec, exec, s[6:7]
	s_and_saveexec_b64 s[6:7], s[4:5]
	s_cbranch_execz .LBB4_1648
.LBB4_1647:
	v_bfe_u32 v4, v5, 8, 3
	v_ffbh_u32_e32 v7, v4
	v_min_u32_e32 v7, 32, v7
	v_lshrrev_b16_e32 v6, 3, v3
	v_subrev_u32_e32 v8, 28, v7
	v_and_b32_e32 v6, 15, v6
	v_lshlrev_b32_e32 v3, v8, v3
	v_sub_u32_e32 v7, 29, v7
	v_and_b32_e32 v3, 7, v3
	v_cmp_eq_u16_e32 vcc, 0, v6
	v_cndmask_b32_e32 v3, v4, v3, vcc
	v_cndmask_b32_e32 v4, v6, v7, vcc
	v_lshlrev_b32_e32 v6, 16, v5
	v_mov_b32_e32 v7, 0x3b800000
	v_lshlrev_b32_e32 v3, 20, v3
	v_and_b32_e32 v6, 0x80000000, v6
	v_lshl_add_u32 v4, v4, 23, v7
	v_or3_b32 v4, v6, v4, v3
.LBB4_1648:
	s_or_b64 exec, exec, s[6:7]
	s_nop 0
	v_mfma_f32_16x16x4f32 a[0:3], v2, v4, a[0:3]
	s_movk_i32 s4, 0xff
	v_and_b32_sdwa v3, v9, s4 dst_sel:DWORD dst_unused:UNUSED_PAD src0_sel:WORD_1 src1_sel:DWORD
	s_movk_i32 s4, 0x7f
	v_cmp_lt_i16_e32 vcc, s4, v3
	s_mov_b64 s[4:5], 0
                                        ; implicit-def: $sgpr10
	s_and_saveexec_b64 s[6:7], vcc
	s_xor_b64 s[6:7], exec, s[6:7]
	s_cbranch_execnz .LBB4_3697
; %bb.1649:
	s_or_saveexec_b64 s[6:7], s[6:7]
	v_mov_b32_e32 v2, s10
	s_xor_b64 exec, exec, s[6:7]
	s_cbranch_execnz .LBB4_3700
.LBB4_1650:
	s_or_b64 exec, exec, s[6:7]
	s_and_saveexec_b64 s[6:7], s[4:5]
	s_cbranch_execz .LBB4_1652
.LBB4_1651:
	v_bfe_u32 v2, v9, 16, 3
	v_ffbh_u32_e32 v6, v2
	v_min_u32_e32 v6, 32, v6
	v_lshrrev_b32_e32 v3, 19, v9
	v_subrev_u32_e32 v7, 28, v6
	v_and_b32_e32 v3, 15, v3
	v_lshlrev_b32_sdwa v7, v7, v9 dst_sel:DWORD dst_unused:UNUSED_PAD src0_sel:DWORD src1_sel:WORD_1
	v_bfe_u32 v4, v9, 19, 4
	v_sub_u32_e32 v6, 29, v6
	v_and_b32_e32 v7, 7, v7
	v_cmp_eq_u16_e32 vcc, 0, v3
	v_cndmask_b32_e32 v2, v2, v7, vcc
	v_cndmask_b32_e32 v3, v4, v6, vcc
	v_lshlrev_b32_e32 v4, 8, v9
	v_mov_b32_e32 v6, 0x3b800000
	v_lshlrev_b32_e32 v2, 20, v2
	v_and_b32_e32 v4, 0x80000000, v4
	v_lshl_add_u32 v3, v3, 23, v6
	v_or3_b32 v2, v4, v3, v2
.LBB4_1652:
	s_or_b64 exec, exec, s[6:7]
	s_movk_i32 s4, 0xff
	v_and_b32_sdwa v3, v5, s4 dst_sel:DWORD dst_unused:UNUSED_PAD src0_sel:WORD_1 src1_sel:DWORD
	s_movk_i32 s4, 0x7f
	v_cmp_lt_i16_e32 vcc, s4, v3
	s_mov_b64 s[4:5], 0
                                        ; implicit-def: $sgpr10
	s_and_saveexec_b64 s[6:7], vcc
	s_xor_b64 s[6:7], exec, s[6:7]
	s_cbranch_execnz .LBB4_3701
; %bb.1653:
	s_or_saveexec_b64 s[6:7], s[6:7]
	v_mov_b32_e32 v4, s10
	s_xor_b64 exec, exec, s[6:7]
	s_cbranch_execnz .LBB4_3704
.LBB4_1654:
	s_or_b64 exec, exec, s[6:7]
	s_and_saveexec_b64 s[6:7], s[4:5]
	s_cbranch_execz .LBB4_1656
.LBB4_1655:
	v_bfe_u32 v3, v5, 16, 3
	v_ffbh_u32_e32 v7, v3
	v_min_u32_e32 v7, 32, v7
	v_lshrrev_b32_e32 v4, 19, v5
	v_subrev_u32_e32 v8, 28, v7
	v_and_b32_e32 v4, 15, v4
	v_lshlrev_b32_sdwa v8, v8, v5 dst_sel:DWORD dst_unused:UNUSED_PAD src0_sel:DWORD src1_sel:WORD_1
	v_bfe_u32 v6, v5, 19, 4
	v_sub_u32_e32 v7, 29, v7
	v_and_b32_e32 v8, 7, v8
	v_cmp_eq_u16_e32 vcc, 0, v4
	v_cndmask_b32_e32 v3, v3, v8, vcc
	v_cndmask_b32_e32 v4, v6, v7, vcc
	v_lshlrev_b32_e32 v6, 8, v5
	v_mov_b32_e32 v7, 0x3b800000
	v_lshlrev_b32_e32 v3, 20, v3
	v_and_b32_e32 v6, 0x80000000, v6
	v_lshl_add_u32 v4, v4, 23, v7
	v_or3_b32 v4, v6, v4, v3
.LBB4_1656:
	s_or_b64 exec, exec, s[6:7]
	s_nop 0
	v_mfma_f32_16x16x4f32 a[0:3], v2, v4, a[0:3]
	s_movk_i32 s4, 0x7f
	v_cmp_gt_i16_sdwa s[6:7], v9, s4 src0_sel:BYTE_3 src1_sel:DWORD
	s_mov_b64 s[4:5], 0
                                        ; implicit-def: $sgpr10
	s_and_saveexec_b64 s[8:9], s[6:7]
	s_xor_b64 s[6:7], exec, s[8:9]
	s_cbranch_execnz .LBB4_3705
; %bb.1657:
	s_or_saveexec_b64 s[6:7], s[6:7]
	v_mov_b32_e32 v2, s10
	s_xor_b64 exec, exec, s[6:7]
	s_cbranch_execnz .LBB4_3708
.LBB4_1658:
	s_or_b64 exec, exec, s[6:7]
	s_and_saveexec_b64 s[6:7], s[4:5]
	s_cbranch_execz .LBB4_1660
.LBB4_1659:
	v_bfe_u32 v2, v9, 24, 3
	v_ffbh_u32_e32 v7, v2
	v_min_u32_e32 v7, 32, v7
	v_lshrrev_b32_e32 v4, 27, v9
	v_subrev_u32_e32 v8, 28, v7
	v_and_b32_e32 v4, 15, v4
	v_lshlrev_b32_sdwa v8, v8, v9 dst_sel:DWORD dst_unused:UNUSED_PAD src0_sel:DWORD src1_sel:BYTE_3
	v_bfe_u32 v6, v9, 27, 4
	v_sub_u32_e32 v7, 29, v7
	v_and_b32_e32 v8, 7, v8
	v_cmp_eq_u16_e32 vcc, 0, v4
	v_cndmask_b32_e32 v2, v2, v8, vcc
	v_cndmask_b32_e32 v4, v6, v7, vcc
	v_mov_b32_e32 v6, 0x3b800000
	v_and_b32_e32 v3, 0x80000000, v9
	v_lshlrev_b32_e32 v2, 20, v2
	v_lshl_add_u32 v4, v4, 23, v6
	v_or3_b32 v2, v3, v4, v2
.LBB4_1660:
	s_or_b64 exec, exec, s[6:7]
	s_movk_i32 s4, 0x7f
	v_cmp_gt_i16_sdwa s[6:7], v5, s4 src0_sel:BYTE_3 src1_sel:DWORD
	s_mov_b64 s[4:5], 0
                                        ; implicit-def: $sgpr10
	s_and_saveexec_b64 s[8:9], s[6:7]
	s_xor_b64 s[6:7], exec, s[8:9]
	s_cbranch_execnz .LBB4_3709
; %bb.1661:
	s_or_saveexec_b64 s[6:7], s[6:7]
	v_mov_b32_e32 v3, s10
	s_xor_b64 exec, exec, s[6:7]
	s_cbranch_execnz .LBB4_3712
.LBB4_1662:
	s_or_b64 exec, exec, s[6:7]
	s_and_saveexec_b64 s[6:7], s[4:5]
	s_cbranch_execz .LBB4_1664
.LBB4_1663:
	v_bfe_u32 v3, v5, 24, 3
	v_ffbh_u32_e32 v8, v3
	v_min_u32_e32 v8, 32, v8
	v_lshrrev_b32_e32 v6, 27, v5
	v_subrev_u32_e32 v9, 28, v8
	v_and_b32_e32 v4, 0x80000000, v5
	v_and_b32_e32 v6, 15, v6
	v_bfe_u32 v7, v5, 27, 4
	v_lshlrev_b32_sdwa v5, v9, v5 dst_sel:DWORD dst_unused:UNUSED_PAD src0_sel:DWORD src1_sel:BYTE_3
	v_sub_u32_e32 v8, 29, v8
	v_and_b32_e32 v5, 7, v5
	v_cmp_eq_u16_e32 vcc, 0, v6
	v_cndmask_b32_e32 v3, v3, v5, vcc
	v_cndmask_b32_e32 v5, v7, v8, vcc
	v_mov_b32_e32 v6, 0x3b800000
	v_lshlrev_b32_e32 v3, 20, v3
	v_lshl_add_u32 v5, v5, 23, v6
	v_or3_b32 v3, v4, v5, v3
.LBB4_1664:
	s_or_b64 exec, exec, s[6:7]
	s_nop 0
	v_mfma_f32_16x16x4f32 a[0:3], v2, v3, a[0:3]
	s_movk_i32 s4, 0x7f
                                        ; implicit-def: $sgpr10
	s_nop 7
	s_nop 1
	flat_store_dwordx4 v[10:11], a[0:3] offset:192
	flat_load_dwordx4 v[12:15], v[0:1] offset:8
	s_nop 0
	flat_load_dwordx2 v[10:11], v[0:1] offset:32
	s_waitcnt vmcnt(0) lgkmcnt(0)
	flat_load_dwordx4 v[6:9], v[12:13] offset:112
	flat_load_dwordx4 v[2:5], v[14:15] offset:48
	s_waitcnt vmcnt(0) lgkmcnt(0)
	v_cmp_gt_i16_sdwa s[6:7], v6, s4 src0_sel:BYTE_0 src1_sel:DWORD
	s_mov_b64 s[4:5], 0
	s_and_saveexec_b64 s[8:9], s[6:7]
	s_xor_b64 s[6:7], exec, s[8:9]
	s_cbranch_execnz .LBB4_3713
; %bb.1665:
	s_or_saveexec_b64 s[6:7], s[6:7]
	v_mov_b32_e32 v12, s10
	s_xor_b64 exec, exec, s[6:7]
	s_cbranch_execnz .LBB4_3716
.LBB4_1666:
	s_or_b64 exec, exec, s[6:7]
	s_and_saveexec_b64 s[6:7], s[4:5]
	s_cbranch_execz .LBB4_1668
.LBB4_1667:
	v_and_b32_e32 v12, 7, v6
	v_ffbh_u32_e32 v14, v12
	v_min_u32_e32 v14, 32, v14
	v_lshrrev_b16_e32 v13, 3, v6
	v_subrev_u32_e32 v15, 28, v14
	v_and_b32_e32 v13, 15, v13
	v_lshlrev_b32_e32 v15, v15, v6
	v_sub_u32_e32 v14, 29, v14
	v_and_b32_e32 v15, 7, v15
	v_cmp_eq_u16_e32 vcc, 0, v13
	v_cndmask_b32_e32 v12, v12, v15, vcc
	v_cndmask_b32_e32 v13, v13, v14, vcc
	v_lshlrev_b32_e32 v14, 24, v6
	v_mov_b32_e32 v15, 0x3b800000
	v_lshlrev_b32_e32 v12, 20, v12
	v_and_b32_e32 v14, 0x80000000, v14
	v_lshl_add_u32 v13, v13, 23, v15
	v_or3_b32 v12, v14, v13, v12
.LBB4_1668:
	s_or_b64 exec, exec, s[6:7]
	s_movk_i32 s4, 0x7f
	v_cmp_gt_i16_sdwa s[6:7], v2, s4 src0_sel:BYTE_0 src1_sel:DWORD
	s_mov_b64 s[4:5], 0
                                        ; implicit-def: $sgpr10
	s_and_saveexec_b64 s[8:9], s[6:7]
	s_xor_b64 s[6:7], exec, s[8:9]
	s_cbranch_execnz .LBB4_3717
; %bb.1669:
	s_or_saveexec_b64 s[6:7], s[6:7]
	v_mov_b32_e32 v13, s10
	s_xor_b64 exec, exec, s[6:7]
	s_cbranch_execnz .LBB4_3720
.LBB4_1670:
	s_or_b64 exec, exec, s[6:7]
	s_and_saveexec_b64 s[6:7], s[4:5]
	s_cbranch_execz .LBB4_1672
.LBB4_1671:
	v_and_b32_e32 v13, 7, v2
	v_ffbh_u32_e32 v15, v13
	v_min_u32_e32 v15, 32, v15
	v_lshrrev_b16_e32 v14, 3, v2
	v_subrev_u32_e32 v16, 28, v15
	v_and_b32_e32 v14, 15, v14
	v_lshlrev_b32_e32 v16, v16, v2
	v_sub_u32_e32 v15, 29, v15
	v_and_b32_e32 v16, 7, v16
	v_cmp_eq_u16_e32 vcc, 0, v14
	v_cndmask_b32_e32 v13, v13, v16, vcc
	v_cndmask_b32_e32 v14, v14, v15, vcc
	v_lshlrev_b32_e32 v15, 24, v2
	v_mov_b32_e32 v16, 0x3b800000
	v_lshlrev_b32_e32 v13, 20, v13
	v_and_b32_e32 v15, 0x80000000, v15
	v_lshl_add_u32 v14, v14, 23, v16
	v_or3_b32 v13, v15, v14, v13
.LBB4_1672:
	s_or_b64 exec, exec, s[6:7]
	flat_load_dwordx4 a[0:3], v[10:11] offset:208
	s_movk_i32 s4, 0x7f
                                        ; implicit-def: $sgpr10
	s_waitcnt vmcnt(0) lgkmcnt(0)
	v_mfma_f32_16x16x4f32 a[0:3], v12, v13, a[0:3]
	v_lshrrev_b32_e32 v13, 8, v6
	v_cmp_gt_i16_sdwa s[6:7], v13, s4 src0_sel:BYTE_0 src1_sel:DWORD
	s_mov_b64 s[4:5], 0
	s_and_saveexec_b64 s[8:9], s[6:7]
	s_xor_b64 s[6:7], exec, s[8:9]
	s_cbranch_execnz .LBB4_3721
; %bb.1673:
	s_or_saveexec_b64 s[6:7], s[6:7]
	v_mov_b32_e32 v12, s10
	s_xor_b64 exec, exec, s[6:7]
	s_cbranch_execnz .LBB4_3724
.LBB4_1674:
	s_or_b64 exec, exec, s[6:7]
	s_and_saveexec_b64 s[6:7], s[4:5]
	s_cbranch_execz .LBB4_1676
.LBB4_1675:
	v_bfe_u32 v12, v6, 8, 3
	v_ffbh_u32_e32 v15, v12
	v_min_u32_e32 v15, 32, v15
	v_lshrrev_b16_e32 v14, 3, v13
	v_subrev_u32_e32 v16, 28, v15
	v_and_b32_e32 v14, 15, v14
	v_lshlrev_b32_e32 v13, v16, v13
	v_sub_u32_e32 v15, 29, v15
	v_and_b32_e32 v13, 7, v13
	v_cmp_eq_u16_e32 vcc, 0, v14
	v_cndmask_b32_e32 v12, v12, v13, vcc
	v_cndmask_b32_e32 v13, v14, v15, vcc
	v_lshlrev_b32_e32 v14, 16, v6
	v_mov_b32_e32 v15, 0x3b800000
	v_lshlrev_b32_e32 v12, 20, v12
	v_and_b32_e32 v14, 0x80000000, v14
	v_lshl_add_u32 v13, v13, 23, v15
	v_or3_b32 v12, v14, v13, v12
.LBB4_1676:
	s_or_b64 exec, exec, s[6:7]
	v_lshrrev_b32_e32 v13, 8, v2
	s_movk_i32 s4, 0x7f
	v_cmp_gt_i16_sdwa s[6:7], v13, s4 src0_sel:BYTE_0 src1_sel:DWORD
	s_mov_b64 s[4:5], 0
                                        ; implicit-def: $sgpr10
	s_and_saveexec_b64 s[8:9], s[6:7]
	s_xor_b64 s[6:7], exec, s[8:9]
	s_cbranch_execnz .LBB4_3725
; %bb.1677:
	s_or_saveexec_b64 s[6:7], s[6:7]
	v_mov_b32_e32 v14, s10
	s_xor_b64 exec, exec, s[6:7]
	s_cbranch_execnz .LBB4_3728
.LBB4_1678:
	s_or_b64 exec, exec, s[6:7]
	s_and_saveexec_b64 s[6:7], s[4:5]
	s_cbranch_execz .LBB4_1680
.LBB4_1679:
	v_bfe_u32 v14, v2, 8, 3
	v_ffbh_u32_e32 v16, v14
	v_min_u32_e32 v16, 32, v16
	v_lshrrev_b16_e32 v15, 3, v13
	v_subrev_u32_e32 v17, 28, v16
	v_and_b32_e32 v15, 15, v15
	v_lshlrev_b32_e32 v13, v17, v13
	v_sub_u32_e32 v16, 29, v16
	v_and_b32_e32 v13, 7, v13
	v_cmp_eq_u16_e32 vcc, 0, v15
	v_cndmask_b32_e32 v13, v14, v13, vcc
	v_cndmask_b32_e32 v14, v15, v16, vcc
	v_lshlrev_b32_e32 v15, 16, v2
	v_mov_b32_e32 v16, 0x3b800000
	v_lshlrev_b32_e32 v13, 20, v13
	v_and_b32_e32 v15, 0x80000000, v15
	v_lshl_add_u32 v14, v14, 23, v16
	v_or3_b32 v14, v15, v14, v13
.LBB4_1680:
	s_or_b64 exec, exec, s[6:7]
	s_nop 0
	v_mfma_f32_16x16x4f32 a[0:3], v12, v14, a[0:3]
	s_movk_i32 s4, 0xff
	v_and_b32_sdwa v13, v6, s4 dst_sel:DWORD dst_unused:UNUSED_PAD src0_sel:WORD_1 src1_sel:DWORD
	s_movk_i32 s4, 0x7f
	v_cmp_lt_i16_e32 vcc, s4, v13
	s_mov_b64 s[4:5], 0
                                        ; implicit-def: $sgpr10
	s_and_saveexec_b64 s[6:7], vcc
	s_xor_b64 s[6:7], exec, s[6:7]
	s_cbranch_execnz .LBB4_3729
; %bb.1681:
	s_or_saveexec_b64 s[6:7], s[6:7]
	v_mov_b32_e32 v12, s10
	s_xor_b64 exec, exec, s[6:7]
	s_cbranch_execnz .LBB4_3732
.LBB4_1682:
	s_or_b64 exec, exec, s[6:7]
	s_and_saveexec_b64 s[6:7], s[4:5]
	s_cbranch_execz .LBB4_1684
.LBB4_1683:
	v_bfe_u32 v12, v6, 16, 3
	v_ffbh_u32_e32 v15, v12
	v_min_u32_e32 v15, 32, v15
	v_lshrrev_b32_e32 v13, 19, v6
	v_subrev_u32_e32 v16, 28, v15
	v_and_b32_e32 v13, 15, v13
	v_lshlrev_b32_sdwa v16, v16, v6 dst_sel:DWORD dst_unused:UNUSED_PAD src0_sel:DWORD src1_sel:WORD_1
	v_bfe_u32 v14, v6, 19, 4
	v_sub_u32_e32 v15, 29, v15
	v_and_b32_e32 v16, 7, v16
	v_cmp_eq_u16_e32 vcc, 0, v13
	v_cndmask_b32_e32 v12, v12, v16, vcc
	v_cndmask_b32_e32 v13, v14, v15, vcc
	v_lshlrev_b32_e32 v14, 8, v6
	v_mov_b32_e32 v15, 0x3b800000
	v_lshlrev_b32_e32 v12, 20, v12
	v_and_b32_e32 v14, 0x80000000, v14
	v_lshl_add_u32 v13, v13, 23, v15
	v_or3_b32 v12, v14, v13, v12
.LBB4_1684:
	s_or_b64 exec, exec, s[6:7]
	s_movk_i32 s4, 0xff
	v_and_b32_sdwa v13, v2, s4 dst_sel:DWORD dst_unused:UNUSED_PAD src0_sel:WORD_1 src1_sel:DWORD
	s_movk_i32 s4, 0x7f
	v_cmp_lt_i16_e32 vcc, s4, v13
	s_mov_b64 s[4:5], 0
                                        ; implicit-def: $sgpr10
	s_and_saveexec_b64 s[6:7], vcc
	s_xor_b64 s[6:7], exec, s[6:7]
	s_cbranch_execnz .LBB4_3733
; %bb.1685:
	s_or_saveexec_b64 s[6:7], s[6:7]
	v_mov_b32_e32 v14, s10
	s_xor_b64 exec, exec, s[6:7]
	s_cbranch_execnz .LBB4_3736
.LBB4_1686:
	s_or_b64 exec, exec, s[6:7]
	s_and_saveexec_b64 s[6:7], s[4:5]
	s_cbranch_execz .LBB4_1688
.LBB4_1687:
	v_bfe_u32 v13, v2, 16, 3
	v_ffbh_u32_e32 v16, v13
	v_min_u32_e32 v16, 32, v16
	v_lshrrev_b32_e32 v14, 19, v2
	v_subrev_u32_e32 v17, 28, v16
	v_and_b32_e32 v14, 15, v14
	v_lshlrev_b32_sdwa v17, v17, v2 dst_sel:DWORD dst_unused:UNUSED_PAD src0_sel:DWORD src1_sel:WORD_1
	v_bfe_u32 v15, v2, 19, 4
	v_sub_u32_e32 v16, 29, v16
	v_and_b32_e32 v17, 7, v17
	v_cmp_eq_u16_e32 vcc, 0, v14
	v_cndmask_b32_e32 v13, v13, v17, vcc
	v_cndmask_b32_e32 v14, v15, v16, vcc
	v_lshlrev_b32_e32 v15, 8, v2
	v_mov_b32_e32 v16, 0x3b800000
	v_lshlrev_b32_e32 v13, 20, v13
	v_and_b32_e32 v15, 0x80000000, v15
	v_lshl_add_u32 v14, v14, 23, v16
	v_or3_b32 v14, v15, v14, v13
.LBB4_1688:
	s_or_b64 exec, exec, s[6:7]
	s_nop 0
	v_mfma_f32_16x16x4f32 a[0:3], v12, v14, a[0:3]
	s_movk_i32 s4, 0x7f
	v_cmp_gt_i16_sdwa s[6:7], v6, s4 src0_sel:BYTE_3 src1_sel:DWORD
	s_mov_b64 s[4:5], 0
                                        ; implicit-def: $sgpr10
	s_and_saveexec_b64 s[8:9], s[6:7]
	s_xor_b64 s[6:7], exec, s[8:9]
	s_cbranch_execnz .LBB4_3737
; %bb.1689:
	s_or_saveexec_b64 s[6:7], s[6:7]
	v_mov_b32_e32 v12, s10
	s_xor_b64 exec, exec, s[6:7]
	s_cbranch_execnz .LBB4_3740
.LBB4_1690:
	s_or_b64 exec, exec, s[6:7]
	s_and_saveexec_b64 s[6:7], s[4:5]
	s_cbranch_execz .LBB4_1692
.LBB4_1691:
	v_bfe_u32 v12, v6, 24, 3
	v_ffbh_u32_e32 v16, v12
	v_min_u32_e32 v16, 32, v16
	v_lshrrev_b32_e32 v14, 27, v6
	v_subrev_u32_e32 v17, 28, v16
	v_and_b32_e32 v13, 0x80000000, v6
	v_and_b32_e32 v14, 15, v14
	v_bfe_u32 v15, v6, 27, 4
	v_lshlrev_b32_sdwa v6, v17, v6 dst_sel:DWORD dst_unused:UNUSED_PAD src0_sel:DWORD src1_sel:BYTE_3
	v_sub_u32_e32 v16, 29, v16
	v_and_b32_e32 v6, 7, v6
	v_cmp_eq_u16_e32 vcc, 0, v14
	v_cndmask_b32_e32 v6, v12, v6, vcc
	v_cndmask_b32_e32 v12, v15, v16, vcc
	v_mov_b32_e32 v14, 0x3b800000
	v_lshlrev_b32_e32 v6, 20, v6
	v_lshl_add_u32 v12, v12, 23, v14
	v_or3_b32 v12, v13, v12, v6
.LBB4_1692:
	s_or_b64 exec, exec, s[6:7]
	s_movk_i32 s4, 0x7f
	v_cmp_gt_i16_sdwa s[6:7], v2, s4 src0_sel:BYTE_3 src1_sel:DWORD
	s_mov_b64 s[4:5], 0
                                        ; implicit-def: $sgpr10
	s_and_saveexec_b64 s[8:9], s[6:7]
	s_xor_b64 s[6:7], exec, s[8:9]
	s_cbranch_execnz .LBB4_3741
; %bb.1693:
	s_or_saveexec_b64 s[6:7], s[6:7]
	v_mov_b32_e32 v6, s10
	s_xor_b64 exec, exec, s[6:7]
	s_cbranch_execnz .LBB4_3744
.LBB4_1694:
	s_or_b64 exec, exec, s[6:7]
	s_and_saveexec_b64 s[6:7], s[4:5]
	s_cbranch_execz .LBB4_1696
.LBB4_1695:
	v_bfe_u32 v6, v2, 24, 3
	v_ffbh_u32_e32 v16, v6
	v_min_u32_e32 v16, 32, v16
	v_lshrrev_b32_e32 v14, 27, v2
	v_subrev_u32_e32 v17, 28, v16
	v_and_b32_e32 v13, 0x80000000, v2
	v_and_b32_e32 v14, 15, v14
	v_bfe_u32 v15, v2, 27, 4
	v_lshlrev_b32_sdwa v2, v17, v2 dst_sel:DWORD dst_unused:UNUSED_PAD src0_sel:DWORD src1_sel:BYTE_3
	v_sub_u32_e32 v16, 29, v16
	v_and_b32_e32 v2, 7, v2
	v_cmp_eq_u16_e32 vcc, 0, v14
	v_cndmask_b32_e32 v2, v6, v2, vcc
	v_cndmask_b32_e32 v6, v15, v16, vcc
	v_mov_b32_e32 v14, 0x3b800000
	v_lshlrev_b32_e32 v2, 20, v2
	v_lshl_add_u32 v6, v6, 23, v14
	v_or3_b32 v6, v13, v6, v2
.LBB4_1696:
	s_or_b64 exec, exec, s[6:7]
	s_nop 0
	v_mfma_f32_16x16x4f32 a[0:3], v12, v6, a[0:3]
	s_movk_i32 s4, 0x7f
	v_cmp_gt_i16_sdwa s[6:7], v7, s4 src0_sel:BYTE_0 src1_sel:DWORD
	s_mov_b64 s[4:5], 0
                                        ; implicit-def: $sgpr10
	s_and_saveexec_b64 s[8:9], s[6:7]
	s_xor_b64 s[6:7], exec, s[8:9]
	s_cbranch_execnz .LBB4_3745
; %bb.1697:
	s_or_saveexec_b64 s[6:7], s[6:7]
	v_mov_b32_e32 v2, s10
	s_xor_b64 exec, exec, s[6:7]
	s_cbranch_execnz .LBB4_3748
.LBB4_1698:
	s_or_b64 exec, exec, s[6:7]
	s_and_saveexec_b64 s[6:7], s[4:5]
	s_cbranch_execz .LBB4_1700
.LBB4_1699:
	v_and_b32_e32 v2, 7, v7
	v_ffbh_u32_e32 v12, v2
	v_min_u32_e32 v12, 32, v12
	v_lshrrev_b16_e32 v6, 3, v7
	v_subrev_u32_e32 v13, 28, v12
	v_and_b32_e32 v6, 15, v6
	v_lshlrev_b32_e32 v13, v13, v7
	v_sub_u32_e32 v12, 29, v12
	v_and_b32_e32 v13, 7, v13
	v_cmp_eq_u16_e32 vcc, 0, v6
	v_cndmask_b32_e32 v2, v2, v13, vcc
	v_cndmask_b32_e32 v6, v6, v12, vcc
	v_lshlrev_b32_e32 v12, 24, v7
	v_mov_b32_e32 v13, 0x3b800000
	v_lshlrev_b32_e32 v2, 20, v2
	v_and_b32_e32 v12, 0x80000000, v12
	v_lshl_add_u32 v6, v6, 23, v13
	v_or3_b32 v2, v12, v6, v2
.LBB4_1700:
	s_or_b64 exec, exec, s[6:7]
	s_movk_i32 s4, 0x7f
	v_cmp_gt_i16_sdwa s[6:7], v3, s4 src0_sel:BYTE_0 src1_sel:DWORD
	s_mov_b64 s[4:5], 0
                                        ; implicit-def: $sgpr10
	s_and_saveexec_b64 s[8:9], s[6:7]
	s_xor_b64 s[6:7], exec, s[8:9]
	s_cbranch_execnz .LBB4_3749
; %bb.1701:
	s_or_saveexec_b64 s[6:7], s[6:7]
	v_mov_b32_e32 v6, s10
	s_xor_b64 exec, exec, s[6:7]
	s_cbranch_execnz .LBB4_3752
.LBB4_1702:
	s_or_b64 exec, exec, s[6:7]
	s_and_saveexec_b64 s[6:7], s[4:5]
	s_cbranch_execz .LBB4_1704
.LBB4_1703:
	v_and_b32_e32 v6, 7, v3
	v_ffbh_u32_e32 v13, v6
	v_min_u32_e32 v13, 32, v13
	v_lshrrev_b16_e32 v12, 3, v3
	v_subrev_u32_e32 v14, 28, v13
	v_and_b32_e32 v12, 15, v12
	v_lshlrev_b32_e32 v14, v14, v3
	v_sub_u32_e32 v13, 29, v13
	v_and_b32_e32 v14, 7, v14
	v_cmp_eq_u16_e32 vcc, 0, v12
	v_cndmask_b32_e32 v6, v6, v14, vcc
	v_cndmask_b32_e32 v12, v12, v13, vcc
	v_lshlrev_b32_e32 v13, 24, v3
	v_mov_b32_e32 v14, 0x3b800000
	v_lshlrev_b32_e32 v6, 20, v6
	v_and_b32_e32 v13, 0x80000000, v13
	v_lshl_add_u32 v12, v12, 23, v14
	v_or3_b32 v6, v13, v12, v6
.LBB4_1704:
	s_or_b64 exec, exec, s[6:7]
	s_nop 0
	v_mfma_f32_16x16x4f32 a[0:3], v2, v6, a[0:3]
	v_lshrrev_b32_e32 v6, 8, v7
	s_movk_i32 s4, 0x7f
	v_cmp_gt_i16_sdwa s[6:7], v6, s4 src0_sel:BYTE_0 src1_sel:DWORD
	s_mov_b64 s[4:5], 0
                                        ; implicit-def: $sgpr10
	s_and_saveexec_b64 s[8:9], s[6:7]
	s_xor_b64 s[6:7], exec, s[8:9]
	s_cbranch_execnz .LBB4_3753
; %bb.1705:
	s_or_saveexec_b64 s[6:7], s[6:7]
	v_mov_b32_e32 v2, s10
	s_xor_b64 exec, exec, s[6:7]
	s_cbranch_execnz .LBB4_3756
.LBB4_1706:
	s_or_b64 exec, exec, s[6:7]
	s_and_saveexec_b64 s[6:7], s[4:5]
	s_cbranch_execz .LBB4_1708
.LBB4_1707:
	v_bfe_u32 v2, v7, 8, 3
	v_ffbh_u32_e32 v13, v2
	v_min_u32_e32 v13, 32, v13
	v_lshrrev_b16_e32 v12, 3, v6
	v_subrev_u32_e32 v14, 28, v13
	v_and_b32_e32 v12, 15, v12
	v_lshlrev_b32_e32 v6, v14, v6
	v_sub_u32_e32 v13, 29, v13
	v_and_b32_e32 v6, 7, v6
	v_cmp_eq_u16_e32 vcc, 0, v12
	v_cndmask_b32_e32 v2, v2, v6, vcc
	v_cndmask_b32_e32 v6, v12, v13, vcc
	v_lshlrev_b32_e32 v12, 16, v7
	v_mov_b32_e32 v13, 0x3b800000
	v_lshlrev_b32_e32 v2, 20, v2
	v_and_b32_e32 v12, 0x80000000, v12
	v_lshl_add_u32 v6, v6, 23, v13
	v_or3_b32 v2, v12, v6, v2
.LBB4_1708:
	s_or_b64 exec, exec, s[6:7]
	v_lshrrev_b32_e32 v6, 8, v3
	s_movk_i32 s4, 0x7f
	v_cmp_gt_i16_sdwa s[6:7], v6, s4 src0_sel:BYTE_0 src1_sel:DWORD
	s_mov_b64 s[4:5], 0
                                        ; implicit-def: $sgpr10
	s_and_saveexec_b64 s[8:9], s[6:7]
	s_xor_b64 s[6:7], exec, s[8:9]
	s_cbranch_execnz .LBB4_3757
; %bb.1709:
	s_or_saveexec_b64 s[6:7], s[6:7]
	v_mov_b32_e32 v12, s10
	s_xor_b64 exec, exec, s[6:7]
	s_cbranch_execnz .LBB4_3760
.LBB4_1710:
	s_or_b64 exec, exec, s[6:7]
	s_and_saveexec_b64 s[6:7], s[4:5]
	s_cbranch_execz .LBB4_1712
.LBB4_1711:
	v_bfe_u32 v12, v3, 8, 3
	v_ffbh_u32_e32 v14, v12
	v_min_u32_e32 v14, 32, v14
	v_lshrrev_b16_e32 v13, 3, v6
	v_subrev_u32_e32 v15, 28, v14
	v_and_b32_e32 v13, 15, v13
	v_lshlrev_b32_e32 v6, v15, v6
	v_sub_u32_e32 v14, 29, v14
	v_and_b32_e32 v6, 7, v6
	v_cmp_eq_u16_e32 vcc, 0, v13
	v_cndmask_b32_e32 v6, v12, v6, vcc
	v_cndmask_b32_e32 v12, v13, v14, vcc
	v_lshlrev_b32_e32 v13, 16, v3
	v_mov_b32_e32 v14, 0x3b800000
	v_lshlrev_b32_e32 v6, 20, v6
	v_and_b32_e32 v13, 0x80000000, v13
	v_lshl_add_u32 v12, v12, 23, v14
	v_or3_b32 v12, v13, v12, v6
.LBB4_1712:
	s_or_b64 exec, exec, s[6:7]
	s_nop 0
	v_mfma_f32_16x16x4f32 a[0:3], v2, v12, a[0:3]
	s_movk_i32 s4, 0xff
	v_and_b32_sdwa v6, v7, s4 dst_sel:DWORD dst_unused:UNUSED_PAD src0_sel:WORD_1 src1_sel:DWORD
	s_movk_i32 s4, 0x7f
	v_cmp_lt_i16_e32 vcc, s4, v6
	s_mov_b64 s[4:5], 0
                                        ; implicit-def: $sgpr10
	s_and_saveexec_b64 s[6:7], vcc
	s_xor_b64 s[6:7], exec, s[6:7]
	s_cbranch_execnz .LBB4_3761
; %bb.1713:
	s_or_saveexec_b64 s[6:7], s[6:7]
	v_mov_b32_e32 v2, s10
	s_xor_b64 exec, exec, s[6:7]
	s_cbranch_execnz .LBB4_3764
.LBB4_1714:
	s_or_b64 exec, exec, s[6:7]
	s_and_saveexec_b64 s[6:7], s[4:5]
	s_cbranch_execz .LBB4_1716
.LBB4_1715:
	v_bfe_u32 v2, v7, 16, 3
	v_ffbh_u32_e32 v13, v2
	v_min_u32_e32 v13, 32, v13
	v_lshrrev_b32_e32 v6, 19, v7
	v_subrev_u32_e32 v14, 28, v13
	v_and_b32_e32 v6, 15, v6
	v_lshlrev_b32_sdwa v14, v14, v7 dst_sel:DWORD dst_unused:UNUSED_PAD src0_sel:DWORD src1_sel:WORD_1
	v_bfe_u32 v12, v7, 19, 4
	v_sub_u32_e32 v13, 29, v13
	v_and_b32_e32 v14, 7, v14
	v_cmp_eq_u16_e32 vcc, 0, v6
	v_cndmask_b32_e32 v2, v2, v14, vcc
	v_cndmask_b32_e32 v6, v12, v13, vcc
	v_lshlrev_b32_e32 v12, 8, v7
	v_mov_b32_e32 v13, 0x3b800000
	v_lshlrev_b32_e32 v2, 20, v2
	v_and_b32_e32 v12, 0x80000000, v12
	v_lshl_add_u32 v6, v6, 23, v13
	v_or3_b32 v2, v12, v6, v2
.LBB4_1716:
	s_or_b64 exec, exec, s[6:7]
	s_movk_i32 s4, 0xff
	v_and_b32_sdwa v6, v3, s4 dst_sel:DWORD dst_unused:UNUSED_PAD src0_sel:WORD_1 src1_sel:DWORD
	s_movk_i32 s4, 0x7f
	v_cmp_lt_i16_e32 vcc, s4, v6
	s_mov_b64 s[4:5], 0
                                        ; implicit-def: $sgpr10
	s_and_saveexec_b64 s[6:7], vcc
	s_xor_b64 s[6:7], exec, s[6:7]
	s_cbranch_execnz .LBB4_3765
; %bb.1717:
	s_or_saveexec_b64 s[6:7], s[6:7]
	v_mov_b32_e32 v12, s10
	s_xor_b64 exec, exec, s[6:7]
	s_cbranch_execnz .LBB4_3768
.LBB4_1718:
	s_or_b64 exec, exec, s[6:7]
	s_and_saveexec_b64 s[6:7], s[4:5]
	s_cbranch_execz .LBB4_1720
.LBB4_1719:
	v_bfe_u32 v6, v3, 16, 3
	v_ffbh_u32_e32 v14, v6
	v_min_u32_e32 v14, 32, v14
	v_lshrrev_b32_e32 v12, 19, v3
	v_subrev_u32_e32 v15, 28, v14
	v_and_b32_e32 v12, 15, v12
	v_lshlrev_b32_sdwa v15, v15, v3 dst_sel:DWORD dst_unused:UNUSED_PAD src0_sel:DWORD src1_sel:WORD_1
	v_bfe_u32 v13, v3, 19, 4
	v_sub_u32_e32 v14, 29, v14
	v_and_b32_e32 v15, 7, v15
	v_cmp_eq_u16_e32 vcc, 0, v12
	v_cndmask_b32_e32 v6, v6, v15, vcc
	v_cndmask_b32_e32 v12, v13, v14, vcc
	v_lshlrev_b32_e32 v13, 8, v3
	v_mov_b32_e32 v14, 0x3b800000
	v_lshlrev_b32_e32 v6, 20, v6
	v_and_b32_e32 v13, 0x80000000, v13
	v_lshl_add_u32 v12, v12, 23, v14
	v_or3_b32 v12, v13, v12, v6
.LBB4_1720:
	s_or_b64 exec, exec, s[6:7]
	s_nop 0
	v_mfma_f32_16x16x4f32 a[0:3], v2, v12, a[0:3]
	s_movk_i32 s4, 0x7f
	v_cmp_gt_i16_sdwa s[6:7], v7, s4 src0_sel:BYTE_3 src1_sel:DWORD
	s_mov_b64 s[4:5], 0
                                        ; implicit-def: $sgpr10
	s_and_saveexec_b64 s[8:9], s[6:7]
	s_xor_b64 s[6:7], exec, s[8:9]
	s_cbranch_execnz .LBB4_3769
; %bb.1721:
	s_or_saveexec_b64 s[6:7], s[6:7]
	v_mov_b32_e32 v2, s10
	s_xor_b64 exec, exec, s[6:7]
	s_cbranch_execnz .LBB4_3772
.LBB4_1722:
	s_or_b64 exec, exec, s[6:7]
	s_and_saveexec_b64 s[6:7], s[4:5]
	s_cbranch_execz .LBB4_1724
.LBB4_1723:
	v_bfe_u32 v2, v7, 24, 3
	v_ffbh_u32_e32 v14, v2
	v_min_u32_e32 v14, 32, v14
	v_lshrrev_b32_e32 v12, 27, v7
	v_subrev_u32_e32 v15, 28, v14
	v_and_b32_e32 v6, 0x80000000, v7
	v_and_b32_e32 v12, 15, v12
	v_bfe_u32 v13, v7, 27, 4
	v_lshlrev_b32_sdwa v7, v15, v7 dst_sel:DWORD dst_unused:UNUSED_PAD src0_sel:DWORD src1_sel:BYTE_3
	v_sub_u32_e32 v14, 29, v14
	v_and_b32_e32 v7, 7, v7
	v_cmp_eq_u16_e32 vcc, 0, v12
	v_cndmask_b32_e32 v2, v2, v7, vcc
	v_cndmask_b32_e32 v7, v13, v14, vcc
	v_mov_b32_e32 v12, 0x3b800000
	v_lshlrev_b32_e32 v2, 20, v2
	v_lshl_add_u32 v7, v7, 23, v12
	v_or3_b32 v2, v6, v7, v2
.LBB4_1724:
	s_or_b64 exec, exec, s[6:7]
	s_movk_i32 s4, 0x7f
	v_cmp_gt_i16_sdwa s[6:7], v3, s4 src0_sel:BYTE_3 src1_sel:DWORD
	s_mov_b64 s[4:5], 0
                                        ; implicit-def: $sgpr10
	s_and_saveexec_b64 s[8:9], s[6:7]
	s_xor_b64 s[6:7], exec, s[8:9]
	s_cbranch_execnz .LBB4_3773
; %bb.1725:
	s_or_saveexec_b64 s[6:7], s[6:7]
	v_mov_b32_e32 v6, s10
	s_xor_b64 exec, exec, s[6:7]
	s_cbranch_execnz .LBB4_3776
.LBB4_1726:
	s_or_b64 exec, exec, s[6:7]
	s_and_saveexec_b64 s[6:7], s[4:5]
	s_cbranch_execz .LBB4_1728
.LBB4_1727:
	v_bfe_u32 v6, v3, 24, 3
	v_ffbh_u32_e32 v14, v6
	v_min_u32_e32 v14, 32, v14
	v_lshrrev_b32_e32 v12, 27, v3
	v_subrev_u32_e32 v15, 28, v14
	v_and_b32_e32 v7, 0x80000000, v3
	v_and_b32_e32 v12, 15, v12
	v_bfe_u32 v13, v3, 27, 4
	v_lshlrev_b32_sdwa v3, v15, v3 dst_sel:DWORD dst_unused:UNUSED_PAD src0_sel:DWORD src1_sel:BYTE_3
	v_sub_u32_e32 v14, 29, v14
	v_and_b32_e32 v3, 7, v3
	v_cmp_eq_u16_e32 vcc, 0, v12
	v_cndmask_b32_e32 v3, v6, v3, vcc
	v_cndmask_b32_e32 v6, v13, v14, vcc
	v_mov_b32_e32 v12, 0x3b800000
	v_lshlrev_b32_e32 v3, 20, v3
	v_lshl_add_u32 v6, v6, 23, v12
	v_or3_b32 v6, v7, v6, v3
.LBB4_1728:
	s_or_b64 exec, exec, s[6:7]
	s_nop 0
	v_mfma_f32_16x16x4f32 a[0:3], v2, v6, a[0:3]
	s_movk_i32 s4, 0x7f
	v_cmp_gt_i16_sdwa s[6:7], v8, s4 src0_sel:BYTE_0 src1_sel:DWORD
	s_mov_b64 s[4:5], 0
                                        ; implicit-def: $sgpr10
	s_and_saveexec_b64 s[8:9], s[6:7]
	s_xor_b64 s[6:7], exec, s[8:9]
	s_cbranch_execnz .LBB4_3777
; %bb.1729:
	s_or_saveexec_b64 s[6:7], s[6:7]
	v_mov_b32_e32 v2, s10
	s_xor_b64 exec, exec, s[6:7]
	s_cbranch_execnz .LBB4_3780
.LBB4_1730:
	s_or_b64 exec, exec, s[6:7]
	s_and_saveexec_b64 s[6:7], s[4:5]
	s_cbranch_execz .LBB4_1732
.LBB4_1731:
	v_and_b32_e32 v2, 7, v8
	v_ffbh_u32_e32 v6, v2
	v_min_u32_e32 v6, 32, v6
	v_lshrrev_b16_e32 v3, 3, v8
	v_subrev_u32_e32 v7, 28, v6
	v_and_b32_e32 v3, 15, v3
	v_lshlrev_b32_e32 v7, v7, v8
	v_sub_u32_e32 v6, 29, v6
	v_and_b32_e32 v7, 7, v7
	v_cmp_eq_u16_e32 vcc, 0, v3
	v_cndmask_b32_e32 v2, v2, v7, vcc
	v_cndmask_b32_e32 v3, v3, v6, vcc
	v_lshlrev_b32_e32 v6, 24, v8
	v_mov_b32_e32 v7, 0x3b800000
	v_lshlrev_b32_e32 v2, 20, v2
	v_and_b32_e32 v6, 0x80000000, v6
	v_lshl_add_u32 v3, v3, 23, v7
	v_or3_b32 v2, v6, v3, v2
.LBB4_1732:
	s_or_b64 exec, exec, s[6:7]
	s_movk_i32 s4, 0x7f
	v_cmp_gt_i16_sdwa s[6:7], v4, s4 src0_sel:BYTE_0 src1_sel:DWORD
	s_mov_b64 s[4:5], 0
                                        ; implicit-def: $sgpr10
	s_and_saveexec_b64 s[8:9], s[6:7]
	s_xor_b64 s[6:7], exec, s[8:9]
	s_cbranch_execnz .LBB4_3781
; %bb.1733:
	s_or_saveexec_b64 s[6:7], s[6:7]
	v_mov_b32_e32 v3, s10
	s_xor_b64 exec, exec, s[6:7]
	s_cbranch_execnz .LBB4_3784
.LBB4_1734:
	s_or_b64 exec, exec, s[6:7]
	s_and_saveexec_b64 s[6:7], s[4:5]
	s_cbranch_execz .LBB4_1736
.LBB4_1735:
	v_and_b32_e32 v3, 7, v4
	v_ffbh_u32_e32 v7, v3
	v_min_u32_e32 v7, 32, v7
	v_lshrrev_b16_e32 v6, 3, v4
	v_subrev_u32_e32 v12, 28, v7
	v_and_b32_e32 v6, 15, v6
	v_lshlrev_b32_e32 v12, v12, v4
	v_sub_u32_e32 v7, 29, v7
	v_and_b32_e32 v12, 7, v12
	v_cmp_eq_u16_e32 vcc, 0, v6
	v_cndmask_b32_e32 v3, v3, v12, vcc
	v_cndmask_b32_e32 v6, v6, v7, vcc
	v_lshlrev_b32_e32 v7, 24, v4
	v_mov_b32_e32 v12, 0x3b800000
	v_lshlrev_b32_e32 v3, 20, v3
	v_and_b32_e32 v7, 0x80000000, v7
	v_lshl_add_u32 v6, v6, 23, v12
	v_or3_b32 v3, v7, v6, v3
.LBB4_1736:
	s_or_b64 exec, exec, s[6:7]
	s_nop 0
	v_mfma_f32_16x16x4f32 a[0:3], v2, v3, a[0:3]
	v_lshrrev_b32_e32 v3, 8, v8
	s_movk_i32 s4, 0x7f
	v_cmp_gt_i16_sdwa s[6:7], v3, s4 src0_sel:BYTE_0 src1_sel:DWORD
	s_mov_b64 s[4:5], 0
                                        ; implicit-def: $sgpr10
	s_and_saveexec_b64 s[8:9], s[6:7]
	s_xor_b64 s[6:7], exec, s[8:9]
	s_cbranch_execnz .LBB4_3785
; %bb.1737:
	s_or_saveexec_b64 s[6:7], s[6:7]
	v_mov_b32_e32 v2, s10
	s_xor_b64 exec, exec, s[6:7]
	s_cbranch_execnz .LBB4_3788
.LBB4_1738:
	s_or_b64 exec, exec, s[6:7]
	s_and_saveexec_b64 s[6:7], s[4:5]
	s_cbranch_execz .LBB4_1740
.LBB4_1739:
	v_bfe_u32 v2, v8, 8, 3
	v_ffbh_u32_e32 v7, v2
	v_min_u32_e32 v7, 32, v7
	v_lshrrev_b16_e32 v6, 3, v3
	v_subrev_u32_e32 v12, 28, v7
	v_and_b32_e32 v6, 15, v6
	v_lshlrev_b32_e32 v3, v12, v3
	v_sub_u32_e32 v7, 29, v7
	v_and_b32_e32 v3, 7, v3
	v_cmp_eq_u16_e32 vcc, 0, v6
	v_cndmask_b32_e32 v2, v2, v3, vcc
	v_cndmask_b32_e32 v3, v6, v7, vcc
	v_lshlrev_b32_e32 v6, 16, v8
	v_mov_b32_e32 v7, 0x3b800000
	v_lshlrev_b32_e32 v2, 20, v2
	v_and_b32_e32 v6, 0x80000000, v6
	v_lshl_add_u32 v3, v3, 23, v7
	v_or3_b32 v2, v6, v3, v2
.LBB4_1740:
	s_or_b64 exec, exec, s[6:7]
	v_lshrrev_b32_e32 v3, 8, v4
	s_movk_i32 s4, 0x7f
	v_cmp_gt_i16_sdwa s[6:7], v3, s4 src0_sel:BYTE_0 src1_sel:DWORD
	s_mov_b64 s[4:5], 0
                                        ; implicit-def: $sgpr10
	s_and_saveexec_b64 s[8:9], s[6:7]
	s_xor_b64 s[6:7], exec, s[8:9]
	s_cbranch_execnz .LBB4_3789
; %bb.1741:
	s_or_saveexec_b64 s[6:7], s[6:7]
	v_mov_b32_e32 v6, s10
	s_xor_b64 exec, exec, s[6:7]
	s_cbranch_execnz .LBB4_3792
.LBB4_1742:
	s_or_b64 exec, exec, s[6:7]
	s_and_saveexec_b64 s[6:7], s[4:5]
	s_cbranch_execz .LBB4_1744
.LBB4_1743:
	v_bfe_u32 v6, v4, 8, 3
	v_ffbh_u32_e32 v12, v6
	v_min_u32_e32 v12, 32, v12
	v_lshrrev_b16_e32 v7, 3, v3
	v_subrev_u32_e32 v13, 28, v12
	v_and_b32_e32 v7, 15, v7
	v_lshlrev_b32_e32 v3, v13, v3
	v_sub_u32_e32 v12, 29, v12
	v_and_b32_e32 v3, 7, v3
	v_cmp_eq_u16_e32 vcc, 0, v7
	v_cndmask_b32_e32 v3, v6, v3, vcc
	v_cndmask_b32_e32 v6, v7, v12, vcc
	v_lshlrev_b32_e32 v7, 16, v4
	v_mov_b32_e32 v12, 0x3b800000
	v_lshlrev_b32_e32 v3, 20, v3
	v_and_b32_e32 v7, 0x80000000, v7
	v_lshl_add_u32 v6, v6, 23, v12
	v_or3_b32 v6, v7, v6, v3
.LBB4_1744:
	s_or_b64 exec, exec, s[6:7]
	s_nop 0
	v_mfma_f32_16x16x4f32 a[0:3], v2, v6, a[0:3]
	s_movk_i32 s4, 0xff
	v_and_b32_sdwa v3, v8, s4 dst_sel:DWORD dst_unused:UNUSED_PAD src0_sel:WORD_1 src1_sel:DWORD
	s_movk_i32 s4, 0x7f
	v_cmp_lt_i16_e32 vcc, s4, v3
	s_mov_b64 s[4:5], 0
                                        ; implicit-def: $sgpr10
	s_and_saveexec_b64 s[6:7], vcc
	s_xor_b64 s[6:7], exec, s[6:7]
	s_cbranch_execnz .LBB4_3793
; %bb.1745:
	s_or_saveexec_b64 s[6:7], s[6:7]
	v_mov_b32_e32 v2, s10
	s_xor_b64 exec, exec, s[6:7]
	s_cbranch_execnz .LBB4_3796
.LBB4_1746:
	s_or_b64 exec, exec, s[6:7]
	s_and_saveexec_b64 s[6:7], s[4:5]
	s_cbranch_execz .LBB4_1748
.LBB4_1747:
	v_bfe_u32 v2, v8, 16, 3
	v_ffbh_u32_e32 v7, v2
	v_min_u32_e32 v7, 32, v7
	v_lshrrev_b32_e32 v3, 19, v8
	v_subrev_u32_e32 v12, 28, v7
	v_and_b32_e32 v3, 15, v3
	v_lshlrev_b32_sdwa v12, v12, v8 dst_sel:DWORD dst_unused:UNUSED_PAD src0_sel:DWORD src1_sel:WORD_1
	v_bfe_u32 v6, v8, 19, 4
	v_sub_u32_e32 v7, 29, v7
	v_and_b32_e32 v12, 7, v12
	v_cmp_eq_u16_e32 vcc, 0, v3
	v_cndmask_b32_e32 v2, v2, v12, vcc
	v_cndmask_b32_e32 v3, v6, v7, vcc
	v_lshlrev_b32_e32 v6, 8, v8
	v_mov_b32_e32 v7, 0x3b800000
	v_lshlrev_b32_e32 v2, 20, v2
	v_and_b32_e32 v6, 0x80000000, v6
	v_lshl_add_u32 v3, v3, 23, v7
	v_or3_b32 v2, v6, v3, v2
.LBB4_1748:
	s_or_b64 exec, exec, s[6:7]
	s_movk_i32 s4, 0xff
	v_and_b32_sdwa v3, v4, s4 dst_sel:DWORD dst_unused:UNUSED_PAD src0_sel:WORD_1 src1_sel:DWORD
	s_movk_i32 s4, 0x7f
	v_cmp_lt_i16_e32 vcc, s4, v3
	s_mov_b64 s[4:5], 0
                                        ; implicit-def: $sgpr10
	s_and_saveexec_b64 s[6:7], vcc
	s_xor_b64 s[6:7], exec, s[6:7]
	s_cbranch_execnz .LBB4_3797
; %bb.1749:
	s_or_saveexec_b64 s[6:7], s[6:7]
	v_mov_b32_e32 v6, s10
	s_xor_b64 exec, exec, s[6:7]
	s_cbranch_execnz .LBB4_3800
.LBB4_1750:
	s_or_b64 exec, exec, s[6:7]
	s_and_saveexec_b64 s[6:7], s[4:5]
	s_cbranch_execz .LBB4_1752
.LBB4_1751:
	v_bfe_u32 v3, v4, 16, 3
	v_ffbh_u32_e32 v12, v3
	v_min_u32_e32 v12, 32, v12
	v_lshrrev_b32_e32 v6, 19, v4
	v_subrev_u32_e32 v13, 28, v12
	v_and_b32_e32 v6, 15, v6
	v_lshlrev_b32_sdwa v13, v13, v4 dst_sel:DWORD dst_unused:UNUSED_PAD src0_sel:DWORD src1_sel:WORD_1
	v_bfe_u32 v7, v4, 19, 4
	v_sub_u32_e32 v12, 29, v12
	v_and_b32_e32 v13, 7, v13
	v_cmp_eq_u16_e32 vcc, 0, v6
	v_cndmask_b32_e32 v3, v3, v13, vcc
	v_cndmask_b32_e32 v6, v7, v12, vcc
	v_lshlrev_b32_e32 v7, 8, v4
	v_mov_b32_e32 v12, 0x3b800000
	v_lshlrev_b32_e32 v3, 20, v3
	v_and_b32_e32 v7, 0x80000000, v7
	v_lshl_add_u32 v6, v6, 23, v12
	v_or3_b32 v6, v7, v6, v3
.LBB4_1752:
	s_or_b64 exec, exec, s[6:7]
	s_nop 0
	v_mfma_f32_16x16x4f32 a[0:3], v2, v6, a[0:3]
	s_movk_i32 s4, 0x7f
	v_cmp_gt_i16_sdwa s[6:7], v8, s4 src0_sel:BYTE_3 src1_sel:DWORD
	s_mov_b64 s[4:5], 0
                                        ; implicit-def: $sgpr10
	s_and_saveexec_b64 s[8:9], s[6:7]
	s_xor_b64 s[6:7], exec, s[8:9]
	s_cbranch_execnz .LBB4_3801
; %bb.1753:
	s_or_saveexec_b64 s[6:7], s[6:7]
	v_mov_b32_e32 v2, s10
	s_xor_b64 exec, exec, s[6:7]
	s_cbranch_execnz .LBB4_3804
.LBB4_1754:
	s_or_b64 exec, exec, s[6:7]
	s_and_saveexec_b64 s[6:7], s[4:5]
	s_cbranch_execz .LBB4_1756
.LBB4_1755:
	v_bfe_u32 v2, v8, 24, 3
	v_ffbh_u32_e32 v12, v2
	v_min_u32_e32 v12, 32, v12
	v_lshrrev_b32_e32 v6, 27, v8
	v_subrev_u32_e32 v13, 28, v12
	v_and_b32_e32 v3, 0x80000000, v8
	v_and_b32_e32 v6, 15, v6
	v_bfe_u32 v7, v8, 27, 4
	v_lshlrev_b32_sdwa v8, v13, v8 dst_sel:DWORD dst_unused:UNUSED_PAD src0_sel:DWORD src1_sel:BYTE_3
	v_sub_u32_e32 v12, 29, v12
	v_and_b32_e32 v8, 7, v8
	v_cmp_eq_u16_e32 vcc, 0, v6
	v_cndmask_b32_e32 v2, v2, v8, vcc
	v_cndmask_b32_e32 v6, v7, v12, vcc
	v_mov_b32_e32 v7, 0x3b800000
	v_lshlrev_b32_e32 v2, 20, v2
	v_lshl_add_u32 v6, v6, 23, v7
	v_or3_b32 v2, v3, v6, v2
.LBB4_1756:
	s_or_b64 exec, exec, s[6:7]
	s_movk_i32 s4, 0x7f
	v_cmp_gt_i16_sdwa s[6:7], v4, s4 src0_sel:BYTE_3 src1_sel:DWORD
	s_mov_b64 s[4:5], 0
                                        ; implicit-def: $sgpr10
	s_and_saveexec_b64 s[8:9], s[6:7]
	s_xor_b64 s[6:7], exec, s[8:9]
	s_cbranch_execnz .LBB4_3805
; %bb.1757:
	s_or_saveexec_b64 s[6:7], s[6:7]
	v_mov_b32_e32 v3, s10
	s_xor_b64 exec, exec, s[6:7]
	s_cbranch_execnz .LBB4_3808
.LBB4_1758:
	s_or_b64 exec, exec, s[6:7]
	s_and_saveexec_b64 s[6:7], s[4:5]
	s_cbranch_execz .LBB4_1760
.LBB4_1759:
	v_bfe_u32 v3, v4, 24, 3
	v_ffbh_u32_e32 v12, v3
	v_min_u32_e32 v12, 32, v12
	v_lshrrev_b32_e32 v7, 27, v4
	v_subrev_u32_e32 v13, 28, v12
	v_and_b32_e32 v6, 0x80000000, v4
	v_and_b32_e32 v7, 15, v7
	v_bfe_u32 v8, v4, 27, 4
	v_lshlrev_b32_sdwa v4, v13, v4 dst_sel:DWORD dst_unused:UNUSED_PAD src0_sel:DWORD src1_sel:BYTE_3
	v_sub_u32_e32 v12, 29, v12
	v_and_b32_e32 v4, 7, v4
	v_cmp_eq_u16_e32 vcc, 0, v7
	v_cndmask_b32_e32 v3, v3, v4, vcc
	v_cndmask_b32_e32 v4, v8, v12, vcc
	v_mov_b32_e32 v7, 0x3b800000
	v_lshlrev_b32_e32 v3, 20, v3
	v_lshl_add_u32 v4, v4, 23, v7
	v_or3_b32 v3, v6, v4, v3
.LBB4_1760:
	s_or_b64 exec, exec, s[6:7]
	s_nop 0
	v_mfma_f32_16x16x4f32 a[0:3], v2, v3, a[0:3]
	s_movk_i32 s4, 0x7f
	v_cmp_gt_i16_sdwa s[6:7], v9, s4 src0_sel:BYTE_0 src1_sel:DWORD
	s_mov_b64 s[4:5], 0
                                        ; implicit-def: $sgpr10
	s_and_saveexec_b64 s[8:9], s[6:7]
	s_xor_b64 s[6:7], exec, s[8:9]
	s_cbranch_execnz .LBB4_3809
; %bb.1761:
	s_or_saveexec_b64 s[6:7], s[6:7]
	v_mov_b32_e32 v2, s10
	s_xor_b64 exec, exec, s[6:7]
	s_cbranch_execnz .LBB4_3812
.LBB4_1762:
	s_or_b64 exec, exec, s[6:7]
	s_and_saveexec_b64 s[6:7], s[4:5]
	s_cbranch_execz .LBB4_1764
.LBB4_1763:
	v_mov_b32_e32 v2, 8
	v_and_b32_e32 v3, 7, v9
	v_lshrrev_b32_sdwa v2, v2, v9 dst_sel:BYTE_1 dst_unused:UNUSED_PAD src0_sel:DWORD src1_sel:DWORD
	v_ffbh_u32_e32 v4, v3
	v_or_b32_sdwa v2, v9, v2 dst_sel:DWORD dst_unused:UNUSED_PAD src0_sel:BYTE_0 src1_sel:DWORD
	v_min_u32_e32 v4, 32, v4
	v_lshrrev_b16_e32 v2, 3, v2
	v_subrev_u32_e32 v6, 28, v4
	v_and_b32_e32 v2, 15, v2
	v_lshlrev_b32_e32 v6, v6, v9
	v_sub_u32_e32 v4, 29, v4
	v_and_b32_e32 v6, 7, v6
	v_cmp_eq_u16_e32 vcc, 0, v2
	v_cndmask_b32_e32 v3, v3, v6, vcc
	v_cndmask_b32_e32 v2, v2, v4, vcc
	v_lshlrev_b32_e32 v4, 24, v9
	v_mov_b32_e32 v6, 0x3b800000
	v_lshlrev_b32_e32 v3, 20, v3
	v_and_b32_e32 v4, 0x80000000, v4
	v_lshl_add_u32 v2, v2, 23, v6
	v_or3_b32 v2, v4, v2, v3
.LBB4_1764:
	s_or_b64 exec, exec, s[6:7]
	s_movk_i32 s4, 0x7f
	v_cmp_gt_i16_sdwa s[6:7], v5, s4 src0_sel:BYTE_0 src1_sel:DWORD
	s_mov_b64 s[4:5], 0
                                        ; implicit-def: $sgpr10
	s_and_saveexec_b64 s[8:9], s[6:7]
	s_xor_b64 s[6:7], exec, s[8:9]
	s_cbranch_execnz .LBB4_3813
; %bb.1765:
	s_or_saveexec_b64 s[6:7], s[6:7]
	v_mov_b32_e32 v3, s10
	s_xor_b64 exec, exec, s[6:7]
	s_cbranch_execnz .LBB4_3816
.LBB4_1766:
	s_or_b64 exec, exec, s[6:7]
	s_and_saveexec_b64 s[6:7], s[4:5]
	s_cbranch_execz .LBB4_1768
.LBB4_1767:
	v_mov_b32_e32 v3, 8
	v_and_b32_e32 v4, 7, v5
	v_lshrrev_b32_sdwa v3, v3, v5 dst_sel:BYTE_1 dst_unused:UNUSED_PAD src0_sel:DWORD src1_sel:DWORD
	v_ffbh_u32_e32 v6, v4
	v_or_b32_sdwa v3, v5, v3 dst_sel:DWORD dst_unused:UNUSED_PAD src0_sel:BYTE_0 src1_sel:DWORD
	v_min_u32_e32 v6, 32, v6
	v_lshrrev_b16_e32 v3, 3, v3
	v_subrev_u32_e32 v7, 28, v6
	v_and_b32_e32 v3, 15, v3
	v_lshlrev_b32_e32 v7, v7, v5
	v_sub_u32_e32 v6, 29, v6
	v_and_b32_e32 v7, 7, v7
	v_cmp_eq_u16_e32 vcc, 0, v3
	v_cndmask_b32_e32 v4, v4, v7, vcc
	v_cndmask_b32_e32 v3, v3, v6, vcc
	v_lshlrev_b32_e32 v6, 24, v5
	v_mov_b32_e32 v7, 0x3b800000
	v_lshlrev_b32_e32 v4, 20, v4
	v_and_b32_e32 v6, 0x80000000, v6
	v_lshl_add_u32 v3, v3, 23, v7
	v_or3_b32 v3, v6, v3, v4
.LBB4_1768:
	s_or_b64 exec, exec, s[6:7]
	s_nop 0
	v_mfma_f32_16x16x4f32 a[0:3], v2, v3, a[0:3]
	v_lshrrev_b32_e32 v3, 8, v9
	s_movk_i32 s4, 0x7f
	v_cmp_gt_i16_sdwa s[6:7], v3, s4 src0_sel:BYTE_0 src1_sel:DWORD
	s_mov_b64 s[4:5], 0
                                        ; implicit-def: $sgpr10
	s_and_saveexec_b64 s[8:9], s[6:7]
	s_xor_b64 s[6:7], exec, s[8:9]
	s_cbranch_execnz .LBB4_3817
; %bb.1769:
	s_or_saveexec_b64 s[6:7], s[6:7]
	v_mov_b32_e32 v2, s10
	s_xor_b64 exec, exec, s[6:7]
	s_cbranch_execnz .LBB4_3820
.LBB4_1770:
	s_or_b64 exec, exec, s[6:7]
	s_and_saveexec_b64 s[6:7], s[4:5]
	s_cbranch_execz .LBB4_1772
.LBB4_1771:
	v_bfe_u32 v2, v9, 8, 3
	v_ffbh_u32_e32 v6, v2
	v_min_u32_e32 v6, 32, v6
	v_lshrrev_b16_e32 v4, 3, v3
	v_subrev_u32_e32 v7, 28, v6
	v_and_b32_e32 v4, 15, v4
	v_lshlrev_b32_e32 v3, v7, v3
	v_sub_u32_e32 v6, 29, v6
	v_and_b32_e32 v3, 7, v3
	v_cmp_eq_u16_e32 vcc, 0, v4
	v_cndmask_b32_e32 v2, v2, v3, vcc
	v_cndmask_b32_e32 v3, v4, v6, vcc
	v_lshlrev_b32_e32 v4, 16, v9
	v_mov_b32_e32 v6, 0x3b800000
	v_lshlrev_b32_e32 v2, 20, v2
	v_and_b32_e32 v4, 0x80000000, v4
	v_lshl_add_u32 v3, v3, 23, v6
	v_or3_b32 v2, v4, v3, v2
.LBB4_1772:
	s_or_b64 exec, exec, s[6:7]
	v_lshrrev_b32_e32 v3, 8, v5
	s_movk_i32 s4, 0x7f
	v_cmp_gt_i16_sdwa s[6:7], v3, s4 src0_sel:BYTE_0 src1_sel:DWORD
	s_mov_b64 s[4:5], 0
                                        ; implicit-def: $sgpr10
	s_and_saveexec_b64 s[8:9], s[6:7]
	s_xor_b64 s[6:7], exec, s[8:9]
	s_cbranch_execnz .LBB4_3821
; %bb.1773:
	s_or_saveexec_b64 s[6:7], s[6:7]
	v_mov_b32_e32 v4, s10
	s_xor_b64 exec, exec, s[6:7]
	s_cbranch_execnz .LBB4_3824
.LBB4_1774:
	s_or_b64 exec, exec, s[6:7]
	s_and_saveexec_b64 s[6:7], s[4:5]
	s_cbranch_execz .LBB4_1776
.LBB4_1775:
	v_bfe_u32 v4, v5, 8, 3
	v_ffbh_u32_e32 v7, v4
	v_min_u32_e32 v7, 32, v7
	v_lshrrev_b16_e32 v6, 3, v3
	v_subrev_u32_e32 v8, 28, v7
	v_and_b32_e32 v6, 15, v6
	v_lshlrev_b32_e32 v3, v8, v3
	v_sub_u32_e32 v7, 29, v7
	v_and_b32_e32 v3, 7, v3
	v_cmp_eq_u16_e32 vcc, 0, v6
	v_cndmask_b32_e32 v3, v4, v3, vcc
	v_cndmask_b32_e32 v4, v6, v7, vcc
	v_lshlrev_b32_e32 v6, 16, v5
	v_mov_b32_e32 v7, 0x3b800000
	v_lshlrev_b32_e32 v3, 20, v3
	v_and_b32_e32 v6, 0x80000000, v6
	v_lshl_add_u32 v4, v4, 23, v7
	v_or3_b32 v4, v6, v4, v3
.LBB4_1776:
	s_or_b64 exec, exec, s[6:7]
	s_nop 0
	v_mfma_f32_16x16x4f32 a[0:3], v2, v4, a[0:3]
	s_movk_i32 s4, 0xff
	v_and_b32_sdwa v3, v9, s4 dst_sel:DWORD dst_unused:UNUSED_PAD src0_sel:WORD_1 src1_sel:DWORD
	s_movk_i32 s4, 0x7f
	v_cmp_lt_i16_e32 vcc, s4, v3
	s_mov_b64 s[4:5], 0
                                        ; implicit-def: $sgpr10
	s_and_saveexec_b64 s[6:7], vcc
	s_xor_b64 s[6:7], exec, s[6:7]
	s_cbranch_execnz .LBB4_3825
; %bb.1777:
	s_or_saveexec_b64 s[6:7], s[6:7]
	v_mov_b32_e32 v2, s10
	s_xor_b64 exec, exec, s[6:7]
	s_cbranch_execnz .LBB4_3828
.LBB4_1778:
	s_or_b64 exec, exec, s[6:7]
	s_and_saveexec_b64 s[6:7], s[4:5]
	s_cbranch_execz .LBB4_1780
.LBB4_1779:
	v_bfe_u32 v2, v9, 16, 3
	v_ffbh_u32_e32 v6, v2
	v_min_u32_e32 v6, 32, v6
	v_lshrrev_b32_e32 v3, 19, v9
	v_subrev_u32_e32 v7, 28, v6
	v_and_b32_e32 v3, 15, v3
	v_lshlrev_b32_sdwa v7, v7, v9 dst_sel:DWORD dst_unused:UNUSED_PAD src0_sel:DWORD src1_sel:WORD_1
	v_bfe_u32 v4, v9, 19, 4
	v_sub_u32_e32 v6, 29, v6
	v_and_b32_e32 v7, 7, v7
	v_cmp_eq_u16_e32 vcc, 0, v3
	v_cndmask_b32_e32 v2, v2, v7, vcc
	v_cndmask_b32_e32 v3, v4, v6, vcc
	v_lshlrev_b32_e32 v4, 8, v9
	v_mov_b32_e32 v6, 0x3b800000
	v_lshlrev_b32_e32 v2, 20, v2
	v_and_b32_e32 v4, 0x80000000, v4
	v_lshl_add_u32 v3, v3, 23, v6
	v_or3_b32 v2, v4, v3, v2
.LBB4_1780:
	s_or_b64 exec, exec, s[6:7]
	s_movk_i32 s4, 0xff
	v_and_b32_sdwa v3, v5, s4 dst_sel:DWORD dst_unused:UNUSED_PAD src0_sel:WORD_1 src1_sel:DWORD
	s_movk_i32 s4, 0x7f
	v_cmp_lt_i16_e32 vcc, s4, v3
	s_mov_b64 s[4:5], 0
                                        ; implicit-def: $sgpr10
	s_and_saveexec_b64 s[6:7], vcc
	s_xor_b64 s[6:7], exec, s[6:7]
	s_cbranch_execnz .LBB4_3829
; %bb.1781:
	s_or_saveexec_b64 s[6:7], s[6:7]
	v_mov_b32_e32 v4, s10
	s_xor_b64 exec, exec, s[6:7]
	s_cbranch_execnz .LBB4_3832
.LBB4_1782:
	s_or_b64 exec, exec, s[6:7]
	s_and_saveexec_b64 s[6:7], s[4:5]
	s_cbranch_execz .LBB4_1784
.LBB4_1783:
	v_bfe_u32 v3, v5, 16, 3
	v_ffbh_u32_e32 v7, v3
	v_min_u32_e32 v7, 32, v7
	v_lshrrev_b32_e32 v4, 19, v5
	v_subrev_u32_e32 v8, 28, v7
	v_and_b32_e32 v4, 15, v4
	v_lshlrev_b32_sdwa v8, v8, v5 dst_sel:DWORD dst_unused:UNUSED_PAD src0_sel:DWORD src1_sel:WORD_1
	v_bfe_u32 v6, v5, 19, 4
	v_sub_u32_e32 v7, 29, v7
	v_and_b32_e32 v8, 7, v8
	v_cmp_eq_u16_e32 vcc, 0, v4
	v_cndmask_b32_e32 v3, v3, v8, vcc
	v_cndmask_b32_e32 v4, v6, v7, vcc
	v_lshlrev_b32_e32 v6, 8, v5
	v_mov_b32_e32 v7, 0x3b800000
	v_lshlrev_b32_e32 v3, 20, v3
	v_and_b32_e32 v6, 0x80000000, v6
	v_lshl_add_u32 v4, v4, 23, v7
	v_or3_b32 v4, v6, v4, v3
.LBB4_1784:
	s_or_b64 exec, exec, s[6:7]
	s_nop 0
	v_mfma_f32_16x16x4f32 a[0:3], v2, v4, a[0:3]
	s_movk_i32 s4, 0x7f
	v_cmp_gt_i16_sdwa s[6:7], v9, s4 src0_sel:BYTE_3 src1_sel:DWORD
	s_mov_b64 s[4:5], 0
                                        ; implicit-def: $sgpr10
	s_and_saveexec_b64 s[8:9], s[6:7]
	s_xor_b64 s[6:7], exec, s[8:9]
	s_cbranch_execnz .LBB4_3833
; %bb.1785:
	s_or_saveexec_b64 s[6:7], s[6:7]
	v_mov_b32_e32 v2, s10
	s_xor_b64 exec, exec, s[6:7]
	s_cbranch_execnz .LBB4_3836
.LBB4_1786:
	s_or_b64 exec, exec, s[6:7]
	s_and_saveexec_b64 s[6:7], s[4:5]
	s_cbranch_execz .LBB4_1788
.LBB4_1787:
	v_bfe_u32 v2, v9, 24, 3
	v_ffbh_u32_e32 v7, v2
	v_min_u32_e32 v7, 32, v7
	v_lshrrev_b32_e32 v4, 27, v9
	v_subrev_u32_e32 v8, 28, v7
	v_and_b32_e32 v4, 15, v4
	v_lshlrev_b32_sdwa v8, v8, v9 dst_sel:DWORD dst_unused:UNUSED_PAD src0_sel:DWORD src1_sel:BYTE_3
	v_bfe_u32 v6, v9, 27, 4
	v_sub_u32_e32 v7, 29, v7
	v_and_b32_e32 v8, 7, v8
	v_cmp_eq_u16_e32 vcc, 0, v4
	v_cndmask_b32_e32 v2, v2, v8, vcc
	v_cndmask_b32_e32 v4, v6, v7, vcc
	v_mov_b32_e32 v6, 0x3b800000
	v_and_b32_e32 v3, 0x80000000, v9
	v_lshlrev_b32_e32 v2, 20, v2
	v_lshl_add_u32 v4, v4, 23, v6
	v_or3_b32 v2, v3, v4, v2
.LBB4_1788:
	s_or_b64 exec, exec, s[6:7]
	s_movk_i32 s4, 0x7f
	v_cmp_gt_i16_sdwa s[6:7], v5, s4 src0_sel:BYTE_3 src1_sel:DWORD
	s_mov_b64 s[4:5], 0
                                        ; implicit-def: $sgpr10
	s_and_saveexec_b64 s[8:9], s[6:7]
	s_xor_b64 s[6:7], exec, s[8:9]
	s_cbranch_execnz .LBB4_3837
; %bb.1789:
	s_or_saveexec_b64 s[6:7], s[6:7]
	v_mov_b32_e32 v3, s10
	s_xor_b64 exec, exec, s[6:7]
	s_cbranch_execnz .LBB4_3840
.LBB4_1790:
	s_or_b64 exec, exec, s[6:7]
	s_and_saveexec_b64 s[6:7], s[4:5]
	s_cbranch_execz .LBB4_1792
.LBB4_1791:
	v_bfe_u32 v3, v5, 24, 3
	v_ffbh_u32_e32 v8, v3
	v_min_u32_e32 v8, 32, v8
	v_lshrrev_b32_e32 v6, 27, v5
	v_subrev_u32_e32 v9, 28, v8
	v_and_b32_e32 v4, 0x80000000, v5
	v_and_b32_e32 v6, 15, v6
	v_bfe_u32 v7, v5, 27, 4
	v_lshlrev_b32_sdwa v5, v9, v5 dst_sel:DWORD dst_unused:UNUSED_PAD src0_sel:DWORD src1_sel:BYTE_3
	v_sub_u32_e32 v8, 29, v8
	v_and_b32_e32 v5, 7, v5
	v_cmp_eq_u16_e32 vcc, 0, v6
	v_cndmask_b32_e32 v3, v3, v5, vcc
	v_cndmask_b32_e32 v5, v7, v8, vcc
	v_mov_b32_e32 v6, 0x3b800000
	v_lshlrev_b32_e32 v3, 20, v3
	v_lshl_add_u32 v5, v5, 23, v6
	v_or3_b32 v3, v4, v5, v3
.LBB4_1792:
	s_or_b64 exec, exec, s[6:7]
	s_nop 0
	v_mfma_f32_16x16x4f32 a[0:3], v2, v3, a[0:3]
	s_movk_i32 s4, 0x7f
                                        ; implicit-def: $sgpr10
	s_nop 7
	s_nop 1
	flat_store_dwordx4 v[10:11], a[0:3] offset:208
	flat_load_dwordx4 v[12:15], v[0:1] offset:8
	s_nop 0
	flat_load_dwordx2 v[10:11], v[0:1] offset:32
	s_waitcnt vmcnt(0) lgkmcnt(0)
	flat_load_dwordx4 v[6:9], v[12:13] offset:112
	flat_load_dwordx4 v[2:5], v[14:15] offset:80
	s_waitcnt vmcnt(0) lgkmcnt(0)
	v_cmp_gt_i16_sdwa s[6:7], v6, s4 src0_sel:BYTE_0 src1_sel:DWORD
	s_mov_b64 s[4:5], 0
	s_and_saveexec_b64 s[8:9], s[6:7]
	s_xor_b64 s[6:7], exec, s[8:9]
	s_cbranch_execnz .LBB4_3841
; %bb.1793:
	s_or_saveexec_b64 s[6:7], s[6:7]
	v_mov_b32_e32 v12, s10
	s_xor_b64 exec, exec, s[6:7]
	s_cbranch_execnz .LBB4_3844
.LBB4_1794:
	s_or_b64 exec, exec, s[6:7]
	s_and_saveexec_b64 s[6:7], s[4:5]
	s_cbranch_execz .LBB4_1796
.LBB4_1795:
	v_and_b32_e32 v12, 7, v6
	v_ffbh_u32_e32 v14, v12
	v_min_u32_e32 v14, 32, v14
	v_lshrrev_b16_e32 v13, 3, v6
	v_subrev_u32_e32 v15, 28, v14
	v_and_b32_e32 v13, 15, v13
	v_lshlrev_b32_e32 v15, v15, v6
	v_sub_u32_e32 v14, 29, v14
	v_and_b32_e32 v15, 7, v15
	v_cmp_eq_u16_e32 vcc, 0, v13
	v_cndmask_b32_e32 v12, v12, v15, vcc
	v_cndmask_b32_e32 v13, v13, v14, vcc
	v_lshlrev_b32_e32 v14, 24, v6
	v_mov_b32_e32 v15, 0x3b800000
	v_lshlrev_b32_e32 v12, 20, v12
	v_and_b32_e32 v14, 0x80000000, v14
	v_lshl_add_u32 v13, v13, 23, v15
	v_or3_b32 v12, v14, v13, v12
.LBB4_1796:
	s_or_b64 exec, exec, s[6:7]
	s_movk_i32 s4, 0x7f
	v_cmp_gt_i16_sdwa s[6:7], v2, s4 src0_sel:BYTE_0 src1_sel:DWORD
	s_mov_b64 s[4:5], 0
                                        ; implicit-def: $sgpr10
	s_and_saveexec_b64 s[8:9], s[6:7]
	s_xor_b64 s[6:7], exec, s[8:9]
	s_cbranch_execnz .LBB4_3845
; %bb.1797:
	s_or_saveexec_b64 s[6:7], s[6:7]
	v_mov_b32_e32 v13, s10
	s_xor_b64 exec, exec, s[6:7]
	s_cbranch_execnz .LBB4_3848
.LBB4_1798:
	s_or_b64 exec, exec, s[6:7]
	s_and_saveexec_b64 s[6:7], s[4:5]
	s_cbranch_execz .LBB4_1800
.LBB4_1799:
	v_and_b32_e32 v13, 7, v2
	v_ffbh_u32_e32 v15, v13
	v_min_u32_e32 v15, 32, v15
	v_lshrrev_b16_e32 v14, 3, v2
	v_subrev_u32_e32 v16, 28, v15
	v_and_b32_e32 v14, 15, v14
	v_lshlrev_b32_e32 v16, v16, v2
	v_sub_u32_e32 v15, 29, v15
	v_and_b32_e32 v16, 7, v16
	v_cmp_eq_u16_e32 vcc, 0, v14
	v_cndmask_b32_e32 v13, v13, v16, vcc
	v_cndmask_b32_e32 v14, v14, v15, vcc
	v_lshlrev_b32_e32 v15, 24, v2
	v_mov_b32_e32 v16, 0x3b800000
	v_lshlrev_b32_e32 v13, 20, v13
	v_and_b32_e32 v15, 0x80000000, v15
	v_lshl_add_u32 v14, v14, 23, v16
	v_or3_b32 v13, v15, v14, v13
.LBB4_1800:
	s_or_b64 exec, exec, s[6:7]
	flat_load_dwordx4 a[0:3], v[10:11] offset:224
	s_movk_i32 s4, 0x7f
                                        ; implicit-def: $sgpr10
	s_waitcnt vmcnt(0) lgkmcnt(0)
	v_mfma_f32_16x16x4f32 a[0:3], v12, v13, a[0:3]
	v_lshrrev_b32_e32 v13, 8, v6
	v_cmp_gt_i16_sdwa s[6:7], v13, s4 src0_sel:BYTE_0 src1_sel:DWORD
	s_mov_b64 s[4:5], 0
	s_and_saveexec_b64 s[8:9], s[6:7]
	s_xor_b64 s[6:7], exec, s[8:9]
	s_cbranch_execnz .LBB4_3849
; %bb.1801:
	s_or_saveexec_b64 s[6:7], s[6:7]
	v_mov_b32_e32 v12, s10
	s_xor_b64 exec, exec, s[6:7]
	s_cbranch_execnz .LBB4_3852
.LBB4_1802:
	s_or_b64 exec, exec, s[6:7]
	s_and_saveexec_b64 s[6:7], s[4:5]
	s_cbranch_execz .LBB4_1804
.LBB4_1803:
	v_bfe_u32 v12, v6, 8, 3
	v_ffbh_u32_e32 v15, v12
	v_min_u32_e32 v15, 32, v15
	v_lshrrev_b16_e32 v14, 3, v13
	v_subrev_u32_e32 v16, 28, v15
	v_and_b32_e32 v14, 15, v14
	v_lshlrev_b32_e32 v13, v16, v13
	v_sub_u32_e32 v15, 29, v15
	v_and_b32_e32 v13, 7, v13
	v_cmp_eq_u16_e32 vcc, 0, v14
	v_cndmask_b32_e32 v12, v12, v13, vcc
	v_cndmask_b32_e32 v13, v14, v15, vcc
	v_lshlrev_b32_e32 v14, 16, v6
	v_mov_b32_e32 v15, 0x3b800000
	v_lshlrev_b32_e32 v12, 20, v12
	v_and_b32_e32 v14, 0x80000000, v14
	v_lshl_add_u32 v13, v13, 23, v15
	v_or3_b32 v12, v14, v13, v12
.LBB4_1804:
	s_or_b64 exec, exec, s[6:7]
	v_lshrrev_b32_e32 v13, 8, v2
	s_movk_i32 s4, 0x7f
	v_cmp_gt_i16_sdwa s[6:7], v13, s4 src0_sel:BYTE_0 src1_sel:DWORD
	s_mov_b64 s[4:5], 0
                                        ; implicit-def: $sgpr10
	s_and_saveexec_b64 s[8:9], s[6:7]
	s_xor_b64 s[6:7], exec, s[8:9]
	s_cbranch_execnz .LBB4_3853
; %bb.1805:
	s_or_saveexec_b64 s[6:7], s[6:7]
	v_mov_b32_e32 v14, s10
	s_xor_b64 exec, exec, s[6:7]
	s_cbranch_execnz .LBB4_3856
.LBB4_1806:
	s_or_b64 exec, exec, s[6:7]
	s_and_saveexec_b64 s[6:7], s[4:5]
	s_cbranch_execz .LBB4_1808
.LBB4_1807:
	v_bfe_u32 v14, v2, 8, 3
	v_ffbh_u32_e32 v16, v14
	v_min_u32_e32 v16, 32, v16
	v_lshrrev_b16_e32 v15, 3, v13
	v_subrev_u32_e32 v17, 28, v16
	v_and_b32_e32 v15, 15, v15
	v_lshlrev_b32_e32 v13, v17, v13
	v_sub_u32_e32 v16, 29, v16
	v_and_b32_e32 v13, 7, v13
	v_cmp_eq_u16_e32 vcc, 0, v15
	v_cndmask_b32_e32 v13, v14, v13, vcc
	v_cndmask_b32_e32 v14, v15, v16, vcc
	v_lshlrev_b32_e32 v15, 16, v2
	v_mov_b32_e32 v16, 0x3b800000
	v_lshlrev_b32_e32 v13, 20, v13
	v_and_b32_e32 v15, 0x80000000, v15
	v_lshl_add_u32 v14, v14, 23, v16
	v_or3_b32 v14, v15, v14, v13
.LBB4_1808:
	s_or_b64 exec, exec, s[6:7]
	s_nop 0
	v_mfma_f32_16x16x4f32 a[0:3], v12, v14, a[0:3]
	s_movk_i32 s4, 0xff
	v_and_b32_sdwa v13, v6, s4 dst_sel:DWORD dst_unused:UNUSED_PAD src0_sel:WORD_1 src1_sel:DWORD
	s_movk_i32 s4, 0x7f
	v_cmp_lt_i16_e32 vcc, s4, v13
	s_mov_b64 s[4:5], 0
                                        ; implicit-def: $sgpr10
	s_and_saveexec_b64 s[6:7], vcc
	s_xor_b64 s[6:7], exec, s[6:7]
	s_cbranch_execnz .LBB4_3857
; %bb.1809:
	s_or_saveexec_b64 s[6:7], s[6:7]
	v_mov_b32_e32 v12, s10
	s_xor_b64 exec, exec, s[6:7]
	s_cbranch_execnz .LBB4_3860
.LBB4_1810:
	s_or_b64 exec, exec, s[6:7]
	s_and_saveexec_b64 s[6:7], s[4:5]
	s_cbranch_execz .LBB4_1812
.LBB4_1811:
	v_bfe_u32 v12, v6, 16, 3
	v_ffbh_u32_e32 v15, v12
	v_min_u32_e32 v15, 32, v15
	v_lshrrev_b32_e32 v13, 19, v6
	v_subrev_u32_e32 v16, 28, v15
	v_and_b32_e32 v13, 15, v13
	v_lshlrev_b32_sdwa v16, v16, v6 dst_sel:DWORD dst_unused:UNUSED_PAD src0_sel:DWORD src1_sel:WORD_1
	v_bfe_u32 v14, v6, 19, 4
	v_sub_u32_e32 v15, 29, v15
	v_and_b32_e32 v16, 7, v16
	v_cmp_eq_u16_e32 vcc, 0, v13
	v_cndmask_b32_e32 v12, v12, v16, vcc
	v_cndmask_b32_e32 v13, v14, v15, vcc
	v_lshlrev_b32_e32 v14, 8, v6
	v_mov_b32_e32 v15, 0x3b800000
	v_lshlrev_b32_e32 v12, 20, v12
	v_and_b32_e32 v14, 0x80000000, v14
	v_lshl_add_u32 v13, v13, 23, v15
	v_or3_b32 v12, v14, v13, v12
.LBB4_1812:
	s_or_b64 exec, exec, s[6:7]
	s_movk_i32 s4, 0xff
	v_and_b32_sdwa v13, v2, s4 dst_sel:DWORD dst_unused:UNUSED_PAD src0_sel:WORD_1 src1_sel:DWORD
	s_movk_i32 s4, 0x7f
	v_cmp_lt_i16_e32 vcc, s4, v13
	s_mov_b64 s[4:5], 0
                                        ; implicit-def: $sgpr10
	s_and_saveexec_b64 s[6:7], vcc
	s_xor_b64 s[6:7], exec, s[6:7]
	s_cbranch_execnz .LBB4_3861
; %bb.1813:
	s_or_saveexec_b64 s[6:7], s[6:7]
	v_mov_b32_e32 v14, s10
	s_xor_b64 exec, exec, s[6:7]
	s_cbranch_execnz .LBB4_3864
.LBB4_1814:
	s_or_b64 exec, exec, s[6:7]
	s_and_saveexec_b64 s[6:7], s[4:5]
	s_cbranch_execz .LBB4_1816
.LBB4_1815:
	v_bfe_u32 v13, v2, 16, 3
	v_ffbh_u32_e32 v16, v13
	v_min_u32_e32 v16, 32, v16
	v_lshrrev_b32_e32 v14, 19, v2
	v_subrev_u32_e32 v17, 28, v16
	v_and_b32_e32 v14, 15, v14
	v_lshlrev_b32_sdwa v17, v17, v2 dst_sel:DWORD dst_unused:UNUSED_PAD src0_sel:DWORD src1_sel:WORD_1
	v_bfe_u32 v15, v2, 19, 4
	v_sub_u32_e32 v16, 29, v16
	v_and_b32_e32 v17, 7, v17
	v_cmp_eq_u16_e32 vcc, 0, v14
	v_cndmask_b32_e32 v13, v13, v17, vcc
	v_cndmask_b32_e32 v14, v15, v16, vcc
	v_lshlrev_b32_e32 v15, 8, v2
	v_mov_b32_e32 v16, 0x3b800000
	v_lshlrev_b32_e32 v13, 20, v13
	v_and_b32_e32 v15, 0x80000000, v15
	v_lshl_add_u32 v14, v14, 23, v16
	v_or3_b32 v14, v15, v14, v13
.LBB4_1816:
	s_or_b64 exec, exec, s[6:7]
	s_nop 0
	v_mfma_f32_16x16x4f32 a[0:3], v12, v14, a[0:3]
	s_movk_i32 s4, 0x7f
	v_cmp_gt_i16_sdwa s[6:7], v6, s4 src0_sel:BYTE_3 src1_sel:DWORD
	s_mov_b64 s[4:5], 0
                                        ; implicit-def: $sgpr10
	s_and_saveexec_b64 s[8:9], s[6:7]
	s_xor_b64 s[6:7], exec, s[8:9]
	s_cbranch_execnz .LBB4_3865
; %bb.1817:
	s_or_saveexec_b64 s[6:7], s[6:7]
	v_mov_b32_e32 v12, s10
	s_xor_b64 exec, exec, s[6:7]
	s_cbranch_execnz .LBB4_3868
.LBB4_1818:
	s_or_b64 exec, exec, s[6:7]
	s_and_saveexec_b64 s[6:7], s[4:5]
	s_cbranch_execz .LBB4_1820
.LBB4_1819:
	v_bfe_u32 v12, v6, 24, 3
	v_ffbh_u32_e32 v16, v12
	v_min_u32_e32 v16, 32, v16
	v_lshrrev_b32_e32 v14, 27, v6
	v_subrev_u32_e32 v17, 28, v16
	v_and_b32_e32 v13, 0x80000000, v6
	v_and_b32_e32 v14, 15, v14
	v_bfe_u32 v15, v6, 27, 4
	v_lshlrev_b32_sdwa v6, v17, v6 dst_sel:DWORD dst_unused:UNUSED_PAD src0_sel:DWORD src1_sel:BYTE_3
	v_sub_u32_e32 v16, 29, v16
	v_and_b32_e32 v6, 7, v6
	v_cmp_eq_u16_e32 vcc, 0, v14
	v_cndmask_b32_e32 v6, v12, v6, vcc
	v_cndmask_b32_e32 v12, v15, v16, vcc
	v_mov_b32_e32 v14, 0x3b800000
	v_lshlrev_b32_e32 v6, 20, v6
	v_lshl_add_u32 v12, v12, 23, v14
	v_or3_b32 v12, v13, v12, v6
.LBB4_1820:
	s_or_b64 exec, exec, s[6:7]
	s_movk_i32 s4, 0x7f
	v_cmp_gt_i16_sdwa s[6:7], v2, s4 src0_sel:BYTE_3 src1_sel:DWORD
	s_mov_b64 s[4:5], 0
                                        ; implicit-def: $sgpr10
	s_and_saveexec_b64 s[8:9], s[6:7]
	s_xor_b64 s[6:7], exec, s[8:9]
	s_cbranch_execnz .LBB4_3869
; %bb.1821:
	s_or_saveexec_b64 s[6:7], s[6:7]
	v_mov_b32_e32 v6, s10
	s_xor_b64 exec, exec, s[6:7]
	s_cbranch_execnz .LBB4_3872
.LBB4_1822:
	s_or_b64 exec, exec, s[6:7]
	s_and_saveexec_b64 s[6:7], s[4:5]
	s_cbranch_execz .LBB4_1824
.LBB4_1823:
	v_bfe_u32 v6, v2, 24, 3
	v_ffbh_u32_e32 v16, v6
	v_min_u32_e32 v16, 32, v16
	v_lshrrev_b32_e32 v14, 27, v2
	v_subrev_u32_e32 v17, 28, v16
	v_and_b32_e32 v13, 0x80000000, v2
	v_and_b32_e32 v14, 15, v14
	v_bfe_u32 v15, v2, 27, 4
	v_lshlrev_b32_sdwa v2, v17, v2 dst_sel:DWORD dst_unused:UNUSED_PAD src0_sel:DWORD src1_sel:BYTE_3
	v_sub_u32_e32 v16, 29, v16
	v_and_b32_e32 v2, 7, v2
	v_cmp_eq_u16_e32 vcc, 0, v14
	v_cndmask_b32_e32 v2, v6, v2, vcc
	v_cndmask_b32_e32 v6, v15, v16, vcc
	v_mov_b32_e32 v14, 0x3b800000
	v_lshlrev_b32_e32 v2, 20, v2
	v_lshl_add_u32 v6, v6, 23, v14
	v_or3_b32 v6, v13, v6, v2
.LBB4_1824:
	s_or_b64 exec, exec, s[6:7]
	s_nop 0
	v_mfma_f32_16x16x4f32 a[0:3], v12, v6, a[0:3]
	s_movk_i32 s4, 0x7f
	v_cmp_gt_i16_sdwa s[6:7], v7, s4 src0_sel:BYTE_0 src1_sel:DWORD
	s_mov_b64 s[4:5], 0
                                        ; implicit-def: $sgpr10
	s_and_saveexec_b64 s[8:9], s[6:7]
	s_xor_b64 s[6:7], exec, s[8:9]
	s_cbranch_execnz .LBB4_3873
; %bb.1825:
	s_or_saveexec_b64 s[6:7], s[6:7]
	v_mov_b32_e32 v2, s10
	s_xor_b64 exec, exec, s[6:7]
	s_cbranch_execnz .LBB4_3876
.LBB4_1826:
	s_or_b64 exec, exec, s[6:7]
	s_and_saveexec_b64 s[6:7], s[4:5]
	s_cbranch_execz .LBB4_1828
.LBB4_1827:
	v_and_b32_e32 v2, 7, v7
	v_ffbh_u32_e32 v12, v2
	v_min_u32_e32 v12, 32, v12
	v_lshrrev_b16_e32 v6, 3, v7
	v_subrev_u32_e32 v13, 28, v12
	v_and_b32_e32 v6, 15, v6
	v_lshlrev_b32_e32 v13, v13, v7
	v_sub_u32_e32 v12, 29, v12
	v_and_b32_e32 v13, 7, v13
	v_cmp_eq_u16_e32 vcc, 0, v6
	v_cndmask_b32_e32 v2, v2, v13, vcc
	v_cndmask_b32_e32 v6, v6, v12, vcc
	v_lshlrev_b32_e32 v12, 24, v7
	v_mov_b32_e32 v13, 0x3b800000
	v_lshlrev_b32_e32 v2, 20, v2
	v_and_b32_e32 v12, 0x80000000, v12
	v_lshl_add_u32 v6, v6, 23, v13
	v_or3_b32 v2, v12, v6, v2
.LBB4_1828:
	s_or_b64 exec, exec, s[6:7]
	s_movk_i32 s4, 0x7f
	v_cmp_gt_i16_sdwa s[6:7], v3, s4 src0_sel:BYTE_0 src1_sel:DWORD
	s_mov_b64 s[4:5], 0
                                        ; implicit-def: $sgpr10
	s_and_saveexec_b64 s[8:9], s[6:7]
	s_xor_b64 s[6:7], exec, s[8:9]
	s_cbranch_execnz .LBB4_3877
; %bb.1829:
	s_or_saveexec_b64 s[6:7], s[6:7]
	v_mov_b32_e32 v6, s10
	s_xor_b64 exec, exec, s[6:7]
	s_cbranch_execnz .LBB4_3880
.LBB4_1830:
	s_or_b64 exec, exec, s[6:7]
	s_and_saveexec_b64 s[6:7], s[4:5]
	s_cbranch_execz .LBB4_1832
.LBB4_1831:
	v_and_b32_e32 v6, 7, v3
	v_ffbh_u32_e32 v13, v6
	v_min_u32_e32 v13, 32, v13
	v_lshrrev_b16_e32 v12, 3, v3
	v_subrev_u32_e32 v14, 28, v13
	v_and_b32_e32 v12, 15, v12
	v_lshlrev_b32_e32 v14, v14, v3
	v_sub_u32_e32 v13, 29, v13
	v_and_b32_e32 v14, 7, v14
	v_cmp_eq_u16_e32 vcc, 0, v12
	v_cndmask_b32_e32 v6, v6, v14, vcc
	v_cndmask_b32_e32 v12, v12, v13, vcc
	v_lshlrev_b32_e32 v13, 24, v3
	v_mov_b32_e32 v14, 0x3b800000
	v_lshlrev_b32_e32 v6, 20, v6
	v_and_b32_e32 v13, 0x80000000, v13
	v_lshl_add_u32 v12, v12, 23, v14
	v_or3_b32 v6, v13, v12, v6
.LBB4_1832:
	s_or_b64 exec, exec, s[6:7]
	s_nop 0
	v_mfma_f32_16x16x4f32 a[0:3], v2, v6, a[0:3]
	v_lshrrev_b32_e32 v6, 8, v7
	s_movk_i32 s4, 0x7f
	v_cmp_gt_i16_sdwa s[6:7], v6, s4 src0_sel:BYTE_0 src1_sel:DWORD
	s_mov_b64 s[4:5], 0
                                        ; implicit-def: $sgpr10
	s_and_saveexec_b64 s[8:9], s[6:7]
	s_xor_b64 s[6:7], exec, s[8:9]
	s_cbranch_execnz .LBB4_3881
; %bb.1833:
	s_or_saveexec_b64 s[6:7], s[6:7]
	v_mov_b32_e32 v2, s10
	s_xor_b64 exec, exec, s[6:7]
	s_cbranch_execnz .LBB4_3884
.LBB4_1834:
	s_or_b64 exec, exec, s[6:7]
	s_and_saveexec_b64 s[6:7], s[4:5]
	s_cbranch_execz .LBB4_1836
.LBB4_1835:
	v_bfe_u32 v2, v7, 8, 3
	v_ffbh_u32_e32 v13, v2
	v_min_u32_e32 v13, 32, v13
	v_lshrrev_b16_e32 v12, 3, v6
	v_subrev_u32_e32 v14, 28, v13
	v_and_b32_e32 v12, 15, v12
	v_lshlrev_b32_e32 v6, v14, v6
	v_sub_u32_e32 v13, 29, v13
	v_and_b32_e32 v6, 7, v6
	v_cmp_eq_u16_e32 vcc, 0, v12
	v_cndmask_b32_e32 v2, v2, v6, vcc
	v_cndmask_b32_e32 v6, v12, v13, vcc
	v_lshlrev_b32_e32 v12, 16, v7
	v_mov_b32_e32 v13, 0x3b800000
	v_lshlrev_b32_e32 v2, 20, v2
	v_and_b32_e32 v12, 0x80000000, v12
	v_lshl_add_u32 v6, v6, 23, v13
	v_or3_b32 v2, v12, v6, v2
.LBB4_1836:
	s_or_b64 exec, exec, s[6:7]
	v_lshrrev_b32_e32 v6, 8, v3
	s_movk_i32 s4, 0x7f
	v_cmp_gt_i16_sdwa s[6:7], v6, s4 src0_sel:BYTE_0 src1_sel:DWORD
	s_mov_b64 s[4:5], 0
                                        ; implicit-def: $sgpr10
	s_and_saveexec_b64 s[8:9], s[6:7]
	s_xor_b64 s[6:7], exec, s[8:9]
	s_cbranch_execnz .LBB4_3885
; %bb.1837:
	s_or_saveexec_b64 s[6:7], s[6:7]
	v_mov_b32_e32 v12, s10
	s_xor_b64 exec, exec, s[6:7]
	s_cbranch_execnz .LBB4_3888
.LBB4_1838:
	s_or_b64 exec, exec, s[6:7]
	s_and_saveexec_b64 s[6:7], s[4:5]
	s_cbranch_execz .LBB4_1840
.LBB4_1839:
	v_bfe_u32 v12, v3, 8, 3
	v_ffbh_u32_e32 v14, v12
	v_min_u32_e32 v14, 32, v14
	v_lshrrev_b16_e32 v13, 3, v6
	v_subrev_u32_e32 v15, 28, v14
	v_and_b32_e32 v13, 15, v13
	v_lshlrev_b32_e32 v6, v15, v6
	v_sub_u32_e32 v14, 29, v14
	v_and_b32_e32 v6, 7, v6
	v_cmp_eq_u16_e32 vcc, 0, v13
	v_cndmask_b32_e32 v6, v12, v6, vcc
	v_cndmask_b32_e32 v12, v13, v14, vcc
	v_lshlrev_b32_e32 v13, 16, v3
	v_mov_b32_e32 v14, 0x3b800000
	v_lshlrev_b32_e32 v6, 20, v6
	v_and_b32_e32 v13, 0x80000000, v13
	v_lshl_add_u32 v12, v12, 23, v14
	v_or3_b32 v12, v13, v12, v6
.LBB4_1840:
	s_or_b64 exec, exec, s[6:7]
	s_nop 0
	v_mfma_f32_16x16x4f32 a[0:3], v2, v12, a[0:3]
	s_movk_i32 s4, 0xff
	v_and_b32_sdwa v6, v7, s4 dst_sel:DWORD dst_unused:UNUSED_PAD src0_sel:WORD_1 src1_sel:DWORD
	s_movk_i32 s4, 0x7f
	v_cmp_lt_i16_e32 vcc, s4, v6
	s_mov_b64 s[4:5], 0
                                        ; implicit-def: $sgpr10
	s_and_saveexec_b64 s[6:7], vcc
	s_xor_b64 s[6:7], exec, s[6:7]
	s_cbranch_execnz .LBB4_3889
; %bb.1841:
	s_or_saveexec_b64 s[6:7], s[6:7]
	v_mov_b32_e32 v2, s10
	s_xor_b64 exec, exec, s[6:7]
	s_cbranch_execnz .LBB4_3892
.LBB4_1842:
	s_or_b64 exec, exec, s[6:7]
	s_and_saveexec_b64 s[6:7], s[4:5]
	s_cbranch_execz .LBB4_1844
.LBB4_1843:
	v_bfe_u32 v2, v7, 16, 3
	v_ffbh_u32_e32 v13, v2
	v_min_u32_e32 v13, 32, v13
	v_lshrrev_b32_e32 v6, 19, v7
	v_subrev_u32_e32 v14, 28, v13
	v_and_b32_e32 v6, 15, v6
	v_lshlrev_b32_sdwa v14, v14, v7 dst_sel:DWORD dst_unused:UNUSED_PAD src0_sel:DWORD src1_sel:WORD_1
	v_bfe_u32 v12, v7, 19, 4
	v_sub_u32_e32 v13, 29, v13
	v_and_b32_e32 v14, 7, v14
	v_cmp_eq_u16_e32 vcc, 0, v6
	v_cndmask_b32_e32 v2, v2, v14, vcc
	v_cndmask_b32_e32 v6, v12, v13, vcc
	v_lshlrev_b32_e32 v12, 8, v7
	v_mov_b32_e32 v13, 0x3b800000
	v_lshlrev_b32_e32 v2, 20, v2
	v_and_b32_e32 v12, 0x80000000, v12
	v_lshl_add_u32 v6, v6, 23, v13
	v_or3_b32 v2, v12, v6, v2
.LBB4_1844:
	s_or_b64 exec, exec, s[6:7]
	s_movk_i32 s4, 0xff
	v_and_b32_sdwa v6, v3, s4 dst_sel:DWORD dst_unused:UNUSED_PAD src0_sel:WORD_1 src1_sel:DWORD
	s_movk_i32 s4, 0x7f
	v_cmp_lt_i16_e32 vcc, s4, v6
	s_mov_b64 s[4:5], 0
                                        ; implicit-def: $sgpr10
	s_and_saveexec_b64 s[6:7], vcc
	s_xor_b64 s[6:7], exec, s[6:7]
	s_cbranch_execnz .LBB4_3893
; %bb.1845:
	s_or_saveexec_b64 s[6:7], s[6:7]
	v_mov_b32_e32 v12, s10
	s_xor_b64 exec, exec, s[6:7]
	s_cbranch_execnz .LBB4_3896
.LBB4_1846:
	s_or_b64 exec, exec, s[6:7]
	s_and_saveexec_b64 s[6:7], s[4:5]
	s_cbranch_execz .LBB4_1848
.LBB4_1847:
	v_bfe_u32 v6, v3, 16, 3
	v_ffbh_u32_e32 v14, v6
	v_min_u32_e32 v14, 32, v14
	v_lshrrev_b32_e32 v12, 19, v3
	v_subrev_u32_e32 v15, 28, v14
	v_and_b32_e32 v12, 15, v12
	v_lshlrev_b32_sdwa v15, v15, v3 dst_sel:DWORD dst_unused:UNUSED_PAD src0_sel:DWORD src1_sel:WORD_1
	v_bfe_u32 v13, v3, 19, 4
	v_sub_u32_e32 v14, 29, v14
	v_and_b32_e32 v15, 7, v15
	v_cmp_eq_u16_e32 vcc, 0, v12
	v_cndmask_b32_e32 v6, v6, v15, vcc
	v_cndmask_b32_e32 v12, v13, v14, vcc
	v_lshlrev_b32_e32 v13, 8, v3
	v_mov_b32_e32 v14, 0x3b800000
	v_lshlrev_b32_e32 v6, 20, v6
	v_and_b32_e32 v13, 0x80000000, v13
	v_lshl_add_u32 v12, v12, 23, v14
	v_or3_b32 v12, v13, v12, v6
.LBB4_1848:
	s_or_b64 exec, exec, s[6:7]
	s_nop 0
	v_mfma_f32_16x16x4f32 a[0:3], v2, v12, a[0:3]
	s_movk_i32 s4, 0x7f
	v_cmp_gt_i16_sdwa s[6:7], v7, s4 src0_sel:BYTE_3 src1_sel:DWORD
	s_mov_b64 s[4:5], 0
                                        ; implicit-def: $sgpr10
	s_and_saveexec_b64 s[8:9], s[6:7]
	s_xor_b64 s[6:7], exec, s[8:9]
	s_cbranch_execnz .LBB4_3897
; %bb.1849:
	s_or_saveexec_b64 s[6:7], s[6:7]
	v_mov_b32_e32 v2, s10
	s_xor_b64 exec, exec, s[6:7]
	s_cbranch_execnz .LBB4_3900
.LBB4_1850:
	s_or_b64 exec, exec, s[6:7]
	s_and_saveexec_b64 s[6:7], s[4:5]
	s_cbranch_execz .LBB4_1852
.LBB4_1851:
	v_bfe_u32 v2, v7, 24, 3
	v_ffbh_u32_e32 v14, v2
	v_min_u32_e32 v14, 32, v14
	v_lshrrev_b32_e32 v12, 27, v7
	v_subrev_u32_e32 v15, 28, v14
	v_and_b32_e32 v6, 0x80000000, v7
	v_and_b32_e32 v12, 15, v12
	v_bfe_u32 v13, v7, 27, 4
	v_lshlrev_b32_sdwa v7, v15, v7 dst_sel:DWORD dst_unused:UNUSED_PAD src0_sel:DWORD src1_sel:BYTE_3
	v_sub_u32_e32 v14, 29, v14
	v_and_b32_e32 v7, 7, v7
	v_cmp_eq_u16_e32 vcc, 0, v12
	v_cndmask_b32_e32 v2, v2, v7, vcc
	v_cndmask_b32_e32 v7, v13, v14, vcc
	v_mov_b32_e32 v12, 0x3b800000
	v_lshlrev_b32_e32 v2, 20, v2
	v_lshl_add_u32 v7, v7, 23, v12
	v_or3_b32 v2, v6, v7, v2
.LBB4_1852:
	s_or_b64 exec, exec, s[6:7]
	s_movk_i32 s4, 0x7f
	v_cmp_gt_i16_sdwa s[6:7], v3, s4 src0_sel:BYTE_3 src1_sel:DWORD
	s_mov_b64 s[4:5], 0
                                        ; implicit-def: $sgpr10
	s_and_saveexec_b64 s[8:9], s[6:7]
	s_xor_b64 s[6:7], exec, s[8:9]
	s_cbranch_execnz .LBB4_3901
; %bb.1853:
	s_or_saveexec_b64 s[6:7], s[6:7]
	v_mov_b32_e32 v6, s10
	s_xor_b64 exec, exec, s[6:7]
	s_cbranch_execnz .LBB4_3904
.LBB4_1854:
	s_or_b64 exec, exec, s[6:7]
	s_and_saveexec_b64 s[6:7], s[4:5]
	s_cbranch_execz .LBB4_1856
.LBB4_1855:
	v_bfe_u32 v6, v3, 24, 3
	v_ffbh_u32_e32 v14, v6
	v_min_u32_e32 v14, 32, v14
	v_lshrrev_b32_e32 v12, 27, v3
	v_subrev_u32_e32 v15, 28, v14
	v_and_b32_e32 v7, 0x80000000, v3
	v_and_b32_e32 v12, 15, v12
	v_bfe_u32 v13, v3, 27, 4
	v_lshlrev_b32_sdwa v3, v15, v3 dst_sel:DWORD dst_unused:UNUSED_PAD src0_sel:DWORD src1_sel:BYTE_3
	v_sub_u32_e32 v14, 29, v14
	v_and_b32_e32 v3, 7, v3
	v_cmp_eq_u16_e32 vcc, 0, v12
	v_cndmask_b32_e32 v3, v6, v3, vcc
	v_cndmask_b32_e32 v6, v13, v14, vcc
	v_mov_b32_e32 v12, 0x3b800000
	v_lshlrev_b32_e32 v3, 20, v3
	v_lshl_add_u32 v6, v6, 23, v12
	v_or3_b32 v6, v7, v6, v3
.LBB4_1856:
	s_or_b64 exec, exec, s[6:7]
	s_nop 0
	v_mfma_f32_16x16x4f32 a[0:3], v2, v6, a[0:3]
	s_movk_i32 s4, 0x7f
	v_cmp_gt_i16_sdwa s[6:7], v8, s4 src0_sel:BYTE_0 src1_sel:DWORD
	s_mov_b64 s[4:5], 0
                                        ; implicit-def: $sgpr10
	s_and_saveexec_b64 s[8:9], s[6:7]
	s_xor_b64 s[6:7], exec, s[8:9]
	s_cbranch_execnz .LBB4_3905
; %bb.1857:
	s_or_saveexec_b64 s[6:7], s[6:7]
	v_mov_b32_e32 v2, s10
	s_xor_b64 exec, exec, s[6:7]
	s_cbranch_execnz .LBB4_3908
.LBB4_1858:
	s_or_b64 exec, exec, s[6:7]
	s_and_saveexec_b64 s[6:7], s[4:5]
	s_cbranch_execz .LBB4_1860
.LBB4_1859:
	v_and_b32_e32 v2, 7, v8
	v_ffbh_u32_e32 v6, v2
	v_min_u32_e32 v6, 32, v6
	v_lshrrev_b16_e32 v3, 3, v8
	v_subrev_u32_e32 v7, 28, v6
	v_and_b32_e32 v3, 15, v3
	v_lshlrev_b32_e32 v7, v7, v8
	v_sub_u32_e32 v6, 29, v6
	v_and_b32_e32 v7, 7, v7
	v_cmp_eq_u16_e32 vcc, 0, v3
	v_cndmask_b32_e32 v2, v2, v7, vcc
	v_cndmask_b32_e32 v3, v3, v6, vcc
	v_lshlrev_b32_e32 v6, 24, v8
	v_mov_b32_e32 v7, 0x3b800000
	v_lshlrev_b32_e32 v2, 20, v2
	v_and_b32_e32 v6, 0x80000000, v6
	v_lshl_add_u32 v3, v3, 23, v7
	v_or3_b32 v2, v6, v3, v2
.LBB4_1860:
	s_or_b64 exec, exec, s[6:7]
	s_movk_i32 s4, 0x7f
	v_cmp_gt_i16_sdwa s[6:7], v4, s4 src0_sel:BYTE_0 src1_sel:DWORD
	s_mov_b64 s[4:5], 0
                                        ; implicit-def: $sgpr10
	s_and_saveexec_b64 s[8:9], s[6:7]
	s_xor_b64 s[6:7], exec, s[8:9]
	s_cbranch_execnz .LBB4_3909
; %bb.1861:
	s_or_saveexec_b64 s[6:7], s[6:7]
	v_mov_b32_e32 v3, s10
	s_xor_b64 exec, exec, s[6:7]
	s_cbranch_execnz .LBB4_3912
.LBB4_1862:
	s_or_b64 exec, exec, s[6:7]
	s_and_saveexec_b64 s[6:7], s[4:5]
	s_cbranch_execz .LBB4_1864
.LBB4_1863:
	v_and_b32_e32 v3, 7, v4
	v_ffbh_u32_e32 v7, v3
	v_min_u32_e32 v7, 32, v7
	v_lshrrev_b16_e32 v6, 3, v4
	v_subrev_u32_e32 v12, 28, v7
	v_and_b32_e32 v6, 15, v6
	v_lshlrev_b32_e32 v12, v12, v4
	v_sub_u32_e32 v7, 29, v7
	v_and_b32_e32 v12, 7, v12
	v_cmp_eq_u16_e32 vcc, 0, v6
	v_cndmask_b32_e32 v3, v3, v12, vcc
	v_cndmask_b32_e32 v6, v6, v7, vcc
	v_lshlrev_b32_e32 v7, 24, v4
	v_mov_b32_e32 v12, 0x3b800000
	v_lshlrev_b32_e32 v3, 20, v3
	v_and_b32_e32 v7, 0x80000000, v7
	v_lshl_add_u32 v6, v6, 23, v12
	v_or3_b32 v3, v7, v6, v3
.LBB4_1864:
	s_or_b64 exec, exec, s[6:7]
	s_nop 0
	v_mfma_f32_16x16x4f32 a[0:3], v2, v3, a[0:3]
	v_lshrrev_b32_e32 v3, 8, v8
	s_movk_i32 s4, 0x7f
	v_cmp_gt_i16_sdwa s[6:7], v3, s4 src0_sel:BYTE_0 src1_sel:DWORD
	s_mov_b64 s[4:5], 0
                                        ; implicit-def: $sgpr10
	s_and_saveexec_b64 s[8:9], s[6:7]
	s_xor_b64 s[6:7], exec, s[8:9]
	s_cbranch_execnz .LBB4_3913
; %bb.1865:
	s_or_saveexec_b64 s[6:7], s[6:7]
	v_mov_b32_e32 v2, s10
	s_xor_b64 exec, exec, s[6:7]
	s_cbranch_execnz .LBB4_3916
.LBB4_1866:
	s_or_b64 exec, exec, s[6:7]
	s_and_saveexec_b64 s[6:7], s[4:5]
	s_cbranch_execz .LBB4_1868
.LBB4_1867:
	v_bfe_u32 v2, v8, 8, 3
	v_ffbh_u32_e32 v7, v2
	v_min_u32_e32 v7, 32, v7
	v_lshrrev_b16_e32 v6, 3, v3
	v_subrev_u32_e32 v12, 28, v7
	v_and_b32_e32 v6, 15, v6
	v_lshlrev_b32_e32 v3, v12, v3
	v_sub_u32_e32 v7, 29, v7
	v_and_b32_e32 v3, 7, v3
	v_cmp_eq_u16_e32 vcc, 0, v6
	v_cndmask_b32_e32 v2, v2, v3, vcc
	v_cndmask_b32_e32 v3, v6, v7, vcc
	v_lshlrev_b32_e32 v6, 16, v8
	v_mov_b32_e32 v7, 0x3b800000
	v_lshlrev_b32_e32 v2, 20, v2
	v_and_b32_e32 v6, 0x80000000, v6
	v_lshl_add_u32 v3, v3, 23, v7
	v_or3_b32 v2, v6, v3, v2
.LBB4_1868:
	s_or_b64 exec, exec, s[6:7]
	v_lshrrev_b32_e32 v3, 8, v4
	s_movk_i32 s4, 0x7f
	v_cmp_gt_i16_sdwa s[6:7], v3, s4 src0_sel:BYTE_0 src1_sel:DWORD
	s_mov_b64 s[4:5], 0
                                        ; implicit-def: $sgpr10
	s_and_saveexec_b64 s[8:9], s[6:7]
	s_xor_b64 s[6:7], exec, s[8:9]
	s_cbranch_execnz .LBB4_3917
; %bb.1869:
	s_or_saveexec_b64 s[6:7], s[6:7]
	v_mov_b32_e32 v6, s10
	s_xor_b64 exec, exec, s[6:7]
	s_cbranch_execnz .LBB4_3920
.LBB4_1870:
	s_or_b64 exec, exec, s[6:7]
	s_and_saveexec_b64 s[6:7], s[4:5]
	s_cbranch_execz .LBB4_1872
.LBB4_1871:
	v_bfe_u32 v6, v4, 8, 3
	v_ffbh_u32_e32 v12, v6
	v_min_u32_e32 v12, 32, v12
	v_lshrrev_b16_e32 v7, 3, v3
	v_subrev_u32_e32 v13, 28, v12
	v_and_b32_e32 v7, 15, v7
	v_lshlrev_b32_e32 v3, v13, v3
	v_sub_u32_e32 v12, 29, v12
	v_and_b32_e32 v3, 7, v3
	v_cmp_eq_u16_e32 vcc, 0, v7
	v_cndmask_b32_e32 v3, v6, v3, vcc
	v_cndmask_b32_e32 v6, v7, v12, vcc
	v_lshlrev_b32_e32 v7, 16, v4
	v_mov_b32_e32 v12, 0x3b800000
	v_lshlrev_b32_e32 v3, 20, v3
	v_and_b32_e32 v7, 0x80000000, v7
	v_lshl_add_u32 v6, v6, 23, v12
	v_or3_b32 v6, v7, v6, v3
.LBB4_1872:
	s_or_b64 exec, exec, s[6:7]
	s_nop 0
	v_mfma_f32_16x16x4f32 a[0:3], v2, v6, a[0:3]
	s_movk_i32 s4, 0xff
	v_and_b32_sdwa v3, v8, s4 dst_sel:DWORD dst_unused:UNUSED_PAD src0_sel:WORD_1 src1_sel:DWORD
	s_movk_i32 s4, 0x7f
	v_cmp_lt_i16_e32 vcc, s4, v3
	s_mov_b64 s[4:5], 0
                                        ; implicit-def: $sgpr10
	s_and_saveexec_b64 s[6:7], vcc
	s_xor_b64 s[6:7], exec, s[6:7]
	s_cbranch_execnz .LBB4_3921
; %bb.1873:
	s_or_saveexec_b64 s[6:7], s[6:7]
	v_mov_b32_e32 v2, s10
	s_xor_b64 exec, exec, s[6:7]
	s_cbranch_execnz .LBB4_3924
.LBB4_1874:
	s_or_b64 exec, exec, s[6:7]
	s_and_saveexec_b64 s[6:7], s[4:5]
	s_cbranch_execz .LBB4_1876
.LBB4_1875:
	v_bfe_u32 v2, v8, 16, 3
	v_ffbh_u32_e32 v7, v2
	v_min_u32_e32 v7, 32, v7
	v_lshrrev_b32_e32 v3, 19, v8
	v_subrev_u32_e32 v12, 28, v7
	v_and_b32_e32 v3, 15, v3
	v_lshlrev_b32_sdwa v12, v12, v8 dst_sel:DWORD dst_unused:UNUSED_PAD src0_sel:DWORD src1_sel:WORD_1
	v_bfe_u32 v6, v8, 19, 4
	v_sub_u32_e32 v7, 29, v7
	v_and_b32_e32 v12, 7, v12
	v_cmp_eq_u16_e32 vcc, 0, v3
	v_cndmask_b32_e32 v2, v2, v12, vcc
	v_cndmask_b32_e32 v3, v6, v7, vcc
	v_lshlrev_b32_e32 v6, 8, v8
	v_mov_b32_e32 v7, 0x3b800000
	v_lshlrev_b32_e32 v2, 20, v2
	v_and_b32_e32 v6, 0x80000000, v6
	v_lshl_add_u32 v3, v3, 23, v7
	v_or3_b32 v2, v6, v3, v2
.LBB4_1876:
	s_or_b64 exec, exec, s[6:7]
	s_movk_i32 s4, 0xff
	v_and_b32_sdwa v3, v4, s4 dst_sel:DWORD dst_unused:UNUSED_PAD src0_sel:WORD_1 src1_sel:DWORD
	s_movk_i32 s4, 0x7f
	v_cmp_lt_i16_e32 vcc, s4, v3
	s_mov_b64 s[4:5], 0
                                        ; implicit-def: $sgpr10
	s_and_saveexec_b64 s[6:7], vcc
	s_xor_b64 s[6:7], exec, s[6:7]
	s_cbranch_execnz .LBB4_3925
; %bb.1877:
	s_or_saveexec_b64 s[6:7], s[6:7]
	v_mov_b32_e32 v6, s10
	s_xor_b64 exec, exec, s[6:7]
	s_cbranch_execnz .LBB4_3928
.LBB4_1878:
	s_or_b64 exec, exec, s[6:7]
	s_and_saveexec_b64 s[6:7], s[4:5]
	s_cbranch_execz .LBB4_1880
.LBB4_1879:
	v_bfe_u32 v3, v4, 16, 3
	v_ffbh_u32_e32 v12, v3
	v_min_u32_e32 v12, 32, v12
	v_lshrrev_b32_e32 v6, 19, v4
	v_subrev_u32_e32 v13, 28, v12
	v_and_b32_e32 v6, 15, v6
	v_lshlrev_b32_sdwa v13, v13, v4 dst_sel:DWORD dst_unused:UNUSED_PAD src0_sel:DWORD src1_sel:WORD_1
	v_bfe_u32 v7, v4, 19, 4
	v_sub_u32_e32 v12, 29, v12
	v_and_b32_e32 v13, 7, v13
	v_cmp_eq_u16_e32 vcc, 0, v6
	v_cndmask_b32_e32 v3, v3, v13, vcc
	v_cndmask_b32_e32 v6, v7, v12, vcc
	v_lshlrev_b32_e32 v7, 8, v4
	v_mov_b32_e32 v12, 0x3b800000
	v_lshlrev_b32_e32 v3, 20, v3
	v_and_b32_e32 v7, 0x80000000, v7
	v_lshl_add_u32 v6, v6, 23, v12
	v_or3_b32 v6, v7, v6, v3
.LBB4_1880:
	s_or_b64 exec, exec, s[6:7]
	s_nop 0
	v_mfma_f32_16x16x4f32 a[0:3], v2, v6, a[0:3]
	s_movk_i32 s4, 0x7f
	v_cmp_gt_i16_sdwa s[6:7], v8, s4 src0_sel:BYTE_3 src1_sel:DWORD
	s_mov_b64 s[4:5], 0
                                        ; implicit-def: $sgpr10
	s_and_saveexec_b64 s[8:9], s[6:7]
	s_xor_b64 s[6:7], exec, s[8:9]
	s_cbranch_execnz .LBB4_3929
; %bb.1881:
	s_or_saveexec_b64 s[6:7], s[6:7]
	v_mov_b32_e32 v2, s10
	s_xor_b64 exec, exec, s[6:7]
	s_cbranch_execnz .LBB4_3932
.LBB4_1882:
	s_or_b64 exec, exec, s[6:7]
	s_and_saveexec_b64 s[6:7], s[4:5]
	s_cbranch_execz .LBB4_1884
.LBB4_1883:
	v_bfe_u32 v2, v8, 24, 3
	v_ffbh_u32_e32 v12, v2
	v_min_u32_e32 v12, 32, v12
	v_lshrrev_b32_e32 v6, 27, v8
	v_subrev_u32_e32 v13, 28, v12
	v_and_b32_e32 v3, 0x80000000, v8
	v_and_b32_e32 v6, 15, v6
	v_bfe_u32 v7, v8, 27, 4
	v_lshlrev_b32_sdwa v8, v13, v8 dst_sel:DWORD dst_unused:UNUSED_PAD src0_sel:DWORD src1_sel:BYTE_3
	v_sub_u32_e32 v12, 29, v12
	v_and_b32_e32 v8, 7, v8
	v_cmp_eq_u16_e32 vcc, 0, v6
	v_cndmask_b32_e32 v2, v2, v8, vcc
	v_cndmask_b32_e32 v6, v7, v12, vcc
	v_mov_b32_e32 v7, 0x3b800000
	v_lshlrev_b32_e32 v2, 20, v2
	v_lshl_add_u32 v6, v6, 23, v7
	v_or3_b32 v2, v3, v6, v2
.LBB4_1884:
	s_or_b64 exec, exec, s[6:7]
	s_movk_i32 s4, 0x7f
	v_cmp_gt_i16_sdwa s[6:7], v4, s4 src0_sel:BYTE_3 src1_sel:DWORD
	s_mov_b64 s[4:5], 0
                                        ; implicit-def: $sgpr10
	s_and_saveexec_b64 s[8:9], s[6:7]
	s_xor_b64 s[6:7], exec, s[8:9]
	s_cbranch_execnz .LBB4_3933
; %bb.1885:
	s_or_saveexec_b64 s[6:7], s[6:7]
	v_mov_b32_e32 v3, s10
	s_xor_b64 exec, exec, s[6:7]
	s_cbranch_execnz .LBB4_3936
.LBB4_1886:
	s_or_b64 exec, exec, s[6:7]
	s_and_saveexec_b64 s[6:7], s[4:5]
	s_cbranch_execz .LBB4_1888
.LBB4_1887:
	v_bfe_u32 v3, v4, 24, 3
	v_ffbh_u32_e32 v12, v3
	v_min_u32_e32 v12, 32, v12
	v_lshrrev_b32_e32 v7, 27, v4
	v_subrev_u32_e32 v13, 28, v12
	v_and_b32_e32 v6, 0x80000000, v4
	v_and_b32_e32 v7, 15, v7
	v_bfe_u32 v8, v4, 27, 4
	v_lshlrev_b32_sdwa v4, v13, v4 dst_sel:DWORD dst_unused:UNUSED_PAD src0_sel:DWORD src1_sel:BYTE_3
	v_sub_u32_e32 v12, 29, v12
	v_and_b32_e32 v4, 7, v4
	v_cmp_eq_u16_e32 vcc, 0, v7
	v_cndmask_b32_e32 v3, v3, v4, vcc
	v_cndmask_b32_e32 v4, v8, v12, vcc
	v_mov_b32_e32 v7, 0x3b800000
	v_lshlrev_b32_e32 v3, 20, v3
	v_lshl_add_u32 v4, v4, 23, v7
	v_or3_b32 v3, v6, v4, v3
.LBB4_1888:
	s_or_b64 exec, exec, s[6:7]
	s_nop 0
	v_mfma_f32_16x16x4f32 a[0:3], v2, v3, a[0:3]
	s_movk_i32 s4, 0x7f
	v_cmp_gt_i16_sdwa s[6:7], v9, s4 src0_sel:BYTE_0 src1_sel:DWORD
	s_mov_b64 s[4:5], 0
                                        ; implicit-def: $sgpr10
	s_and_saveexec_b64 s[8:9], s[6:7]
	s_xor_b64 s[6:7], exec, s[8:9]
	s_cbranch_execnz .LBB4_3937
; %bb.1889:
	s_or_saveexec_b64 s[6:7], s[6:7]
	v_mov_b32_e32 v2, s10
	s_xor_b64 exec, exec, s[6:7]
	s_cbranch_execnz .LBB4_3940
.LBB4_1890:
	s_or_b64 exec, exec, s[6:7]
	s_and_saveexec_b64 s[6:7], s[4:5]
	s_cbranch_execz .LBB4_1892
.LBB4_1891:
	v_mov_b32_e32 v2, 8
	v_and_b32_e32 v3, 7, v9
	v_lshrrev_b32_sdwa v2, v2, v9 dst_sel:BYTE_1 dst_unused:UNUSED_PAD src0_sel:DWORD src1_sel:DWORD
	v_ffbh_u32_e32 v4, v3
	v_or_b32_sdwa v2, v9, v2 dst_sel:DWORD dst_unused:UNUSED_PAD src0_sel:BYTE_0 src1_sel:DWORD
	v_min_u32_e32 v4, 32, v4
	v_lshrrev_b16_e32 v2, 3, v2
	v_subrev_u32_e32 v6, 28, v4
	v_and_b32_e32 v2, 15, v2
	v_lshlrev_b32_e32 v6, v6, v9
	v_sub_u32_e32 v4, 29, v4
	v_and_b32_e32 v6, 7, v6
	v_cmp_eq_u16_e32 vcc, 0, v2
	v_cndmask_b32_e32 v3, v3, v6, vcc
	v_cndmask_b32_e32 v2, v2, v4, vcc
	v_lshlrev_b32_e32 v4, 24, v9
	v_mov_b32_e32 v6, 0x3b800000
	v_lshlrev_b32_e32 v3, 20, v3
	v_and_b32_e32 v4, 0x80000000, v4
	v_lshl_add_u32 v2, v2, 23, v6
	v_or3_b32 v2, v4, v2, v3
.LBB4_1892:
	s_or_b64 exec, exec, s[6:7]
	s_movk_i32 s4, 0x7f
	v_cmp_gt_i16_sdwa s[6:7], v5, s4 src0_sel:BYTE_0 src1_sel:DWORD
	s_mov_b64 s[4:5], 0
                                        ; implicit-def: $sgpr10
	s_and_saveexec_b64 s[8:9], s[6:7]
	s_xor_b64 s[6:7], exec, s[8:9]
	s_cbranch_execnz .LBB4_3941
; %bb.1893:
	s_or_saveexec_b64 s[6:7], s[6:7]
	v_mov_b32_e32 v3, s10
	s_xor_b64 exec, exec, s[6:7]
	s_cbranch_execnz .LBB4_3944
.LBB4_1894:
	s_or_b64 exec, exec, s[6:7]
	s_and_saveexec_b64 s[6:7], s[4:5]
	s_cbranch_execz .LBB4_1896
.LBB4_1895:
	v_mov_b32_e32 v3, 8
	v_and_b32_e32 v4, 7, v5
	v_lshrrev_b32_sdwa v3, v3, v5 dst_sel:BYTE_1 dst_unused:UNUSED_PAD src0_sel:DWORD src1_sel:DWORD
	v_ffbh_u32_e32 v6, v4
	v_or_b32_sdwa v3, v5, v3 dst_sel:DWORD dst_unused:UNUSED_PAD src0_sel:BYTE_0 src1_sel:DWORD
	v_min_u32_e32 v6, 32, v6
	v_lshrrev_b16_e32 v3, 3, v3
	v_subrev_u32_e32 v7, 28, v6
	v_and_b32_e32 v3, 15, v3
	v_lshlrev_b32_e32 v7, v7, v5
	v_sub_u32_e32 v6, 29, v6
	v_and_b32_e32 v7, 7, v7
	v_cmp_eq_u16_e32 vcc, 0, v3
	v_cndmask_b32_e32 v4, v4, v7, vcc
	v_cndmask_b32_e32 v3, v3, v6, vcc
	v_lshlrev_b32_e32 v6, 24, v5
	v_mov_b32_e32 v7, 0x3b800000
	v_lshlrev_b32_e32 v4, 20, v4
	v_and_b32_e32 v6, 0x80000000, v6
	v_lshl_add_u32 v3, v3, 23, v7
	v_or3_b32 v3, v6, v3, v4
.LBB4_1896:
	s_or_b64 exec, exec, s[6:7]
	s_nop 0
	v_mfma_f32_16x16x4f32 a[0:3], v2, v3, a[0:3]
	v_lshrrev_b32_e32 v3, 8, v9
	s_movk_i32 s4, 0x7f
	v_cmp_gt_i16_sdwa s[6:7], v3, s4 src0_sel:BYTE_0 src1_sel:DWORD
	s_mov_b64 s[4:5], 0
                                        ; implicit-def: $sgpr10
	s_and_saveexec_b64 s[8:9], s[6:7]
	s_xor_b64 s[6:7], exec, s[8:9]
	s_cbranch_execnz .LBB4_3945
; %bb.1897:
	s_or_saveexec_b64 s[6:7], s[6:7]
	v_mov_b32_e32 v2, s10
	s_xor_b64 exec, exec, s[6:7]
	s_cbranch_execnz .LBB4_3948
.LBB4_1898:
	s_or_b64 exec, exec, s[6:7]
	s_and_saveexec_b64 s[6:7], s[4:5]
	s_cbranch_execz .LBB4_1900
.LBB4_1899:
	v_bfe_u32 v2, v9, 8, 3
	v_ffbh_u32_e32 v6, v2
	v_min_u32_e32 v6, 32, v6
	v_lshrrev_b16_e32 v4, 3, v3
	v_subrev_u32_e32 v7, 28, v6
	v_and_b32_e32 v4, 15, v4
	v_lshlrev_b32_e32 v3, v7, v3
	v_sub_u32_e32 v6, 29, v6
	v_and_b32_e32 v3, 7, v3
	v_cmp_eq_u16_e32 vcc, 0, v4
	v_cndmask_b32_e32 v2, v2, v3, vcc
	v_cndmask_b32_e32 v3, v4, v6, vcc
	v_lshlrev_b32_e32 v4, 16, v9
	v_mov_b32_e32 v6, 0x3b800000
	v_lshlrev_b32_e32 v2, 20, v2
	v_and_b32_e32 v4, 0x80000000, v4
	v_lshl_add_u32 v3, v3, 23, v6
	v_or3_b32 v2, v4, v3, v2
.LBB4_1900:
	s_or_b64 exec, exec, s[6:7]
	v_lshrrev_b32_e32 v3, 8, v5
	s_movk_i32 s4, 0x7f
	v_cmp_gt_i16_sdwa s[6:7], v3, s4 src0_sel:BYTE_0 src1_sel:DWORD
	s_mov_b64 s[4:5], 0
                                        ; implicit-def: $sgpr10
	s_and_saveexec_b64 s[8:9], s[6:7]
	s_xor_b64 s[6:7], exec, s[8:9]
	s_cbranch_execnz .LBB4_3949
; %bb.1901:
	s_or_saveexec_b64 s[6:7], s[6:7]
	v_mov_b32_e32 v4, s10
	s_xor_b64 exec, exec, s[6:7]
	s_cbranch_execnz .LBB4_3952
.LBB4_1902:
	s_or_b64 exec, exec, s[6:7]
	s_and_saveexec_b64 s[6:7], s[4:5]
	s_cbranch_execz .LBB4_1904
.LBB4_1903:
	v_bfe_u32 v4, v5, 8, 3
	v_ffbh_u32_e32 v7, v4
	v_min_u32_e32 v7, 32, v7
	v_lshrrev_b16_e32 v6, 3, v3
	v_subrev_u32_e32 v8, 28, v7
	v_and_b32_e32 v6, 15, v6
	v_lshlrev_b32_e32 v3, v8, v3
	v_sub_u32_e32 v7, 29, v7
	v_and_b32_e32 v3, 7, v3
	v_cmp_eq_u16_e32 vcc, 0, v6
	v_cndmask_b32_e32 v3, v4, v3, vcc
	v_cndmask_b32_e32 v4, v6, v7, vcc
	v_lshlrev_b32_e32 v6, 16, v5
	v_mov_b32_e32 v7, 0x3b800000
	v_lshlrev_b32_e32 v3, 20, v3
	v_and_b32_e32 v6, 0x80000000, v6
	v_lshl_add_u32 v4, v4, 23, v7
	v_or3_b32 v4, v6, v4, v3
.LBB4_1904:
	s_or_b64 exec, exec, s[6:7]
	s_nop 0
	v_mfma_f32_16x16x4f32 a[0:3], v2, v4, a[0:3]
	s_movk_i32 s4, 0xff
	v_and_b32_sdwa v3, v9, s4 dst_sel:DWORD dst_unused:UNUSED_PAD src0_sel:WORD_1 src1_sel:DWORD
	s_movk_i32 s4, 0x7f
	v_cmp_lt_i16_e32 vcc, s4, v3
	s_mov_b64 s[4:5], 0
                                        ; implicit-def: $sgpr10
	s_and_saveexec_b64 s[6:7], vcc
	s_xor_b64 s[6:7], exec, s[6:7]
	s_cbranch_execnz .LBB4_3953
; %bb.1905:
	s_or_saveexec_b64 s[6:7], s[6:7]
	v_mov_b32_e32 v2, s10
	s_xor_b64 exec, exec, s[6:7]
	s_cbranch_execnz .LBB4_3956
.LBB4_1906:
	s_or_b64 exec, exec, s[6:7]
	s_and_saveexec_b64 s[6:7], s[4:5]
	s_cbranch_execz .LBB4_1908
.LBB4_1907:
	v_bfe_u32 v2, v9, 16, 3
	v_ffbh_u32_e32 v6, v2
	v_min_u32_e32 v6, 32, v6
	v_lshrrev_b32_e32 v3, 19, v9
	v_subrev_u32_e32 v7, 28, v6
	v_and_b32_e32 v3, 15, v3
	v_lshlrev_b32_sdwa v7, v7, v9 dst_sel:DWORD dst_unused:UNUSED_PAD src0_sel:DWORD src1_sel:WORD_1
	v_bfe_u32 v4, v9, 19, 4
	v_sub_u32_e32 v6, 29, v6
	v_and_b32_e32 v7, 7, v7
	v_cmp_eq_u16_e32 vcc, 0, v3
	v_cndmask_b32_e32 v2, v2, v7, vcc
	v_cndmask_b32_e32 v3, v4, v6, vcc
	v_lshlrev_b32_e32 v4, 8, v9
	v_mov_b32_e32 v6, 0x3b800000
	v_lshlrev_b32_e32 v2, 20, v2
	v_and_b32_e32 v4, 0x80000000, v4
	v_lshl_add_u32 v3, v3, 23, v6
	v_or3_b32 v2, v4, v3, v2
.LBB4_1908:
	s_or_b64 exec, exec, s[6:7]
	s_movk_i32 s4, 0xff
	v_and_b32_sdwa v3, v5, s4 dst_sel:DWORD dst_unused:UNUSED_PAD src0_sel:WORD_1 src1_sel:DWORD
	s_movk_i32 s4, 0x7f
	v_cmp_lt_i16_e32 vcc, s4, v3
	s_mov_b64 s[4:5], 0
                                        ; implicit-def: $sgpr10
	s_and_saveexec_b64 s[6:7], vcc
	s_xor_b64 s[6:7], exec, s[6:7]
	s_cbranch_execnz .LBB4_3957
; %bb.1909:
	s_or_saveexec_b64 s[6:7], s[6:7]
	v_mov_b32_e32 v4, s10
	s_xor_b64 exec, exec, s[6:7]
	s_cbranch_execnz .LBB4_3960
.LBB4_1910:
	s_or_b64 exec, exec, s[6:7]
	s_and_saveexec_b64 s[6:7], s[4:5]
	s_cbranch_execz .LBB4_1912
.LBB4_1911:
	v_bfe_u32 v3, v5, 16, 3
	v_ffbh_u32_e32 v7, v3
	v_min_u32_e32 v7, 32, v7
	v_lshrrev_b32_e32 v4, 19, v5
	v_subrev_u32_e32 v8, 28, v7
	v_and_b32_e32 v4, 15, v4
	v_lshlrev_b32_sdwa v8, v8, v5 dst_sel:DWORD dst_unused:UNUSED_PAD src0_sel:DWORD src1_sel:WORD_1
	v_bfe_u32 v6, v5, 19, 4
	v_sub_u32_e32 v7, 29, v7
	v_and_b32_e32 v8, 7, v8
	v_cmp_eq_u16_e32 vcc, 0, v4
	v_cndmask_b32_e32 v3, v3, v8, vcc
	v_cndmask_b32_e32 v4, v6, v7, vcc
	v_lshlrev_b32_e32 v6, 8, v5
	v_mov_b32_e32 v7, 0x3b800000
	v_lshlrev_b32_e32 v3, 20, v3
	v_and_b32_e32 v6, 0x80000000, v6
	v_lshl_add_u32 v4, v4, 23, v7
	v_or3_b32 v4, v6, v4, v3
.LBB4_1912:
	s_or_b64 exec, exec, s[6:7]
	s_nop 0
	v_mfma_f32_16x16x4f32 a[0:3], v2, v4, a[0:3]
	s_movk_i32 s4, 0x7f
	v_cmp_gt_i16_sdwa s[6:7], v9, s4 src0_sel:BYTE_3 src1_sel:DWORD
	s_mov_b64 s[4:5], 0
                                        ; implicit-def: $sgpr10
	s_and_saveexec_b64 s[8:9], s[6:7]
	s_xor_b64 s[6:7], exec, s[8:9]
	s_cbranch_execnz .LBB4_3961
; %bb.1913:
	s_or_saveexec_b64 s[6:7], s[6:7]
	v_mov_b32_e32 v2, s10
	s_xor_b64 exec, exec, s[6:7]
	s_cbranch_execnz .LBB4_3964
.LBB4_1914:
	s_or_b64 exec, exec, s[6:7]
	s_and_saveexec_b64 s[6:7], s[4:5]
	s_cbranch_execz .LBB4_1916
.LBB4_1915:
	v_bfe_u32 v2, v9, 24, 3
	v_ffbh_u32_e32 v7, v2
	v_min_u32_e32 v7, 32, v7
	v_lshrrev_b32_e32 v4, 27, v9
	v_subrev_u32_e32 v8, 28, v7
	v_and_b32_e32 v4, 15, v4
	v_lshlrev_b32_sdwa v8, v8, v9 dst_sel:DWORD dst_unused:UNUSED_PAD src0_sel:DWORD src1_sel:BYTE_3
	v_bfe_u32 v6, v9, 27, 4
	v_sub_u32_e32 v7, 29, v7
	v_and_b32_e32 v8, 7, v8
	v_cmp_eq_u16_e32 vcc, 0, v4
	v_cndmask_b32_e32 v2, v2, v8, vcc
	v_cndmask_b32_e32 v4, v6, v7, vcc
	v_mov_b32_e32 v6, 0x3b800000
	v_and_b32_e32 v3, 0x80000000, v9
	v_lshlrev_b32_e32 v2, 20, v2
	v_lshl_add_u32 v4, v4, 23, v6
	v_or3_b32 v2, v3, v4, v2
.LBB4_1916:
	s_or_b64 exec, exec, s[6:7]
	s_movk_i32 s4, 0x7f
	v_cmp_gt_i16_sdwa s[6:7], v5, s4 src0_sel:BYTE_3 src1_sel:DWORD
	s_mov_b64 s[4:5], 0
                                        ; implicit-def: $sgpr10
	s_and_saveexec_b64 s[8:9], s[6:7]
	s_xor_b64 s[6:7], exec, s[8:9]
	s_cbranch_execnz .LBB4_3965
; %bb.1917:
	s_or_saveexec_b64 s[6:7], s[6:7]
	v_mov_b32_e32 v3, s10
	s_xor_b64 exec, exec, s[6:7]
	s_cbranch_execnz .LBB4_3968
.LBB4_1918:
	s_or_b64 exec, exec, s[6:7]
	s_and_saveexec_b64 s[6:7], s[4:5]
	s_cbranch_execz .LBB4_1920
.LBB4_1919:
	v_bfe_u32 v3, v5, 24, 3
	v_ffbh_u32_e32 v8, v3
	v_min_u32_e32 v8, 32, v8
	v_lshrrev_b32_e32 v6, 27, v5
	v_subrev_u32_e32 v9, 28, v8
	v_and_b32_e32 v4, 0x80000000, v5
	v_and_b32_e32 v6, 15, v6
	v_bfe_u32 v7, v5, 27, 4
	v_lshlrev_b32_sdwa v5, v9, v5 dst_sel:DWORD dst_unused:UNUSED_PAD src0_sel:DWORD src1_sel:BYTE_3
	v_sub_u32_e32 v8, 29, v8
	v_and_b32_e32 v5, 7, v5
	v_cmp_eq_u16_e32 vcc, 0, v6
	v_cndmask_b32_e32 v3, v3, v5, vcc
	v_cndmask_b32_e32 v5, v7, v8, vcc
	v_mov_b32_e32 v6, 0x3b800000
	v_lshlrev_b32_e32 v3, 20, v3
	v_lshl_add_u32 v5, v5, 23, v6
	v_or3_b32 v3, v4, v5, v3
.LBB4_1920:
	s_or_b64 exec, exec, s[6:7]
	s_nop 0
	v_mfma_f32_16x16x4f32 a[0:3], v2, v3, a[0:3]
	s_nop 7
	s_nop 2
	flat_store_dwordx4 v[10:11], a[0:3] offset:224
	flat_load_dwordx4 v[10:13], v[0:1] offset:8
	s_waitcnt vmcnt(0) lgkmcnt(0)
	flat_load_dwordx4 v[6:9], v[10:11] offset:112
	flat_load_dwordx4 v[2:5], v[12:13] offset:112
	; sched_barrier mask(0x00000000)
	s_waitcnt lgkmcnt(0)
	s_barrier
	; sched_barrier mask(0x00000000)
	flat_load_dwordx2 v[0:1], v[0:1] offset:32
	s_movk_i32 s4, 0x7f
	s_waitcnt vmcnt(0)
	v_cmp_gt_i16_sdwa s[6:7], v6, s4 src0_sel:BYTE_0 src1_sel:DWORD
	s_mov_b64 s[4:5], 0
                                        ; implicit-def: $sgpr10
	s_and_saveexec_b64 s[8:9], s[6:7]
	s_xor_b64 s[6:7], exec, s[8:9]
	s_cbranch_execnz .LBB4_3969
; %bb.1921:
	s_or_saveexec_b64 s[6:7], s[6:7]
	v_mov_b32_e32 v10, s10
	s_xor_b64 exec, exec, s[6:7]
	s_cbranch_execnz .LBB4_3972
.LBB4_1922:
	s_or_b64 exec, exec, s[6:7]
	s_and_saveexec_b64 s[6:7], s[4:5]
	s_cbranch_execz .LBB4_1924
.LBB4_1923:
	v_and_b32_e32 v10, 7, v6
	v_ffbh_u32_e32 v12, v10
	v_min_u32_e32 v12, 32, v12
	v_lshrrev_b16_e32 v11, 3, v6
	v_subrev_u32_e32 v13, 28, v12
	v_and_b32_e32 v11, 15, v11
	v_lshlrev_b32_e32 v13, v13, v6
	v_sub_u32_e32 v12, 29, v12
	v_and_b32_e32 v13, 7, v13
	v_cmp_eq_u16_e32 vcc, 0, v11
	v_cndmask_b32_e32 v10, v10, v13, vcc
	v_cndmask_b32_e32 v11, v11, v12, vcc
	v_lshlrev_b32_e32 v12, 24, v6
	v_mov_b32_e32 v13, 0x3b800000
	v_lshlrev_b32_e32 v10, 20, v10
	v_and_b32_e32 v12, 0x80000000, v12
	v_lshl_add_u32 v11, v11, 23, v13
	v_or3_b32 v10, v12, v11, v10
.LBB4_1924:
	s_or_b64 exec, exec, s[6:7]
	s_movk_i32 s4, 0x7f
	v_cmp_gt_i16_sdwa s[6:7], v2, s4 src0_sel:BYTE_0 src1_sel:DWORD
	s_mov_b64 s[4:5], 0
                                        ; implicit-def: $sgpr10
	s_and_saveexec_b64 s[8:9], s[6:7]
	s_xor_b64 s[6:7], exec, s[8:9]
	s_cbranch_execnz .LBB4_3973
; %bb.1925:
	s_or_saveexec_b64 s[6:7], s[6:7]
	v_mov_b32_e32 v11, s10
	s_xor_b64 exec, exec, s[6:7]
	s_cbranch_execnz .LBB4_3976
.LBB4_1926:
	s_or_b64 exec, exec, s[6:7]
	s_and_saveexec_b64 s[6:7], s[4:5]
	s_cbranch_execz .LBB4_1928
.LBB4_1927:
	v_and_b32_e32 v11, 7, v2
	v_ffbh_u32_e32 v13, v11
	v_min_u32_e32 v13, 32, v13
	v_lshrrev_b16_e32 v12, 3, v2
	v_subrev_u32_e32 v14, 28, v13
	v_and_b32_e32 v12, 15, v12
	v_lshlrev_b32_e32 v14, v14, v2
	v_sub_u32_e32 v13, 29, v13
	v_and_b32_e32 v14, 7, v14
	v_cmp_eq_u16_e32 vcc, 0, v12
	v_cndmask_b32_e32 v11, v11, v14, vcc
	v_cndmask_b32_e32 v12, v12, v13, vcc
	v_lshlrev_b32_e32 v13, 24, v2
	v_mov_b32_e32 v14, 0x3b800000
	v_lshlrev_b32_e32 v11, 20, v11
	v_and_b32_e32 v13, 0x80000000, v13
	v_lshl_add_u32 v12, v12, 23, v14
	v_or3_b32 v11, v13, v12, v11
.LBB4_1928:
	s_or_b64 exec, exec, s[6:7]
	s_waitcnt lgkmcnt(0)
	flat_load_dwordx4 a[0:3], v[0:1] offset:240
	s_movk_i32 s4, 0x7f
                                        ; implicit-def: $sgpr10
	s_waitcnt vmcnt(0) lgkmcnt(0)
	v_mfma_f32_16x16x4f32 a[0:3], v10, v11, a[0:3]
	v_lshrrev_b32_e32 v11, 8, v6
	v_cmp_gt_i16_sdwa s[6:7], v11, s4 src0_sel:BYTE_0 src1_sel:DWORD
	s_mov_b64 s[4:5], 0
	s_and_saveexec_b64 s[8:9], s[6:7]
	s_xor_b64 s[6:7], exec, s[8:9]
	s_cbranch_execnz .LBB4_3977
; %bb.1929:
	s_or_saveexec_b64 s[6:7], s[6:7]
	v_mov_b32_e32 v10, s10
	s_xor_b64 exec, exec, s[6:7]
	s_cbranch_execnz .LBB4_3980
.LBB4_1930:
	s_or_b64 exec, exec, s[6:7]
	s_and_saveexec_b64 s[6:7], s[4:5]
	s_cbranch_execz .LBB4_1932
.LBB4_1931:
	v_bfe_u32 v10, v6, 8, 3
	v_ffbh_u32_e32 v13, v10
	v_min_u32_e32 v13, 32, v13
	v_lshrrev_b16_e32 v12, 3, v11
	v_subrev_u32_e32 v14, 28, v13
	v_and_b32_e32 v12, 15, v12
	v_lshlrev_b32_e32 v11, v14, v11
	v_sub_u32_e32 v13, 29, v13
	v_and_b32_e32 v11, 7, v11
	v_cmp_eq_u16_e32 vcc, 0, v12
	v_cndmask_b32_e32 v10, v10, v11, vcc
	v_cndmask_b32_e32 v11, v12, v13, vcc
	v_lshlrev_b32_e32 v12, 16, v6
	v_mov_b32_e32 v13, 0x3b800000
	v_lshlrev_b32_e32 v10, 20, v10
	v_and_b32_e32 v12, 0x80000000, v12
	v_lshl_add_u32 v11, v11, 23, v13
	v_or3_b32 v10, v12, v11, v10
.LBB4_1932:
	s_or_b64 exec, exec, s[6:7]
	v_lshrrev_b32_e32 v11, 8, v2
	s_movk_i32 s4, 0x7f
	v_cmp_gt_i16_sdwa s[6:7], v11, s4 src0_sel:BYTE_0 src1_sel:DWORD
	s_mov_b64 s[4:5], 0
                                        ; implicit-def: $sgpr10
	s_and_saveexec_b64 s[8:9], s[6:7]
	s_xor_b64 s[6:7], exec, s[8:9]
	s_cbranch_execnz .LBB4_3981
; %bb.1933:
	s_or_saveexec_b64 s[6:7], s[6:7]
	v_mov_b32_e32 v12, s10
	s_xor_b64 exec, exec, s[6:7]
	s_cbranch_execnz .LBB4_3984
.LBB4_1934:
	s_or_b64 exec, exec, s[6:7]
	s_and_saveexec_b64 s[6:7], s[4:5]
	s_cbranch_execz .LBB4_1936
.LBB4_1935:
	v_bfe_u32 v12, v2, 8, 3
	v_ffbh_u32_e32 v14, v12
	v_min_u32_e32 v14, 32, v14
	v_lshrrev_b16_e32 v13, 3, v11
	v_subrev_u32_e32 v15, 28, v14
	v_and_b32_e32 v13, 15, v13
	v_lshlrev_b32_e32 v11, v15, v11
	v_sub_u32_e32 v14, 29, v14
	v_and_b32_e32 v11, 7, v11
	v_cmp_eq_u16_e32 vcc, 0, v13
	v_cndmask_b32_e32 v11, v12, v11, vcc
	v_cndmask_b32_e32 v12, v13, v14, vcc
	v_lshlrev_b32_e32 v13, 16, v2
	v_mov_b32_e32 v14, 0x3b800000
	v_lshlrev_b32_e32 v11, 20, v11
	v_and_b32_e32 v13, 0x80000000, v13
	v_lshl_add_u32 v12, v12, 23, v14
	v_or3_b32 v12, v13, v12, v11
.LBB4_1936:
	s_or_b64 exec, exec, s[6:7]
	s_nop 0
	v_mfma_f32_16x16x4f32 a[0:3], v10, v12, a[0:3]
	s_movk_i32 s4, 0xff
	v_and_b32_sdwa v11, v6, s4 dst_sel:DWORD dst_unused:UNUSED_PAD src0_sel:WORD_1 src1_sel:DWORD
	s_movk_i32 s4, 0x7f
	v_cmp_lt_i16_e32 vcc, s4, v11
	s_mov_b64 s[4:5], 0
                                        ; implicit-def: $sgpr10
	s_and_saveexec_b64 s[6:7], vcc
	s_xor_b64 s[6:7], exec, s[6:7]
	s_cbranch_execnz .LBB4_3985
; %bb.1937:
	s_or_saveexec_b64 s[6:7], s[6:7]
	v_mov_b32_e32 v10, s10
	s_xor_b64 exec, exec, s[6:7]
	s_cbranch_execnz .LBB4_3988
.LBB4_1938:
	s_or_b64 exec, exec, s[6:7]
	s_and_saveexec_b64 s[6:7], s[4:5]
	s_cbranch_execz .LBB4_1940
.LBB4_1939:
	v_bfe_u32 v10, v6, 16, 3
	v_ffbh_u32_e32 v13, v10
	v_min_u32_e32 v13, 32, v13
	v_lshrrev_b32_e32 v11, 19, v6
	v_subrev_u32_e32 v14, 28, v13
	v_and_b32_e32 v11, 15, v11
	v_lshlrev_b32_sdwa v14, v14, v6 dst_sel:DWORD dst_unused:UNUSED_PAD src0_sel:DWORD src1_sel:WORD_1
	v_bfe_u32 v12, v6, 19, 4
	v_sub_u32_e32 v13, 29, v13
	v_and_b32_e32 v14, 7, v14
	v_cmp_eq_u16_e32 vcc, 0, v11
	v_cndmask_b32_e32 v10, v10, v14, vcc
	v_cndmask_b32_e32 v11, v12, v13, vcc
	v_lshlrev_b32_e32 v12, 8, v6
	v_mov_b32_e32 v13, 0x3b800000
	v_lshlrev_b32_e32 v10, 20, v10
	v_and_b32_e32 v12, 0x80000000, v12
	v_lshl_add_u32 v11, v11, 23, v13
	v_or3_b32 v10, v12, v11, v10
.LBB4_1940:
	s_or_b64 exec, exec, s[6:7]
	s_movk_i32 s4, 0xff
	v_and_b32_sdwa v11, v2, s4 dst_sel:DWORD dst_unused:UNUSED_PAD src0_sel:WORD_1 src1_sel:DWORD
	s_movk_i32 s4, 0x7f
	v_cmp_lt_i16_e32 vcc, s4, v11
	s_mov_b64 s[4:5], 0
                                        ; implicit-def: $sgpr10
	s_and_saveexec_b64 s[6:7], vcc
	s_xor_b64 s[6:7], exec, s[6:7]
	s_cbranch_execnz .LBB4_3989
; %bb.1941:
	s_or_saveexec_b64 s[6:7], s[6:7]
	v_mov_b32_e32 v12, s10
	s_xor_b64 exec, exec, s[6:7]
	s_cbranch_execnz .LBB4_3992
.LBB4_1942:
	s_or_b64 exec, exec, s[6:7]
	s_and_saveexec_b64 s[6:7], s[4:5]
	s_cbranch_execz .LBB4_1944
.LBB4_1943:
	v_bfe_u32 v11, v2, 16, 3
	v_ffbh_u32_e32 v14, v11
	v_min_u32_e32 v14, 32, v14
	v_lshrrev_b32_e32 v12, 19, v2
	v_subrev_u32_e32 v15, 28, v14
	v_and_b32_e32 v12, 15, v12
	v_lshlrev_b32_sdwa v15, v15, v2 dst_sel:DWORD dst_unused:UNUSED_PAD src0_sel:DWORD src1_sel:WORD_1
	v_bfe_u32 v13, v2, 19, 4
	v_sub_u32_e32 v14, 29, v14
	v_and_b32_e32 v15, 7, v15
	v_cmp_eq_u16_e32 vcc, 0, v12
	v_cndmask_b32_e32 v11, v11, v15, vcc
	v_cndmask_b32_e32 v12, v13, v14, vcc
	v_lshlrev_b32_e32 v13, 8, v2
	v_mov_b32_e32 v14, 0x3b800000
	v_lshlrev_b32_e32 v11, 20, v11
	v_and_b32_e32 v13, 0x80000000, v13
	v_lshl_add_u32 v12, v12, 23, v14
	v_or3_b32 v12, v13, v12, v11
.LBB4_1944:
	s_or_b64 exec, exec, s[6:7]
	s_nop 0
	v_mfma_f32_16x16x4f32 a[0:3], v10, v12, a[0:3]
	s_movk_i32 s4, 0x7f
	v_cmp_gt_i16_sdwa s[6:7], v6, s4 src0_sel:BYTE_3 src1_sel:DWORD
	s_mov_b64 s[4:5], 0
                                        ; implicit-def: $sgpr10
	s_and_saveexec_b64 s[8:9], s[6:7]
	s_xor_b64 s[6:7], exec, s[8:9]
	s_cbranch_execnz .LBB4_3993
; %bb.1945:
	s_or_saveexec_b64 s[6:7], s[6:7]
	v_mov_b32_e32 v10, s10
	s_xor_b64 exec, exec, s[6:7]
	s_cbranch_execnz .LBB4_3996
.LBB4_1946:
	s_or_b64 exec, exec, s[6:7]
	s_and_saveexec_b64 s[6:7], s[4:5]
	s_cbranch_execz .LBB4_1948
.LBB4_1947:
	v_bfe_u32 v10, v6, 24, 3
	v_ffbh_u32_e32 v14, v10
	v_min_u32_e32 v14, 32, v14
	v_lshrrev_b32_e32 v12, 27, v6
	v_subrev_u32_e32 v15, 28, v14
	v_and_b32_e32 v11, 0x80000000, v6
	v_and_b32_e32 v12, 15, v12
	v_bfe_u32 v13, v6, 27, 4
	v_lshlrev_b32_sdwa v6, v15, v6 dst_sel:DWORD dst_unused:UNUSED_PAD src0_sel:DWORD src1_sel:BYTE_3
	v_sub_u32_e32 v14, 29, v14
	v_and_b32_e32 v6, 7, v6
	v_cmp_eq_u16_e32 vcc, 0, v12
	v_cndmask_b32_e32 v6, v10, v6, vcc
	v_cndmask_b32_e32 v10, v13, v14, vcc
	v_mov_b32_e32 v12, 0x3b800000
	v_lshlrev_b32_e32 v6, 20, v6
	v_lshl_add_u32 v10, v10, 23, v12
	v_or3_b32 v10, v11, v10, v6
.LBB4_1948:
	s_or_b64 exec, exec, s[6:7]
	s_movk_i32 s4, 0x7f
	v_cmp_gt_i16_sdwa s[6:7], v2, s4 src0_sel:BYTE_3 src1_sel:DWORD
	s_mov_b64 s[4:5], 0
                                        ; implicit-def: $sgpr10
	s_and_saveexec_b64 s[8:9], s[6:7]
	s_xor_b64 s[6:7], exec, s[8:9]
	s_cbranch_execnz .LBB4_3997
; %bb.1949:
	s_or_saveexec_b64 s[6:7], s[6:7]
	v_mov_b32_e32 v6, s10
	s_xor_b64 exec, exec, s[6:7]
	s_cbranch_execnz .LBB4_4000
.LBB4_1950:
	s_or_b64 exec, exec, s[6:7]
	s_and_saveexec_b64 s[6:7], s[4:5]
	s_cbranch_execz .LBB4_1952
.LBB4_1951:
	v_bfe_u32 v6, v2, 24, 3
	v_ffbh_u32_e32 v14, v6
	v_min_u32_e32 v14, 32, v14
	v_lshrrev_b32_e32 v12, 27, v2
	v_subrev_u32_e32 v15, 28, v14
	v_and_b32_e32 v11, 0x80000000, v2
	v_and_b32_e32 v12, 15, v12
	v_bfe_u32 v13, v2, 27, 4
	v_lshlrev_b32_sdwa v2, v15, v2 dst_sel:DWORD dst_unused:UNUSED_PAD src0_sel:DWORD src1_sel:BYTE_3
	v_sub_u32_e32 v14, 29, v14
	v_and_b32_e32 v2, 7, v2
	v_cmp_eq_u16_e32 vcc, 0, v12
	v_cndmask_b32_e32 v2, v6, v2, vcc
	v_cndmask_b32_e32 v6, v13, v14, vcc
	v_mov_b32_e32 v12, 0x3b800000
	v_lshlrev_b32_e32 v2, 20, v2
	v_lshl_add_u32 v6, v6, 23, v12
	v_or3_b32 v6, v11, v6, v2
.LBB4_1952:
	s_or_b64 exec, exec, s[6:7]
	s_nop 0
	v_mfma_f32_16x16x4f32 a[0:3], v10, v6, a[0:3]
	s_movk_i32 s4, 0x7f
	v_cmp_gt_i16_sdwa s[6:7], v7, s4 src0_sel:BYTE_0 src1_sel:DWORD
	s_mov_b64 s[4:5], 0
                                        ; implicit-def: $sgpr10
	s_and_saveexec_b64 s[8:9], s[6:7]
	s_xor_b64 s[6:7], exec, s[8:9]
	s_cbranch_execnz .LBB4_4001
; %bb.1953:
	s_or_saveexec_b64 s[6:7], s[6:7]
	v_mov_b32_e32 v2, s10
	s_xor_b64 exec, exec, s[6:7]
	s_cbranch_execnz .LBB4_4004
.LBB4_1954:
	s_or_b64 exec, exec, s[6:7]
	s_and_saveexec_b64 s[6:7], s[4:5]
	s_cbranch_execz .LBB4_1956
.LBB4_1955:
	v_and_b32_e32 v2, 7, v7
	v_ffbh_u32_e32 v10, v2
	v_min_u32_e32 v10, 32, v10
	v_lshrrev_b16_e32 v6, 3, v7
	v_subrev_u32_e32 v11, 28, v10
	v_and_b32_e32 v6, 15, v6
	v_lshlrev_b32_e32 v11, v11, v7
	v_sub_u32_e32 v10, 29, v10
	v_and_b32_e32 v11, 7, v11
	v_cmp_eq_u16_e32 vcc, 0, v6
	v_cndmask_b32_e32 v2, v2, v11, vcc
	v_cndmask_b32_e32 v6, v6, v10, vcc
	v_lshlrev_b32_e32 v10, 24, v7
	v_mov_b32_e32 v11, 0x3b800000
	v_lshlrev_b32_e32 v2, 20, v2
	v_and_b32_e32 v10, 0x80000000, v10
	v_lshl_add_u32 v6, v6, 23, v11
	v_or3_b32 v2, v10, v6, v2
.LBB4_1956:
	s_or_b64 exec, exec, s[6:7]
	s_movk_i32 s4, 0x7f
	v_cmp_gt_i16_sdwa s[6:7], v3, s4 src0_sel:BYTE_0 src1_sel:DWORD
	s_mov_b64 s[4:5], 0
                                        ; implicit-def: $sgpr10
	s_and_saveexec_b64 s[8:9], s[6:7]
	s_xor_b64 s[6:7], exec, s[8:9]
	s_cbranch_execnz .LBB4_4005
; %bb.1957:
	s_or_saveexec_b64 s[6:7], s[6:7]
	v_mov_b32_e32 v6, s10
	s_xor_b64 exec, exec, s[6:7]
	s_cbranch_execnz .LBB4_4008
.LBB4_1958:
	s_or_b64 exec, exec, s[6:7]
	s_and_saveexec_b64 s[6:7], s[4:5]
	s_cbranch_execz .LBB4_1960
.LBB4_1959:
	v_and_b32_e32 v6, 7, v3
	v_ffbh_u32_e32 v11, v6
	v_min_u32_e32 v11, 32, v11
	v_lshrrev_b16_e32 v10, 3, v3
	v_subrev_u32_e32 v12, 28, v11
	v_and_b32_e32 v10, 15, v10
	v_lshlrev_b32_e32 v12, v12, v3
	v_sub_u32_e32 v11, 29, v11
	v_and_b32_e32 v12, 7, v12
	v_cmp_eq_u16_e32 vcc, 0, v10
	v_cndmask_b32_e32 v6, v6, v12, vcc
	v_cndmask_b32_e32 v10, v10, v11, vcc
	v_lshlrev_b32_e32 v11, 24, v3
	v_mov_b32_e32 v12, 0x3b800000
	v_lshlrev_b32_e32 v6, 20, v6
	v_and_b32_e32 v11, 0x80000000, v11
	v_lshl_add_u32 v10, v10, 23, v12
	v_or3_b32 v6, v11, v10, v6
.LBB4_1960:
	s_or_b64 exec, exec, s[6:7]
	s_nop 0
	v_mfma_f32_16x16x4f32 a[0:3], v2, v6, a[0:3]
	v_lshrrev_b32_e32 v6, 8, v7
	s_movk_i32 s4, 0x7f
	v_cmp_gt_i16_sdwa s[6:7], v6, s4 src0_sel:BYTE_0 src1_sel:DWORD
	s_mov_b64 s[4:5], 0
                                        ; implicit-def: $sgpr10
	s_and_saveexec_b64 s[8:9], s[6:7]
	s_xor_b64 s[6:7], exec, s[8:9]
	s_cbranch_execnz .LBB4_4009
; %bb.1961:
	s_or_saveexec_b64 s[6:7], s[6:7]
	v_mov_b32_e32 v2, s10
	s_xor_b64 exec, exec, s[6:7]
	s_cbranch_execnz .LBB4_4012
.LBB4_1962:
	s_or_b64 exec, exec, s[6:7]
	s_and_saveexec_b64 s[6:7], s[4:5]
	s_cbranch_execz .LBB4_1964
.LBB4_1963:
	v_bfe_u32 v2, v7, 8, 3
	v_ffbh_u32_e32 v11, v2
	v_min_u32_e32 v11, 32, v11
	v_lshrrev_b16_e32 v10, 3, v6
	v_subrev_u32_e32 v12, 28, v11
	v_and_b32_e32 v10, 15, v10
	v_lshlrev_b32_e32 v6, v12, v6
	v_sub_u32_e32 v11, 29, v11
	v_and_b32_e32 v6, 7, v6
	v_cmp_eq_u16_e32 vcc, 0, v10
	v_cndmask_b32_e32 v2, v2, v6, vcc
	v_cndmask_b32_e32 v6, v10, v11, vcc
	v_lshlrev_b32_e32 v10, 16, v7
	v_mov_b32_e32 v11, 0x3b800000
	v_lshlrev_b32_e32 v2, 20, v2
	v_and_b32_e32 v10, 0x80000000, v10
	v_lshl_add_u32 v6, v6, 23, v11
	v_or3_b32 v2, v10, v6, v2
.LBB4_1964:
	s_or_b64 exec, exec, s[6:7]
	v_lshrrev_b32_e32 v6, 8, v3
	s_movk_i32 s4, 0x7f
	v_cmp_gt_i16_sdwa s[6:7], v6, s4 src0_sel:BYTE_0 src1_sel:DWORD
	s_mov_b64 s[4:5], 0
                                        ; implicit-def: $sgpr10
	s_and_saveexec_b64 s[8:9], s[6:7]
	s_xor_b64 s[6:7], exec, s[8:9]
	s_cbranch_execnz .LBB4_4013
; %bb.1965:
	s_or_saveexec_b64 s[6:7], s[6:7]
	v_mov_b32_e32 v10, s10
	s_xor_b64 exec, exec, s[6:7]
	s_cbranch_execnz .LBB4_4016
.LBB4_1966:
	s_or_b64 exec, exec, s[6:7]
	s_and_saveexec_b64 s[6:7], s[4:5]
	s_cbranch_execz .LBB4_1968
.LBB4_1967:
	v_bfe_u32 v10, v3, 8, 3
	v_ffbh_u32_e32 v12, v10
	v_min_u32_e32 v12, 32, v12
	v_lshrrev_b16_e32 v11, 3, v6
	v_subrev_u32_e32 v13, 28, v12
	v_and_b32_e32 v11, 15, v11
	v_lshlrev_b32_e32 v6, v13, v6
	v_sub_u32_e32 v12, 29, v12
	v_and_b32_e32 v6, 7, v6
	v_cmp_eq_u16_e32 vcc, 0, v11
	v_cndmask_b32_e32 v6, v10, v6, vcc
	v_cndmask_b32_e32 v10, v11, v12, vcc
	v_lshlrev_b32_e32 v11, 16, v3
	v_mov_b32_e32 v12, 0x3b800000
	v_lshlrev_b32_e32 v6, 20, v6
	v_and_b32_e32 v11, 0x80000000, v11
	v_lshl_add_u32 v10, v10, 23, v12
	v_or3_b32 v10, v11, v10, v6
.LBB4_1968:
	s_or_b64 exec, exec, s[6:7]
	s_nop 0
	v_mfma_f32_16x16x4f32 a[0:3], v2, v10, a[0:3]
	s_movk_i32 s4, 0xff
	v_and_b32_sdwa v6, v7, s4 dst_sel:DWORD dst_unused:UNUSED_PAD src0_sel:WORD_1 src1_sel:DWORD
	s_movk_i32 s4, 0x7f
	v_cmp_lt_i16_e32 vcc, s4, v6
	s_mov_b64 s[4:5], 0
                                        ; implicit-def: $sgpr10
	s_and_saveexec_b64 s[6:7], vcc
	s_xor_b64 s[6:7], exec, s[6:7]
	s_cbranch_execnz .LBB4_4017
; %bb.1969:
	s_or_saveexec_b64 s[6:7], s[6:7]
	v_mov_b32_e32 v2, s10
	s_xor_b64 exec, exec, s[6:7]
	s_cbranch_execnz .LBB4_4020
.LBB4_1970:
	s_or_b64 exec, exec, s[6:7]
	s_and_saveexec_b64 s[6:7], s[4:5]
	s_cbranch_execz .LBB4_1972
.LBB4_1971:
	v_bfe_u32 v2, v7, 16, 3
	v_ffbh_u32_e32 v11, v2
	v_min_u32_e32 v11, 32, v11
	v_lshrrev_b32_e32 v6, 19, v7
	v_subrev_u32_e32 v12, 28, v11
	v_and_b32_e32 v6, 15, v6
	v_lshlrev_b32_sdwa v12, v12, v7 dst_sel:DWORD dst_unused:UNUSED_PAD src0_sel:DWORD src1_sel:WORD_1
	v_bfe_u32 v10, v7, 19, 4
	v_sub_u32_e32 v11, 29, v11
	v_and_b32_e32 v12, 7, v12
	v_cmp_eq_u16_e32 vcc, 0, v6
	v_cndmask_b32_e32 v2, v2, v12, vcc
	v_cndmask_b32_e32 v6, v10, v11, vcc
	v_lshlrev_b32_e32 v10, 8, v7
	v_mov_b32_e32 v11, 0x3b800000
	v_lshlrev_b32_e32 v2, 20, v2
	v_and_b32_e32 v10, 0x80000000, v10
	v_lshl_add_u32 v6, v6, 23, v11
	v_or3_b32 v2, v10, v6, v2
.LBB4_1972:
	s_or_b64 exec, exec, s[6:7]
	s_movk_i32 s4, 0xff
	v_and_b32_sdwa v6, v3, s4 dst_sel:DWORD dst_unused:UNUSED_PAD src0_sel:WORD_1 src1_sel:DWORD
	s_movk_i32 s4, 0x7f
	v_cmp_lt_i16_e32 vcc, s4, v6
	s_mov_b64 s[4:5], 0
                                        ; implicit-def: $sgpr10
	s_and_saveexec_b64 s[6:7], vcc
	s_xor_b64 s[6:7], exec, s[6:7]
	s_cbranch_execnz .LBB4_4021
; %bb.1973:
	s_or_saveexec_b64 s[6:7], s[6:7]
	v_mov_b32_e32 v10, s10
	s_xor_b64 exec, exec, s[6:7]
	s_cbranch_execnz .LBB4_4024
.LBB4_1974:
	s_or_b64 exec, exec, s[6:7]
	s_and_saveexec_b64 s[6:7], s[4:5]
	s_cbranch_execz .LBB4_1976
.LBB4_1975:
	v_bfe_u32 v6, v3, 16, 3
	v_ffbh_u32_e32 v12, v6
	v_min_u32_e32 v12, 32, v12
	v_lshrrev_b32_e32 v10, 19, v3
	v_subrev_u32_e32 v13, 28, v12
	v_and_b32_e32 v10, 15, v10
	v_lshlrev_b32_sdwa v13, v13, v3 dst_sel:DWORD dst_unused:UNUSED_PAD src0_sel:DWORD src1_sel:WORD_1
	v_bfe_u32 v11, v3, 19, 4
	v_sub_u32_e32 v12, 29, v12
	v_and_b32_e32 v13, 7, v13
	v_cmp_eq_u16_e32 vcc, 0, v10
	v_cndmask_b32_e32 v6, v6, v13, vcc
	v_cndmask_b32_e32 v10, v11, v12, vcc
	v_lshlrev_b32_e32 v11, 8, v3
	v_mov_b32_e32 v12, 0x3b800000
	v_lshlrev_b32_e32 v6, 20, v6
	v_and_b32_e32 v11, 0x80000000, v11
	v_lshl_add_u32 v10, v10, 23, v12
	v_or3_b32 v10, v11, v10, v6
.LBB4_1976:
	s_or_b64 exec, exec, s[6:7]
	s_nop 0
	v_mfma_f32_16x16x4f32 a[0:3], v2, v10, a[0:3]
	s_movk_i32 s4, 0x7f
	v_cmp_gt_i16_sdwa s[6:7], v7, s4 src0_sel:BYTE_3 src1_sel:DWORD
	s_mov_b64 s[4:5], 0
                                        ; implicit-def: $sgpr10
	s_and_saveexec_b64 s[8:9], s[6:7]
	s_xor_b64 s[6:7], exec, s[8:9]
	s_cbranch_execnz .LBB4_4025
; %bb.1977:
	s_or_saveexec_b64 s[6:7], s[6:7]
	v_mov_b32_e32 v2, s10
	s_xor_b64 exec, exec, s[6:7]
	s_cbranch_execnz .LBB4_4028
.LBB4_1978:
	s_or_b64 exec, exec, s[6:7]
	s_and_saveexec_b64 s[6:7], s[4:5]
	s_cbranch_execz .LBB4_1980
.LBB4_1979:
	v_bfe_u32 v2, v7, 24, 3
	v_ffbh_u32_e32 v12, v2
	v_min_u32_e32 v12, 32, v12
	v_lshrrev_b32_e32 v10, 27, v7
	v_subrev_u32_e32 v13, 28, v12
	v_and_b32_e32 v6, 0x80000000, v7
	v_and_b32_e32 v10, 15, v10
	v_bfe_u32 v11, v7, 27, 4
	v_lshlrev_b32_sdwa v7, v13, v7 dst_sel:DWORD dst_unused:UNUSED_PAD src0_sel:DWORD src1_sel:BYTE_3
	v_sub_u32_e32 v12, 29, v12
	v_and_b32_e32 v7, 7, v7
	v_cmp_eq_u16_e32 vcc, 0, v10
	v_cndmask_b32_e32 v2, v2, v7, vcc
	v_cndmask_b32_e32 v7, v11, v12, vcc
	v_mov_b32_e32 v10, 0x3b800000
	v_lshlrev_b32_e32 v2, 20, v2
	v_lshl_add_u32 v7, v7, 23, v10
	v_or3_b32 v2, v6, v7, v2
.LBB4_1980:
	s_or_b64 exec, exec, s[6:7]
	s_movk_i32 s4, 0x7f
	v_cmp_gt_i16_sdwa s[6:7], v3, s4 src0_sel:BYTE_3 src1_sel:DWORD
	s_mov_b64 s[4:5], 0
                                        ; implicit-def: $sgpr10
	s_and_saveexec_b64 s[8:9], s[6:7]
	s_xor_b64 s[6:7], exec, s[8:9]
	s_cbranch_execnz .LBB4_4029
; %bb.1981:
	s_or_saveexec_b64 s[6:7], s[6:7]
	v_mov_b32_e32 v6, s10
	s_xor_b64 exec, exec, s[6:7]
	s_cbranch_execnz .LBB4_4032
.LBB4_1982:
	s_or_b64 exec, exec, s[6:7]
	s_and_saveexec_b64 s[6:7], s[4:5]
	s_cbranch_execz .LBB4_1984
.LBB4_1983:
	v_bfe_u32 v6, v3, 24, 3
	v_ffbh_u32_e32 v12, v6
	v_min_u32_e32 v12, 32, v12
	v_lshrrev_b32_e32 v10, 27, v3
	v_subrev_u32_e32 v13, 28, v12
	v_and_b32_e32 v7, 0x80000000, v3
	v_and_b32_e32 v10, 15, v10
	v_bfe_u32 v11, v3, 27, 4
	v_lshlrev_b32_sdwa v3, v13, v3 dst_sel:DWORD dst_unused:UNUSED_PAD src0_sel:DWORD src1_sel:BYTE_3
	v_sub_u32_e32 v12, 29, v12
	v_and_b32_e32 v3, 7, v3
	v_cmp_eq_u16_e32 vcc, 0, v10
	v_cndmask_b32_e32 v3, v6, v3, vcc
	v_cndmask_b32_e32 v6, v11, v12, vcc
	v_mov_b32_e32 v10, 0x3b800000
	v_lshlrev_b32_e32 v3, 20, v3
	v_lshl_add_u32 v6, v6, 23, v10
	v_or3_b32 v6, v7, v6, v3
.LBB4_1984:
	s_or_b64 exec, exec, s[6:7]
	s_nop 0
	v_mfma_f32_16x16x4f32 a[0:3], v2, v6, a[0:3]
	s_movk_i32 s4, 0x7f
	v_cmp_gt_i16_sdwa s[6:7], v8, s4 src0_sel:BYTE_0 src1_sel:DWORD
	s_mov_b64 s[4:5], 0
                                        ; implicit-def: $sgpr10
	s_and_saveexec_b64 s[8:9], s[6:7]
	s_xor_b64 s[6:7], exec, s[8:9]
	s_cbranch_execnz .LBB4_4033
; %bb.1985:
	s_or_saveexec_b64 s[6:7], s[6:7]
	v_mov_b32_e32 v2, s10
	s_xor_b64 exec, exec, s[6:7]
	s_cbranch_execnz .LBB4_4036
.LBB4_1986:
	s_or_b64 exec, exec, s[6:7]
	s_and_saveexec_b64 s[6:7], s[4:5]
	s_cbranch_execz .LBB4_1988
.LBB4_1987:
	v_and_b32_e32 v2, 7, v8
	v_ffbh_u32_e32 v6, v2
	v_min_u32_e32 v6, 32, v6
	v_lshrrev_b16_e32 v3, 3, v8
	v_subrev_u32_e32 v7, 28, v6
	v_and_b32_e32 v3, 15, v3
	v_lshlrev_b32_e32 v7, v7, v8
	v_sub_u32_e32 v6, 29, v6
	v_and_b32_e32 v7, 7, v7
	v_cmp_eq_u16_e32 vcc, 0, v3
	v_cndmask_b32_e32 v2, v2, v7, vcc
	v_cndmask_b32_e32 v3, v3, v6, vcc
	v_lshlrev_b32_e32 v6, 24, v8
	v_mov_b32_e32 v7, 0x3b800000
	v_lshlrev_b32_e32 v2, 20, v2
	v_and_b32_e32 v6, 0x80000000, v6
	v_lshl_add_u32 v3, v3, 23, v7
	v_or3_b32 v2, v6, v3, v2
.LBB4_1988:
	s_or_b64 exec, exec, s[6:7]
	s_movk_i32 s4, 0x7f
	v_cmp_gt_i16_sdwa s[6:7], v4, s4 src0_sel:BYTE_0 src1_sel:DWORD
	s_mov_b64 s[4:5], 0
                                        ; implicit-def: $sgpr10
	s_and_saveexec_b64 s[8:9], s[6:7]
	s_xor_b64 s[6:7], exec, s[8:9]
	s_cbranch_execnz .LBB4_4037
; %bb.1989:
	s_or_saveexec_b64 s[6:7], s[6:7]
	v_mov_b32_e32 v3, s10
	s_xor_b64 exec, exec, s[6:7]
	s_cbranch_execnz .LBB4_4040
.LBB4_1990:
	s_or_b64 exec, exec, s[6:7]
	s_and_saveexec_b64 s[6:7], s[4:5]
	s_cbranch_execz .LBB4_1992
.LBB4_1991:
	v_and_b32_e32 v3, 7, v4
	v_ffbh_u32_e32 v7, v3
	v_min_u32_e32 v7, 32, v7
	v_lshrrev_b16_e32 v6, 3, v4
	v_subrev_u32_e32 v10, 28, v7
	v_and_b32_e32 v6, 15, v6
	v_lshlrev_b32_e32 v10, v10, v4
	v_sub_u32_e32 v7, 29, v7
	v_and_b32_e32 v10, 7, v10
	v_cmp_eq_u16_e32 vcc, 0, v6
	v_cndmask_b32_e32 v3, v3, v10, vcc
	v_cndmask_b32_e32 v6, v6, v7, vcc
	v_lshlrev_b32_e32 v7, 24, v4
	v_mov_b32_e32 v10, 0x3b800000
	v_lshlrev_b32_e32 v3, 20, v3
	v_and_b32_e32 v7, 0x80000000, v7
	v_lshl_add_u32 v6, v6, 23, v10
	v_or3_b32 v3, v7, v6, v3
.LBB4_1992:
	s_or_b64 exec, exec, s[6:7]
	s_nop 0
	v_mfma_f32_16x16x4f32 a[0:3], v2, v3, a[0:3]
	v_lshrrev_b32_e32 v3, 8, v8
	s_movk_i32 s4, 0x7f
	v_cmp_gt_i16_sdwa s[6:7], v3, s4 src0_sel:BYTE_0 src1_sel:DWORD
	s_mov_b64 s[4:5], 0
                                        ; implicit-def: $sgpr10
	s_and_saveexec_b64 s[8:9], s[6:7]
	s_xor_b64 s[6:7], exec, s[8:9]
	s_cbranch_execnz .LBB4_4041
; %bb.1993:
	s_or_saveexec_b64 s[6:7], s[6:7]
	v_mov_b32_e32 v2, s10
	s_xor_b64 exec, exec, s[6:7]
	s_cbranch_execnz .LBB4_4044
.LBB4_1994:
	s_or_b64 exec, exec, s[6:7]
	s_and_saveexec_b64 s[6:7], s[4:5]
	s_cbranch_execz .LBB4_1996
.LBB4_1995:
	v_bfe_u32 v2, v8, 8, 3
	v_ffbh_u32_e32 v7, v2
	v_min_u32_e32 v7, 32, v7
	v_lshrrev_b16_e32 v6, 3, v3
	v_subrev_u32_e32 v10, 28, v7
	v_and_b32_e32 v6, 15, v6
	v_lshlrev_b32_e32 v3, v10, v3
	v_sub_u32_e32 v7, 29, v7
	v_and_b32_e32 v3, 7, v3
	v_cmp_eq_u16_e32 vcc, 0, v6
	v_cndmask_b32_e32 v2, v2, v3, vcc
	v_cndmask_b32_e32 v3, v6, v7, vcc
	v_lshlrev_b32_e32 v6, 16, v8
	v_mov_b32_e32 v7, 0x3b800000
	v_lshlrev_b32_e32 v2, 20, v2
	v_and_b32_e32 v6, 0x80000000, v6
	v_lshl_add_u32 v3, v3, 23, v7
	v_or3_b32 v2, v6, v3, v2
.LBB4_1996:
	s_or_b64 exec, exec, s[6:7]
	v_lshrrev_b32_e32 v3, 8, v4
	s_movk_i32 s4, 0x7f
	v_cmp_gt_i16_sdwa s[6:7], v3, s4 src0_sel:BYTE_0 src1_sel:DWORD
	s_mov_b64 s[4:5], 0
                                        ; implicit-def: $sgpr10
	s_and_saveexec_b64 s[8:9], s[6:7]
	s_xor_b64 s[6:7], exec, s[8:9]
	s_cbranch_execnz .LBB4_4045
; %bb.1997:
	s_or_saveexec_b64 s[6:7], s[6:7]
	v_mov_b32_e32 v6, s10
	s_xor_b64 exec, exec, s[6:7]
	s_cbranch_execnz .LBB4_4048
.LBB4_1998:
	s_or_b64 exec, exec, s[6:7]
	s_and_saveexec_b64 s[6:7], s[4:5]
	s_cbranch_execz .LBB4_2000
.LBB4_1999:
	v_bfe_u32 v6, v4, 8, 3
	v_ffbh_u32_e32 v10, v6
	v_min_u32_e32 v10, 32, v10
	v_lshrrev_b16_e32 v7, 3, v3
	v_subrev_u32_e32 v11, 28, v10
	v_and_b32_e32 v7, 15, v7
	v_lshlrev_b32_e32 v3, v11, v3
	v_sub_u32_e32 v10, 29, v10
	v_and_b32_e32 v3, 7, v3
	v_cmp_eq_u16_e32 vcc, 0, v7
	v_cndmask_b32_e32 v3, v6, v3, vcc
	v_cndmask_b32_e32 v6, v7, v10, vcc
	v_lshlrev_b32_e32 v7, 16, v4
	v_mov_b32_e32 v10, 0x3b800000
	v_lshlrev_b32_e32 v3, 20, v3
	v_and_b32_e32 v7, 0x80000000, v7
	v_lshl_add_u32 v6, v6, 23, v10
	v_or3_b32 v6, v7, v6, v3
.LBB4_2000:
	s_or_b64 exec, exec, s[6:7]
	s_nop 0
	v_mfma_f32_16x16x4f32 a[0:3], v2, v6, a[0:3]
	s_movk_i32 s4, 0xff
	v_and_b32_sdwa v3, v8, s4 dst_sel:DWORD dst_unused:UNUSED_PAD src0_sel:WORD_1 src1_sel:DWORD
	s_movk_i32 s4, 0x7f
	v_cmp_lt_i16_e32 vcc, s4, v3
	s_mov_b64 s[4:5], 0
                                        ; implicit-def: $sgpr10
	s_and_saveexec_b64 s[6:7], vcc
	s_xor_b64 s[6:7], exec, s[6:7]
	s_cbranch_execnz .LBB4_4049
; %bb.2001:
	s_or_saveexec_b64 s[6:7], s[6:7]
	v_mov_b32_e32 v2, s10
	s_xor_b64 exec, exec, s[6:7]
	s_cbranch_execnz .LBB4_4052
.LBB4_2002:
	s_or_b64 exec, exec, s[6:7]
	s_and_saveexec_b64 s[6:7], s[4:5]
	s_cbranch_execz .LBB4_2004
.LBB4_2003:
	v_bfe_u32 v2, v8, 16, 3
	v_ffbh_u32_e32 v7, v2
	v_min_u32_e32 v7, 32, v7
	v_lshrrev_b32_e32 v3, 19, v8
	v_subrev_u32_e32 v10, 28, v7
	v_and_b32_e32 v3, 15, v3
	v_lshlrev_b32_sdwa v10, v10, v8 dst_sel:DWORD dst_unused:UNUSED_PAD src0_sel:DWORD src1_sel:WORD_1
	v_bfe_u32 v6, v8, 19, 4
	v_sub_u32_e32 v7, 29, v7
	v_and_b32_e32 v10, 7, v10
	v_cmp_eq_u16_e32 vcc, 0, v3
	v_cndmask_b32_e32 v2, v2, v10, vcc
	v_cndmask_b32_e32 v3, v6, v7, vcc
	v_lshlrev_b32_e32 v6, 8, v8
	v_mov_b32_e32 v7, 0x3b800000
	v_lshlrev_b32_e32 v2, 20, v2
	v_and_b32_e32 v6, 0x80000000, v6
	v_lshl_add_u32 v3, v3, 23, v7
	v_or3_b32 v2, v6, v3, v2
.LBB4_2004:
	s_or_b64 exec, exec, s[6:7]
	s_movk_i32 s4, 0xff
	v_and_b32_sdwa v3, v4, s4 dst_sel:DWORD dst_unused:UNUSED_PAD src0_sel:WORD_1 src1_sel:DWORD
	s_movk_i32 s4, 0x7f
	v_cmp_lt_i16_e32 vcc, s4, v3
	s_mov_b64 s[4:5], 0
                                        ; implicit-def: $sgpr10
	s_and_saveexec_b64 s[6:7], vcc
	s_xor_b64 s[6:7], exec, s[6:7]
	s_cbranch_execnz .LBB4_4053
; %bb.2005:
	s_or_saveexec_b64 s[6:7], s[6:7]
	v_mov_b32_e32 v6, s10
	s_xor_b64 exec, exec, s[6:7]
	s_cbranch_execnz .LBB4_4056
.LBB4_2006:
	s_or_b64 exec, exec, s[6:7]
	s_and_saveexec_b64 s[6:7], s[4:5]
	s_cbranch_execz .LBB4_2008
.LBB4_2007:
	v_bfe_u32 v3, v4, 16, 3
	v_ffbh_u32_e32 v10, v3
	v_min_u32_e32 v10, 32, v10
	v_lshrrev_b32_e32 v6, 19, v4
	v_subrev_u32_e32 v11, 28, v10
	v_and_b32_e32 v6, 15, v6
	v_lshlrev_b32_sdwa v11, v11, v4 dst_sel:DWORD dst_unused:UNUSED_PAD src0_sel:DWORD src1_sel:WORD_1
	v_bfe_u32 v7, v4, 19, 4
	v_sub_u32_e32 v10, 29, v10
	v_and_b32_e32 v11, 7, v11
	v_cmp_eq_u16_e32 vcc, 0, v6
	v_cndmask_b32_e32 v3, v3, v11, vcc
	v_cndmask_b32_e32 v6, v7, v10, vcc
	v_lshlrev_b32_e32 v7, 8, v4
	v_mov_b32_e32 v10, 0x3b800000
	v_lshlrev_b32_e32 v3, 20, v3
	v_and_b32_e32 v7, 0x80000000, v7
	v_lshl_add_u32 v6, v6, 23, v10
	v_or3_b32 v6, v7, v6, v3
.LBB4_2008:
	s_or_b64 exec, exec, s[6:7]
	s_nop 0
	v_mfma_f32_16x16x4f32 a[0:3], v2, v6, a[0:3]
	s_movk_i32 s4, 0x7f
	v_cmp_gt_i16_sdwa s[6:7], v8, s4 src0_sel:BYTE_3 src1_sel:DWORD
	s_mov_b64 s[4:5], 0
                                        ; implicit-def: $sgpr10
	s_and_saveexec_b64 s[8:9], s[6:7]
	s_xor_b64 s[6:7], exec, s[8:9]
	s_cbranch_execnz .LBB4_4057
; %bb.2009:
	s_or_saveexec_b64 s[6:7], s[6:7]
	v_mov_b32_e32 v2, s10
	s_xor_b64 exec, exec, s[6:7]
	s_cbranch_execnz .LBB4_4060
.LBB4_2010:
	s_or_b64 exec, exec, s[6:7]
	s_and_saveexec_b64 s[6:7], s[4:5]
	s_cbranch_execz .LBB4_2012
.LBB4_2011:
	v_bfe_u32 v2, v8, 24, 3
	v_ffbh_u32_e32 v10, v2
	v_min_u32_e32 v10, 32, v10
	v_lshrrev_b32_e32 v6, 27, v8
	v_subrev_u32_e32 v11, 28, v10
	v_and_b32_e32 v3, 0x80000000, v8
	v_and_b32_e32 v6, 15, v6
	v_bfe_u32 v7, v8, 27, 4
	v_lshlrev_b32_sdwa v8, v11, v8 dst_sel:DWORD dst_unused:UNUSED_PAD src0_sel:DWORD src1_sel:BYTE_3
	v_sub_u32_e32 v10, 29, v10
	v_and_b32_e32 v8, 7, v8
	v_cmp_eq_u16_e32 vcc, 0, v6
	v_cndmask_b32_e32 v2, v2, v8, vcc
	v_cndmask_b32_e32 v6, v7, v10, vcc
	v_mov_b32_e32 v7, 0x3b800000
	v_lshlrev_b32_e32 v2, 20, v2
	v_lshl_add_u32 v6, v6, 23, v7
	v_or3_b32 v2, v3, v6, v2
.LBB4_2012:
	s_or_b64 exec, exec, s[6:7]
	s_movk_i32 s4, 0x7f
	v_cmp_gt_i16_sdwa s[6:7], v4, s4 src0_sel:BYTE_3 src1_sel:DWORD
	s_mov_b64 s[4:5], 0
                                        ; implicit-def: $sgpr10
	s_and_saveexec_b64 s[8:9], s[6:7]
	s_xor_b64 s[6:7], exec, s[8:9]
	s_cbranch_execnz .LBB4_4061
; %bb.2013:
	s_or_saveexec_b64 s[6:7], s[6:7]
	v_mov_b32_e32 v3, s10
	s_xor_b64 exec, exec, s[6:7]
	s_cbranch_execnz .LBB4_4064
.LBB4_2014:
	s_or_b64 exec, exec, s[6:7]
	s_and_saveexec_b64 s[6:7], s[4:5]
	s_cbranch_execz .LBB4_2016
.LBB4_2015:
	v_bfe_u32 v3, v4, 24, 3
	v_ffbh_u32_e32 v10, v3
	v_min_u32_e32 v10, 32, v10
	v_lshrrev_b32_e32 v7, 27, v4
	v_subrev_u32_e32 v11, 28, v10
	v_and_b32_e32 v6, 0x80000000, v4
	v_and_b32_e32 v7, 15, v7
	v_bfe_u32 v8, v4, 27, 4
	v_lshlrev_b32_sdwa v4, v11, v4 dst_sel:DWORD dst_unused:UNUSED_PAD src0_sel:DWORD src1_sel:BYTE_3
	v_sub_u32_e32 v10, 29, v10
	v_and_b32_e32 v4, 7, v4
	v_cmp_eq_u16_e32 vcc, 0, v7
	v_cndmask_b32_e32 v3, v3, v4, vcc
	v_cndmask_b32_e32 v4, v8, v10, vcc
	v_mov_b32_e32 v7, 0x3b800000
	v_lshlrev_b32_e32 v3, 20, v3
	v_lshl_add_u32 v4, v4, 23, v7
	v_or3_b32 v3, v6, v4, v3
.LBB4_2016:
	s_or_b64 exec, exec, s[6:7]
	s_nop 0
	v_mfma_f32_16x16x4f32 a[0:3], v2, v3, a[0:3]
	s_movk_i32 s4, 0x7f
	v_cmp_gt_i16_sdwa s[6:7], v9, s4 src0_sel:BYTE_0 src1_sel:DWORD
	s_mov_b64 s[4:5], 0
                                        ; implicit-def: $sgpr10
	s_and_saveexec_b64 s[8:9], s[6:7]
	s_xor_b64 s[6:7], exec, s[8:9]
	s_cbranch_execnz .LBB4_4065
; %bb.2017:
	s_or_saveexec_b64 s[6:7], s[6:7]
	v_mov_b32_e32 v2, s10
	s_xor_b64 exec, exec, s[6:7]
	s_cbranch_execnz .LBB4_4068
.LBB4_2018:
	s_or_b64 exec, exec, s[6:7]
	s_and_saveexec_b64 s[6:7], s[4:5]
	s_cbranch_execz .LBB4_2020
.LBB4_2019:
	v_mov_b32_e32 v2, 8
	v_and_b32_e32 v3, 7, v9
	v_lshrrev_b32_sdwa v2, v2, v9 dst_sel:BYTE_1 dst_unused:UNUSED_PAD src0_sel:DWORD src1_sel:DWORD
	v_ffbh_u32_e32 v4, v3
	v_or_b32_sdwa v2, v9, v2 dst_sel:DWORD dst_unused:UNUSED_PAD src0_sel:BYTE_0 src1_sel:DWORD
	v_min_u32_e32 v4, 32, v4
	v_lshrrev_b16_e32 v2, 3, v2
	v_subrev_u32_e32 v6, 28, v4
	v_and_b32_e32 v2, 15, v2
	v_lshlrev_b32_e32 v6, v6, v9
	v_sub_u32_e32 v4, 29, v4
	v_and_b32_e32 v6, 7, v6
	v_cmp_eq_u16_e32 vcc, 0, v2
	v_cndmask_b32_e32 v3, v3, v6, vcc
	v_cndmask_b32_e32 v2, v2, v4, vcc
	v_lshlrev_b32_e32 v4, 24, v9
	v_mov_b32_e32 v6, 0x3b800000
	v_lshlrev_b32_e32 v3, 20, v3
	v_and_b32_e32 v4, 0x80000000, v4
	v_lshl_add_u32 v2, v2, 23, v6
	v_or3_b32 v2, v4, v2, v3
.LBB4_2020:
	s_or_b64 exec, exec, s[6:7]
	s_movk_i32 s4, 0x7f
	v_cmp_gt_i16_sdwa s[6:7], v5, s4 src0_sel:BYTE_0 src1_sel:DWORD
	s_mov_b64 s[4:5], 0
                                        ; implicit-def: $sgpr10
	s_and_saveexec_b64 s[8:9], s[6:7]
	s_xor_b64 s[6:7], exec, s[8:9]
	s_cbranch_execnz .LBB4_4069
; %bb.2021:
	s_or_saveexec_b64 s[6:7], s[6:7]
	v_mov_b32_e32 v3, s10
	s_xor_b64 exec, exec, s[6:7]
	s_cbranch_execnz .LBB4_4072
.LBB4_2022:
	s_or_b64 exec, exec, s[6:7]
	s_and_saveexec_b64 s[6:7], s[4:5]
	s_cbranch_execz .LBB4_2024
.LBB4_2023:
	v_mov_b32_e32 v3, 8
	v_and_b32_e32 v4, 7, v5
	v_lshrrev_b32_sdwa v3, v3, v5 dst_sel:BYTE_1 dst_unused:UNUSED_PAD src0_sel:DWORD src1_sel:DWORD
	v_ffbh_u32_e32 v6, v4
	v_or_b32_sdwa v3, v5, v3 dst_sel:DWORD dst_unused:UNUSED_PAD src0_sel:BYTE_0 src1_sel:DWORD
	v_min_u32_e32 v6, 32, v6
	v_lshrrev_b16_e32 v3, 3, v3
	v_subrev_u32_e32 v7, 28, v6
	v_and_b32_e32 v3, 15, v3
	v_lshlrev_b32_e32 v7, v7, v5
	v_sub_u32_e32 v6, 29, v6
	v_and_b32_e32 v7, 7, v7
	v_cmp_eq_u16_e32 vcc, 0, v3
	v_cndmask_b32_e32 v4, v4, v7, vcc
	v_cndmask_b32_e32 v3, v3, v6, vcc
	v_lshlrev_b32_e32 v6, 24, v5
	v_mov_b32_e32 v7, 0x3b800000
	v_lshlrev_b32_e32 v4, 20, v4
	v_and_b32_e32 v6, 0x80000000, v6
	v_lshl_add_u32 v3, v3, 23, v7
	v_or3_b32 v3, v6, v3, v4
.LBB4_2024:
	s_or_b64 exec, exec, s[6:7]
	s_nop 0
	v_mfma_f32_16x16x4f32 a[0:3], v2, v3, a[0:3]
	v_lshrrev_b32_e32 v3, 8, v9
	s_movk_i32 s4, 0x7f
	v_cmp_gt_i16_sdwa s[6:7], v3, s4 src0_sel:BYTE_0 src1_sel:DWORD
	s_mov_b64 s[4:5], 0
                                        ; implicit-def: $sgpr10
	s_and_saveexec_b64 s[8:9], s[6:7]
	s_xor_b64 s[6:7], exec, s[8:9]
	s_cbranch_execnz .LBB4_4073
; %bb.2025:
	s_or_saveexec_b64 s[6:7], s[6:7]
	v_mov_b32_e32 v2, s10
	s_xor_b64 exec, exec, s[6:7]
	s_cbranch_execnz .LBB4_4076
.LBB4_2026:
	s_or_b64 exec, exec, s[6:7]
	s_and_saveexec_b64 s[6:7], s[4:5]
	s_cbranch_execz .LBB4_2028
.LBB4_2027:
	v_bfe_u32 v2, v9, 8, 3
	v_ffbh_u32_e32 v6, v2
	v_min_u32_e32 v6, 32, v6
	v_lshrrev_b16_e32 v4, 3, v3
	v_subrev_u32_e32 v7, 28, v6
	v_and_b32_e32 v4, 15, v4
	v_lshlrev_b32_e32 v3, v7, v3
	v_sub_u32_e32 v6, 29, v6
	v_and_b32_e32 v3, 7, v3
	v_cmp_eq_u16_e32 vcc, 0, v4
	v_cndmask_b32_e32 v2, v2, v3, vcc
	v_cndmask_b32_e32 v3, v4, v6, vcc
	v_lshlrev_b32_e32 v4, 16, v9
	v_mov_b32_e32 v6, 0x3b800000
	v_lshlrev_b32_e32 v2, 20, v2
	v_and_b32_e32 v4, 0x80000000, v4
	v_lshl_add_u32 v3, v3, 23, v6
	v_or3_b32 v2, v4, v3, v2
.LBB4_2028:
	s_or_b64 exec, exec, s[6:7]
	v_lshrrev_b32_e32 v3, 8, v5
	s_movk_i32 s4, 0x7f
	v_cmp_gt_i16_sdwa s[6:7], v3, s4 src0_sel:BYTE_0 src1_sel:DWORD
	s_mov_b64 s[4:5], 0
                                        ; implicit-def: $sgpr10
	s_and_saveexec_b64 s[8:9], s[6:7]
	s_xor_b64 s[6:7], exec, s[8:9]
	s_cbranch_execnz .LBB4_4077
; %bb.2029:
	s_or_saveexec_b64 s[6:7], s[6:7]
	v_mov_b32_e32 v4, s10
	s_xor_b64 exec, exec, s[6:7]
	s_cbranch_execnz .LBB4_4080
.LBB4_2030:
	s_or_b64 exec, exec, s[6:7]
	s_and_saveexec_b64 s[6:7], s[4:5]
	s_cbranch_execz .LBB4_2032
.LBB4_2031:
	v_bfe_u32 v4, v5, 8, 3
	v_ffbh_u32_e32 v7, v4
	v_min_u32_e32 v7, 32, v7
	v_lshrrev_b16_e32 v6, 3, v3
	v_subrev_u32_e32 v8, 28, v7
	v_and_b32_e32 v6, 15, v6
	v_lshlrev_b32_e32 v3, v8, v3
	v_sub_u32_e32 v7, 29, v7
	v_and_b32_e32 v3, 7, v3
	v_cmp_eq_u16_e32 vcc, 0, v6
	v_cndmask_b32_e32 v3, v4, v3, vcc
	v_cndmask_b32_e32 v4, v6, v7, vcc
	v_lshlrev_b32_e32 v6, 16, v5
	v_mov_b32_e32 v7, 0x3b800000
	v_lshlrev_b32_e32 v3, 20, v3
	v_and_b32_e32 v6, 0x80000000, v6
	v_lshl_add_u32 v4, v4, 23, v7
	v_or3_b32 v4, v6, v4, v3
.LBB4_2032:
	s_or_b64 exec, exec, s[6:7]
	s_nop 0
	v_mfma_f32_16x16x4f32 a[0:3], v2, v4, a[0:3]
	s_movk_i32 s4, 0xff
	v_and_b32_sdwa v3, v9, s4 dst_sel:DWORD dst_unused:UNUSED_PAD src0_sel:WORD_1 src1_sel:DWORD
	s_movk_i32 s4, 0x7f
	v_cmp_lt_i16_e32 vcc, s4, v3
	s_mov_b64 s[4:5], 0
                                        ; implicit-def: $sgpr10
	s_and_saveexec_b64 s[6:7], vcc
	s_xor_b64 s[6:7], exec, s[6:7]
	s_cbranch_execnz .LBB4_4081
; %bb.2033:
	s_or_saveexec_b64 s[6:7], s[6:7]
	v_mov_b32_e32 v2, s10
	s_xor_b64 exec, exec, s[6:7]
	s_cbranch_execnz .LBB4_4084
.LBB4_2034:
	s_or_b64 exec, exec, s[6:7]
	s_and_saveexec_b64 s[6:7], s[4:5]
	s_cbranch_execz .LBB4_2036
.LBB4_2035:
	v_bfe_u32 v2, v9, 16, 3
	v_ffbh_u32_e32 v6, v2
	v_min_u32_e32 v6, 32, v6
	v_lshrrev_b32_e32 v3, 19, v9
	v_subrev_u32_e32 v7, 28, v6
	v_and_b32_e32 v3, 15, v3
	v_lshlrev_b32_sdwa v7, v7, v9 dst_sel:DWORD dst_unused:UNUSED_PAD src0_sel:DWORD src1_sel:WORD_1
	v_bfe_u32 v4, v9, 19, 4
	v_sub_u32_e32 v6, 29, v6
	v_and_b32_e32 v7, 7, v7
	v_cmp_eq_u16_e32 vcc, 0, v3
	v_cndmask_b32_e32 v2, v2, v7, vcc
	v_cndmask_b32_e32 v3, v4, v6, vcc
	v_lshlrev_b32_e32 v4, 8, v9
	v_mov_b32_e32 v6, 0x3b800000
	v_lshlrev_b32_e32 v2, 20, v2
	v_and_b32_e32 v4, 0x80000000, v4
	v_lshl_add_u32 v3, v3, 23, v6
	v_or3_b32 v2, v4, v3, v2
.LBB4_2036:
	s_or_b64 exec, exec, s[6:7]
	s_movk_i32 s4, 0xff
	v_and_b32_sdwa v3, v5, s4 dst_sel:DWORD dst_unused:UNUSED_PAD src0_sel:WORD_1 src1_sel:DWORD
	s_movk_i32 s4, 0x7f
	v_cmp_lt_i16_e32 vcc, s4, v3
	s_mov_b64 s[4:5], 0
                                        ; implicit-def: $sgpr10
	s_and_saveexec_b64 s[6:7], vcc
	s_xor_b64 s[6:7], exec, s[6:7]
	s_cbranch_execnz .LBB4_4085
; %bb.2037:
	s_or_saveexec_b64 s[6:7], s[6:7]
	v_mov_b32_e32 v4, s10
	s_xor_b64 exec, exec, s[6:7]
	s_cbranch_execnz .LBB4_4088
.LBB4_2038:
	s_or_b64 exec, exec, s[6:7]
	s_and_saveexec_b64 s[6:7], s[4:5]
	s_cbranch_execz .LBB4_2040
.LBB4_2039:
	v_bfe_u32 v3, v5, 16, 3
	v_ffbh_u32_e32 v7, v3
	v_min_u32_e32 v7, 32, v7
	v_lshrrev_b32_e32 v4, 19, v5
	v_subrev_u32_e32 v8, 28, v7
	v_and_b32_e32 v4, 15, v4
	v_lshlrev_b32_sdwa v8, v8, v5 dst_sel:DWORD dst_unused:UNUSED_PAD src0_sel:DWORD src1_sel:WORD_1
	v_bfe_u32 v6, v5, 19, 4
	v_sub_u32_e32 v7, 29, v7
	v_and_b32_e32 v8, 7, v8
	v_cmp_eq_u16_e32 vcc, 0, v4
	v_cndmask_b32_e32 v3, v3, v8, vcc
	v_cndmask_b32_e32 v4, v6, v7, vcc
	v_lshlrev_b32_e32 v6, 8, v5
	v_mov_b32_e32 v7, 0x3b800000
	v_lshlrev_b32_e32 v3, 20, v3
	v_and_b32_e32 v6, 0x80000000, v6
	v_lshl_add_u32 v4, v4, 23, v7
	v_or3_b32 v4, v6, v4, v3
.LBB4_2040:
	s_or_b64 exec, exec, s[6:7]
	s_nop 0
	v_mfma_f32_16x16x4f32 a[0:3], v2, v4, a[0:3]
	s_movk_i32 s4, 0x7f
	v_cmp_gt_i16_sdwa s[6:7], v9, s4 src0_sel:BYTE_3 src1_sel:DWORD
	s_mov_b64 s[4:5], 0
                                        ; implicit-def: $sgpr10
	s_and_saveexec_b64 s[8:9], s[6:7]
	s_xor_b64 s[6:7], exec, s[8:9]
	s_cbranch_execnz .LBB4_4089
; %bb.2041:
	s_or_saveexec_b64 s[6:7], s[6:7]
	v_mov_b32_e32 v2, s10
	s_xor_b64 exec, exec, s[6:7]
	s_cbranch_execnz .LBB4_4092
.LBB4_2042:
	s_or_b64 exec, exec, s[6:7]
	s_and_saveexec_b64 s[6:7], s[4:5]
	s_cbranch_execz .LBB4_2044
.LBB4_2043:
	v_bfe_u32 v2, v9, 24, 3
	v_ffbh_u32_e32 v7, v2
	v_min_u32_e32 v7, 32, v7
	v_lshrrev_b32_e32 v4, 27, v9
	v_subrev_u32_e32 v8, 28, v7
	v_and_b32_e32 v4, 15, v4
	v_lshlrev_b32_sdwa v8, v8, v9 dst_sel:DWORD dst_unused:UNUSED_PAD src0_sel:DWORD src1_sel:BYTE_3
	v_bfe_u32 v6, v9, 27, 4
	v_sub_u32_e32 v7, 29, v7
	v_and_b32_e32 v8, 7, v8
	v_cmp_eq_u16_e32 vcc, 0, v4
	v_cndmask_b32_e32 v2, v2, v8, vcc
	v_cndmask_b32_e32 v4, v6, v7, vcc
	v_mov_b32_e32 v6, 0x3b800000
	v_and_b32_e32 v3, 0x80000000, v9
	v_lshlrev_b32_e32 v2, 20, v2
	v_lshl_add_u32 v4, v4, 23, v6
	v_or3_b32 v2, v3, v4, v2
.LBB4_2044:
	s_or_b64 exec, exec, s[6:7]
	s_movk_i32 s4, 0x7f
	v_cmp_gt_i16_sdwa s[6:7], v5, s4 src0_sel:BYTE_3 src1_sel:DWORD
	s_mov_b64 s[4:5], 0
                                        ; implicit-def: $sgpr10
	s_and_saveexec_b64 s[8:9], s[6:7]
	s_xor_b64 s[6:7], exec, s[8:9]
	s_cbranch_execnz .LBB4_4093
; %bb.2045:
	s_or_saveexec_b64 s[6:7], s[6:7]
	v_mov_b32_e32 v3, s10
	s_xor_b64 exec, exec, s[6:7]
	s_cbranch_execnz .LBB4_4096
.LBB4_2046:
	s_or_b64 exec, exec, s[6:7]
	s_and_saveexec_b64 s[6:7], s[4:5]
	s_cbranch_execz .LBB4_2048
.LBB4_2047:
	v_bfe_u32 v3, v5, 24, 3
	v_ffbh_u32_e32 v8, v3
	v_min_u32_e32 v8, 32, v8
	v_lshrrev_b32_e32 v6, 27, v5
	v_subrev_u32_e32 v9, 28, v8
	v_and_b32_e32 v4, 0x80000000, v5
	v_and_b32_e32 v6, 15, v6
	v_bfe_u32 v7, v5, 27, 4
	v_lshlrev_b32_sdwa v5, v9, v5 dst_sel:DWORD dst_unused:UNUSED_PAD src0_sel:DWORD src1_sel:BYTE_3
	v_sub_u32_e32 v8, 29, v8
	v_and_b32_e32 v5, 7, v5
	v_cmp_eq_u16_e32 vcc, 0, v6
	v_cndmask_b32_e32 v3, v3, v5, vcc
	v_cndmask_b32_e32 v5, v7, v8, vcc
	v_mov_b32_e32 v6, 0x3b800000
	v_lshlrev_b32_e32 v3, 20, v3
	v_lshl_add_u32 v5, v5, 23, v6
	v_or3_b32 v3, v4, v5, v3
.LBB4_2048:
	s_or_b64 exec, exec, s[6:7]
	s_nop 0
	v_mfma_f32_16x16x4f32 a[0:3], v2, v3, a[0:3]
	s_nop 7
	s_nop 2
	flat_store_dwordx4 v[0:1], a[0:3] offset:240
	s_waitcnt vmcnt(0) lgkmcnt(0)
	s_setpc_b64 s[30:31]
.LBB4_2049:
	s_movk_i32 s4, 0x80
	v_cmp_eq_u16_sdwa s[12:13], v6, s4 src0_sel:BYTE_0 src1_sel:DWORD
	s_mov_b64 s[4:5], -1
                                        ; implicit-def: $sgpr10
	s_and_saveexec_b64 s[8:9], s[12:13]
; %bb.2050:
	s_mov_b32 s10, 0x7f800001
	s_xor_b64 s[4:5], exec, -1
; %bb.2051:
	s_or_b64 exec, exec, s[8:9]
	s_and_b64 s[4:5], s[4:5], exec
	s_or_saveexec_b64 s[6:7], s[6:7]
	v_mov_b32_e32 v12, s10
	s_xor_b64 exec, exec, s[6:7]
	s_cbranch_execz .LBB4_2
.LBB4_2052:
	v_mov_b32_e32 v12, 0
	v_cmp_ne_u16_sdwa s[8:9], v6, v12 src0_sel:BYTE_0 src1_sel:DWORD
	s_andn2_b64 s[4:5], s[4:5], exec
	s_and_b64 s[8:9], s[8:9], exec
	s_or_b64 s[4:5], s[4:5], s[8:9]
	s_or_b64 exec, exec, s[6:7]
	s_and_saveexec_b64 s[6:7], s[4:5]
	s_cbranch_execnz .LBB4_3
	s_branch .LBB4_4
.LBB4_2053:
	s_movk_i32 s4, 0x80
	v_cmp_eq_u16_sdwa s[12:13], v2, s4 src0_sel:BYTE_0 src1_sel:DWORD
	s_mov_b64 s[4:5], -1
                                        ; implicit-def: $sgpr10
	s_and_saveexec_b64 s[8:9], s[12:13]
; %bb.2054:
	s_mov_b32 s10, 0x7f800001
	s_xor_b64 s[4:5], exec, -1
; %bb.2055:
	s_or_b64 exec, exec, s[8:9]
	s_and_b64 s[4:5], s[4:5], exec
	s_or_saveexec_b64 s[6:7], s[6:7]
	v_mov_b32_e32 v13, s10
	s_xor_b64 exec, exec, s[6:7]
	s_cbranch_execz .LBB4_6
.LBB4_2056:
	v_mov_b32_e32 v13, 0
	v_cmp_ne_u16_sdwa s[8:9], v2, v13 src0_sel:BYTE_0 src1_sel:DWORD
	s_andn2_b64 s[4:5], s[4:5], exec
	s_and_b64 s[8:9], s[8:9], exec
	s_or_b64 s[4:5], s[4:5], s[8:9]
	s_or_b64 exec, exec, s[6:7]
	s_and_saveexec_b64 s[6:7], s[4:5]
	s_cbranch_execnz .LBB4_7
	s_branch .LBB4_8
.LBB4_2057:
	s_movk_i32 s4, 0x80
	v_cmp_eq_u16_sdwa s[12:13], v13, s4 src0_sel:BYTE_0 src1_sel:DWORD
	s_mov_b64 s[4:5], -1
                                        ; implicit-def: $sgpr10
	s_and_saveexec_b64 s[8:9], s[12:13]
; %bb.2058:
	s_mov_b32 s10, 0x7f800001
	s_xor_b64 s[4:5], exec, -1
; %bb.2059:
	s_or_b64 exec, exec, s[8:9]
	s_and_b64 s[4:5], s[4:5], exec
	s_or_saveexec_b64 s[6:7], s[6:7]
	v_mov_b32_e32 v12, s10
	s_xor_b64 exec, exec, s[6:7]
	s_cbranch_execz .LBB4_10
.LBB4_2060:
	v_mov_b32_e32 v12, 0
	v_cmp_ne_u16_sdwa s[8:9], v13, v12 src0_sel:BYTE_0 src1_sel:DWORD
	s_andn2_b64 s[4:5], s[4:5], exec
	s_and_b64 s[8:9], s[8:9], exec
	s_or_b64 s[4:5], s[4:5], s[8:9]
	s_or_b64 exec, exec, s[6:7]
	s_and_saveexec_b64 s[6:7], s[4:5]
	s_cbranch_execnz .LBB4_11
	s_branch .LBB4_12
.LBB4_2061:
	s_movk_i32 s4, 0x80
	v_cmp_eq_u16_sdwa s[12:13], v13, s4 src0_sel:BYTE_0 src1_sel:DWORD
	s_mov_b64 s[4:5], -1
                                        ; implicit-def: $sgpr10
	s_and_saveexec_b64 s[8:9], s[12:13]
; %bb.2062:
	s_mov_b32 s10, 0x7f800001
	s_xor_b64 s[4:5], exec, -1
; %bb.2063:
	s_or_b64 exec, exec, s[8:9]
	s_and_b64 s[4:5], s[4:5], exec
	s_or_saveexec_b64 s[6:7], s[6:7]
	v_mov_b32_e32 v14, s10
	s_xor_b64 exec, exec, s[6:7]
	s_cbranch_execz .LBB4_14
.LBB4_2064:
	v_mov_b32_e32 v14, 0
	v_cmp_ne_u16_sdwa s[8:9], v13, v14 src0_sel:BYTE_0 src1_sel:DWORD
	s_andn2_b64 s[4:5], s[4:5], exec
	s_and_b64 s[8:9], s[8:9], exec
	s_or_b64 s[4:5], s[4:5], s[8:9]
	s_or_b64 exec, exec, s[6:7]
	s_and_saveexec_b64 s[6:7], s[4:5]
	s_cbranch_execnz .LBB4_15
	s_branch .LBB4_16
.LBB4_2065:
	s_movk_i32 s4, 0x80
	v_cmp_eq_u16_e32 vcc, s4, v13
	s_mov_b64 s[4:5], -1
                                        ; implicit-def: $sgpr10
	s_and_saveexec_b64 s[8:9], vcc
; %bb.2066:
	s_mov_b32 s10, 0x7f800001
	s_xor_b64 s[4:5], exec, -1
; %bb.2067:
	s_or_b64 exec, exec, s[8:9]
	s_and_b64 s[4:5], s[4:5], exec
                                        ; implicit-def: $vgpr13
	s_or_saveexec_b64 s[6:7], s[6:7]
	v_mov_b32_e32 v12, s10
	s_xor_b64 exec, exec, s[6:7]
	s_cbranch_execz .LBB4_18
.LBB4_2068:
	v_cmp_ne_u16_e32 vcc, 0, v13
	s_andn2_b64 s[4:5], s[4:5], exec
	s_and_b64 s[8:9], vcc, exec
	v_mov_b32_e32 v12, 0
	s_or_b64 s[4:5], s[4:5], s[8:9]
	s_or_b64 exec, exec, s[6:7]
	s_and_saveexec_b64 s[6:7], s[4:5]
	s_cbranch_execnz .LBB4_19
	s_branch .LBB4_20
.LBB4_2069:
	s_movk_i32 s4, 0x80
	v_cmp_eq_u16_e32 vcc, s4, v13
	s_mov_b64 s[4:5], -1
                                        ; implicit-def: $sgpr10
	s_and_saveexec_b64 s[8:9], vcc
; %bb.2070:
	s_mov_b32 s10, 0x7f800001
	s_xor_b64 s[4:5], exec, -1
; %bb.2071:
	s_or_b64 exec, exec, s[8:9]
	s_and_b64 s[4:5], s[4:5], exec
                                        ; implicit-def: $vgpr13
	s_or_saveexec_b64 s[6:7], s[6:7]
	v_mov_b32_e32 v14, s10
	s_xor_b64 exec, exec, s[6:7]
	s_cbranch_execz .LBB4_22
.LBB4_2072:
	v_cmp_ne_u16_e32 vcc, 0, v13
	s_andn2_b64 s[4:5], s[4:5], exec
	s_and_b64 s[8:9], vcc, exec
	v_mov_b32_e32 v14, 0
	s_or_b64 s[4:5], s[4:5], s[8:9]
	s_or_b64 exec, exec, s[6:7]
	s_and_saveexec_b64 s[6:7], s[4:5]
	s_cbranch_execnz .LBB4_23
	s_branch .LBB4_24
.LBB4_2073:
	s_movk_i32 s4, 0x80
	v_cmp_eq_u16_sdwa s[12:13], v6, s4 src0_sel:BYTE_3 src1_sel:DWORD
	s_mov_b64 s[4:5], -1
                                        ; implicit-def: $sgpr10
	s_and_saveexec_b64 s[8:9], s[12:13]
; %bb.2074:
	s_mov_b32 s10, 0x7f800001
	s_xor_b64 s[4:5], exec, -1
; %bb.2075:
	s_or_b64 exec, exec, s[8:9]
	s_and_b64 s[4:5], s[4:5], exec
	s_or_saveexec_b64 s[6:7], s[6:7]
	v_mov_b32_e32 v12, s10
	s_xor_b64 exec, exec, s[6:7]
	s_cbranch_execz .LBB4_26
.LBB4_2076:
	v_mov_b32_e32 v12, 0
	v_cmp_ne_u16_sdwa s[8:9], v6, v12 src0_sel:BYTE_3 src1_sel:DWORD
	s_andn2_b64 s[4:5], s[4:5], exec
	s_and_b64 s[8:9], s[8:9], exec
	s_or_b64 s[4:5], s[4:5], s[8:9]
	s_or_b64 exec, exec, s[6:7]
	s_and_saveexec_b64 s[6:7], s[4:5]
	s_cbranch_execnz .LBB4_27
	s_branch .LBB4_28
.LBB4_2077:
	s_movk_i32 s4, 0x80
	v_cmp_eq_u16_sdwa s[12:13], v2, s4 src0_sel:BYTE_3 src1_sel:DWORD
	s_mov_b64 s[4:5], -1
                                        ; implicit-def: $sgpr10
	s_and_saveexec_b64 s[8:9], s[12:13]
; %bb.2078:
	s_mov_b32 s10, 0x7f800001
	s_xor_b64 s[4:5], exec, -1
; %bb.2079:
	s_or_b64 exec, exec, s[8:9]
	s_and_b64 s[4:5], s[4:5], exec
	s_or_saveexec_b64 s[6:7], s[6:7]
	v_mov_b32_e32 v6, s10
	s_xor_b64 exec, exec, s[6:7]
	s_cbranch_execz .LBB4_30
.LBB4_2080:
	v_mov_b32_e32 v6, 0
	v_cmp_ne_u16_sdwa s[8:9], v2, v6 src0_sel:BYTE_3 src1_sel:DWORD
	s_andn2_b64 s[4:5], s[4:5], exec
	s_and_b64 s[8:9], s[8:9], exec
	s_or_b64 s[4:5], s[4:5], s[8:9]
	s_or_b64 exec, exec, s[6:7]
	s_and_saveexec_b64 s[6:7], s[4:5]
	s_cbranch_execnz .LBB4_31
	s_branch .LBB4_32
.LBB4_2081:
	s_movk_i32 s4, 0x80
	v_cmp_eq_u16_sdwa s[12:13], v7, s4 src0_sel:BYTE_0 src1_sel:DWORD
	s_mov_b64 s[4:5], -1
                                        ; implicit-def: $sgpr10
	s_and_saveexec_b64 s[8:9], s[12:13]
; %bb.2082:
	s_mov_b32 s10, 0x7f800001
	s_xor_b64 s[4:5], exec, -1
; %bb.2083:
	s_or_b64 exec, exec, s[8:9]
	s_and_b64 s[4:5], s[4:5], exec
	s_or_saveexec_b64 s[6:7], s[6:7]
	v_mov_b32_e32 v2, s10
	s_xor_b64 exec, exec, s[6:7]
	s_cbranch_execz .LBB4_34
.LBB4_2084:
	v_mov_b32_e32 v2, 0
	v_cmp_ne_u16_sdwa s[8:9], v7, v2 src0_sel:BYTE_0 src1_sel:DWORD
	s_andn2_b64 s[4:5], s[4:5], exec
	s_and_b64 s[8:9], s[8:9], exec
	s_or_b64 s[4:5], s[4:5], s[8:9]
	s_or_b64 exec, exec, s[6:7]
	s_and_saveexec_b64 s[6:7], s[4:5]
	s_cbranch_execnz .LBB4_35
	s_branch .LBB4_36
.LBB4_2085:
	s_movk_i32 s4, 0x80
	v_cmp_eq_u16_sdwa s[12:13], v3, s4 src0_sel:BYTE_0 src1_sel:DWORD
	s_mov_b64 s[4:5], -1
                                        ; implicit-def: $sgpr10
	s_and_saveexec_b64 s[8:9], s[12:13]
; %bb.2086:
	s_mov_b32 s10, 0x7f800001
	s_xor_b64 s[4:5], exec, -1
; %bb.2087:
	s_or_b64 exec, exec, s[8:9]
	s_and_b64 s[4:5], s[4:5], exec
	s_or_saveexec_b64 s[6:7], s[6:7]
	v_mov_b32_e32 v6, s10
	s_xor_b64 exec, exec, s[6:7]
	s_cbranch_execz .LBB4_38
.LBB4_2088:
	v_mov_b32_e32 v6, 0
	v_cmp_ne_u16_sdwa s[8:9], v3, v6 src0_sel:BYTE_0 src1_sel:DWORD
	s_andn2_b64 s[4:5], s[4:5], exec
	s_and_b64 s[8:9], s[8:9], exec
	s_or_b64 s[4:5], s[4:5], s[8:9]
	s_or_b64 exec, exec, s[6:7]
	s_and_saveexec_b64 s[6:7], s[4:5]
	s_cbranch_execnz .LBB4_39
	s_branch .LBB4_40
.LBB4_2089:
	s_movk_i32 s4, 0x80
	v_cmp_eq_u16_sdwa s[12:13], v6, s4 src0_sel:BYTE_0 src1_sel:DWORD
	s_mov_b64 s[4:5], -1
                                        ; implicit-def: $sgpr10
	s_and_saveexec_b64 s[8:9], s[12:13]
; %bb.2090:
	s_mov_b32 s10, 0x7f800001
	s_xor_b64 s[4:5], exec, -1
; %bb.2091:
	s_or_b64 exec, exec, s[8:9]
	s_and_b64 s[4:5], s[4:5], exec
	s_or_saveexec_b64 s[6:7], s[6:7]
	v_mov_b32_e32 v2, s10
	s_xor_b64 exec, exec, s[6:7]
	s_cbranch_execz .LBB4_42
.LBB4_2092:
	v_mov_b32_e32 v2, 0
	v_cmp_ne_u16_sdwa s[8:9], v6, v2 src0_sel:BYTE_0 src1_sel:DWORD
	s_andn2_b64 s[4:5], s[4:5], exec
	s_and_b64 s[8:9], s[8:9], exec
	s_or_b64 s[4:5], s[4:5], s[8:9]
	s_or_b64 exec, exec, s[6:7]
	s_and_saveexec_b64 s[6:7], s[4:5]
	s_cbranch_execnz .LBB4_43
	s_branch .LBB4_44
.LBB4_2093:
	s_movk_i32 s4, 0x80
	v_cmp_eq_u16_sdwa s[12:13], v6, s4 src0_sel:BYTE_0 src1_sel:DWORD
	s_mov_b64 s[4:5], -1
                                        ; implicit-def: $sgpr10
	s_and_saveexec_b64 s[8:9], s[12:13]
; %bb.2094:
	s_mov_b32 s10, 0x7f800001
	s_xor_b64 s[4:5], exec, -1
; %bb.2095:
	s_or_b64 exec, exec, s[8:9]
	s_and_b64 s[4:5], s[4:5], exec
	s_or_saveexec_b64 s[6:7], s[6:7]
	v_mov_b32_e32 v12, s10
	s_xor_b64 exec, exec, s[6:7]
	s_cbranch_execz .LBB4_46
.LBB4_2096:
	v_mov_b32_e32 v12, 0
	v_cmp_ne_u16_sdwa s[8:9], v6, v12 src0_sel:BYTE_0 src1_sel:DWORD
	s_andn2_b64 s[4:5], s[4:5], exec
	s_and_b64 s[8:9], s[8:9], exec
	s_or_b64 s[4:5], s[4:5], s[8:9]
	s_or_b64 exec, exec, s[6:7]
	s_and_saveexec_b64 s[6:7], s[4:5]
	s_cbranch_execnz .LBB4_47
	s_branch .LBB4_48
.LBB4_2097:
	s_movk_i32 s4, 0x80
	v_cmp_eq_u16_e32 vcc, s4, v6
	s_mov_b64 s[4:5], -1
                                        ; implicit-def: $sgpr10
	s_and_saveexec_b64 s[8:9], vcc
; %bb.2098:
	s_mov_b32 s10, 0x7f800001
	s_xor_b64 s[4:5], exec, -1
; %bb.2099:
	s_or_b64 exec, exec, s[8:9]
	s_and_b64 s[4:5], s[4:5], exec
                                        ; implicit-def: $vgpr6
	s_or_saveexec_b64 s[6:7], s[6:7]
	v_mov_b32_e32 v2, s10
	s_xor_b64 exec, exec, s[6:7]
	s_cbranch_execz .LBB4_50
.LBB4_2100:
	v_cmp_ne_u16_e32 vcc, 0, v6
	s_andn2_b64 s[4:5], s[4:5], exec
	s_and_b64 s[8:9], vcc, exec
	v_mov_b32_e32 v2, 0
	s_or_b64 s[4:5], s[4:5], s[8:9]
	s_or_b64 exec, exec, s[6:7]
	s_and_saveexec_b64 s[6:7], s[4:5]
	s_cbranch_execnz .LBB4_51
	s_branch .LBB4_52
.LBB4_2101:
	s_movk_i32 s4, 0x80
	v_cmp_eq_u16_e32 vcc, s4, v6
	s_mov_b64 s[4:5], -1
                                        ; implicit-def: $sgpr10
	s_and_saveexec_b64 s[8:9], vcc
; %bb.2102:
	s_mov_b32 s10, 0x7f800001
	s_xor_b64 s[4:5], exec, -1
; %bb.2103:
	s_or_b64 exec, exec, s[8:9]
	s_and_b64 s[4:5], s[4:5], exec
                                        ; implicit-def: $vgpr6
	s_or_saveexec_b64 s[6:7], s[6:7]
	v_mov_b32_e32 v12, s10
	s_xor_b64 exec, exec, s[6:7]
	s_cbranch_execz .LBB4_54
.LBB4_2104:
	v_cmp_ne_u16_e32 vcc, 0, v6
	s_andn2_b64 s[4:5], s[4:5], exec
	s_and_b64 s[8:9], vcc, exec
	v_mov_b32_e32 v12, 0
	s_or_b64 s[4:5], s[4:5], s[8:9]
	s_or_b64 exec, exec, s[6:7]
	s_and_saveexec_b64 s[6:7], s[4:5]
	s_cbranch_execnz .LBB4_55
	s_branch .LBB4_56
.LBB4_2105:
	s_movk_i32 s4, 0x80
	v_cmp_eq_u16_sdwa s[12:13], v7, s4 src0_sel:BYTE_3 src1_sel:DWORD
	s_mov_b64 s[4:5], -1
                                        ; implicit-def: $sgpr10
	s_and_saveexec_b64 s[8:9], s[12:13]
; %bb.2106:
	s_mov_b32 s10, 0x7f800001
	s_xor_b64 s[4:5], exec, -1
; %bb.2107:
	s_or_b64 exec, exec, s[8:9]
	s_and_b64 s[4:5], s[4:5], exec
	s_or_saveexec_b64 s[6:7], s[6:7]
	v_mov_b32_e32 v2, s10
	s_xor_b64 exec, exec, s[6:7]
	s_cbranch_execz .LBB4_58
.LBB4_2108:
	v_mov_b32_e32 v2, 0
	v_cmp_ne_u16_sdwa s[8:9], v7, v2 src0_sel:BYTE_3 src1_sel:DWORD
	s_andn2_b64 s[4:5], s[4:5], exec
	s_and_b64 s[8:9], s[8:9], exec
	s_or_b64 s[4:5], s[4:5], s[8:9]
	s_or_b64 exec, exec, s[6:7]
	s_and_saveexec_b64 s[6:7], s[4:5]
	s_cbranch_execnz .LBB4_59
	s_branch .LBB4_60
.LBB4_2109:
	s_movk_i32 s4, 0x80
	v_cmp_eq_u16_sdwa s[12:13], v3, s4 src0_sel:BYTE_3 src1_sel:DWORD
	s_mov_b64 s[4:5], -1
                                        ; implicit-def: $sgpr10
	s_and_saveexec_b64 s[8:9], s[12:13]
; %bb.2110:
	s_mov_b32 s10, 0x7f800001
	s_xor_b64 s[4:5], exec, -1
; %bb.2111:
	s_or_b64 exec, exec, s[8:9]
	s_and_b64 s[4:5], s[4:5], exec
	s_or_saveexec_b64 s[6:7], s[6:7]
	v_mov_b32_e32 v6, s10
	s_xor_b64 exec, exec, s[6:7]
	s_cbranch_execz .LBB4_62
.LBB4_2112:
	v_mov_b32_e32 v6, 0
	v_cmp_ne_u16_sdwa s[8:9], v3, v6 src0_sel:BYTE_3 src1_sel:DWORD
	s_andn2_b64 s[4:5], s[4:5], exec
	s_and_b64 s[8:9], s[8:9], exec
	s_or_b64 s[4:5], s[4:5], s[8:9]
	s_or_b64 exec, exec, s[6:7]
	s_and_saveexec_b64 s[6:7], s[4:5]
	s_cbranch_execnz .LBB4_63
	s_branch .LBB4_64
.LBB4_2113:
	s_movk_i32 s4, 0x80
	v_cmp_eq_u16_sdwa s[12:13], v8, s4 src0_sel:BYTE_0 src1_sel:DWORD
	s_mov_b64 s[4:5], -1
                                        ; implicit-def: $sgpr10
	s_and_saveexec_b64 s[8:9], s[12:13]
; %bb.2114:
	s_mov_b32 s10, 0x7f800001
	s_xor_b64 s[4:5], exec, -1
; %bb.2115:
	s_or_b64 exec, exec, s[8:9]
	s_and_b64 s[4:5], s[4:5], exec
	s_or_saveexec_b64 s[6:7], s[6:7]
	v_mov_b32_e32 v2, s10
	s_xor_b64 exec, exec, s[6:7]
	s_cbranch_execz .LBB4_66
.LBB4_2116:
	v_mov_b32_e32 v2, 0
	v_cmp_ne_u16_sdwa s[8:9], v8, v2 src0_sel:BYTE_0 src1_sel:DWORD
	s_andn2_b64 s[4:5], s[4:5], exec
	s_and_b64 s[8:9], s[8:9], exec
	s_or_b64 s[4:5], s[4:5], s[8:9]
	s_or_b64 exec, exec, s[6:7]
	s_and_saveexec_b64 s[6:7], s[4:5]
	s_cbranch_execnz .LBB4_67
	s_branch .LBB4_68
.LBB4_2117:
	s_movk_i32 s4, 0x80
	v_cmp_eq_u16_sdwa s[12:13], v4, s4 src0_sel:BYTE_0 src1_sel:DWORD
	s_mov_b64 s[4:5], -1
                                        ; implicit-def: $sgpr10
	s_and_saveexec_b64 s[8:9], s[12:13]
; %bb.2118:
	s_mov_b32 s10, 0x7f800001
	s_xor_b64 s[4:5], exec, -1
; %bb.2119:
	s_or_b64 exec, exec, s[8:9]
	s_and_b64 s[4:5], s[4:5], exec
	s_or_saveexec_b64 s[6:7], s[6:7]
	v_mov_b32_e32 v3, s10
	s_xor_b64 exec, exec, s[6:7]
	s_cbranch_execz .LBB4_70
.LBB4_2120:
	v_mov_b32_e32 v3, 0
	v_cmp_ne_u16_sdwa s[8:9], v4, v3 src0_sel:BYTE_0 src1_sel:DWORD
	s_andn2_b64 s[4:5], s[4:5], exec
	s_and_b64 s[8:9], s[8:9], exec
	s_or_b64 s[4:5], s[4:5], s[8:9]
	s_or_b64 exec, exec, s[6:7]
	s_and_saveexec_b64 s[6:7], s[4:5]
	s_cbranch_execnz .LBB4_71
	s_branch .LBB4_72
.LBB4_2121:
	s_movk_i32 s4, 0x80
	v_cmp_eq_u16_sdwa s[12:13], v3, s4 src0_sel:BYTE_0 src1_sel:DWORD
	s_mov_b64 s[4:5], -1
                                        ; implicit-def: $sgpr10
	s_and_saveexec_b64 s[8:9], s[12:13]
; %bb.2122:
	s_mov_b32 s10, 0x7f800001
	s_xor_b64 s[4:5], exec, -1
; %bb.2123:
	s_or_b64 exec, exec, s[8:9]
	s_and_b64 s[4:5], s[4:5], exec
	s_or_saveexec_b64 s[6:7], s[6:7]
	v_mov_b32_e32 v2, s10
	s_xor_b64 exec, exec, s[6:7]
	s_cbranch_execz .LBB4_74
.LBB4_2124:
	v_mov_b32_e32 v2, 0
	v_cmp_ne_u16_sdwa s[8:9], v3, v2 src0_sel:BYTE_0 src1_sel:DWORD
	s_andn2_b64 s[4:5], s[4:5], exec
	s_and_b64 s[8:9], s[8:9], exec
	s_or_b64 s[4:5], s[4:5], s[8:9]
	s_or_b64 exec, exec, s[6:7]
	s_and_saveexec_b64 s[6:7], s[4:5]
	s_cbranch_execnz .LBB4_75
	s_branch .LBB4_76
.LBB4_2125:
	s_movk_i32 s4, 0x80
	v_cmp_eq_u16_sdwa s[12:13], v3, s4 src0_sel:BYTE_0 src1_sel:DWORD
	s_mov_b64 s[4:5], -1
                                        ; implicit-def: $sgpr10
	s_and_saveexec_b64 s[8:9], s[12:13]
; %bb.2126:
	s_mov_b32 s10, 0x7f800001
	s_xor_b64 s[4:5], exec, -1
; %bb.2127:
	s_or_b64 exec, exec, s[8:9]
	s_and_b64 s[4:5], s[4:5], exec
	s_or_saveexec_b64 s[6:7], s[6:7]
	v_mov_b32_e32 v6, s10
	s_xor_b64 exec, exec, s[6:7]
	s_cbranch_execz .LBB4_78
.LBB4_2128:
	v_mov_b32_e32 v6, 0
	v_cmp_ne_u16_sdwa s[8:9], v3, v6 src0_sel:BYTE_0 src1_sel:DWORD
	s_andn2_b64 s[4:5], s[4:5], exec
	s_and_b64 s[8:9], s[8:9], exec
	s_or_b64 s[4:5], s[4:5], s[8:9]
	s_or_b64 exec, exec, s[6:7]
	s_and_saveexec_b64 s[6:7], s[4:5]
	s_cbranch_execnz .LBB4_79
	s_branch .LBB4_80
.LBB4_2129:
	s_movk_i32 s4, 0x80
	v_cmp_eq_u16_e32 vcc, s4, v3
	s_mov_b64 s[4:5], -1
                                        ; implicit-def: $sgpr10
	s_and_saveexec_b64 s[8:9], vcc
; %bb.2130:
	s_mov_b32 s10, 0x7f800001
	s_xor_b64 s[4:5], exec, -1
; %bb.2131:
	s_or_b64 exec, exec, s[8:9]
	s_and_b64 s[4:5], s[4:5], exec
                                        ; implicit-def: $vgpr3
	s_or_saveexec_b64 s[6:7], s[6:7]
	v_mov_b32_e32 v2, s10
	s_xor_b64 exec, exec, s[6:7]
	s_cbranch_execz .LBB4_82
.LBB4_2132:
	v_cmp_ne_u16_e32 vcc, 0, v3
	s_andn2_b64 s[4:5], s[4:5], exec
	s_and_b64 s[8:9], vcc, exec
	v_mov_b32_e32 v2, 0
	s_or_b64 s[4:5], s[4:5], s[8:9]
	s_or_b64 exec, exec, s[6:7]
	s_and_saveexec_b64 s[6:7], s[4:5]
	s_cbranch_execnz .LBB4_83
	s_branch .LBB4_84
.LBB4_2133:
	s_movk_i32 s4, 0x80
	v_cmp_eq_u16_e32 vcc, s4, v3
	s_mov_b64 s[4:5], -1
                                        ; implicit-def: $sgpr10
	s_and_saveexec_b64 s[8:9], vcc
; %bb.2134:
	s_mov_b32 s10, 0x7f800001
	s_xor_b64 s[4:5], exec, -1
; %bb.2135:
	s_or_b64 exec, exec, s[8:9]
	s_and_b64 s[4:5], s[4:5], exec
                                        ; implicit-def: $vgpr3
	s_or_saveexec_b64 s[6:7], s[6:7]
	v_mov_b32_e32 v6, s10
	s_xor_b64 exec, exec, s[6:7]
	s_cbranch_execz .LBB4_86
.LBB4_2136:
	v_cmp_ne_u16_e32 vcc, 0, v3
	s_andn2_b64 s[4:5], s[4:5], exec
	s_and_b64 s[8:9], vcc, exec
	v_mov_b32_e32 v6, 0
	s_or_b64 s[4:5], s[4:5], s[8:9]
	s_or_b64 exec, exec, s[6:7]
	s_and_saveexec_b64 s[6:7], s[4:5]
	s_cbranch_execnz .LBB4_87
	s_branch .LBB4_88
.LBB4_2137:
	s_movk_i32 s4, 0x80
	v_cmp_eq_u16_sdwa s[12:13], v8, s4 src0_sel:BYTE_3 src1_sel:DWORD
	s_mov_b64 s[4:5], -1
                                        ; implicit-def: $sgpr10
	s_and_saveexec_b64 s[8:9], s[12:13]
; %bb.2138:
	s_mov_b32 s10, 0x7f800001
	s_xor_b64 s[4:5], exec, -1
; %bb.2139:
	s_or_b64 exec, exec, s[8:9]
	s_and_b64 s[4:5], s[4:5], exec
	s_or_saveexec_b64 s[6:7], s[6:7]
	v_mov_b32_e32 v2, s10
	s_xor_b64 exec, exec, s[6:7]
	s_cbranch_execz .LBB4_90
.LBB4_2140:
	v_mov_b32_e32 v2, 0
	v_cmp_ne_u16_sdwa s[8:9], v8, v2 src0_sel:BYTE_3 src1_sel:DWORD
	s_andn2_b64 s[4:5], s[4:5], exec
	s_and_b64 s[8:9], s[8:9], exec
	s_or_b64 s[4:5], s[4:5], s[8:9]
	s_or_b64 exec, exec, s[6:7]
	s_and_saveexec_b64 s[6:7], s[4:5]
	s_cbranch_execnz .LBB4_91
	s_branch .LBB4_92
.LBB4_2141:
	s_movk_i32 s4, 0x80
	v_cmp_eq_u16_sdwa s[12:13], v4, s4 src0_sel:BYTE_3 src1_sel:DWORD
	s_mov_b64 s[4:5], -1
                                        ; implicit-def: $sgpr10
	s_and_saveexec_b64 s[8:9], s[12:13]
; %bb.2142:
	s_mov_b32 s10, 0x7f800001
	s_xor_b64 s[4:5], exec, -1
; %bb.2143:
	s_or_b64 exec, exec, s[8:9]
	s_and_b64 s[4:5], s[4:5], exec
	s_or_saveexec_b64 s[6:7], s[6:7]
	v_mov_b32_e32 v3, s10
	s_xor_b64 exec, exec, s[6:7]
	s_cbranch_execz .LBB4_94
.LBB4_2144:
	v_mov_b32_e32 v3, 0
	v_cmp_ne_u16_sdwa s[8:9], v4, v3 src0_sel:BYTE_3 src1_sel:DWORD
	s_andn2_b64 s[4:5], s[4:5], exec
	s_and_b64 s[8:9], s[8:9], exec
	s_or_b64 s[4:5], s[4:5], s[8:9]
	s_or_b64 exec, exec, s[6:7]
	s_and_saveexec_b64 s[6:7], s[4:5]
	s_cbranch_execnz .LBB4_95
	s_branch .LBB4_96
.LBB4_2145:
	s_movk_i32 s4, 0x80
	v_cmp_eq_u16_sdwa s[12:13], v9, s4 src0_sel:BYTE_0 src1_sel:DWORD
	s_mov_b64 s[4:5], -1
                                        ; implicit-def: $sgpr10
	s_and_saveexec_b64 s[8:9], s[12:13]
; %bb.2146:
	s_mov_b32 s10, 0x7f800001
	s_xor_b64 s[4:5], exec, -1
; %bb.2147:
	s_or_b64 exec, exec, s[8:9]
	s_and_b64 s[4:5], s[4:5], exec
	s_or_saveexec_b64 s[6:7], s[6:7]
	v_mov_b32_e32 v2, s10
	s_xor_b64 exec, exec, s[6:7]
	s_cbranch_execz .LBB4_98
.LBB4_2148:
	v_mov_b32_e32 v2, 0
	v_cmp_ne_u16_sdwa s[8:9], v9, v2 src0_sel:BYTE_0 src1_sel:DWORD
	s_andn2_b64 s[4:5], s[4:5], exec
	s_and_b64 s[8:9], s[8:9], exec
	s_or_b64 s[4:5], s[4:5], s[8:9]
	s_or_b64 exec, exec, s[6:7]
	s_and_saveexec_b64 s[6:7], s[4:5]
	s_cbranch_execnz .LBB4_99
	s_branch .LBB4_100
.LBB4_2149:
	s_movk_i32 s4, 0x80
	v_cmp_eq_u16_sdwa s[12:13], v5, s4 src0_sel:BYTE_0 src1_sel:DWORD
	s_mov_b64 s[4:5], -1
                                        ; implicit-def: $sgpr10
	s_and_saveexec_b64 s[8:9], s[12:13]
; %bb.2150:
	s_mov_b32 s10, 0x7f800001
	s_xor_b64 s[4:5], exec, -1
; %bb.2151:
	s_or_b64 exec, exec, s[8:9]
	s_and_b64 s[4:5], s[4:5], exec
	s_or_saveexec_b64 s[6:7], s[6:7]
	v_mov_b32_e32 v3, s10
	s_xor_b64 exec, exec, s[6:7]
	s_cbranch_execz .LBB4_102
.LBB4_2152:
	v_mov_b32_e32 v3, 0
	v_cmp_ne_u16_sdwa s[8:9], v5, v3 src0_sel:BYTE_0 src1_sel:DWORD
	s_andn2_b64 s[4:5], s[4:5], exec
	s_and_b64 s[8:9], s[8:9], exec
	s_or_b64 s[4:5], s[4:5], s[8:9]
	s_or_b64 exec, exec, s[6:7]
	s_and_saveexec_b64 s[6:7], s[4:5]
	s_cbranch_execnz .LBB4_103
	s_branch .LBB4_104
.LBB4_2153:
	s_movk_i32 s4, 0x80
	v_cmp_eq_u16_sdwa s[12:13], v3, s4 src0_sel:BYTE_0 src1_sel:DWORD
	s_mov_b64 s[4:5], -1
                                        ; implicit-def: $sgpr10
	s_and_saveexec_b64 s[8:9], s[12:13]
; %bb.2154:
	s_mov_b32 s10, 0x7f800001
	s_xor_b64 s[4:5], exec, -1
; %bb.2155:
	s_or_b64 exec, exec, s[8:9]
	s_and_b64 s[4:5], s[4:5], exec
	s_or_saveexec_b64 s[6:7], s[6:7]
	v_mov_b32_e32 v2, s10
	s_xor_b64 exec, exec, s[6:7]
	s_cbranch_execz .LBB4_106
.LBB4_2156:
	v_mov_b32_e32 v2, 0
	v_cmp_ne_u16_sdwa s[8:9], v3, v2 src0_sel:BYTE_0 src1_sel:DWORD
	s_andn2_b64 s[4:5], s[4:5], exec
	s_and_b64 s[8:9], s[8:9], exec
	s_or_b64 s[4:5], s[4:5], s[8:9]
	s_or_b64 exec, exec, s[6:7]
	s_and_saveexec_b64 s[6:7], s[4:5]
	s_cbranch_execnz .LBB4_107
	s_branch .LBB4_108
.LBB4_2157:
	s_movk_i32 s4, 0x80
	v_cmp_eq_u16_sdwa s[12:13], v3, s4 src0_sel:BYTE_0 src1_sel:DWORD
	s_mov_b64 s[4:5], -1
                                        ; implicit-def: $sgpr10
	s_and_saveexec_b64 s[8:9], s[12:13]
; %bb.2158:
	s_mov_b32 s10, 0x7f800001
	s_xor_b64 s[4:5], exec, -1
; %bb.2159:
	s_or_b64 exec, exec, s[8:9]
	s_and_b64 s[4:5], s[4:5], exec
	s_or_saveexec_b64 s[6:7], s[6:7]
	v_mov_b32_e32 v4, s10
	s_xor_b64 exec, exec, s[6:7]
	s_cbranch_execz .LBB4_110
.LBB4_2160:
	v_mov_b32_e32 v4, 0
	v_cmp_ne_u16_sdwa s[8:9], v3, v4 src0_sel:BYTE_0 src1_sel:DWORD
	s_andn2_b64 s[4:5], s[4:5], exec
	s_and_b64 s[8:9], s[8:9], exec
	s_or_b64 s[4:5], s[4:5], s[8:9]
	s_or_b64 exec, exec, s[6:7]
	s_and_saveexec_b64 s[6:7], s[4:5]
	s_cbranch_execnz .LBB4_111
	s_branch .LBB4_112
.LBB4_2161:
	s_movk_i32 s4, 0x80
	v_cmp_eq_u16_e32 vcc, s4, v3
	s_mov_b64 s[4:5], -1
                                        ; implicit-def: $sgpr10
	s_and_saveexec_b64 s[8:9], vcc
; %bb.2162:
	s_mov_b32 s10, 0x7f800001
	s_xor_b64 s[4:5], exec, -1
; %bb.2163:
	s_or_b64 exec, exec, s[8:9]
	s_and_b64 s[4:5], s[4:5], exec
                                        ; implicit-def: $vgpr3
	s_or_saveexec_b64 s[6:7], s[6:7]
	v_mov_b32_e32 v2, s10
	s_xor_b64 exec, exec, s[6:7]
	s_cbranch_execz .LBB4_114
.LBB4_2164:
	v_cmp_ne_u16_e32 vcc, 0, v3
	s_andn2_b64 s[4:5], s[4:5], exec
	s_and_b64 s[8:9], vcc, exec
	v_mov_b32_e32 v2, 0
	s_or_b64 s[4:5], s[4:5], s[8:9]
	s_or_b64 exec, exec, s[6:7]
	s_and_saveexec_b64 s[6:7], s[4:5]
	s_cbranch_execnz .LBB4_115
	s_branch .LBB4_116
.LBB4_2165:
	s_movk_i32 s4, 0x80
	v_cmp_eq_u16_e32 vcc, s4, v3
	s_mov_b64 s[4:5], -1
                                        ; implicit-def: $sgpr10
	s_and_saveexec_b64 s[8:9], vcc
; %bb.2166:
	s_mov_b32 s10, 0x7f800001
	s_xor_b64 s[4:5], exec, -1
; %bb.2167:
	s_or_b64 exec, exec, s[8:9]
	s_and_b64 s[4:5], s[4:5], exec
                                        ; implicit-def: $vgpr3
	s_or_saveexec_b64 s[6:7], s[6:7]
	v_mov_b32_e32 v4, s10
	s_xor_b64 exec, exec, s[6:7]
	s_cbranch_execz .LBB4_118
.LBB4_2168:
	v_cmp_ne_u16_e32 vcc, 0, v3
	s_andn2_b64 s[4:5], s[4:5], exec
	s_and_b64 s[8:9], vcc, exec
	v_mov_b32_e32 v4, 0
	s_or_b64 s[4:5], s[4:5], s[8:9]
	s_or_b64 exec, exec, s[6:7]
	s_and_saveexec_b64 s[6:7], s[4:5]
	s_cbranch_execnz .LBB4_119
	s_branch .LBB4_120
.LBB4_2169:
	s_movk_i32 s4, 0x80
	v_cmp_eq_u16_sdwa s[12:13], v9, s4 src0_sel:BYTE_3 src1_sel:DWORD
	s_mov_b64 s[4:5], -1
                                        ; implicit-def: $sgpr10
	s_and_saveexec_b64 s[8:9], s[12:13]
; %bb.2170:
	s_mov_b32 s10, 0x7f800001
	s_xor_b64 s[4:5], exec, -1
; %bb.2171:
	s_or_b64 exec, exec, s[8:9]
	s_and_b64 s[4:5], s[4:5], exec
	s_or_saveexec_b64 s[6:7], s[6:7]
	v_mov_b32_e32 v2, s10
	s_xor_b64 exec, exec, s[6:7]
	s_cbranch_execz .LBB4_122
.LBB4_2172:
	v_mov_b32_e32 v2, 0
	v_cmp_ne_u16_sdwa s[8:9], v9, v2 src0_sel:BYTE_3 src1_sel:DWORD
	s_andn2_b64 s[4:5], s[4:5], exec
	s_and_b64 s[8:9], s[8:9], exec
	s_or_b64 s[4:5], s[4:5], s[8:9]
	s_or_b64 exec, exec, s[6:7]
	s_and_saveexec_b64 s[6:7], s[4:5]
	s_cbranch_execnz .LBB4_123
	s_branch .LBB4_124
.LBB4_2173:
	s_movk_i32 s4, 0x80
	v_cmp_eq_u16_sdwa s[12:13], v5, s4 src0_sel:BYTE_3 src1_sel:DWORD
	s_mov_b64 s[4:5], -1
                                        ; implicit-def: $sgpr10
	s_and_saveexec_b64 s[8:9], s[12:13]
; %bb.2174:
	s_mov_b32 s10, 0x7f800001
	s_xor_b64 s[4:5], exec, -1
; %bb.2175:
	s_or_b64 exec, exec, s[8:9]
	s_and_b64 s[4:5], s[4:5], exec
	s_or_saveexec_b64 s[6:7], s[6:7]
	v_mov_b32_e32 v3, s10
	s_xor_b64 exec, exec, s[6:7]
	s_cbranch_execz .LBB4_126
.LBB4_2176:
	v_mov_b32_e32 v3, 0
	v_cmp_ne_u16_sdwa s[8:9], v5, v3 src0_sel:BYTE_3 src1_sel:DWORD
	s_andn2_b64 s[4:5], s[4:5], exec
	s_and_b64 s[8:9], s[8:9], exec
	s_or_b64 s[4:5], s[4:5], s[8:9]
	s_or_b64 exec, exec, s[6:7]
	s_and_saveexec_b64 s[6:7], s[4:5]
	s_cbranch_execnz .LBB4_127
	s_branch .LBB4_128
.LBB4_2177:
	s_movk_i32 s4, 0x80
	v_cmp_eq_u16_sdwa s[12:13], v6, s4 src0_sel:BYTE_0 src1_sel:DWORD
	s_mov_b64 s[4:5], -1
                                        ; implicit-def: $sgpr10
	s_and_saveexec_b64 s[8:9], s[12:13]
; %bb.2178:
	s_mov_b32 s10, 0x7f800001
	s_xor_b64 s[4:5], exec, -1
; %bb.2179:
	s_or_b64 exec, exec, s[8:9]
	s_and_b64 s[4:5], s[4:5], exec
	s_or_saveexec_b64 s[6:7], s[6:7]
	v_mov_b32_e32 v12, s10
	s_xor_b64 exec, exec, s[6:7]
	s_cbranch_execz .LBB4_130
.LBB4_2180:
	v_mov_b32_e32 v12, 0
	v_cmp_ne_u16_sdwa s[8:9], v6, v12 src0_sel:BYTE_0 src1_sel:DWORD
	s_andn2_b64 s[4:5], s[4:5], exec
	s_and_b64 s[8:9], s[8:9], exec
	s_or_b64 s[4:5], s[4:5], s[8:9]
	s_or_b64 exec, exec, s[6:7]
	s_and_saveexec_b64 s[6:7], s[4:5]
	s_cbranch_execnz .LBB4_131
	s_branch .LBB4_132
.LBB4_2181:
	s_movk_i32 s4, 0x80
	v_cmp_eq_u16_sdwa s[12:13], v2, s4 src0_sel:BYTE_0 src1_sel:DWORD
	s_mov_b64 s[4:5], -1
                                        ; implicit-def: $sgpr10
	s_and_saveexec_b64 s[8:9], s[12:13]
; %bb.2182:
	s_mov_b32 s10, 0x7f800001
	s_xor_b64 s[4:5], exec, -1
; %bb.2183:
	s_or_b64 exec, exec, s[8:9]
	s_and_b64 s[4:5], s[4:5], exec
	s_or_saveexec_b64 s[6:7], s[6:7]
	v_mov_b32_e32 v13, s10
	s_xor_b64 exec, exec, s[6:7]
	s_cbranch_execz .LBB4_134
.LBB4_2184:
	v_mov_b32_e32 v13, 0
	v_cmp_ne_u16_sdwa s[8:9], v2, v13 src0_sel:BYTE_0 src1_sel:DWORD
	s_andn2_b64 s[4:5], s[4:5], exec
	s_and_b64 s[8:9], s[8:9], exec
	s_or_b64 s[4:5], s[4:5], s[8:9]
	s_or_b64 exec, exec, s[6:7]
	s_and_saveexec_b64 s[6:7], s[4:5]
	s_cbranch_execnz .LBB4_135
	s_branch .LBB4_136
.LBB4_2185:
	s_movk_i32 s4, 0x80
	v_cmp_eq_u16_sdwa s[12:13], v13, s4 src0_sel:BYTE_0 src1_sel:DWORD
	s_mov_b64 s[4:5], -1
                                        ; implicit-def: $sgpr10
	s_and_saveexec_b64 s[8:9], s[12:13]
; %bb.2186:
	s_mov_b32 s10, 0x7f800001
	s_xor_b64 s[4:5], exec, -1
; %bb.2187:
	s_or_b64 exec, exec, s[8:9]
	s_and_b64 s[4:5], s[4:5], exec
	s_or_saveexec_b64 s[6:7], s[6:7]
	v_mov_b32_e32 v12, s10
	s_xor_b64 exec, exec, s[6:7]
	s_cbranch_execz .LBB4_138
.LBB4_2188:
	v_mov_b32_e32 v12, 0
	v_cmp_ne_u16_sdwa s[8:9], v13, v12 src0_sel:BYTE_0 src1_sel:DWORD
	s_andn2_b64 s[4:5], s[4:5], exec
	s_and_b64 s[8:9], s[8:9], exec
	s_or_b64 s[4:5], s[4:5], s[8:9]
	s_or_b64 exec, exec, s[6:7]
	s_and_saveexec_b64 s[6:7], s[4:5]
	s_cbranch_execnz .LBB4_139
	s_branch .LBB4_140
.LBB4_2189:
	s_movk_i32 s4, 0x80
	v_cmp_eq_u16_sdwa s[12:13], v13, s4 src0_sel:BYTE_0 src1_sel:DWORD
	s_mov_b64 s[4:5], -1
                                        ; implicit-def: $sgpr10
	s_and_saveexec_b64 s[8:9], s[12:13]
; %bb.2190:
	s_mov_b32 s10, 0x7f800001
	s_xor_b64 s[4:5], exec, -1
; %bb.2191:
	s_or_b64 exec, exec, s[8:9]
	s_and_b64 s[4:5], s[4:5], exec
	s_or_saveexec_b64 s[6:7], s[6:7]
	v_mov_b32_e32 v14, s10
	s_xor_b64 exec, exec, s[6:7]
	s_cbranch_execz .LBB4_142
.LBB4_2192:
	v_mov_b32_e32 v14, 0
	v_cmp_ne_u16_sdwa s[8:9], v13, v14 src0_sel:BYTE_0 src1_sel:DWORD
	s_andn2_b64 s[4:5], s[4:5], exec
	s_and_b64 s[8:9], s[8:9], exec
	s_or_b64 s[4:5], s[4:5], s[8:9]
	s_or_b64 exec, exec, s[6:7]
	s_and_saveexec_b64 s[6:7], s[4:5]
	s_cbranch_execnz .LBB4_143
	s_branch .LBB4_144
.LBB4_2193:
	s_movk_i32 s4, 0x80
	v_cmp_eq_u16_e32 vcc, s4, v13
	s_mov_b64 s[4:5], -1
                                        ; implicit-def: $sgpr10
	s_and_saveexec_b64 s[8:9], vcc
; %bb.2194:
	s_mov_b32 s10, 0x7f800001
	s_xor_b64 s[4:5], exec, -1
; %bb.2195:
	s_or_b64 exec, exec, s[8:9]
	s_and_b64 s[4:5], s[4:5], exec
                                        ; implicit-def: $vgpr13
	s_or_saveexec_b64 s[6:7], s[6:7]
	v_mov_b32_e32 v12, s10
	s_xor_b64 exec, exec, s[6:7]
	s_cbranch_execz .LBB4_146
.LBB4_2196:
	v_cmp_ne_u16_e32 vcc, 0, v13
	s_andn2_b64 s[4:5], s[4:5], exec
	s_and_b64 s[8:9], vcc, exec
	v_mov_b32_e32 v12, 0
	s_or_b64 s[4:5], s[4:5], s[8:9]
	s_or_b64 exec, exec, s[6:7]
	s_and_saveexec_b64 s[6:7], s[4:5]
	s_cbranch_execnz .LBB4_147
	s_branch .LBB4_148
.LBB4_2197:
	s_movk_i32 s4, 0x80
	v_cmp_eq_u16_e32 vcc, s4, v13
	s_mov_b64 s[4:5], -1
                                        ; implicit-def: $sgpr10
	s_and_saveexec_b64 s[8:9], vcc
; %bb.2198:
	s_mov_b32 s10, 0x7f800001
	s_xor_b64 s[4:5], exec, -1
; %bb.2199:
	s_or_b64 exec, exec, s[8:9]
	s_and_b64 s[4:5], s[4:5], exec
                                        ; implicit-def: $vgpr13
	s_or_saveexec_b64 s[6:7], s[6:7]
	v_mov_b32_e32 v14, s10
	s_xor_b64 exec, exec, s[6:7]
	s_cbranch_execz .LBB4_150
.LBB4_2200:
	v_cmp_ne_u16_e32 vcc, 0, v13
	s_andn2_b64 s[4:5], s[4:5], exec
	s_and_b64 s[8:9], vcc, exec
	v_mov_b32_e32 v14, 0
	s_or_b64 s[4:5], s[4:5], s[8:9]
	s_or_b64 exec, exec, s[6:7]
	s_and_saveexec_b64 s[6:7], s[4:5]
	s_cbranch_execnz .LBB4_151
	s_branch .LBB4_152
.LBB4_2201:
	s_movk_i32 s4, 0x80
	v_cmp_eq_u16_sdwa s[12:13], v6, s4 src0_sel:BYTE_3 src1_sel:DWORD
	s_mov_b64 s[4:5], -1
                                        ; implicit-def: $sgpr10
	s_and_saveexec_b64 s[8:9], s[12:13]
; %bb.2202:
	s_mov_b32 s10, 0x7f800001
	s_xor_b64 s[4:5], exec, -1
; %bb.2203:
	s_or_b64 exec, exec, s[8:9]
	s_and_b64 s[4:5], s[4:5], exec
	s_or_saveexec_b64 s[6:7], s[6:7]
	v_mov_b32_e32 v12, s10
	s_xor_b64 exec, exec, s[6:7]
	s_cbranch_execz .LBB4_154
.LBB4_2204:
	v_mov_b32_e32 v12, 0
	v_cmp_ne_u16_sdwa s[8:9], v6, v12 src0_sel:BYTE_3 src1_sel:DWORD
	s_andn2_b64 s[4:5], s[4:5], exec
	s_and_b64 s[8:9], s[8:9], exec
	s_or_b64 s[4:5], s[4:5], s[8:9]
	s_or_b64 exec, exec, s[6:7]
	s_and_saveexec_b64 s[6:7], s[4:5]
	s_cbranch_execnz .LBB4_155
	s_branch .LBB4_156
.LBB4_2205:
	s_movk_i32 s4, 0x80
	v_cmp_eq_u16_sdwa s[12:13], v2, s4 src0_sel:BYTE_3 src1_sel:DWORD
	s_mov_b64 s[4:5], -1
                                        ; implicit-def: $sgpr10
	s_and_saveexec_b64 s[8:9], s[12:13]
; %bb.2206:
	s_mov_b32 s10, 0x7f800001
	s_xor_b64 s[4:5], exec, -1
; %bb.2207:
	s_or_b64 exec, exec, s[8:9]
	s_and_b64 s[4:5], s[4:5], exec
	s_or_saveexec_b64 s[6:7], s[6:7]
	v_mov_b32_e32 v6, s10
	s_xor_b64 exec, exec, s[6:7]
	s_cbranch_execz .LBB4_158
.LBB4_2208:
	v_mov_b32_e32 v6, 0
	v_cmp_ne_u16_sdwa s[8:9], v2, v6 src0_sel:BYTE_3 src1_sel:DWORD
	s_andn2_b64 s[4:5], s[4:5], exec
	s_and_b64 s[8:9], s[8:9], exec
	s_or_b64 s[4:5], s[4:5], s[8:9]
	s_or_b64 exec, exec, s[6:7]
	s_and_saveexec_b64 s[6:7], s[4:5]
	s_cbranch_execnz .LBB4_159
	s_branch .LBB4_160
.LBB4_2209:
	s_movk_i32 s4, 0x80
	v_cmp_eq_u16_sdwa s[12:13], v7, s4 src0_sel:BYTE_0 src1_sel:DWORD
	s_mov_b64 s[4:5], -1
                                        ; implicit-def: $sgpr10
	s_and_saveexec_b64 s[8:9], s[12:13]
; %bb.2210:
	s_mov_b32 s10, 0x7f800001
	s_xor_b64 s[4:5], exec, -1
; %bb.2211:
	s_or_b64 exec, exec, s[8:9]
	s_and_b64 s[4:5], s[4:5], exec
	s_or_saveexec_b64 s[6:7], s[6:7]
	v_mov_b32_e32 v2, s10
	s_xor_b64 exec, exec, s[6:7]
	s_cbranch_execz .LBB4_162
.LBB4_2212:
	v_mov_b32_e32 v2, 0
	v_cmp_ne_u16_sdwa s[8:9], v7, v2 src0_sel:BYTE_0 src1_sel:DWORD
	s_andn2_b64 s[4:5], s[4:5], exec
	s_and_b64 s[8:9], s[8:9], exec
	s_or_b64 s[4:5], s[4:5], s[8:9]
	s_or_b64 exec, exec, s[6:7]
	s_and_saveexec_b64 s[6:7], s[4:5]
	s_cbranch_execnz .LBB4_163
	s_branch .LBB4_164
.LBB4_2213:
	s_movk_i32 s4, 0x80
	v_cmp_eq_u16_sdwa s[12:13], v3, s4 src0_sel:BYTE_0 src1_sel:DWORD
	s_mov_b64 s[4:5], -1
                                        ; implicit-def: $sgpr10
	s_and_saveexec_b64 s[8:9], s[12:13]
; %bb.2214:
	s_mov_b32 s10, 0x7f800001
	s_xor_b64 s[4:5], exec, -1
; %bb.2215:
	s_or_b64 exec, exec, s[8:9]
	s_and_b64 s[4:5], s[4:5], exec
	s_or_saveexec_b64 s[6:7], s[6:7]
	v_mov_b32_e32 v6, s10
	s_xor_b64 exec, exec, s[6:7]
	s_cbranch_execz .LBB4_166
.LBB4_2216:
	v_mov_b32_e32 v6, 0
	v_cmp_ne_u16_sdwa s[8:9], v3, v6 src0_sel:BYTE_0 src1_sel:DWORD
	s_andn2_b64 s[4:5], s[4:5], exec
	s_and_b64 s[8:9], s[8:9], exec
	s_or_b64 s[4:5], s[4:5], s[8:9]
	s_or_b64 exec, exec, s[6:7]
	s_and_saveexec_b64 s[6:7], s[4:5]
	s_cbranch_execnz .LBB4_167
	s_branch .LBB4_168
.LBB4_2217:
	s_movk_i32 s4, 0x80
	v_cmp_eq_u16_sdwa s[12:13], v6, s4 src0_sel:BYTE_0 src1_sel:DWORD
	s_mov_b64 s[4:5], -1
                                        ; implicit-def: $sgpr10
	s_and_saveexec_b64 s[8:9], s[12:13]
; %bb.2218:
	s_mov_b32 s10, 0x7f800001
	s_xor_b64 s[4:5], exec, -1
; %bb.2219:
	s_or_b64 exec, exec, s[8:9]
	s_and_b64 s[4:5], s[4:5], exec
	s_or_saveexec_b64 s[6:7], s[6:7]
	v_mov_b32_e32 v2, s10
	s_xor_b64 exec, exec, s[6:7]
	s_cbranch_execz .LBB4_170
.LBB4_2220:
	v_mov_b32_e32 v2, 0
	v_cmp_ne_u16_sdwa s[8:9], v6, v2 src0_sel:BYTE_0 src1_sel:DWORD
	s_andn2_b64 s[4:5], s[4:5], exec
	s_and_b64 s[8:9], s[8:9], exec
	s_or_b64 s[4:5], s[4:5], s[8:9]
	s_or_b64 exec, exec, s[6:7]
	s_and_saveexec_b64 s[6:7], s[4:5]
	s_cbranch_execnz .LBB4_171
	s_branch .LBB4_172
.LBB4_2221:
	s_movk_i32 s4, 0x80
	v_cmp_eq_u16_sdwa s[12:13], v6, s4 src0_sel:BYTE_0 src1_sel:DWORD
	s_mov_b64 s[4:5], -1
                                        ; implicit-def: $sgpr10
	s_and_saveexec_b64 s[8:9], s[12:13]
; %bb.2222:
	s_mov_b32 s10, 0x7f800001
	s_xor_b64 s[4:5], exec, -1
; %bb.2223:
	s_or_b64 exec, exec, s[8:9]
	s_and_b64 s[4:5], s[4:5], exec
	s_or_saveexec_b64 s[6:7], s[6:7]
	v_mov_b32_e32 v12, s10
	s_xor_b64 exec, exec, s[6:7]
	s_cbranch_execz .LBB4_174
.LBB4_2224:
	v_mov_b32_e32 v12, 0
	v_cmp_ne_u16_sdwa s[8:9], v6, v12 src0_sel:BYTE_0 src1_sel:DWORD
	s_andn2_b64 s[4:5], s[4:5], exec
	s_and_b64 s[8:9], s[8:9], exec
	s_or_b64 s[4:5], s[4:5], s[8:9]
	s_or_b64 exec, exec, s[6:7]
	s_and_saveexec_b64 s[6:7], s[4:5]
	s_cbranch_execnz .LBB4_175
	s_branch .LBB4_176
.LBB4_2225:
	s_movk_i32 s4, 0x80
	v_cmp_eq_u16_e32 vcc, s4, v6
	s_mov_b64 s[4:5], -1
                                        ; implicit-def: $sgpr10
	s_and_saveexec_b64 s[8:9], vcc
; %bb.2226:
	s_mov_b32 s10, 0x7f800001
	s_xor_b64 s[4:5], exec, -1
; %bb.2227:
	s_or_b64 exec, exec, s[8:9]
	s_and_b64 s[4:5], s[4:5], exec
                                        ; implicit-def: $vgpr6
	s_or_saveexec_b64 s[6:7], s[6:7]
	v_mov_b32_e32 v2, s10
	s_xor_b64 exec, exec, s[6:7]
	s_cbranch_execz .LBB4_178
.LBB4_2228:
	v_cmp_ne_u16_e32 vcc, 0, v6
	s_andn2_b64 s[4:5], s[4:5], exec
	s_and_b64 s[8:9], vcc, exec
	v_mov_b32_e32 v2, 0
	s_or_b64 s[4:5], s[4:5], s[8:9]
	s_or_b64 exec, exec, s[6:7]
	s_and_saveexec_b64 s[6:7], s[4:5]
	s_cbranch_execnz .LBB4_179
	s_branch .LBB4_180
.LBB4_2229:
	s_movk_i32 s4, 0x80
	v_cmp_eq_u16_e32 vcc, s4, v6
	s_mov_b64 s[4:5], -1
                                        ; implicit-def: $sgpr10
	s_and_saveexec_b64 s[8:9], vcc
; %bb.2230:
	s_mov_b32 s10, 0x7f800001
	s_xor_b64 s[4:5], exec, -1
; %bb.2231:
	s_or_b64 exec, exec, s[8:9]
	s_and_b64 s[4:5], s[4:5], exec
                                        ; implicit-def: $vgpr6
	s_or_saveexec_b64 s[6:7], s[6:7]
	v_mov_b32_e32 v12, s10
	s_xor_b64 exec, exec, s[6:7]
	s_cbranch_execz .LBB4_182
.LBB4_2232:
	v_cmp_ne_u16_e32 vcc, 0, v6
	s_andn2_b64 s[4:5], s[4:5], exec
	s_and_b64 s[8:9], vcc, exec
	v_mov_b32_e32 v12, 0
	s_or_b64 s[4:5], s[4:5], s[8:9]
	s_or_b64 exec, exec, s[6:7]
	s_and_saveexec_b64 s[6:7], s[4:5]
	s_cbranch_execnz .LBB4_183
	s_branch .LBB4_184
.LBB4_2233:
	s_movk_i32 s4, 0x80
	v_cmp_eq_u16_sdwa s[12:13], v7, s4 src0_sel:BYTE_3 src1_sel:DWORD
	s_mov_b64 s[4:5], -1
                                        ; implicit-def: $sgpr10
	s_and_saveexec_b64 s[8:9], s[12:13]
; %bb.2234:
	s_mov_b32 s10, 0x7f800001
	s_xor_b64 s[4:5], exec, -1
; %bb.2235:
	s_or_b64 exec, exec, s[8:9]
	s_and_b64 s[4:5], s[4:5], exec
	s_or_saveexec_b64 s[6:7], s[6:7]
	v_mov_b32_e32 v2, s10
	s_xor_b64 exec, exec, s[6:7]
	s_cbranch_execz .LBB4_186
.LBB4_2236:
	v_mov_b32_e32 v2, 0
	v_cmp_ne_u16_sdwa s[8:9], v7, v2 src0_sel:BYTE_3 src1_sel:DWORD
	s_andn2_b64 s[4:5], s[4:5], exec
	s_and_b64 s[8:9], s[8:9], exec
	s_or_b64 s[4:5], s[4:5], s[8:9]
	s_or_b64 exec, exec, s[6:7]
	s_and_saveexec_b64 s[6:7], s[4:5]
	s_cbranch_execnz .LBB4_187
	s_branch .LBB4_188
.LBB4_2237:
	s_movk_i32 s4, 0x80
	v_cmp_eq_u16_sdwa s[12:13], v3, s4 src0_sel:BYTE_3 src1_sel:DWORD
	s_mov_b64 s[4:5], -1
                                        ; implicit-def: $sgpr10
	s_and_saveexec_b64 s[8:9], s[12:13]
; %bb.2238:
	s_mov_b32 s10, 0x7f800001
	s_xor_b64 s[4:5], exec, -1
; %bb.2239:
	s_or_b64 exec, exec, s[8:9]
	s_and_b64 s[4:5], s[4:5], exec
	s_or_saveexec_b64 s[6:7], s[6:7]
	v_mov_b32_e32 v6, s10
	s_xor_b64 exec, exec, s[6:7]
	s_cbranch_execz .LBB4_190
.LBB4_2240:
	v_mov_b32_e32 v6, 0
	v_cmp_ne_u16_sdwa s[8:9], v3, v6 src0_sel:BYTE_3 src1_sel:DWORD
	s_andn2_b64 s[4:5], s[4:5], exec
	s_and_b64 s[8:9], s[8:9], exec
	s_or_b64 s[4:5], s[4:5], s[8:9]
	s_or_b64 exec, exec, s[6:7]
	s_and_saveexec_b64 s[6:7], s[4:5]
	s_cbranch_execnz .LBB4_191
	s_branch .LBB4_192
.LBB4_2241:
	s_movk_i32 s4, 0x80
	v_cmp_eq_u16_sdwa s[12:13], v8, s4 src0_sel:BYTE_0 src1_sel:DWORD
	s_mov_b64 s[4:5], -1
                                        ; implicit-def: $sgpr10
	s_and_saveexec_b64 s[8:9], s[12:13]
; %bb.2242:
	s_mov_b32 s10, 0x7f800001
	s_xor_b64 s[4:5], exec, -1
; %bb.2243:
	s_or_b64 exec, exec, s[8:9]
	s_and_b64 s[4:5], s[4:5], exec
	s_or_saveexec_b64 s[6:7], s[6:7]
	v_mov_b32_e32 v2, s10
	s_xor_b64 exec, exec, s[6:7]
	s_cbranch_execz .LBB4_194
.LBB4_2244:
	v_mov_b32_e32 v2, 0
	v_cmp_ne_u16_sdwa s[8:9], v8, v2 src0_sel:BYTE_0 src1_sel:DWORD
	s_andn2_b64 s[4:5], s[4:5], exec
	s_and_b64 s[8:9], s[8:9], exec
	s_or_b64 s[4:5], s[4:5], s[8:9]
	s_or_b64 exec, exec, s[6:7]
	s_and_saveexec_b64 s[6:7], s[4:5]
	s_cbranch_execnz .LBB4_195
	s_branch .LBB4_196
.LBB4_2245:
	s_movk_i32 s4, 0x80
	v_cmp_eq_u16_sdwa s[12:13], v4, s4 src0_sel:BYTE_0 src1_sel:DWORD
	s_mov_b64 s[4:5], -1
                                        ; implicit-def: $sgpr10
	s_and_saveexec_b64 s[8:9], s[12:13]
; %bb.2246:
	s_mov_b32 s10, 0x7f800001
	s_xor_b64 s[4:5], exec, -1
; %bb.2247:
	s_or_b64 exec, exec, s[8:9]
	s_and_b64 s[4:5], s[4:5], exec
	s_or_saveexec_b64 s[6:7], s[6:7]
	v_mov_b32_e32 v3, s10
	s_xor_b64 exec, exec, s[6:7]
	s_cbranch_execz .LBB4_198
.LBB4_2248:
	v_mov_b32_e32 v3, 0
	v_cmp_ne_u16_sdwa s[8:9], v4, v3 src0_sel:BYTE_0 src1_sel:DWORD
	s_andn2_b64 s[4:5], s[4:5], exec
	s_and_b64 s[8:9], s[8:9], exec
	s_or_b64 s[4:5], s[4:5], s[8:9]
	s_or_b64 exec, exec, s[6:7]
	s_and_saveexec_b64 s[6:7], s[4:5]
	s_cbranch_execnz .LBB4_199
	s_branch .LBB4_200
.LBB4_2249:
	s_movk_i32 s4, 0x80
	v_cmp_eq_u16_sdwa s[12:13], v3, s4 src0_sel:BYTE_0 src1_sel:DWORD
	s_mov_b64 s[4:5], -1
                                        ; implicit-def: $sgpr10
	s_and_saveexec_b64 s[8:9], s[12:13]
; %bb.2250:
	s_mov_b32 s10, 0x7f800001
	s_xor_b64 s[4:5], exec, -1
; %bb.2251:
	s_or_b64 exec, exec, s[8:9]
	s_and_b64 s[4:5], s[4:5], exec
	s_or_saveexec_b64 s[6:7], s[6:7]
	v_mov_b32_e32 v2, s10
	s_xor_b64 exec, exec, s[6:7]
	s_cbranch_execz .LBB4_202
.LBB4_2252:
	v_mov_b32_e32 v2, 0
	v_cmp_ne_u16_sdwa s[8:9], v3, v2 src0_sel:BYTE_0 src1_sel:DWORD
	s_andn2_b64 s[4:5], s[4:5], exec
	s_and_b64 s[8:9], s[8:9], exec
	s_or_b64 s[4:5], s[4:5], s[8:9]
	s_or_b64 exec, exec, s[6:7]
	s_and_saveexec_b64 s[6:7], s[4:5]
	s_cbranch_execnz .LBB4_203
	s_branch .LBB4_204
.LBB4_2253:
	s_movk_i32 s4, 0x80
	v_cmp_eq_u16_sdwa s[12:13], v3, s4 src0_sel:BYTE_0 src1_sel:DWORD
	s_mov_b64 s[4:5], -1
                                        ; implicit-def: $sgpr10
	s_and_saveexec_b64 s[8:9], s[12:13]
; %bb.2254:
	s_mov_b32 s10, 0x7f800001
	s_xor_b64 s[4:5], exec, -1
; %bb.2255:
	s_or_b64 exec, exec, s[8:9]
	s_and_b64 s[4:5], s[4:5], exec
	s_or_saveexec_b64 s[6:7], s[6:7]
	v_mov_b32_e32 v6, s10
	s_xor_b64 exec, exec, s[6:7]
	s_cbranch_execz .LBB4_206
.LBB4_2256:
	v_mov_b32_e32 v6, 0
	v_cmp_ne_u16_sdwa s[8:9], v3, v6 src0_sel:BYTE_0 src1_sel:DWORD
	s_andn2_b64 s[4:5], s[4:5], exec
	s_and_b64 s[8:9], s[8:9], exec
	s_or_b64 s[4:5], s[4:5], s[8:9]
	s_or_b64 exec, exec, s[6:7]
	s_and_saveexec_b64 s[6:7], s[4:5]
	s_cbranch_execnz .LBB4_207
	s_branch .LBB4_208
.LBB4_2257:
	s_movk_i32 s4, 0x80
	v_cmp_eq_u16_e32 vcc, s4, v3
	s_mov_b64 s[4:5], -1
                                        ; implicit-def: $sgpr10
	s_and_saveexec_b64 s[8:9], vcc
; %bb.2258:
	s_mov_b32 s10, 0x7f800001
	s_xor_b64 s[4:5], exec, -1
; %bb.2259:
	s_or_b64 exec, exec, s[8:9]
	s_and_b64 s[4:5], s[4:5], exec
                                        ; implicit-def: $vgpr3
	s_or_saveexec_b64 s[6:7], s[6:7]
	v_mov_b32_e32 v2, s10
	s_xor_b64 exec, exec, s[6:7]
	s_cbranch_execz .LBB4_210
.LBB4_2260:
	v_cmp_ne_u16_e32 vcc, 0, v3
	s_andn2_b64 s[4:5], s[4:5], exec
	s_and_b64 s[8:9], vcc, exec
	v_mov_b32_e32 v2, 0
	s_or_b64 s[4:5], s[4:5], s[8:9]
	s_or_b64 exec, exec, s[6:7]
	s_and_saveexec_b64 s[6:7], s[4:5]
	s_cbranch_execnz .LBB4_211
	s_branch .LBB4_212
.LBB4_2261:
	s_movk_i32 s4, 0x80
	v_cmp_eq_u16_e32 vcc, s4, v3
	s_mov_b64 s[4:5], -1
                                        ; implicit-def: $sgpr10
	s_and_saveexec_b64 s[8:9], vcc
; %bb.2262:
	s_mov_b32 s10, 0x7f800001
	s_xor_b64 s[4:5], exec, -1
; %bb.2263:
	s_or_b64 exec, exec, s[8:9]
	s_and_b64 s[4:5], s[4:5], exec
                                        ; implicit-def: $vgpr3
	s_or_saveexec_b64 s[6:7], s[6:7]
	v_mov_b32_e32 v6, s10
	s_xor_b64 exec, exec, s[6:7]
	s_cbranch_execz .LBB4_214
.LBB4_2264:
	v_cmp_ne_u16_e32 vcc, 0, v3
	s_andn2_b64 s[4:5], s[4:5], exec
	s_and_b64 s[8:9], vcc, exec
	v_mov_b32_e32 v6, 0
	s_or_b64 s[4:5], s[4:5], s[8:9]
	s_or_b64 exec, exec, s[6:7]
	s_and_saveexec_b64 s[6:7], s[4:5]
	s_cbranch_execnz .LBB4_215
	s_branch .LBB4_216
.LBB4_2265:
	s_movk_i32 s4, 0x80
	v_cmp_eq_u16_sdwa s[12:13], v8, s4 src0_sel:BYTE_3 src1_sel:DWORD
	s_mov_b64 s[4:5], -1
                                        ; implicit-def: $sgpr10
	s_and_saveexec_b64 s[8:9], s[12:13]
; %bb.2266:
	s_mov_b32 s10, 0x7f800001
	s_xor_b64 s[4:5], exec, -1
; %bb.2267:
	s_or_b64 exec, exec, s[8:9]
	s_and_b64 s[4:5], s[4:5], exec
	s_or_saveexec_b64 s[6:7], s[6:7]
	v_mov_b32_e32 v2, s10
	s_xor_b64 exec, exec, s[6:7]
	s_cbranch_execz .LBB4_218
.LBB4_2268:
	v_mov_b32_e32 v2, 0
	v_cmp_ne_u16_sdwa s[8:9], v8, v2 src0_sel:BYTE_3 src1_sel:DWORD
	s_andn2_b64 s[4:5], s[4:5], exec
	s_and_b64 s[8:9], s[8:9], exec
	s_or_b64 s[4:5], s[4:5], s[8:9]
	s_or_b64 exec, exec, s[6:7]
	s_and_saveexec_b64 s[6:7], s[4:5]
	s_cbranch_execnz .LBB4_219
	s_branch .LBB4_220
.LBB4_2269:
	s_movk_i32 s4, 0x80
	v_cmp_eq_u16_sdwa s[12:13], v4, s4 src0_sel:BYTE_3 src1_sel:DWORD
	s_mov_b64 s[4:5], -1
                                        ; implicit-def: $sgpr10
	s_and_saveexec_b64 s[8:9], s[12:13]
; %bb.2270:
	s_mov_b32 s10, 0x7f800001
	s_xor_b64 s[4:5], exec, -1
; %bb.2271:
	s_or_b64 exec, exec, s[8:9]
	s_and_b64 s[4:5], s[4:5], exec
	s_or_saveexec_b64 s[6:7], s[6:7]
	v_mov_b32_e32 v3, s10
	s_xor_b64 exec, exec, s[6:7]
	s_cbranch_execz .LBB4_222
.LBB4_2272:
	v_mov_b32_e32 v3, 0
	v_cmp_ne_u16_sdwa s[8:9], v4, v3 src0_sel:BYTE_3 src1_sel:DWORD
	s_andn2_b64 s[4:5], s[4:5], exec
	s_and_b64 s[8:9], s[8:9], exec
	s_or_b64 s[4:5], s[4:5], s[8:9]
	s_or_b64 exec, exec, s[6:7]
	s_and_saveexec_b64 s[6:7], s[4:5]
	s_cbranch_execnz .LBB4_223
	s_branch .LBB4_224
.LBB4_2273:
	s_movk_i32 s4, 0x80
	v_cmp_eq_u16_sdwa s[12:13], v9, s4 src0_sel:BYTE_0 src1_sel:DWORD
	s_mov_b64 s[4:5], -1
                                        ; implicit-def: $sgpr10
	s_and_saveexec_b64 s[8:9], s[12:13]
; %bb.2274:
	s_mov_b32 s10, 0x7f800001
	s_xor_b64 s[4:5], exec, -1
; %bb.2275:
	s_or_b64 exec, exec, s[8:9]
	s_and_b64 s[4:5], s[4:5], exec
	s_or_saveexec_b64 s[6:7], s[6:7]
	v_mov_b32_e32 v2, s10
	s_xor_b64 exec, exec, s[6:7]
	s_cbranch_execz .LBB4_226
.LBB4_2276:
	v_mov_b32_e32 v2, 0
	v_cmp_ne_u16_sdwa s[8:9], v9, v2 src0_sel:BYTE_0 src1_sel:DWORD
	s_andn2_b64 s[4:5], s[4:5], exec
	s_and_b64 s[8:9], s[8:9], exec
	s_or_b64 s[4:5], s[4:5], s[8:9]
	s_or_b64 exec, exec, s[6:7]
	s_and_saveexec_b64 s[6:7], s[4:5]
	s_cbranch_execnz .LBB4_227
	s_branch .LBB4_228
.LBB4_2277:
	s_movk_i32 s4, 0x80
	v_cmp_eq_u16_sdwa s[12:13], v5, s4 src0_sel:BYTE_0 src1_sel:DWORD
	s_mov_b64 s[4:5], -1
                                        ; implicit-def: $sgpr10
	s_and_saveexec_b64 s[8:9], s[12:13]
; %bb.2278:
	s_mov_b32 s10, 0x7f800001
	s_xor_b64 s[4:5], exec, -1
; %bb.2279:
	s_or_b64 exec, exec, s[8:9]
	s_and_b64 s[4:5], s[4:5], exec
	s_or_saveexec_b64 s[6:7], s[6:7]
	v_mov_b32_e32 v3, s10
	s_xor_b64 exec, exec, s[6:7]
	s_cbranch_execz .LBB4_230
.LBB4_2280:
	v_mov_b32_e32 v3, 0
	v_cmp_ne_u16_sdwa s[8:9], v5, v3 src0_sel:BYTE_0 src1_sel:DWORD
	s_andn2_b64 s[4:5], s[4:5], exec
	s_and_b64 s[8:9], s[8:9], exec
	s_or_b64 s[4:5], s[4:5], s[8:9]
	s_or_b64 exec, exec, s[6:7]
	s_and_saveexec_b64 s[6:7], s[4:5]
	s_cbranch_execnz .LBB4_231
	s_branch .LBB4_232
.LBB4_2281:
	s_movk_i32 s4, 0x80
	v_cmp_eq_u16_sdwa s[12:13], v3, s4 src0_sel:BYTE_0 src1_sel:DWORD
	s_mov_b64 s[4:5], -1
                                        ; implicit-def: $sgpr10
	s_and_saveexec_b64 s[8:9], s[12:13]
; %bb.2282:
	s_mov_b32 s10, 0x7f800001
	s_xor_b64 s[4:5], exec, -1
; %bb.2283:
	s_or_b64 exec, exec, s[8:9]
	s_and_b64 s[4:5], s[4:5], exec
	s_or_saveexec_b64 s[6:7], s[6:7]
	v_mov_b32_e32 v2, s10
	s_xor_b64 exec, exec, s[6:7]
	s_cbranch_execz .LBB4_234
.LBB4_2284:
	v_mov_b32_e32 v2, 0
	v_cmp_ne_u16_sdwa s[8:9], v3, v2 src0_sel:BYTE_0 src1_sel:DWORD
	s_andn2_b64 s[4:5], s[4:5], exec
	s_and_b64 s[8:9], s[8:9], exec
	s_or_b64 s[4:5], s[4:5], s[8:9]
	s_or_b64 exec, exec, s[6:7]
	s_and_saveexec_b64 s[6:7], s[4:5]
	s_cbranch_execnz .LBB4_235
	s_branch .LBB4_236
.LBB4_2285:
	s_movk_i32 s4, 0x80
	v_cmp_eq_u16_sdwa s[12:13], v3, s4 src0_sel:BYTE_0 src1_sel:DWORD
	s_mov_b64 s[4:5], -1
                                        ; implicit-def: $sgpr10
	s_and_saveexec_b64 s[8:9], s[12:13]
; %bb.2286:
	s_mov_b32 s10, 0x7f800001
	s_xor_b64 s[4:5], exec, -1
; %bb.2287:
	s_or_b64 exec, exec, s[8:9]
	s_and_b64 s[4:5], s[4:5], exec
	s_or_saveexec_b64 s[6:7], s[6:7]
	v_mov_b32_e32 v4, s10
	s_xor_b64 exec, exec, s[6:7]
	s_cbranch_execz .LBB4_238
.LBB4_2288:
	v_mov_b32_e32 v4, 0
	v_cmp_ne_u16_sdwa s[8:9], v3, v4 src0_sel:BYTE_0 src1_sel:DWORD
	s_andn2_b64 s[4:5], s[4:5], exec
	s_and_b64 s[8:9], s[8:9], exec
	s_or_b64 s[4:5], s[4:5], s[8:9]
	s_or_b64 exec, exec, s[6:7]
	s_and_saveexec_b64 s[6:7], s[4:5]
	s_cbranch_execnz .LBB4_239
	s_branch .LBB4_240
.LBB4_2289:
	s_movk_i32 s4, 0x80
	v_cmp_eq_u16_e32 vcc, s4, v3
	s_mov_b64 s[4:5], -1
                                        ; implicit-def: $sgpr10
	s_and_saveexec_b64 s[8:9], vcc
; %bb.2290:
	s_mov_b32 s10, 0x7f800001
	s_xor_b64 s[4:5], exec, -1
; %bb.2291:
	s_or_b64 exec, exec, s[8:9]
	s_and_b64 s[4:5], s[4:5], exec
                                        ; implicit-def: $vgpr3
	s_or_saveexec_b64 s[6:7], s[6:7]
	v_mov_b32_e32 v2, s10
	s_xor_b64 exec, exec, s[6:7]
	s_cbranch_execz .LBB4_242
.LBB4_2292:
	v_cmp_ne_u16_e32 vcc, 0, v3
	s_andn2_b64 s[4:5], s[4:5], exec
	s_and_b64 s[8:9], vcc, exec
	v_mov_b32_e32 v2, 0
	s_or_b64 s[4:5], s[4:5], s[8:9]
	s_or_b64 exec, exec, s[6:7]
	s_and_saveexec_b64 s[6:7], s[4:5]
	s_cbranch_execnz .LBB4_243
	s_branch .LBB4_244
.LBB4_2293:
	s_movk_i32 s4, 0x80
	v_cmp_eq_u16_e32 vcc, s4, v3
	s_mov_b64 s[4:5], -1
                                        ; implicit-def: $sgpr10
	s_and_saveexec_b64 s[8:9], vcc
; %bb.2294:
	s_mov_b32 s10, 0x7f800001
	s_xor_b64 s[4:5], exec, -1
; %bb.2295:
	s_or_b64 exec, exec, s[8:9]
	s_and_b64 s[4:5], s[4:5], exec
                                        ; implicit-def: $vgpr3
	s_or_saveexec_b64 s[6:7], s[6:7]
	v_mov_b32_e32 v4, s10
	s_xor_b64 exec, exec, s[6:7]
	s_cbranch_execz .LBB4_246
.LBB4_2296:
	v_cmp_ne_u16_e32 vcc, 0, v3
	s_andn2_b64 s[4:5], s[4:5], exec
	s_and_b64 s[8:9], vcc, exec
	v_mov_b32_e32 v4, 0
	s_or_b64 s[4:5], s[4:5], s[8:9]
	s_or_b64 exec, exec, s[6:7]
	s_and_saveexec_b64 s[6:7], s[4:5]
	s_cbranch_execnz .LBB4_247
	s_branch .LBB4_248
.LBB4_2297:
	s_movk_i32 s4, 0x80
	v_cmp_eq_u16_sdwa s[12:13], v9, s4 src0_sel:BYTE_3 src1_sel:DWORD
	s_mov_b64 s[4:5], -1
                                        ; implicit-def: $sgpr10
	s_and_saveexec_b64 s[8:9], s[12:13]
; %bb.2298:
	s_mov_b32 s10, 0x7f800001
	s_xor_b64 s[4:5], exec, -1
; %bb.2299:
	s_or_b64 exec, exec, s[8:9]
	s_and_b64 s[4:5], s[4:5], exec
	s_or_saveexec_b64 s[6:7], s[6:7]
	v_mov_b32_e32 v2, s10
	s_xor_b64 exec, exec, s[6:7]
	s_cbranch_execz .LBB4_250
.LBB4_2300:
	v_mov_b32_e32 v2, 0
	v_cmp_ne_u16_sdwa s[8:9], v9, v2 src0_sel:BYTE_3 src1_sel:DWORD
	s_andn2_b64 s[4:5], s[4:5], exec
	s_and_b64 s[8:9], s[8:9], exec
	s_or_b64 s[4:5], s[4:5], s[8:9]
	s_or_b64 exec, exec, s[6:7]
	s_and_saveexec_b64 s[6:7], s[4:5]
	s_cbranch_execnz .LBB4_251
	s_branch .LBB4_252
.LBB4_2301:
	s_movk_i32 s4, 0x80
	v_cmp_eq_u16_sdwa s[12:13], v5, s4 src0_sel:BYTE_3 src1_sel:DWORD
	s_mov_b64 s[4:5], -1
                                        ; implicit-def: $sgpr10
	s_and_saveexec_b64 s[8:9], s[12:13]
; %bb.2302:
	s_mov_b32 s10, 0x7f800001
	s_xor_b64 s[4:5], exec, -1
; %bb.2303:
	s_or_b64 exec, exec, s[8:9]
	s_and_b64 s[4:5], s[4:5], exec
	s_or_saveexec_b64 s[6:7], s[6:7]
	v_mov_b32_e32 v3, s10
	s_xor_b64 exec, exec, s[6:7]
	s_cbranch_execz .LBB4_254
.LBB4_2304:
	v_mov_b32_e32 v3, 0
	v_cmp_ne_u16_sdwa s[8:9], v5, v3 src0_sel:BYTE_3 src1_sel:DWORD
	s_andn2_b64 s[4:5], s[4:5], exec
	s_and_b64 s[8:9], s[8:9], exec
	s_or_b64 s[4:5], s[4:5], s[8:9]
	s_or_b64 exec, exec, s[6:7]
	s_and_saveexec_b64 s[6:7], s[4:5]
	s_cbranch_execnz .LBB4_255
	s_branch .LBB4_256
.LBB4_2305:
	s_movk_i32 s4, 0x80
	v_cmp_eq_u16_sdwa s[12:13], v6, s4 src0_sel:BYTE_0 src1_sel:DWORD
	s_mov_b64 s[4:5], -1
                                        ; implicit-def: $sgpr10
	s_and_saveexec_b64 s[8:9], s[12:13]
; %bb.2306:
	s_mov_b32 s10, 0x7f800001
	s_xor_b64 s[4:5], exec, -1
; %bb.2307:
	s_or_b64 exec, exec, s[8:9]
	s_and_b64 s[4:5], s[4:5], exec
	s_or_saveexec_b64 s[6:7], s[6:7]
	v_mov_b32_e32 v12, s10
	s_xor_b64 exec, exec, s[6:7]
	s_cbranch_execz .LBB4_258
.LBB4_2308:
	v_mov_b32_e32 v12, 0
	v_cmp_ne_u16_sdwa s[8:9], v6, v12 src0_sel:BYTE_0 src1_sel:DWORD
	s_andn2_b64 s[4:5], s[4:5], exec
	s_and_b64 s[8:9], s[8:9], exec
	s_or_b64 s[4:5], s[4:5], s[8:9]
	s_or_b64 exec, exec, s[6:7]
	s_and_saveexec_b64 s[6:7], s[4:5]
	s_cbranch_execnz .LBB4_259
	s_branch .LBB4_260
.LBB4_2309:
	s_movk_i32 s4, 0x80
	v_cmp_eq_u16_sdwa s[12:13], v2, s4 src0_sel:BYTE_0 src1_sel:DWORD
	s_mov_b64 s[4:5], -1
                                        ; implicit-def: $sgpr10
	s_and_saveexec_b64 s[8:9], s[12:13]
; %bb.2310:
	s_mov_b32 s10, 0x7f800001
	s_xor_b64 s[4:5], exec, -1
; %bb.2311:
	s_or_b64 exec, exec, s[8:9]
	s_and_b64 s[4:5], s[4:5], exec
	s_or_saveexec_b64 s[6:7], s[6:7]
	v_mov_b32_e32 v13, s10
	s_xor_b64 exec, exec, s[6:7]
	s_cbranch_execz .LBB4_262
.LBB4_2312:
	v_mov_b32_e32 v13, 0
	v_cmp_ne_u16_sdwa s[8:9], v2, v13 src0_sel:BYTE_0 src1_sel:DWORD
	s_andn2_b64 s[4:5], s[4:5], exec
	s_and_b64 s[8:9], s[8:9], exec
	s_or_b64 s[4:5], s[4:5], s[8:9]
	s_or_b64 exec, exec, s[6:7]
	s_and_saveexec_b64 s[6:7], s[4:5]
	s_cbranch_execnz .LBB4_263
	s_branch .LBB4_264
.LBB4_2313:
	s_movk_i32 s4, 0x80
	v_cmp_eq_u16_sdwa s[12:13], v13, s4 src0_sel:BYTE_0 src1_sel:DWORD
	s_mov_b64 s[4:5], -1
                                        ; implicit-def: $sgpr10
	s_and_saveexec_b64 s[8:9], s[12:13]
; %bb.2314:
	s_mov_b32 s10, 0x7f800001
	s_xor_b64 s[4:5], exec, -1
; %bb.2315:
	s_or_b64 exec, exec, s[8:9]
	s_and_b64 s[4:5], s[4:5], exec
	s_or_saveexec_b64 s[6:7], s[6:7]
	v_mov_b32_e32 v12, s10
	s_xor_b64 exec, exec, s[6:7]
	s_cbranch_execz .LBB4_266
.LBB4_2316:
	v_mov_b32_e32 v12, 0
	v_cmp_ne_u16_sdwa s[8:9], v13, v12 src0_sel:BYTE_0 src1_sel:DWORD
	s_andn2_b64 s[4:5], s[4:5], exec
	s_and_b64 s[8:9], s[8:9], exec
	s_or_b64 s[4:5], s[4:5], s[8:9]
	s_or_b64 exec, exec, s[6:7]
	s_and_saveexec_b64 s[6:7], s[4:5]
	s_cbranch_execnz .LBB4_267
	s_branch .LBB4_268
.LBB4_2317:
	s_movk_i32 s4, 0x80
	v_cmp_eq_u16_sdwa s[12:13], v13, s4 src0_sel:BYTE_0 src1_sel:DWORD
	s_mov_b64 s[4:5], -1
                                        ; implicit-def: $sgpr10
	s_and_saveexec_b64 s[8:9], s[12:13]
; %bb.2318:
	s_mov_b32 s10, 0x7f800001
	s_xor_b64 s[4:5], exec, -1
; %bb.2319:
	s_or_b64 exec, exec, s[8:9]
	s_and_b64 s[4:5], s[4:5], exec
	s_or_saveexec_b64 s[6:7], s[6:7]
	v_mov_b32_e32 v14, s10
	s_xor_b64 exec, exec, s[6:7]
	s_cbranch_execz .LBB4_270
.LBB4_2320:
	v_mov_b32_e32 v14, 0
	v_cmp_ne_u16_sdwa s[8:9], v13, v14 src0_sel:BYTE_0 src1_sel:DWORD
	s_andn2_b64 s[4:5], s[4:5], exec
	s_and_b64 s[8:9], s[8:9], exec
	s_or_b64 s[4:5], s[4:5], s[8:9]
	s_or_b64 exec, exec, s[6:7]
	s_and_saveexec_b64 s[6:7], s[4:5]
	s_cbranch_execnz .LBB4_271
	s_branch .LBB4_272
.LBB4_2321:
	s_movk_i32 s4, 0x80
	v_cmp_eq_u16_e32 vcc, s4, v13
	s_mov_b64 s[4:5], -1
                                        ; implicit-def: $sgpr10
	s_and_saveexec_b64 s[8:9], vcc
; %bb.2322:
	s_mov_b32 s10, 0x7f800001
	s_xor_b64 s[4:5], exec, -1
; %bb.2323:
	s_or_b64 exec, exec, s[8:9]
	s_and_b64 s[4:5], s[4:5], exec
                                        ; implicit-def: $vgpr13
	s_or_saveexec_b64 s[6:7], s[6:7]
	v_mov_b32_e32 v12, s10
	s_xor_b64 exec, exec, s[6:7]
	s_cbranch_execz .LBB4_274
.LBB4_2324:
	v_cmp_ne_u16_e32 vcc, 0, v13
	s_andn2_b64 s[4:5], s[4:5], exec
	s_and_b64 s[8:9], vcc, exec
	v_mov_b32_e32 v12, 0
	s_or_b64 s[4:5], s[4:5], s[8:9]
	s_or_b64 exec, exec, s[6:7]
	s_and_saveexec_b64 s[6:7], s[4:5]
	s_cbranch_execnz .LBB4_275
	s_branch .LBB4_276
.LBB4_2325:
	s_movk_i32 s4, 0x80
	v_cmp_eq_u16_e32 vcc, s4, v13
	s_mov_b64 s[4:5], -1
                                        ; implicit-def: $sgpr10
	s_and_saveexec_b64 s[8:9], vcc
; %bb.2326:
	s_mov_b32 s10, 0x7f800001
	s_xor_b64 s[4:5], exec, -1
; %bb.2327:
	s_or_b64 exec, exec, s[8:9]
	s_and_b64 s[4:5], s[4:5], exec
                                        ; implicit-def: $vgpr13
	s_or_saveexec_b64 s[6:7], s[6:7]
	v_mov_b32_e32 v14, s10
	s_xor_b64 exec, exec, s[6:7]
	s_cbranch_execz .LBB4_278
.LBB4_2328:
	v_cmp_ne_u16_e32 vcc, 0, v13
	s_andn2_b64 s[4:5], s[4:5], exec
	s_and_b64 s[8:9], vcc, exec
	v_mov_b32_e32 v14, 0
	s_or_b64 s[4:5], s[4:5], s[8:9]
	s_or_b64 exec, exec, s[6:7]
	s_and_saveexec_b64 s[6:7], s[4:5]
	s_cbranch_execnz .LBB4_279
	s_branch .LBB4_280
.LBB4_2329:
	s_movk_i32 s4, 0x80
	v_cmp_eq_u16_sdwa s[12:13], v6, s4 src0_sel:BYTE_3 src1_sel:DWORD
	s_mov_b64 s[4:5], -1
                                        ; implicit-def: $sgpr10
	s_and_saveexec_b64 s[8:9], s[12:13]
; %bb.2330:
	s_mov_b32 s10, 0x7f800001
	s_xor_b64 s[4:5], exec, -1
; %bb.2331:
	s_or_b64 exec, exec, s[8:9]
	s_and_b64 s[4:5], s[4:5], exec
	s_or_saveexec_b64 s[6:7], s[6:7]
	v_mov_b32_e32 v12, s10
	s_xor_b64 exec, exec, s[6:7]
	s_cbranch_execz .LBB4_282
.LBB4_2332:
	v_mov_b32_e32 v12, 0
	v_cmp_ne_u16_sdwa s[8:9], v6, v12 src0_sel:BYTE_3 src1_sel:DWORD
	s_andn2_b64 s[4:5], s[4:5], exec
	s_and_b64 s[8:9], s[8:9], exec
	s_or_b64 s[4:5], s[4:5], s[8:9]
	s_or_b64 exec, exec, s[6:7]
	s_and_saveexec_b64 s[6:7], s[4:5]
	s_cbranch_execnz .LBB4_283
	s_branch .LBB4_284
.LBB4_2333:
	s_movk_i32 s4, 0x80
	v_cmp_eq_u16_sdwa s[12:13], v2, s4 src0_sel:BYTE_3 src1_sel:DWORD
	s_mov_b64 s[4:5], -1
                                        ; implicit-def: $sgpr10
	s_and_saveexec_b64 s[8:9], s[12:13]
; %bb.2334:
	s_mov_b32 s10, 0x7f800001
	s_xor_b64 s[4:5], exec, -1
; %bb.2335:
	s_or_b64 exec, exec, s[8:9]
	s_and_b64 s[4:5], s[4:5], exec
	s_or_saveexec_b64 s[6:7], s[6:7]
	v_mov_b32_e32 v6, s10
	s_xor_b64 exec, exec, s[6:7]
	s_cbranch_execz .LBB4_286
.LBB4_2336:
	v_mov_b32_e32 v6, 0
	v_cmp_ne_u16_sdwa s[8:9], v2, v6 src0_sel:BYTE_3 src1_sel:DWORD
	s_andn2_b64 s[4:5], s[4:5], exec
	s_and_b64 s[8:9], s[8:9], exec
	s_or_b64 s[4:5], s[4:5], s[8:9]
	s_or_b64 exec, exec, s[6:7]
	s_and_saveexec_b64 s[6:7], s[4:5]
	s_cbranch_execnz .LBB4_287
	s_branch .LBB4_288
.LBB4_2337:
	s_movk_i32 s4, 0x80
	v_cmp_eq_u16_sdwa s[12:13], v7, s4 src0_sel:BYTE_0 src1_sel:DWORD
	s_mov_b64 s[4:5], -1
                                        ; implicit-def: $sgpr10
	s_and_saveexec_b64 s[8:9], s[12:13]
; %bb.2338:
	s_mov_b32 s10, 0x7f800001
	s_xor_b64 s[4:5], exec, -1
; %bb.2339:
	s_or_b64 exec, exec, s[8:9]
	s_and_b64 s[4:5], s[4:5], exec
	s_or_saveexec_b64 s[6:7], s[6:7]
	v_mov_b32_e32 v2, s10
	s_xor_b64 exec, exec, s[6:7]
	s_cbranch_execz .LBB4_290
.LBB4_2340:
	v_mov_b32_e32 v2, 0
	v_cmp_ne_u16_sdwa s[8:9], v7, v2 src0_sel:BYTE_0 src1_sel:DWORD
	s_andn2_b64 s[4:5], s[4:5], exec
	s_and_b64 s[8:9], s[8:9], exec
	s_or_b64 s[4:5], s[4:5], s[8:9]
	s_or_b64 exec, exec, s[6:7]
	s_and_saveexec_b64 s[6:7], s[4:5]
	s_cbranch_execnz .LBB4_291
	s_branch .LBB4_292
.LBB4_2341:
	s_movk_i32 s4, 0x80
	v_cmp_eq_u16_sdwa s[12:13], v3, s4 src0_sel:BYTE_0 src1_sel:DWORD
	s_mov_b64 s[4:5], -1
                                        ; implicit-def: $sgpr10
	s_and_saveexec_b64 s[8:9], s[12:13]
; %bb.2342:
	s_mov_b32 s10, 0x7f800001
	s_xor_b64 s[4:5], exec, -1
; %bb.2343:
	s_or_b64 exec, exec, s[8:9]
	s_and_b64 s[4:5], s[4:5], exec
	s_or_saveexec_b64 s[6:7], s[6:7]
	v_mov_b32_e32 v6, s10
	s_xor_b64 exec, exec, s[6:7]
	s_cbranch_execz .LBB4_294
.LBB4_2344:
	v_mov_b32_e32 v6, 0
	v_cmp_ne_u16_sdwa s[8:9], v3, v6 src0_sel:BYTE_0 src1_sel:DWORD
	s_andn2_b64 s[4:5], s[4:5], exec
	s_and_b64 s[8:9], s[8:9], exec
	s_or_b64 s[4:5], s[4:5], s[8:9]
	s_or_b64 exec, exec, s[6:7]
	s_and_saveexec_b64 s[6:7], s[4:5]
	s_cbranch_execnz .LBB4_295
	s_branch .LBB4_296
.LBB4_2345:
	s_movk_i32 s4, 0x80
	v_cmp_eq_u16_sdwa s[12:13], v6, s4 src0_sel:BYTE_0 src1_sel:DWORD
	s_mov_b64 s[4:5], -1
                                        ; implicit-def: $sgpr10
	s_and_saveexec_b64 s[8:9], s[12:13]
; %bb.2346:
	s_mov_b32 s10, 0x7f800001
	s_xor_b64 s[4:5], exec, -1
; %bb.2347:
	s_or_b64 exec, exec, s[8:9]
	s_and_b64 s[4:5], s[4:5], exec
	s_or_saveexec_b64 s[6:7], s[6:7]
	v_mov_b32_e32 v2, s10
	s_xor_b64 exec, exec, s[6:7]
	s_cbranch_execz .LBB4_298
.LBB4_2348:
	v_mov_b32_e32 v2, 0
	v_cmp_ne_u16_sdwa s[8:9], v6, v2 src0_sel:BYTE_0 src1_sel:DWORD
	s_andn2_b64 s[4:5], s[4:5], exec
	s_and_b64 s[8:9], s[8:9], exec
	s_or_b64 s[4:5], s[4:5], s[8:9]
	s_or_b64 exec, exec, s[6:7]
	s_and_saveexec_b64 s[6:7], s[4:5]
	s_cbranch_execnz .LBB4_299
	s_branch .LBB4_300
.LBB4_2349:
	s_movk_i32 s4, 0x80
	v_cmp_eq_u16_sdwa s[12:13], v6, s4 src0_sel:BYTE_0 src1_sel:DWORD
	s_mov_b64 s[4:5], -1
                                        ; implicit-def: $sgpr10
	s_and_saveexec_b64 s[8:9], s[12:13]
; %bb.2350:
	s_mov_b32 s10, 0x7f800001
	s_xor_b64 s[4:5], exec, -1
; %bb.2351:
	s_or_b64 exec, exec, s[8:9]
	s_and_b64 s[4:5], s[4:5], exec
	s_or_saveexec_b64 s[6:7], s[6:7]
	v_mov_b32_e32 v12, s10
	s_xor_b64 exec, exec, s[6:7]
	s_cbranch_execz .LBB4_302
.LBB4_2352:
	v_mov_b32_e32 v12, 0
	v_cmp_ne_u16_sdwa s[8:9], v6, v12 src0_sel:BYTE_0 src1_sel:DWORD
	s_andn2_b64 s[4:5], s[4:5], exec
	s_and_b64 s[8:9], s[8:9], exec
	s_or_b64 s[4:5], s[4:5], s[8:9]
	s_or_b64 exec, exec, s[6:7]
	s_and_saveexec_b64 s[6:7], s[4:5]
	s_cbranch_execnz .LBB4_303
	s_branch .LBB4_304
.LBB4_2353:
	s_movk_i32 s4, 0x80
	v_cmp_eq_u16_e32 vcc, s4, v6
	s_mov_b64 s[4:5], -1
                                        ; implicit-def: $sgpr10
	s_and_saveexec_b64 s[8:9], vcc
; %bb.2354:
	s_mov_b32 s10, 0x7f800001
	s_xor_b64 s[4:5], exec, -1
; %bb.2355:
	s_or_b64 exec, exec, s[8:9]
	s_and_b64 s[4:5], s[4:5], exec
                                        ; implicit-def: $vgpr6
	s_or_saveexec_b64 s[6:7], s[6:7]
	v_mov_b32_e32 v2, s10
	s_xor_b64 exec, exec, s[6:7]
	s_cbranch_execz .LBB4_306
.LBB4_2356:
	v_cmp_ne_u16_e32 vcc, 0, v6
	s_andn2_b64 s[4:5], s[4:5], exec
	s_and_b64 s[8:9], vcc, exec
	v_mov_b32_e32 v2, 0
	s_or_b64 s[4:5], s[4:5], s[8:9]
	s_or_b64 exec, exec, s[6:7]
	s_and_saveexec_b64 s[6:7], s[4:5]
	s_cbranch_execnz .LBB4_307
	s_branch .LBB4_308
.LBB4_2357:
	s_movk_i32 s4, 0x80
	v_cmp_eq_u16_e32 vcc, s4, v6
	s_mov_b64 s[4:5], -1
                                        ; implicit-def: $sgpr10
	s_and_saveexec_b64 s[8:9], vcc
; %bb.2358:
	s_mov_b32 s10, 0x7f800001
	s_xor_b64 s[4:5], exec, -1
; %bb.2359:
	s_or_b64 exec, exec, s[8:9]
	s_and_b64 s[4:5], s[4:5], exec
                                        ; implicit-def: $vgpr6
	s_or_saveexec_b64 s[6:7], s[6:7]
	v_mov_b32_e32 v12, s10
	s_xor_b64 exec, exec, s[6:7]
	s_cbranch_execz .LBB4_310
.LBB4_2360:
	v_cmp_ne_u16_e32 vcc, 0, v6
	s_andn2_b64 s[4:5], s[4:5], exec
	s_and_b64 s[8:9], vcc, exec
	v_mov_b32_e32 v12, 0
	s_or_b64 s[4:5], s[4:5], s[8:9]
	s_or_b64 exec, exec, s[6:7]
	s_and_saveexec_b64 s[6:7], s[4:5]
	s_cbranch_execnz .LBB4_311
	s_branch .LBB4_312
.LBB4_2361:
	s_movk_i32 s4, 0x80
	v_cmp_eq_u16_sdwa s[12:13], v7, s4 src0_sel:BYTE_3 src1_sel:DWORD
	s_mov_b64 s[4:5], -1
                                        ; implicit-def: $sgpr10
	s_and_saveexec_b64 s[8:9], s[12:13]
; %bb.2362:
	s_mov_b32 s10, 0x7f800001
	s_xor_b64 s[4:5], exec, -1
; %bb.2363:
	s_or_b64 exec, exec, s[8:9]
	s_and_b64 s[4:5], s[4:5], exec
	s_or_saveexec_b64 s[6:7], s[6:7]
	v_mov_b32_e32 v2, s10
	s_xor_b64 exec, exec, s[6:7]
	s_cbranch_execz .LBB4_314
.LBB4_2364:
	v_mov_b32_e32 v2, 0
	v_cmp_ne_u16_sdwa s[8:9], v7, v2 src0_sel:BYTE_3 src1_sel:DWORD
	s_andn2_b64 s[4:5], s[4:5], exec
	s_and_b64 s[8:9], s[8:9], exec
	s_or_b64 s[4:5], s[4:5], s[8:9]
	s_or_b64 exec, exec, s[6:7]
	s_and_saveexec_b64 s[6:7], s[4:5]
	s_cbranch_execnz .LBB4_315
	s_branch .LBB4_316
.LBB4_2365:
	s_movk_i32 s4, 0x80
	v_cmp_eq_u16_sdwa s[12:13], v3, s4 src0_sel:BYTE_3 src1_sel:DWORD
	s_mov_b64 s[4:5], -1
                                        ; implicit-def: $sgpr10
	s_and_saveexec_b64 s[8:9], s[12:13]
; %bb.2366:
	s_mov_b32 s10, 0x7f800001
	s_xor_b64 s[4:5], exec, -1
; %bb.2367:
	s_or_b64 exec, exec, s[8:9]
	s_and_b64 s[4:5], s[4:5], exec
	s_or_saveexec_b64 s[6:7], s[6:7]
	v_mov_b32_e32 v6, s10
	s_xor_b64 exec, exec, s[6:7]
	s_cbranch_execz .LBB4_318
.LBB4_2368:
	v_mov_b32_e32 v6, 0
	v_cmp_ne_u16_sdwa s[8:9], v3, v6 src0_sel:BYTE_3 src1_sel:DWORD
	s_andn2_b64 s[4:5], s[4:5], exec
	s_and_b64 s[8:9], s[8:9], exec
	s_or_b64 s[4:5], s[4:5], s[8:9]
	s_or_b64 exec, exec, s[6:7]
	s_and_saveexec_b64 s[6:7], s[4:5]
	s_cbranch_execnz .LBB4_319
	s_branch .LBB4_320
.LBB4_2369:
	s_movk_i32 s4, 0x80
	v_cmp_eq_u16_sdwa s[12:13], v8, s4 src0_sel:BYTE_0 src1_sel:DWORD
	s_mov_b64 s[4:5], -1
                                        ; implicit-def: $sgpr10
	s_and_saveexec_b64 s[8:9], s[12:13]
; %bb.2370:
	s_mov_b32 s10, 0x7f800001
	s_xor_b64 s[4:5], exec, -1
; %bb.2371:
	s_or_b64 exec, exec, s[8:9]
	s_and_b64 s[4:5], s[4:5], exec
	s_or_saveexec_b64 s[6:7], s[6:7]
	v_mov_b32_e32 v2, s10
	s_xor_b64 exec, exec, s[6:7]
	s_cbranch_execz .LBB4_322
.LBB4_2372:
	v_mov_b32_e32 v2, 0
	v_cmp_ne_u16_sdwa s[8:9], v8, v2 src0_sel:BYTE_0 src1_sel:DWORD
	s_andn2_b64 s[4:5], s[4:5], exec
	s_and_b64 s[8:9], s[8:9], exec
	s_or_b64 s[4:5], s[4:5], s[8:9]
	s_or_b64 exec, exec, s[6:7]
	s_and_saveexec_b64 s[6:7], s[4:5]
	s_cbranch_execnz .LBB4_323
	s_branch .LBB4_324
.LBB4_2373:
	s_movk_i32 s4, 0x80
	v_cmp_eq_u16_sdwa s[12:13], v4, s4 src0_sel:BYTE_0 src1_sel:DWORD
	s_mov_b64 s[4:5], -1
                                        ; implicit-def: $sgpr10
	s_and_saveexec_b64 s[8:9], s[12:13]
; %bb.2374:
	s_mov_b32 s10, 0x7f800001
	s_xor_b64 s[4:5], exec, -1
; %bb.2375:
	s_or_b64 exec, exec, s[8:9]
	s_and_b64 s[4:5], s[4:5], exec
	s_or_saveexec_b64 s[6:7], s[6:7]
	v_mov_b32_e32 v3, s10
	s_xor_b64 exec, exec, s[6:7]
	s_cbranch_execz .LBB4_326
.LBB4_2376:
	v_mov_b32_e32 v3, 0
	v_cmp_ne_u16_sdwa s[8:9], v4, v3 src0_sel:BYTE_0 src1_sel:DWORD
	s_andn2_b64 s[4:5], s[4:5], exec
	s_and_b64 s[8:9], s[8:9], exec
	s_or_b64 s[4:5], s[4:5], s[8:9]
	s_or_b64 exec, exec, s[6:7]
	s_and_saveexec_b64 s[6:7], s[4:5]
	s_cbranch_execnz .LBB4_327
	s_branch .LBB4_328
.LBB4_2377:
	s_movk_i32 s4, 0x80
	v_cmp_eq_u16_sdwa s[12:13], v3, s4 src0_sel:BYTE_0 src1_sel:DWORD
	s_mov_b64 s[4:5], -1
                                        ; implicit-def: $sgpr10
	s_and_saveexec_b64 s[8:9], s[12:13]
; %bb.2378:
	s_mov_b32 s10, 0x7f800001
	s_xor_b64 s[4:5], exec, -1
; %bb.2379:
	s_or_b64 exec, exec, s[8:9]
	s_and_b64 s[4:5], s[4:5], exec
	s_or_saveexec_b64 s[6:7], s[6:7]
	v_mov_b32_e32 v2, s10
	s_xor_b64 exec, exec, s[6:7]
	s_cbranch_execz .LBB4_330
.LBB4_2380:
	v_mov_b32_e32 v2, 0
	v_cmp_ne_u16_sdwa s[8:9], v3, v2 src0_sel:BYTE_0 src1_sel:DWORD
	s_andn2_b64 s[4:5], s[4:5], exec
	s_and_b64 s[8:9], s[8:9], exec
	s_or_b64 s[4:5], s[4:5], s[8:9]
	s_or_b64 exec, exec, s[6:7]
	s_and_saveexec_b64 s[6:7], s[4:5]
	s_cbranch_execnz .LBB4_331
	s_branch .LBB4_332
.LBB4_2381:
	s_movk_i32 s4, 0x80
	v_cmp_eq_u16_sdwa s[12:13], v3, s4 src0_sel:BYTE_0 src1_sel:DWORD
	s_mov_b64 s[4:5], -1
                                        ; implicit-def: $sgpr10
	s_and_saveexec_b64 s[8:9], s[12:13]
; %bb.2382:
	s_mov_b32 s10, 0x7f800001
	s_xor_b64 s[4:5], exec, -1
; %bb.2383:
	s_or_b64 exec, exec, s[8:9]
	s_and_b64 s[4:5], s[4:5], exec
	s_or_saveexec_b64 s[6:7], s[6:7]
	v_mov_b32_e32 v6, s10
	s_xor_b64 exec, exec, s[6:7]
	s_cbranch_execz .LBB4_334
.LBB4_2384:
	v_mov_b32_e32 v6, 0
	v_cmp_ne_u16_sdwa s[8:9], v3, v6 src0_sel:BYTE_0 src1_sel:DWORD
	s_andn2_b64 s[4:5], s[4:5], exec
	s_and_b64 s[8:9], s[8:9], exec
	s_or_b64 s[4:5], s[4:5], s[8:9]
	s_or_b64 exec, exec, s[6:7]
	s_and_saveexec_b64 s[6:7], s[4:5]
	s_cbranch_execnz .LBB4_335
	s_branch .LBB4_336
.LBB4_2385:
	s_movk_i32 s4, 0x80
	v_cmp_eq_u16_e32 vcc, s4, v3
	s_mov_b64 s[4:5], -1
                                        ; implicit-def: $sgpr10
	s_and_saveexec_b64 s[8:9], vcc
; %bb.2386:
	s_mov_b32 s10, 0x7f800001
	s_xor_b64 s[4:5], exec, -1
; %bb.2387:
	s_or_b64 exec, exec, s[8:9]
	s_and_b64 s[4:5], s[4:5], exec
                                        ; implicit-def: $vgpr3
	s_or_saveexec_b64 s[6:7], s[6:7]
	v_mov_b32_e32 v2, s10
	s_xor_b64 exec, exec, s[6:7]
	s_cbranch_execz .LBB4_338
.LBB4_2388:
	v_cmp_ne_u16_e32 vcc, 0, v3
	s_andn2_b64 s[4:5], s[4:5], exec
	s_and_b64 s[8:9], vcc, exec
	v_mov_b32_e32 v2, 0
	s_or_b64 s[4:5], s[4:5], s[8:9]
	s_or_b64 exec, exec, s[6:7]
	s_and_saveexec_b64 s[6:7], s[4:5]
	s_cbranch_execnz .LBB4_339
	s_branch .LBB4_340
.LBB4_2389:
	s_movk_i32 s4, 0x80
	v_cmp_eq_u16_e32 vcc, s4, v3
	s_mov_b64 s[4:5], -1
                                        ; implicit-def: $sgpr10
	s_and_saveexec_b64 s[8:9], vcc
; %bb.2390:
	s_mov_b32 s10, 0x7f800001
	s_xor_b64 s[4:5], exec, -1
; %bb.2391:
	s_or_b64 exec, exec, s[8:9]
	s_and_b64 s[4:5], s[4:5], exec
                                        ; implicit-def: $vgpr3
	s_or_saveexec_b64 s[6:7], s[6:7]
	v_mov_b32_e32 v6, s10
	s_xor_b64 exec, exec, s[6:7]
	s_cbranch_execz .LBB4_342
.LBB4_2392:
	v_cmp_ne_u16_e32 vcc, 0, v3
	s_andn2_b64 s[4:5], s[4:5], exec
	s_and_b64 s[8:9], vcc, exec
	v_mov_b32_e32 v6, 0
	s_or_b64 s[4:5], s[4:5], s[8:9]
	s_or_b64 exec, exec, s[6:7]
	s_and_saveexec_b64 s[6:7], s[4:5]
	s_cbranch_execnz .LBB4_343
	s_branch .LBB4_344
.LBB4_2393:
	s_movk_i32 s4, 0x80
	v_cmp_eq_u16_sdwa s[12:13], v8, s4 src0_sel:BYTE_3 src1_sel:DWORD
	s_mov_b64 s[4:5], -1
                                        ; implicit-def: $sgpr10
	s_and_saveexec_b64 s[8:9], s[12:13]
; %bb.2394:
	s_mov_b32 s10, 0x7f800001
	s_xor_b64 s[4:5], exec, -1
; %bb.2395:
	s_or_b64 exec, exec, s[8:9]
	s_and_b64 s[4:5], s[4:5], exec
	s_or_saveexec_b64 s[6:7], s[6:7]
	v_mov_b32_e32 v2, s10
	s_xor_b64 exec, exec, s[6:7]
	s_cbranch_execz .LBB4_346
.LBB4_2396:
	v_mov_b32_e32 v2, 0
	v_cmp_ne_u16_sdwa s[8:9], v8, v2 src0_sel:BYTE_3 src1_sel:DWORD
	s_andn2_b64 s[4:5], s[4:5], exec
	s_and_b64 s[8:9], s[8:9], exec
	s_or_b64 s[4:5], s[4:5], s[8:9]
	s_or_b64 exec, exec, s[6:7]
	s_and_saveexec_b64 s[6:7], s[4:5]
	s_cbranch_execnz .LBB4_347
	s_branch .LBB4_348
.LBB4_2397:
	s_movk_i32 s4, 0x80
	v_cmp_eq_u16_sdwa s[12:13], v4, s4 src0_sel:BYTE_3 src1_sel:DWORD
	s_mov_b64 s[4:5], -1
                                        ; implicit-def: $sgpr10
	s_and_saveexec_b64 s[8:9], s[12:13]
; %bb.2398:
	s_mov_b32 s10, 0x7f800001
	s_xor_b64 s[4:5], exec, -1
; %bb.2399:
	s_or_b64 exec, exec, s[8:9]
	s_and_b64 s[4:5], s[4:5], exec
	s_or_saveexec_b64 s[6:7], s[6:7]
	v_mov_b32_e32 v3, s10
	s_xor_b64 exec, exec, s[6:7]
	s_cbranch_execz .LBB4_350
.LBB4_2400:
	v_mov_b32_e32 v3, 0
	v_cmp_ne_u16_sdwa s[8:9], v4, v3 src0_sel:BYTE_3 src1_sel:DWORD
	s_andn2_b64 s[4:5], s[4:5], exec
	s_and_b64 s[8:9], s[8:9], exec
	s_or_b64 s[4:5], s[4:5], s[8:9]
	s_or_b64 exec, exec, s[6:7]
	s_and_saveexec_b64 s[6:7], s[4:5]
	s_cbranch_execnz .LBB4_351
	s_branch .LBB4_352
.LBB4_2401:
	s_movk_i32 s4, 0x80
	v_cmp_eq_u16_sdwa s[12:13], v9, s4 src0_sel:BYTE_0 src1_sel:DWORD
	s_mov_b64 s[4:5], -1
                                        ; implicit-def: $sgpr10
	s_and_saveexec_b64 s[8:9], s[12:13]
; %bb.2402:
	s_mov_b32 s10, 0x7f800001
	s_xor_b64 s[4:5], exec, -1
; %bb.2403:
	s_or_b64 exec, exec, s[8:9]
	s_and_b64 s[4:5], s[4:5], exec
	s_or_saveexec_b64 s[6:7], s[6:7]
	v_mov_b32_e32 v2, s10
	s_xor_b64 exec, exec, s[6:7]
	s_cbranch_execz .LBB4_354
.LBB4_2404:
	v_mov_b32_e32 v2, 0
	v_cmp_ne_u16_sdwa s[8:9], v9, v2 src0_sel:BYTE_0 src1_sel:DWORD
	s_andn2_b64 s[4:5], s[4:5], exec
	s_and_b64 s[8:9], s[8:9], exec
	s_or_b64 s[4:5], s[4:5], s[8:9]
	s_or_b64 exec, exec, s[6:7]
	s_and_saveexec_b64 s[6:7], s[4:5]
	s_cbranch_execnz .LBB4_355
	s_branch .LBB4_356
.LBB4_2405:
	s_movk_i32 s4, 0x80
	v_cmp_eq_u16_sdwa s[12:13], v5, s4 src0_sel:BYTE_0 src1_sel:DWORD
	s_mov_b64 s[4:5], -1
                                        ; implicit-def: $sgpr10
	s_and_saveexec_b64 s[8:9], s[12:13]
; %bb.2406:
	s_mov_b32 s10, 0x7f800001
	s_xor_b64 s[4:5], exec, -1
; %bb.2407:
	s_or_b64 exec, exec, s[8:9]
	s_and_b64 s[4:5], s[4:5], exec
	s_or_saveexec_b64 s[6:7], s[6:7]
	v_mov_b32_e32 v3, s10
	s_xor_b64 exec, exec, s[6:7]
	s_cbranch_execz .LBB4_358
.LBB4_2408:
	v_mov_b32_e32 v3, 0
	v_cmp_ne_u16_sdwa s[8:9], v5, v3 src0_sel:BYTE_0 src1_sel:DWORD
	s_andn2_b64 s[4:5], s[4:5], exec
	s_and_b64 s[8:9], s[8:9], exec
	s_or_b64 s[4:5], s[4:5], s[8:9]
	s_or_b64 exec, exec, s[6:7]
	s_and_saveexec_b64 s[6:7], s[4:5]
	s_cbranch_execnz .LBB4_359
	s_branch .LBB4_360
.LBB4_2409:
	s_movk_i32 s4, 0x80
	v_cmp_eq_u16_sdwa s[12:13], v3, s4 src0_sel:BYTE_0 src1_sel:DWORD
	s_mov_b64 s[4:5], -1
                                        ; implicit-def: $sgpr10
	s_and_saveexec_b64 s[8:9], s[12:13]
; %bb.2410:
	s_mov_b32 s10, 0x7f800001
	s_xor_b64 s[4:5], exec, -1
; %bb.2411:
	s_or_b64 exec, exec, s[8:9]
	s_and_b64 s[4:5], s[4:5], exec
	s_or_saveexec_b64 s[6:7], s[6:7]
	v_mov_b32_e32 v2, s10
	s_xor_b64 exec, exec, s[6:7]
	s_cbranch_execz .LBB4_362
.LBB4_2412:
	v_mov_b32_e32 v2, 0
	v_cmp_ne_u16_sdwa s[8:9], v3, v2 src0_sel:BYTE_0 src1_sel:DWORD
	s_andn2_b64 s[4:5], s[4:5], exec
	s_and_b64 s[8:9], s[8:9], exec
	s_or_b64 s[4:5], s[4:5], s[8:9]
	s_or_b64 exec, exec, s[6:7]
	s_and_saveexec_b64 s[6:7], s[4:5]
	s_cbranch_execnz .LBB4_363
	s_branch .LBB4_364
.LBB4_2413:
	s_movk_i32 s4, 0x80
	v_cmp_eq_u16_sdwa s[12:13], v3, s4 src0_sel:BYTE_0 src1_sel:DWORD
	s_mov_b64 s[4:5], -1
                                        ; implicit-def: $sgpr10
	s_and_saveexec_b64 s[8:9], s[12:13]
; %bb.2414:
	s_mov_b32 s10, 0x7f800001
	s_xor_b64 s[4:5], exec, -1
; %bb.2415:
	s_or_b64 exec, exec, s[8:9]
	s_and_b64 s[4:5], s[4:5], exec
	s_or_saveexec_b64 s[6:7], s[6:7]
	v_mov_b32_e32 v4, s10
	s_xor_b64 exec, exec, s[6:7]
	s_cbranch_execz .LBB4_366
.LBB4_2416:
	v_mov_b32_e32 v4, 0
	v_cmp_ne_u16_sdwa s[8:9], v3, v4 src0_sel:BYTE_0 src1_sel:DWORD
	s_andn2_b64 s[4:5], s[4:5], exec
	s_and_b64 s[8:9], s[8:9], exec
	s_or_b64 s[4:5], s[4:5], s[8:9]
	s_or_b64 exec, exec, s[6:7]
	s_and_saveexec_b64 s[6:7], s[4:5]
	s_cbranch_execnz .LBB4_367
	s_branch .LBB4_368
.LBB4_2417:
	s_movk_i32 s4, 0x80
	v_cmp_eq_u16_e32 vcc, s4, v3
	s_mov_b64 s[4:5], -1
                                        ; implicit-def: $sgpr10
	s_and_saveexec_b64 s[8:9], vcc
; %bb.2418:
	s_mov_b32 s10, 0x7f800001
	s_xor_b64 s[4:5], exec, -1
; %bb.2419:
	s_or_b64 exec, exec, s[8:9]
	s_and_b64 s[4:5], s[4:5], exec
                                        ; implicit-def: $vgpr3
	s_or_saveexec_b64 s[6:7], s[6:7]
	v_mov_b32_e32 v2, s10
	s_xor_b64 exec, exec, s[6:7]
	s_cbranch_execz .LBB4_370
.LBB4_2420:
	v_cmp_ne_u16_e32 vcc, 0, v3
	s_andn2_b64 s[4:5], s[4:5], exec
	s_and_b64 s[8:9], vcc, exec
	v_mov_b32_e32 v2, 0
	s_or_b64 s[4:5], s[4:5], s[8:9]
	s_or_b64 exec, exec, s[6:7]
	s_and_saveexec_b64 s[6:7], s[4:5]
	s_cbranch_execnz .LBB4_371
	s_branch .LBB4_372
.LBB4_2421:
	s_movk_i32 s4, 0x80
	v_cmp_eq_u16_e32 vcc, s4, v3
	s_mov_b64 s[4:5], -1
                                        ; implicit-def: $sgpr10
	s_and_saveexec_b64 s[8:9], vcc
; %bb.2422:
	s_mov_b32 s10, 0x7f800001
	s_xor_b64 s[4:5], exec, -1
; %bb.2423:
	s_or_b64 exec, exec, s[8:9]
	s_and_b64 s[4:5], s[4:5], exec
                                        ; implicit-def: $vgpr3
	s_or_saveexec_b64 s[6:7], s[6:7]
	v_mov_b32_e32 v4, s10
	s_xor_b64 exec, exec, s[6:7]
	s_cbranch_execz .LBB4_374
.LBB4_2424:
	v_cmp_ne_u16_e32 vcc, 0, v3
	s_andn2_b64 s[4:5], s[4:5], exec
	s_and_b64 s[8:9], vcc, exec
	v_mov_b32_e32 v4, 0
	s_or_b64 s[4:5], s[4:5], s[8:9]
	s_or_b64 exec, exec, s[6:7]
	s_and_saveexec_b64 s[6:7], s[4:5]
	s_cbranch_execnz .LBB4_375
	s_branch .LBB4_376
.LBB4_2425:
	s_movk_i32 s4, 0x80
	v_cmp_eq_u16_sdwa s[12:13], v9, s4 src0_sel:BYTE_3 src1_sel:DWORD
	s_mov_b64 s[4:5], -1
                                        ; implicit-def: $sgpr10
	s_and_saveexec_b64 s[8:9], s[12:13]
; %bb.2426:
	s_mov_b32 s10, 0x7f800001
	s_xor_b64 s[4:5], exec, -1
; %bb.2427:
	s_or_b64 exec, exec, s[8:9]
	s_and_b64 s[4:5], s[4:5], exec
	s_or_saveexec_b64 s[6:7], s[6:7]
	v_mov_b32_e32 v2, s10
	s_xor_b64 exec, exec, s[6:7]
	s_cbranch_execz .LBB4_378
.LBB4_2428:
	v_mov_b32_e32 v2, 0
	v_cmp_ne_u16_sdwa s[8:9], v9, v2 src0_sel:BYTE_3 src1_sel:DWORD
	s_andn2_b64 s[4:5], s[4:5], exec
	s_and_b64 s[8:9], s[8:9], exec
	s_or_b64 s[4:5], s[4:5], s[8:9]
	s_or_b64 exec, exec, s[6:7]
	s_and_saveexec_b64 s[6:7], s[4:5]
	s_cbranch_execnz .LBB4_379
	s_branch .LBB4_380
.LBB4_2429:
	s_movk_i32 s4, 0x80
	v_cmp_eq_u16_sdwa s[12:13], v5, s4 src0_sel:BYTE_3 src1_sel:DWORD
	s_mov_b64 s[4:5], -1
                                        ; implicit-def: $sgpr10
	s_and_saveexec_b64 s[8:9], s[12:13]
; %bb.2430:
	s_mov_b32 s10, 0x7f800001
	s_xor_b64 s[4:5], exec, -1
; %bb.2431:
	s_or_b64 exec, exec, s[8:9]
	s_and_b64 s[4:5], s[4:5], exec
	s_or_saveexec_b64 s[6:7], s[6:7]
	v_mov_b32_e32 v3, s10
	s_xor_b64 exec, exec, s[6:7]
	s_cbranch_execz .LBB4_382
.LBB4_2432:
	v_mov_b32_e32 v3, 0
	v_cmp_ne_u16_sdwa s[8:9], v5, v3 src0_sel:BYTE_3 src1_sel:DWORD
	s_andn2_b64 s[4:5], s[4:5], exec
	s_and_b64 s[8:9], s[8:9], exec
	s_or_b64 s[4:5], s[4:5], s[8:9]
	s_or_b64 exec, exec, s[6:7]
	s_and_saveexec_b64 s[6:7], s[4:5]
	s_cbranch_execnz .LBB4_383
	s_branch .LBB4_384
.LBB4_2433:
	s_movk_i32 s4, 0x80
	v_cmp_eq_u16_sdwa s[12:13], v6, s4 src0_sel:BYTE_0 src1_sel:DWORD
	s_mov_b64 s[4:5], -1
                                        ; implicit-def: $sgpr10
	s_and_saveexec_b64 s[8:9], s[12:13]
; %bb.2434:
	s_mov_b32 s10, 0x7f800001
	s_xor_b64 s[4:5], exec, -1
; %bb.2435:
	s_or_b64 exec, exec, s[8:9]
	s_and_b64 s[4:5], s[4:5], exec
	s_or_saveexec_b64 s[6:7], s[6:7]
	v_mov_b32_e32 v12, s10
	s_xor_b64 exec, exec, s[6:7]
	s_cbranch_execz .LBB4_386
.LBB4_2436:
	v_mov_b32_e32 v12, 0
	v_cmp_ne_u16_sdwa s[8:9], v6, v12 src0_sel:BYTE_0 src1_sel:DWORD
	s_andn2_b64 s[4:5], s[4:5], exec
	s_and_b64 s[8:9], s[8:9], exec
	s_or_b64 s[4:5], s[4:5], s[8:9]
	s_or_b64 exec, exec, s[6:7]
	s_and_saveexec_b64 s[6:7], s[4:5]
	s_cbranch_execnz .LBB4_387
	s_branch .LBB4_388
.LBB4_2437:
	s_movk_i32 s4, 0x80
	v_cmp_eq_u16_sdwa s[12:13], v2, s4 src0_sel:BYTE_0 src1_sel:DWORD
	s_mov_b64 s[4:5], -1
                                        ; implicit-def: $sgpr10
	s_and_saveexec_b64 s[8:9], s[12:13]
; %bb.2438:
	s_mov_b32 s10, 0x7f800001
	s_xor_b64 s[4:5], exec, -1
; %bb.2439:
	s_or_b64 exec, exec, s[8:9]
	s_and_b64 s[4:5], s[4:5], exec
	s_or_saveexec_b64 s[6:7], s[6:7]
	v_mov_b32_e32 v13, s10
	s_xor_b64 exec, exec, s[6:7]
	s_cbranch_execz .LBB4_390
.LBB4_2440:
	v_mov_b32_e32 v13, 0
	v_cmp_ne_u16_sdwa s[8:9], v2, v13 src0_sel:BYTE_0 src1_sel:DWORD
	s_andn2_b64 s[4:5], s[4:5], exec
	s_and_b64 s[8:9], s[8:9], exec
	s_or_b64 s[4:5], s[4:5], s[8:9]
	s_or_b64 exec, exec, s[6:7]
	s_and_saveexec_b64 s[6:7], s[4:5]
	s_cbranch_execnz .LBB4_391
	s_branch .LBB4_392
.LBB4_2441:
	s_movk_i32 s4, 0x80
	v_cmp_eq_u16_sdwa s[12:13], v13, s4 src0_sel:BYTE_0 src1_sel:DWORD
	s_mov_b64 s[4:5], -1
                                        ; implicit-def: $sgpr10
	s_and_saveexec_b64 s[8:9], s[12:13]
; %bb.2442:
	s_mov_b32 s10, 0x7f800001
	s_xor_b64 s[4:5], exec, -1
; %bb.2443:
	s_or_b64 exec, exec, s[8:9]
	s_and_b64 s[4:5], s[4:5], exec
	s_or_saveexec_b64 s[6:7], s[6:7]
	v_mov_b32_e32 v12, s10
	s_xor_b64 exec, exec, s[6:7]
	s_cbranch_execz .LBB4_394
.LBB4_2444:
	v_mov_b32_e32 v12, 0
	v_cmp_ne_u16_sdwa s[8:9], v13, v12 src0_sel:BYTE_0 src1_sel:DWORD
	s_andn2_b64 s[4:5], s[4:5], exec
	s_and_b64 s[8:9], s[8:9], exec
	s_or_b64 s[4:5], s[4:5], s[8:9]
	s_or_b64 exec, exec, s[6:7]
	s_and_saveexec_b64 s[6:7], s[4:5]
	s_cbranch_execnz .LBB4_395
	s_branch .LBB4_396
.LBB4_2445:
	s_movk_i32 s4, 0x80
	v_cmp_eq_u16_sdwa s[12:13], v13, s4 src0_sel:BYTE_0 src1_sel:DWORD
	s_mov_b64 s[4:5], -1
                                        ; implicit-def: $sgpr10
	s_and_saveexec_b64 s[8:9], s[12:13]
; %bb.2446:
	s_mov_b32 s10, 0x7f800001
	s_xor_b64 s[4:5], exec, -1
; %bb.2447:
	s_or_b64 exec, exec, s[8:9]
	s_and_b64 s[4:5], s[4:5], exec
	s_or_saveexec_b64 s[6:7], s[6:7]
	v_mov_b32_e32 v14, s10
	s_xor_b64 exec, exec, s[6:7]
	s_cbranch_execz .LBB4_398
.LBB4_2448:
	v_mov_b32_e32 v14, 0
	v_cmp_ne_u16_sdwa s[8:9], v13, v14 src0_sel:BYTE_0 src1_sel:DWORD
	s_andn2_b64 s[4:5], s[4:5], exec
	s_and_b64 s[8:9], s[8:9], exec
	s_or_b64 s[4:5], s[4:5], s[8:9]
	s_or_b64 exec, exec, s[6:7]
	s_and_saveexec_b64 s[6:7], s[4:5]
	s_cbranch_execnz .LBB4_399
	s_branch .LBB4_400
.LBB4_2449:
	s_movk_i32 s4, 0x80
	v_cmp_eq_u16_e32 vcc, s4, v13
	s_mov_b64 s[4:5], -1
                                        ; implicit-def: $sgpr10
	s_and_saveexec_b64 s[8:9], vcc
; %bb.2450:
	s_mov_b32 s10, 0x7f800001
	s_xor_b64 s[4:5], exec, -1
; %bb.2451:
	s_or_b64 exec, exec, s[8:9]
	s_and_b64 s[4:5], s[4:5], exec
                                        ; implicit-def: $vgpr13
	s_or_saveexec_b64 s[6:7], s[6:7]
	v_mov_b32_e32 v12, s10
	s_xor_b64 exec, exec, s[6:7]
	s_cbranch_execz .LBB4_402
.LBB4_2452:
	v_cmp_ne_u16_e32 vcc, 0, v13
	s_andn2_b64 s[4:5], s[4:5], exec
	s_and_b64 s[8:9], vcc, exec
	v_mov_b32_e32 v12, 0
	s_or_b64 s[4:5], s[4:5], s[8:9]
	s_or_b64 exec, exec, s[6:7]
	s_and_saveexec_b64 s[6:7], s[4:5]
	s_cbranch_execnz .LBB4_403
	s_branch .LBB4_404
.LBB4_2453:
	s_movk_i32 s4, 0x80
	v_cmp_eq_u16_e32 vcc, s4, v13
	s_mov_b64 s[4:5], -1
                                        ; implicit-def: $sgpr10
	s_and_saveexec_b64 s[8:9], vcc
; %bb.2454:
	s_mov_b32 s10, 0x7f800001
	s_xor_b64 s[4:5], exec, -1
; %bb.2455:
	s_or_b64 exec, exec, s[8:9]
	s_and_b64 s[4:5], s[4:5], exec
                                        ; implicit-def: $vgpr13
	s_or_saveexec_b64 s[6:7], s[6:7]
	v_mov_b32_e32 v14, s10
	s_xor_b64 exec, exec, s[6:7]
	s_cbranch_execz .LBB4_406
.LBB4_2456:
	v_cmp_ne_u16_e32 vcc, 0, v13
	s_andn2_b64 s[4:5], s[4:5], exec
	s_and_b64 s[8:9], vcc, exec
	v_mov_b32_e32 v14, 0
	s_or_b64 s[4:5], s[4:5], s[8:9]
	s_or_b64 exec, exec, s[6:7]
	s_and_saveexec_b64 s[6:7], s[4:5]
	s_cbranch_execnz .LBB4_407
	s_branch .LBB4_408
.LBB4_2457:
	s_movk_i32 s4, 0x80
	v_cmp_eq_u16_sdwa s[12:13], v6, s4 src0_sel:BYTE_3 src1_sel:DWORD
	s_mov_b64 s[4:5], -1
                                        ; implicit-def: $sgpr10
	s_and_saveexec_b64 s[8:9], s[12:13]
; %bb.2458:
	s_mov_b32 s10, 0x7f800001
	s_xor_b64 s[4:5], exec, -1
; %bb.2459:
	s_or_b64 exec, exec, s[8:9]
	s_and_b64 s[4:5], s[4:5], exec
	s_or_saveexec_b64 s[6:7], s[6:7]
	v_mov_b32_e32 v12, s10
	s_xor_b64 exec, exec, s[6:7]
	s_cbranch_execz .LBB4_410
.LBB4_2460:
	v_mov_b32_e32 v12, 0
	v_cmp_ne_u16_sdwa s[8:9], v6, v12 src0_sel:BYTE_3 src1_sel:DWORD
	s_andn2_b64 s[4:5], s[4:5], exec
	s_and_b64 s[8:9], s[8:9], exec
	s_or_b64 s[4:5], s[4:5], s[8:9]
	s_or_b64 exec, exec, s[6:7]
	s_and_saveexec_b64 s[6:7], s[4:5]
	s_cbranch_execnz .LBB4_411
	s_branch .LBB4_412
.LBB4_2461:
	s_movk_i32 s4, 0x80
	v_cmp_eq_u16_sdwa s[12:13], v2, s4 src0_sel:BYTE_3 src1_sel:DWORD
	s_mov_b64 s[4:5], -1
                                        ; implicit-def: $sgpr10
	s_and_saveexec_b64 s[8:9], s[12:13]
; %bb.2462:
	s_mov_b32 s10, 0x7f800001
	s_xor_b64 s[4:5], exec, -1
; %bb.2463:
	s_or_b64 exec, exec, s[8:9]
	s_and_b64 s[4:5], s[4:5], exec
	s_or_saveexec_b64 s[6:7], s[6:7]
	v_mov_b32_e32 v6, s10
	s_xor_b64 exec, exec, s[6:7]
	s_cbranch_execz .LBB4_414
.LBB4_2464:
	v_mov_b32_e32 v6, 0
	v_cmp_ne_u16_sdwa s[8:9], v2, v6 src0_sel:BYTE_3 src1_sel:DWORD
	s_andn2_b64 s[4:5], s[4:5], exec
	s_and_b64 s[8:9], s[8:9], exec
	s_or_b64 s[4:5], s[4:5], s[8:9]
	s_or_b64 exec, exec, s[6:7]
	s_and_saveexec_b64 s[6:7], s[4:5]
	s_cbranch_execnz .LBB4_415
	s_branch .LBB4_416
.LBB4_2465:
	s_movk_i32 s4, 0x80
	v_cmp_eq_u16_sdwa s[12:13], v7, s4 src0_sel:BYTE_0 src1_sel:DWORD
	s_mov_b64 s[4:5], -1
                                        ; implicit-def: $sgpr10
	s_and_saveexec_b64 s[8:9], s[12:13]
; %bb.2466:
	s_mov_b32 s10, 0x7f800001
	s_xor_b64 s[4:5], exec, -1
; %bb.2467:
	s_or_b64 exec, exec, s[8:9]
	s_and_b64 s[4:5], s[4:5], exec
	s_or_saveexec_b64 s[6:7], s[6:7]
	v_mov_b32_e32 v2, s10
	s_xor_b64 exec, exec, s[6:7]
	s_cbranch_execz .LBB4_418
.LBB4_2468:
	v_mov_b32_e32 v2, 0
	v_cmp_ne_u16_sdwa s[8:9], v7, v2 src0_sel:BYTE_0 src1_sel:DWORD
	s_andn2_b64 s[4:5], s[4:5], exec
	s_and_b64 s[8:9], s[8:9], exec
	s_or_b64 s[4:5], s[4:5], s[8:9]
	s_or_b64 exec, exec, s[6:7]
	s_and_saveexec_b64 s[6:7], s[4:5]
	s_cbranch_execnz .LBB4_419
	s_branch .LBB4_420
.LBB4_2469:
	s_movk_i32 s4, 0x80
	v_cmp_eq_u16_sdwa s[12:13], v3, s4 src0_sel:BYTE_0 src1_sel:DWORD
	s_mov_b64 s[4:5], -1
                                        ; implicit-def: $sgpr10
	s_and_saveexec_b64 s[8:9], s[12:13]
; %bb.2470:
	s_mov_b32 s10, 0x7f800001
	s_xor_b64 s[4:5], exec, -1
; %bb.2471:
	s_or_b64 exec, exec, s[8:9]
	s_and_b64 s[4:5], s[4:5], exec
	s_or_saveexec_b64 s[6:7], s[6:7]
	v_mov_b32_e32 v6, s10
	s_xor_b64 exec, exec, s[6:7]
	s_cbranch_execz .LBB4_422
.LBB4_2472:
	v_mov_b32_e32 v6, 0
	v_cmp_ne_u16_sdwa s[8:9], v3, v6 src0_sel:BYTE_0 src1_sel:DWORD
	s_andn2_b64 s[4:5], s[4:5], exec
	s_and_b64 s[8:9], s[8:9], exec
	s_or_b64 s[4:5], s[4:5], s[8:9]
	s_or_b64 exec, exec, s[6:7]
	s_and_saveexec_b64 s[6:7], s[4:5]
	s_cbranch_execnz .LBB4_423
	s_branch .LBB4_424
.LBB4_2473:
	s_movk_i32 s4, 0x80
	v_cmp_eq_u16_sdwa s[12:13], v6, s4 src0_sel:BYTE_0 src1_sel:DWORD
	s_mov_b64 s[4:5], -1
                                        ; implicit-def: $sgpr10
	s_and_saveexec_b64 s[8:9], s[12:13]
; %bb.2474:
	s_mov_b32 s10, 0x7f800001
	s_xor_b64 s[4:5], exec, -1
; %bb.2475:
	s_or_b64 exec, exec, s[8:9]
	s_and_b64 s[4:5], s[4:5], exec
	s_or_saveexec_b64 s[6:7], s[6:7]
	v_mov_b32_e32 v2, s10
	s_xor_b64 exec, exec, s[6:7]
	s_cbranch_execz .LBB4_426
.LBB4_2476:
	v_mov_b32_e32 v2, 0
	v_cmp_ne_u16_sdwa s[8:9], v6, v2 src0_sel:BYTE_0 src1_sel:DWORD
	s_andn2_b64 s[4:5], s[4:5], exec
	s_and_b64 s[8:9], s[8:9], exec
	s_or_b64 s[4:5], s[4:5], s[8:9]
	s_or_b64 exec, exec, s[6:7]
	s_and_saveexec_b64 s[6:7], s[4:5]
	s_cbranch_execnz .LBB4_427
	s_branch .LBB4_428
.LBB4_2477:
	s_movk_i32 s4, 0x80
	v_cmp_eq_u16_sdwa s[12:13], v6, s4 src0_sel:BYTE_0 src1_sel:DWORD
	s_mov_b64 s[4:5], -1
                                        ; implicit-def: $sgpr10
	s_and_saveexec_b64 s[8:9], s[12:13]
; %bb.2478:
	s_mov_b32 s10, 0x7f800001
	s_xor_b64 s[4:5], exec, -1
; %bb.2479:
	s_or_b64 exec, exec, s[8:9]
	s_and_b64 s[4:5], s[4:5], exec
	s_or_saveexec_b64 s[6:7], s[6:7]
	v_mov_b32_e32 v12, s10
	s_xor_b64 exec, exec, s[6:7]
	s_cbranch_execz .LBB4_430
.LBB4_2480:
	v_mov_b32_e32 v12, 0
	v_cmp_ne_u16_sdwa s[8:9], v6, v12 src0_sel:BYTE_0 src1_sel:DWORD
	s_andn2_b64 s[4:5], s[4:5], exec
	s_and_b64 s[8:9], s[8:9], exec
	s_or_b64 s[4:5], s[4:5], s[8:9]
	s_or_b64 exec, exec, s[6:7]
	s_and_saveexec_b64 s[6:7], s[4:5]
	s_cbranch_execnz .LBB4_431
	s_branch .LBB4_432
.LBB4_2481:
	s_movk_i32 s4, 0x80
	v_cmp_eq_u16_e32 vcc, s4, v6
	s_mov_b64 s[4:5], -1
                                        ; implicit-def: $sgpr10
	s_and_saveexec_b64 s[8:9], vcc
; %bb.2482:
	s_mov_b32 s10, 0x7f800001
	s_xor_b64 s[4:5], exec, -1
; %bb.2483:
	s_or_b64 exec, exec, s[8:9]
	s_and_b64 s[4:5], s[4:5], exec
                                        ; implicit-def: $vgpr6
	s_or_saveexec_b64 s[6:7], s[6:7]
	v_mov_b32_e32 v2, s10
	s_xor_b64 exec, exec, s[6:7]
	s_cbranch_execz .LBB4_434
.LBB4_2484:
	v_cmp_ne_u16_e32 vcc, 0, v6
	s_andn2_b64 s[4:5], s[4:5], exec
	s_and_b64 s[8:9], vcc, exec
	v_mov_b32_e32 v2, 0
	s_or_b64 s[4:5], s[4:5], s[8:9]
	s_or_b64 exec, exec, s[6:7]
	s_and_saveexec_b64 s[6:7], s[4:5]
	s_cbranch_execnz .LBB4_435
	s_branch .LBB4_436
.LBB4_2485:
	s_movk_i32 s4, 0x80
	v_cmp_eq_u16_e32 vcc, s4, v6
	s_mov_b64 s[4:5], -1
                                        ; implicit-def: $sgpr10
	s_and_saveexec_b64 s[8:9], vcc
; %bb.2486:
	s_mov_b32 s10, 0x7f800001
	s_xor_b64 s[4:5], exec, -1
; %bb.2487:
	s_or_b64 exec, exec, s[8:9]
	s_and_b64 s[4:5], s[4:5], exec
                                        ; implicit-def: $vgpr6
	s_or_saveexec_b64 s[6:7], s[6:7]
	v_mov_b32_e32 v12, s10
	s_xor_b64 exec, exec, s[6:7]
	s_cbranch_execz .LBB4_438
.LBB4_2488:
	v_cmp_ne_u16_e32 vcc, 0, v6
	s_andn2_b64 s[4:5], s[4:5], exec
	s_and_b64 s[8:9], vcc, exec
	v_mov_b32_e32 v12, 0
	s_or_b64 s[4:5], s[4:5], s[8:9]
	s_or_b64 exec, exec, s[6:7]
	s_and_saveexec_b64 s[6:7], s[4:5]
	s_cbranch_execnz .LBB4_439
	s_branch .LBB4_440
.LBB4_2489:
	s_movk_i32 s4, 0x80
	v_cmp_eq_u16_sdwa s[12:13], v7, s4 src0_sel:BYTE_3 src1_sel:DWORD
	s_mov_b64 s[4:5], -1
                                        ; implicit-def: $sgpr10
	s_and_saveexec_b64 s[8:9], s[12:13]
; %bb.2490:
	s_mov_b32 s10, 0x7f800001
	s_xor_b64 s[4:5], exec, -1
; %bb.2491:
	s_or_b64 exec, exec, s[8:9]
	s_and_b64 s[4:5], s[4:5], exec
	s_or_saveexec_b64 s[6:7], s[6:7]
	v_mov_b32_e32 v2, s10
	s_xor_b64 exec, exec, s[6:7]
	s_cbranch_execz .LBB4_442
.LBB4_2492:
	v_mov_b32_e32 v2, 0
	v_cmp_ne_u16_sdwa s[8:9], v7, v2 src0_sel:BYTE_3 src1_sel:DWORD
	s_andn2_b64 s[4:5], s[4:5], exec
	s_and_b64 s[8:9], s[8:9], exec
	s_or_b64 s[4:5], s[4:5], s[8:9]
	s_or_b64 exec, exec, s[6:7]
	s_and_saveexec_b64 s[6:7], s[4:5]
	s_cbranch_execnz .LBB4_443
	s_branch .LBB4_444
.LBB4_2493:
	s_movk_i32 s4, 0x80
	v_cmp_eq_u16_sdwa s[12:13], v3, s4 src0_sel:BYTE_3 src1_sel:DWORD
	s_mov_b64 s[4:5], -1
                                        ; implicit-def: $sgpr10
	s_and_saveexec_b64 s[8:9], s[12:13]
; %bb.2494:
	s_mov_b32 s10, 0x7f800001
	s_xor_b64 s[4:5], exec, -1
; %bb.2495:
	s_or_b64 exec, exec, s[8:9]
	s_and_b64 s[4:5], s[4:5], exec
	s_or_saveexec_b64 s[6:7], s[6:7]
	v_mov_b32_e32 v6, s10
	s_xor_b64 exec, exec, s[6:7]
	s_cbranch_execz .LBB4_446
.LBB4_2496:
	v_mov_b32_e32 v6, 0
	v_cmp_ne_u16_sdwa s[8:9], v3, v6 src0_sel:BYTE_3 src1_sel:DWORD
	s_andn2_b64 s[4:5], s[4:5], exec
	s_and_b64 s[8:9], s[8:9], exec
	s_or_b64 s[4:5], s[4:5], s[8:9]
	s_or_b64 exec, exec, s[6:7]
	s_and_saveexec_b64 s[6:7], s[4:5]
	s_cbranch_execnz .LBB4_447
	s_branch .LBB4_448
.LBB4_2497:
	s_movk_i32 s4, 0x80
	v_cmp_eq_u16_sdwa s[12:13], v8, s4 src0_sel:BYTE_0 src1_sel:DWORD
	s_mov_b64 s[4:5], -1
                                        ; implicit-def: $sgpr10
	s_and_saveexec_b64 s[8:9], s[12:13]
; %bb.2498:
	s_mov_b32 s10, 0x7f800001
	s_xor_b64 s[4:5], exec, -1
; %bb.2499:
	s_or_b64 exec, exec, s[8:9]
	s_and_b64 s[4:5], s[4:5], exec
	s_or_saveexec_b64 s[6:7], s[6:7]
	v_mov_b32_e32 v2, s10
	s_xor_b64 exec, exec, s[6:7]
	s_cbranch_execz .LBB4_450
.LBB4_2500:
	v_mov_b32_e32 v2, 0
	v_cmp_ne_u16_sdwa s[8:9], v8, v2 src0_sel:BYTE_0 src1_sel:DWORD
	s_andn2_b64 s[4:5], s[4:5], exec
	s_and_b64 s[8:9], s[8:9], exec
	s_or_b64 s[4:5], s[4:5], s[8:9]
	s_or_b64 exec, exec, s[6:7]
	s_and_saveexec_b64 s[6:7], s[4:5]
	s_cbranch_execnz .LBB4_451
	s_branch .LBB4_452
.LBB4_2501:
	s_movk_i32 s4, 0x80
	v_cmp_eq_u16_sdwa s[12:13], v4, s4 src0_sel:BYTE_0 src1_sel:DWORD
	s_mov_b64 s[4:5], -1
                                        ; implicit-def: $sgpr10
	s_and_saveexec_b64 s[8:9], s[12:13]
; %bb.2502:
	s_mov_b32 s10, 0x7f800001
	s_xor_b64 s[4:5], exec, -1
; %bb.2503:
	s_or_b64 exec, exec, s[8:9]
	s_and_b64 s[4:5], s[4:5], exec
	s_or_saveexec_b64 s[6:7], s[6:7]
	v_mov_b32_e32 v3, s10
	s_xor_b64 exec, exec, s[6:7]
	s_cbranch_execz .LBB4_454
.LBB4_2504:
	v_mov_b32_e32 v3, 0
	v_cmp_ne_u16_sdwa s[8:9], v4, v3 src0_sel:BYTE_0 src1_sel:DWORD
	s_andn2_b64 s[4:5], s[4:5], exec
	s_and_b64 s[8:9], s[8:9], exec
	s_or_b64 s[4:5], s[4:5], s[8:9]
	s_or_b64 exec, exec, s[6:7]
	s_and_saveexec_b64 s[6:7], s[4:5]
	s_cbranch_execnz .LBB4_455
	s_branch .LBB4_456
.LBB4_2505:
	s_movk_i32 s4, 0x80
	v_cmp_eq_u16_sdwa s[12:13], v3, s4 src0_sel:BYTE_0 src1_sel:DWORD
	s_mov_b64 s[4:5], -1
                                        ; implicit-def: $sgpr10
	s_and_saveexec_b64 s[8:9], s[12:13]
; %bb.2506:
	s_mov_b32 s10, 0x7f800001
	s_xor_b64 s[4:5], exec, -1
; %bb.2507:
	s_or_b64 exec, exec, s[8:9]
	s_and_b64 s[4:5], s[4:5], exec
	s_or_saveexec_b64 s[6:7], s[6:7]
	v_mov_b32_e32 v2, s10
	s_xor_b64 exec, exec, s[6:7]
	s_cbranch_execz .LBB4_458
.LBB4_2508:
	v_mov_b32_e32 v2, 0
	v_cmp_ne_u16_sdwa s[8:9], v3, v2 src0_sel:BYTE_0 src1_sel:DWORD
	s_andn2_b64 s[4:5], s[4:5], exec
	s_and_b64 s[8:9], s[8:9], exec
	s_or_b64 s[4:5], s[4:5], s[8:9]
	s_or_b64 exec, exec, s[6:7]
	s_and_saveexec_b64 s[6:7], s[4:5]
	s_cbranch_execnz .LBB4_459
	s_branch .LBB4_460
.LBB4_2509:
	s_movk_i32 s4, 0x80
	v_cmp_eq_u16_sdwa s[12:13], v3, s4 src0_sel:BYTE_0 src1_sel:DWORD
	s_mov_b64 s[4:5], -1
                                        ; implicit-def: $sgpr10
	s_and_saveexec_b64 s[8:9], s[12:13]
; %bb.2510:
	s_mov_b32 s10, 0x7f800001
	s_xor_b64 s[4:5], exec, -1
; %bb.2511:
	s_or_b64 exec, exec, s[8:9]
	s_and_b64 s[4:5], s[4:5], exec
	s_or_saveexec_b64 s[6:7], s[6:7]
	v_mov_b32_e32 v6, s10
	s_xor_b64 exec, exec, s[6:7]
	s_cbranch_execz .LBB4_462
.LBB4_2512:
	v_mov_b32_e32 v6, 0
	v_cmp_ne_u16_sdwa s[8:9], v3, v6 src0_sel:BYTE_0 src1_sel:DWORD
	s_andn2_b64 s[4:5], s[4:5], exec
	s_and_b64 s[8:9], s[8:9], exec
	s_or_b64 s[4:5], s[4:5], s[8:9]
	s_or_b64 exec, exec, s[6:7]
	s_and_saveexec_b64 s[6:7], s[4:5]
	s_cbranch_execnz .LBB4_463
	s_branch .LBB4_464
.LBB4_2513:
	s_movk_i32 s4, 0x80
	v_cmp_eq_u16_e32 vcc, s4, v3
	s_mov_b64 s[4:5], -1
                                        ; implicit-def: $sgpr10
	s_and_saveexec_b64 s[8:9], vcc
; %bb.2514:
	s_mov_b32 s10, 0x7f800001
	s_xor_b64 s[4:5], exec, -1
; %bb.2515:
	s_or_b64 exec, exec, s[8:9]
	s_and_b64 s[4:5], s[4:5], exec
                                        ; implicit-def: $vgpr3
	s_or_saveexec_b64 s[6:7], s[6:7]
	v_mov_b32_e32 v2, s10
	s_xor_b64 exec, exec, s[6:7]
	s_cbranch_execz .LBB4_466
.LBB4_2516:
	v_cmp_ne_u16_e32 vcc, 0, v3
	s_andn2_b64 s[4:5], s[4:5], exec
	s_and_b64 s[8:9], vcc, exec
	v_mov_b32_e32 v2, 0
	s_or_b64 s[4:5], s[4:5], s[8:9]
	s_or_b64 exec, exec, s[6:7]
	s_and_saveexec_b64 s[6:7], s[4:5]
	s_cbranch_execnz .LBB4_467
	s_branch .LBB4_468
.LBB4_2517:
	s_movk_i32 s4, 0x80
	v_cmp_eq_u16_e32 vcc, s4, v3
	s_mov_b64 s[4:5], -1
                                        ; implicit-def: $sgpr10
	s_and_saveexec_b64 s[8:9], vcc
; %bb.2518:
	s_mov_b32 s10, 0x7f800001
	s_xor_b64 s[4:5], exec, -1
; %bb.2519:
	s_or_b64 exec, exec, s[8:9]
	s_and_b64 s[4:5], s[4:5], exec
                                        ; implicit-def: $vgpr3
	s_or_saveexec_b64 s[6:7], s[6:7]
	v_mov_b32_e32 v6, s10
	s_xor_b64 exec, exec, s[6:7]
	s_cbranch_execz .LBB4_470
.LBB4_2520:
	v_cmp_ne_u16_e32 vcc, 0, v3
	s_andn2_b64 s[4:5], s[4:5], exec
	s_and_b64 s[8:9], vcc, exec
	v_mov_b32_e32 v6, 0
	s_or_b64 s[4:5], s[4:5], s[8:9]
	s_or_b64 exec, exec, s[6:7]
	s_and_saveexec_b64 s[6:7], s[4:5]
	s_cbranch_execnz .LBB4_471
	s_branch .LBB4_472
.LBB4_2521:
	s_movk_i32 s4, 0x80
	v_cmp_eq_u16_sdwa s[12:13], v8, s4 src0_sel:BYTE_3 src1_sel:DWORD
	s_mov_b64 s[4:5], -1
                                        ; implicit-def: $sgpr10
	s_and_saveexec_b64 s[8:9], s[12:13]
; %bb.2522:
	s_mov_b32 s10, 0x7f800001
	s_xor_b64 s[4:5], exec, -1
; %bb.2523:
	s_or_b64 exec, exec, s[8:9]
	s_and_b64 s[4:5], s[4:5], exec
	s_or_saveexec_b64 s[6:7], s[6:7]
	v_mov_b32_e32 v2, s10
	s_xor_b64 exec, exec, s[6:7]
	s_cbranch_execz .LBB4_474
.LBB4_2524:
	v_mov_b32_e32 v2, 0
	v_cmp_ne_u16_sdwa s[8:9], v8, v2 src0_sel:BYTE_3 src1_sel:DWORD
	s_andn2_b64 s[4:5], s[4:5], exec
	s_and_b64 s[8:9], s[8:9], exec
	s_or_b64 s[4:5], s[4:5], s[8:9]
	s_or_b64 exec, exec, s[6:7]
	s_and_saveexec_b64 s[6:7], s[4:5]
	s_cbranch_execnz .LBB4_475
	s_branch .LBB4_476
.LBB4_2525:
	s_movk_i32 s4, 0x80
	v_cmp_eq_u16_sdwa s[12:13], v4, s4 src0_sel:BYTE_3 src1_sel:DWORD
	s_mov_b64 s[4:5], -1
                                        ; implicit-def: $sgpr10
	s_and_saveexec_b64 s[8:9], s[12:13]
; %bb.2526:
	s_mov_b32 s10, 0x7f800001
	s_xor_b64 s[4:5], exec, -1
; %bb.2527:
	s_or_b64 exec, exec, s[8:9]
	s_and_b64 s[4:5], s[4:5], exec
	s_or_saveexec_b64 s[6:7], s[6:7]
	v_mov_b32_e32 v3, s10
	s_xor_b64 exec, exec, s[6:7]
	s_cbranch_execz .LBB4_478
.LBB4_2528:
	v_mov_b32_e32 v3, 0
	v_cmp_ne_u16_sdwa s[8:9], v4, v3 src0_sel:BYTE_3 src1_sel:DWORD
	s_andn2_b64 s[4:5], s[4:5], exec
	s_and_b64 s[8:9], s[8:9], exec
	s_or_b64 s[4:5], s[4:5], s[8:9]
	s_or_b64 exec, exec, s[6:7]
	s_and_saveexec_b64 s[6:7], s[4:5]
	s_cbranch_execnz .LBB4_479
	s_branch .LBB4_480
.LBB4_2529:
	s_movk_i32 s4, 0x80
	v_cmp_eq_u16_sdwa s[12:13], v9, s4 src0_sel:BYTE_0 src1_sel:DWORD
	s_mov_b64 s[4:5], -1
                                        ; implicit-def: $sgpr10
	s_and_saveexec_b64 s[8:9], s[12:13]
; %bb.2530:
	s_mov_b32 s10, 0x7f800001
	s_xor_b64 s[4:5], exec, -1
; %bb.2531:
	s_or_b64 exec, exec, s[8:9]
	s_and_b64 s[4:5], s[4:5], exec
	s_or_saveexec_b64 s[6:7], s[6:7]
	v_mov_b32_e32 v2, s10
	s_xor_b64 exec, exec, s[6:7]
	s_cbranch_execz .LBB4_482
.LBB4_2532:
	v_mov_b32_e32 v2, 0
	v_cmp_ne_u16_sdwa s[8:9], v9, v2 src0_sel:BYTE_0 src1_sel:DWORD
	s_andn2_b64 s[4:5], s[4:5], exec
	s_and_b64 s[8:9], s[8:9], exec
	s_or_b64 s[4:5], s[4:5], s[8:9]
	s_or_b64 exec, exec, s[6:7]
	s_and_saveexec_b64 s[6:7], s[4:5]
	s_cbranch_execnz .LBB4_483
	s_branch .LBB4_484
.LBB4_2533:
	s_movk_i32 s4, 0x80
	v_cmp_eq_u16_sdwa s[12:13], v5, s4 src0_sel:BYTE_0 src1_sel:DWORD
	s_mov_b64 s[4:5], -1
                                        ; implicit-def: $sgpr10
	s_and_saveexec_b64 s[8:9], s[12:13]
; %bb.2534:
	s_mov_b32 s10, 0x7f800001
	s_xor_b64 s[4:5], exec, -1
; %bb.2535:
	s_or_b64 exec, exec, s[8:9]
	s_and_b64 s[4:5], s[4:5], exec
	s_or_saveexec_b64 s[6:7], s[6:7]
	v_mov_b32_e32 v3, s10
	s_xor_b64 exec, exec, s[6:7]
	s_cbranch_execz .LBB4_486
.LBB4_2536:
	v_mov_b32_e32 v3, 0
	v_cmp_ne_u16_sdwa s[8:9], v5, v3 src0_sel:BYTE_0 src1_sel:DWORD
	s_andn2_b64 s[4:5], s[4:5], exec
	s_and_b64 s[8:9], s[8:9], exec
	s_or_b64 s[4:5], s[4:5], s[8:9]
	s_or_b64 exec, exec, s[6:7]
	s_and_saveexec_b64 s[6:7], s[4:5]
	s_cbranch_execnz .LBB4_487
	s_branch .LBB4_488
.LBB4_2537:
	s_movk_i32 s4, 0x80
	v_cmp_eq_u16_sdwa s[12:13], v3, s4 src0_sel:BYTE_0 src1_sel:DWORD
	s_mov_b64 s[4:5], -1
                                        ; implicit-def: $sgpr10
	s_and_saveexec_b64 s[8:9], s[12:13]
; %bb.2538:
	s_mov_b32 s10, 0x7f800001
	s_xor_b64 s[4:5], exec, -1
; %bb.2539:
	s_or_b64 exec, exec, s[8:9]
	s_and_b64 s[4:5], s[4:5], exec
	s_or_saveexec_b64 s[6:7], s[6:7]
	v_mov_b32_e32 v2, s10
	s_xor_b64 exec, exec, s[6:7]
	s_cbranch_execz .LBB4_490
.LBB4_2540:
	v_mov_b32_e32 v2, 0
	v_cmp_ne_u16_sdwa s[8:9], v3, v2 src0_sel:BYTE_0 src1_sel:DWORD
	s_andn2_b64 s[4:5], s[4:5], exec
	s_and_b64 s[8:9], s[8:9], exec
	s_or_b64 s[4:5], s[4:5], s[8:9]
	s_or_b64 exec, exec, s[6:7]
	s_and_saveexec_b64 s[6:7], s[4:5]
	s_cbranch_execnz .LBB4_491
	s_branch .LBB4_492
.LBB4_2541:
	s_movk_i32 s4, 0x80
	v_cmp_eq_u16_sdwa s[12:13], v3, s4 src0_sel:BYTE_0 src1_sel:DWORD
	s_mov_b64 s[4:5], -1
                                        ; implicit-def: $sgpr10
	s_and_saveexec_b64 s[8:9], s[12:13]
; %bb.2542:
	s_mov_b32 s10, 0x7f800001
	s_xor_b64 s[4:5], exec, -1
; %bb.2543:
	s_or_b64 exec, exec, s[8:9]
	s_and_b64 s[4:5], s[4:5], exec
	s_or_saveexec_b64 s[6:7], s[6:7]
	v_mov_b32_e32 v4, s10
	s_xor_b64 exec, exec, s[6:7]
	s_cbranch_execz .LBB4_494
.LBB4_2544:
	v_mov_b32_e32 v4, 0
	v_cmp_ne_u16_sdwa s[8:9], v3, v4 src0_sel:BYTE_0 src1_sel:DWORD
	s_andn2_b64 s[4:5], s[4:5], exec
	s_and_b64 s[8:9], s[8:9], exec
	s_or_b64 s[4:5], s[4:5], s[8:9]
	s_or_b64 exec, exec, s[6:7]
	s_and_saveexec_b64 s[6:7], s[4:5]
	s_cbranch_execnz .LBB4_495
	s_branch .LBB4_496
.LBB4_2545:
	s_movk_i32 s4, 0x80
	v_cmp_eq_u16_e32 vcc, s4, v3
	s_mov_b64 s[4:5], -1
                                        ; implicit-def: $sgpr10
	s_and_saveexec_b64 s[8:9], vcc
; %bb.2546:
	s_mov_b32 s10, 0x7f800001
	s_xor_b64 s[4:5], exec, -1
; %bb.2547:
	s_or_b64 exec, exec, s[8:9]
	s_and_b64 s[4:5], s[4:5], exec
                                        ; implicit-def: $vgpr3
	s_or_saveexec_b64 s[6:7], s[6:7]
	v_mov_b32_e32 v2, s10
	s_xor_b64 exec, exec, s[6:7]
	s_cbranch_execz .LBB4_498
.LBB4_2548:
	v_cmp_ne_u16_e32 vcc, 0, v3
	s_andn2_b64 s[4:5], s[4:5], exec
	s_and_b64 s[8:9], vcc, exec
	v_mov_b32_e32 v2, 0
	s_or_b64 s[4:5], s[4:5], s[8:9]
	s_or_b64 exec, exec, s[6:7]
	s_and_saveexec_b64 s[6:7], s[4:5]
	s_cbranch_execnz .LBB4_499
	s_branch .LBB4_500
.LBB4_2549:
	s_movk_i32 s4, 0x80
	v_cmp_eq_u16_e32 vcc, s4, v3
	s_mov_b64 s[4:5], -1
                                        ; implicit-def: $sgpr10
	s_and_saveexec_b64 s[8:9], vcc
; %bb.2550:
	s_mov_b32 s10, 0x7f800001
	s_xor_b64 s[4:5], exec, -1
; %bb.2551:
	s_or_b64 exec, exec, s[8:9]
	s_and_b64 s[4:5], s[4:5], exec
                                        ; implicit-def: $vgpr3
	s_or_saveexec_b64 s[6:7], s[6:7]
	v_mov_b32_e32 v4, s10
	s_xor_b64 exec, exec, s[6:7]
	s_cbranch_execz .LBB4_502
.LBB4_2552:
	v_cmp_ne_u16_e32 vcc, 0, v3
	s_andn2_b64 s[4:5], s[4:5], exec
	s_and_b64 s[8:9], vcc, exec
	v_mov_b32_e32 v4, 0
	s_or_b64 s[4:5], s[4:5], s[8:9]
	s_or_b64 exec, exec, s[6:7]
	s_and_saveexec_b64 s[6:7], s[4:5]
	s_cbranch_execnz .LBB4_503
	s_branch .LBB4_504
.LBB4_2553:
	s_movk_i32 s4, 0x80
	v_cmp_eq_u16_sdwa s[12:13], v9, s4 src0_sel:BYTE_3 src1_sel:DWORD
	s_mov_b64 s[4:5], -1
                                        ; implicit-def: $sgpr10
	s_and_saveexec_b64 s[8:9], s[12:13]
; %bb.2554:
	s_mov_b32 s10, 0x7f800001
	s_xor_b64 s[4:5], exec, -1
; %bb.2555:
	s_or_b64 exec, exec, s[8:9]
	s_and_b64 s[4:5], s[4:5], exec
	s_or_saveexec_b64 s[6:7], s[6:7]
	v_mov_b32_e32 v2, s10
	s_xor_b64 exec, exec, s[6:7]
	s_cbranch_execz .LBB4_506
.LBB4_2556:
	v_mov_b32_e32 v2, 0
	v_cmp_ne_u16_sdwa s[8:9], v9, v2 src0_sel:BYTE_3 src1_sel:DWORD
	s_andn2_b64 s[4:5], s[4:5], exec
	s_and_b64 s[8:9], s[8:9], exec
	s_or_b64 s[4:5], s[4:5], s[8:9]
	s_or_b64 exec, exec, s[6:7]
	s_and_saveexec_b64 s[6:7], s[4:5]
	s_cbranch_execnz .LBB4_507
	s_branch .LBB4_508
.LBB4_2557:
	s_movk_i32 s4, 0x80
	v_cmp_eq_u16_sdwa s[12:13], v5, s4 src0_sel:BYTE_3 src1_sel:DWORD
	s_mov_b64 s[4:5], -1
                                        ; implicit-def: $sgpr10
	s_and_saveexec_b64 s[8:9], s[12:13]
; %bb.2558:
	s_mov_b32 s10, 0x7f800001
	s_xor_b64 s[4:5], exec, -1
; %bb.2559:
	s_or_b64 exec, exec, s[8:9]
	s_and_b64 s[4:5], s[4:5], exec
	s_or_saveexec_b64 s[6:7], s[6:7]
	v_mov_b32_e32 v3, s10
	s_xor_b64 exec, exec, s[6:7]
	s_cbranch_execz .LBB4_510
.LBB4_2560:
	v_mov_b32_e32 v3, 0
	v_cmp_ne_u16_sdwa s[8:9], v5, v3 src0_sel:BYTE_3 src1_sel:DWORD
	s_andn2_b64 s[4:5], s[4:5], exec
	s_and_b64 s[8:9], s[8:9], exec
	s_or_b64 s[4:5], s[4:5], s[8:9]
	s_or_b64 exec, exec, s[6:7]
	s_and_saveexec_b64 s[6:7], s[4:5]
	s_cbranch_execnz .LBB4_511
	s_branch .LBB4_512
.LBB4_2561:
	s_movk_i32 s4, 0x80
	v_cmp_eq_u16_sdwa s[12:13], v6, s4 src0_sel:BYTE_0 src1_sel:DWORD
	s_mov_b64 s[4:5], -1
                                        ; implicit-def: $sgpr10
	s_and_saveexec_b64 s[8:9], s[12:13]
; %bb.2562:
	s_mov_b32 s10, 0x7f800001
	s_xor_b64 s[4:5], exec, -1
; %bb.2563:
	s_or_b64 exec, exec, s[8:9]
	s_and_b64 s[4:5], s[4:5], exec
	s_or_saveexec_b64 s[6:7], s[6:7]
	v_mov_b32_e32 v12, s10
	s_xor_b64 exec, exec, s[6:7]
	s_cbranch_execz .LBB4_514
.LBB4_2564:
	v_mov_b32_e32 v12, 0
	v_cmp_ne_u16_sdwa s[8:9], v6, v12 src0_sel:BYTE_0 src1_sel:DWORD
	s_andn2_b64 s[4:5], s[4:5], exec
	s_and_b64 s[8:9], s[8:9], exec
	s_or_b64 s[4:5], s[4:5], s[8:9]
	s_or_b64 exec, exec, s[6:7]
	s_and_saveexec_b64 s[6:7], s[4:5]
	s_cbranch_execnz .LBB4_515
	s_branch .LBB4_516
.LBB4_2565:
	s_movk_i32 s4, 0x80
	v_cmp_eq_u16_sdwa s[12:13], v2, s4 src0_sel:BYTE_0 src1_sel:DWORD
	s_mov_b64 s[4:5], -1
                                        ; implicit-def: $sgpr10
	s_and_saveexec_b64 s[8:9], s[12:13]
; %bb.2566:
	s_mov_b32 s10, 0x7f800001
	s_xor_b64 s[4:5], exec, -1
; %bb.2567:
	s_or_b64 exec, exec, s[8:9]
	s_and_b64 s[4:5], s[4:5], exec
	s_or_saveexec_b64 s[6:7], s[6:7]
	v_mov_b32_e32 v13, s10
	s_xor_b64 exec, exec, s[6:7]
	s_cbranch_execz .LBB4_518
.LBB4_2568:
	v_mov_b32_e32 v13, 0
	v_cmp_ne_u16_sdwa s[8:9], v2, v13 src0_sel:BYTE_0 src1_sel:DWORD
	s_andn2_b64 s[4:5], s[4:5], exec
	s_and_b64 s[8:9], s[8:9], exec
	s_or_b64 s[4:5], s[4:5], s[8:9]
	s_or_b64 exec, exec, s[6:7]
	s_and_saveexec_b64 s[6:7], s[4:5]
	s_cbranch_execnz .LBB4_519
	s_branch .LBB4_520
.LBB4_2569:
	s_movk_i32 s4, 0x80
	v_cmp_eq_u16_sdwa s[12:13], v13, s4 src0_sel:BYTE_0 src1_sel:DWORD
	s_mov_b64 s[4:5], -1
                                        ; implicit-def: $sgpr10
	s_and_saveexec_b64 s[8:9], s[12:13]
; %bb.2570:
	s_mov_b32 s10, 0x7f800001
	s_xor_b64 s[4:5], exec, -1
; %bb.2571:
	s_or_b64 exec, exec, s[8:9]
	s_and_b64 s[4:5], s[4:5], exec
	s_or_saveexec_b64 s[6:7], s[6:7]
	v_mov_b32_e32 v12, s10
	s_xor_b64 exec, exec, s[6:7]
	s_cbranch_execz .LBB4_522
.LBB4_2572:
	v_mov_b32_e32 v12, 0
	v_cmp_ne_u16_sdwa s[8:9], v13, v12 src0_sel:BYTE_0 src1_sel:DWORD
	s_andn2_b64 s[4:5], s[4:5], exec
	s_and_b64 s[8:9], s[8:9], exec
	s_or_b64 s[4:5], s[4:5], s[8:9]
	s_or_b64 exec, exec, s[6:7]
	s_and_saveexec_b64 s[6:7], s[4:5]
	s_cbranch_execnz .LBB4_523
	s_branch .LBB4_524
.LBB4_2573:
	s_movk_i32 s4, 0x80
	v_cmp_eq_u16_sdwa s[12:13], v13, s4 src0_sel:BYTE_0 src1_sel:DWORD
	s_mov_b64 s[4:5], -1
                                        ; implicit-def: $sgpr10
	s_and_saveexec_b64 s[8:9], s[12:13]
; %bb.2574:
	s_mov_b32 s10, 0x7f800001
	s_xor_b64 s[4:5], exec, -1
; %bb.2575:
	s_or_b64 exec, exec, s[8:9]
	s_and_b64 s[4:5], s[4:5], exec
	s_or_saveexec_b64 s[6:7], s[6:7]
	v_mov_b32_e32 v14, s10
	s_xor_b64 exec, exec, s[6:7]
	s_cbranch_execz .LBB4_526
.LBB4_2576:
	v_mov_b32_e32 v14, 0
	v_cmp_ne_u16_sdwa s[8:9], v13, v14 src0_sel:BYTE_0 src1_sel:DWORD
	s_andn2_b64 s[4:5], s[4:5], exec
	s_and_b64 s[8:9], s[8:9], exec
	s_or_b64 s[4:5], s[4:5], s[8:9]
	s_or_b64 exec, exec, s[6:7]
	s_and_saveexec_b64 s[6:7], s[4:5]
	s_cbranch_execnz .LBB4_527
	s_branch .LBB4_528
.LBB4_2577:
	s_movk_i32 s4, 0x80
	v_cmp_eq_u16_e32 vcc, s4, v13
	s_mov_b64 s[4:5], -1
                                        ; implicit-def: $sgpr10
	s_and_saveexec_b64 s[8:9], vcc
; %bb.2578:
	s_mov_b32 s10, 0x7f800001
	s_xor_b64 s[4:5], exec, -1
; %bb.2579:
	s_or_b64 exec, exec, s[8:9]
	s_and_b64 s[4:5], s[4:5], exec
                                        ; implicit-def: $vgpr13
	s_or_saveexec_b64 s[6:7], s[6:7]
	v_mov_b32_e32 v12, s10
	s_xor_b64 exec, exec, s[6:7]
	s_cbranch_execz .LBB4_530
.LBB4_2580:
	v_cmp_ne_u16_e32 vcc, 0, v13
	s_andn2_b64 s[4:5], s[4:5], exec
	s_and_b64 s[8:9], vcc, exec
	v_mov_b32_e32 v12, 0
	s_or_b64 s[4:5], s[4:5], s[8:9]
	s_or_b64 exec, exec, s[6:7]
	s_and_saveexec_b64 s[6:7], s[4:5]
	s_cbranch_execnz .LBB4_531
	s_branch .LBB4_532
.LBB4_2581:
	s_movk_i32 s4, 0x80
	v_cmp_eq_u16_e32 vcc, s4, v13
	s_mov_b64 s[4:5], -1
                                        ; implicit-def: $sgpr10
	s_and_saveexec_b64 s[8:9], vcc
; %bb.2582:
	s_mov_b32 s10, 0x7f800001
	s_xor_b64 s[4:5], exec, -1
; %bb.2583:
	s_or_b64 exec, exec, s[8:9]
	s_and_b64 s[4:5], s[4:5], exec
                                        ; implicit-def: $vgpr13
	s_or_saveexec_b64 s[6:7], s[6:7]
	v_mov_b32_e32 v14, s10
	s_xor_b64 exec, exec, s[6:7]
	s_cbranch_execz .LBB4_534
.LBB4_2584:
	v_cmp_ne_u16_e32 vcc, 0, v13
	s_andn2_b64 s[4:5], s[4:5], exec
	s_and_b64 s[8:9], vcc, exec
	v_mov_b32_e32 v14, 0
	s_or_b64 s[4:5], s[4:5], s[8:9]
	s_or_b64 exec, exec, s[6:7]
	s_and_saveexec_b64 s[6:7], s[4:5]
	s_cbranch_execnz .LBB4_535
	s_branch .LBB4_536
.LBB4_2585:
	s_movk_i32 s4, 0x80
	v_cmp_eq_u16_sdwa s[12:13], v6, s4 src0_sel:BYTE_3 src1_sel:DWORD
	s_mov_b64 s[4:5], -1
                                        ; implicit-def: $sgpr10
	s_and_saveexec_b64 s[8:9], s[12:13]
; %bb.2586:
	s_mov_b32 s10, 0x7f800001
	s_xor_b64 s[4:5], exec, -1
; %bb.2587:
	s_or_b64 exec, exec, s[8:9]
	s_and_b64 s[4:5], s[4:5], exec
	s_or_saveexec_b64 s[6:7], s[6:7]
	v_mov_b32_e32 v12, s10
	s_xor_b64 exec, exec, s[6:7]
	s_cbranch_execz .LBB4_538
.LBB4_2588:
	v_mov_b32_e32 v12, 0
	v_cmp_ne_u16_sdwa s[8:9], v6, v12 src0_sel:BYTE_3 src1_sel:DWORD
	s_andn2_b64 s[4:5], s[4:5], exec
	s_and_b64 s[8:9], s[8:9], exec
	s_or_b64 s[4:5], s[4:5], s[8:9]
	s_or_b64 exec, exec, s[6:7]
	s_and_saveexec_b64 s[6:7], s[4:5]
	s_cbranch_execnz .LBB4_539
	s_branch .LBB4_540
.LBB4_2589:
	s_movk_i32 s4, 0x80
	v_cmp_eq_u16_sdwa s[12:13], v2, s4 src0_sel:BYTE_3 src1_sel:DWORD
	s_mov_b64 s[4:5], -1
                                        ; implicit-def: $sgpr10
	s_and_saveexec_b64 s[8:9], s[12:13]
; %bb.2590:
	s_mov_b32 s10, 0x7f800001
	s_xor_b64 s[4:5], exec, -1
; %bb.2591:
	s_or_b64 exec, exec, s[8:9]
	s_and_b64 s[4:5], s[4:5], exec
	s_or_saveexec_b64 s[6:7], s[6:7]
	v_mov_b32_e32 v6, s10
	s_xor_b64 exec, exec, s[6:7]
	s_cbranch_execz .LBB4_542
.LBB4_2592:
	v_mov_b32_e32 v6, 0
	v_cmp_ne_u16_sdwa s[8:9], v2, v6 src0_sel:BYTE_3 src1_sel:DWORD
	s_andn2_b64 s[4:5], s[4:5], exec
	s_and_b64 s[8:9], s[8:9], exec
	s_or_b64 s[4:5], s[4:5], s[8:9]
	s_or_b64 exec, exec, s[6:7]
	s_and_saveexec_b64 s[6:7], s[4:5]
	s_cbranch_execnz .LBB4_543
	s_branch .LBB4_544
.LBB4_2593:
	s_movk_i32 s4, 0x80
	v_cmp_eq_u16_sdwa s[12:13], v7, s4 src0_sel:BYTE_0 src1_sel:DWORD
	s_mov_b64 s[4:5], -1
                                        ; implicit-def: $sgpr10
	s_and_saveexec_b64 s[8:9], s[12:13]
; %bb.2594:
	s_mov_b32 s10, 0x7f800001
	s_xor_b64 s[4:5], exec, -1
; %bb.2595:
	s_or_b64 exec, exec, s[8:9]
	s_and_b64 s[4:5], s[4:5], exec
	s_or_saveexec_b64 s[6:7], s[6:7]
	v_mov_b32_e32 v2, s10
	s_xor_b64 exec, exec, s[6:7]
	s_cbranch_execz .LBB4_546
.LBB4_2596:
	v_mov_b32_e32 v2, 0
	v_cmp_ne_u16_sdwa s[8:9], v7, v2 src0_sel:BYTE_0 src1_sel:DWORD
	s_andn2_b64 s[4:5], s[4:5], exec
	s_and_b64 s[8:9], s[8:9], exec
	s_or_b64 s[4:5], s[4:5], s[8:9]
	s_or_b64 exec, exec, s[6:7]
	s_and_saveexec_b64 s[6:7], s[4:5]
	s_cbranch_execnz .LBB4_547
	s_branch .LBB4_548
.LBB4_2597:
	s_movk_i32 s4, 0x80
	v_cmp_eq_u16_sdwa s[12:13], v3, s4 src0_sel:BYTE_0 src1_sel:DWORD
	s_mov_b64 s[4:5], -1
                                        ; implicit-def: $sgpr10
	s_and_saveexec_b64 s[8:9], s[12:13]
; %bb.2598:
	s_mov_b32 s10, 0x7f800001
	s_xor_b64 s[4:5], exec, -1
; %bb.2599:
	s_or_b64 exec, exec, s[8:9]
	s_and_b64 s[4:5], s[4:5], exec
	s_or_saveexec_b64 s[6:7], s[6:7]
	v_mov_b32_e32 v6, s10
	s_xor_b64 exec, exec, s[6:7]
	s_cbranch_execz .LBB4_550
.LBB4_2600:
	v_mov_b32_e32 v6, 0
	v_cmp_ne_u16_sdwa s[8:9], v3, v6 src0_sel:BYTE_0 src1_sel:DWORD
	s_andn2_b64 s[4:5], s[4:5], exec
	s_and_b64 s[8:9], s[8:9], exec
	s_or_b64 s[4:5], s[4:5], s[8:9]
	s_or_b64 exec, exec, s[6:7]
	s_and_saveexec_b64 s[6:7], s[4:5]
	s_cbranch_execnz .LBB4_551
	s_branch .LBB4_552
.LBB4_2601:
	s_movk_i32 s4, 0x80
	v_cmp_eq_u16_sdwa s[12:13], v6, s4 src0_sel:BYTE_0 src1_sel:DWORD
	s_mov_b64 s[4:5], -1
                                        ; implicit-def: $sgpr10
	s_and_saveexec_b64 s[8:9], s[12:13]
; %bb.2602:
	s_mov_b32 s10, 0x7f800001
	s_xor_b64 s[4:5], exec, -1
; %bb.2603:
	s_or_b64 exec, exec, s[8:9]
	s_and_b64 s[4:5], s[4:5], exec
	s_or_saveexec_b64 s[6:7], s[6:7]
	v_mov_b32_e32 v2, s10
	s_xor_b64 exec, exec, s[6:7]
	s_cbranch_execz .LBB4_554
.LBB4_2604:
	v_mov_b32_e32 v2, 0
	v_cmp_ne_u16_sdwa s[8:9], v6, v2 src0_sel:BYTE_0 src1_sel:DWORD
	s_andn2_b64 s[4:5], s[4:5], exec
	s_and_b64 s[8:9], s[8:9], exec
	s_or_b64 s[4:5], s[4:5], s[8:9]
	s_or_b64 exec, exec, s[6:7]
	s_and_saveexec_b64 s[6:7], s[4:5]
	s_cbranch_execnz .LBB4_555
	s_branch .LBB4_556
.LBB4_2605:
	s_movk_i32 s4, 0x80
	v_cmp_eq_u16_sdwa s[12:13], v6, s4 src0_sel:BYTE_0 src1_sel:DWORD
	s_mov_b64 s[4:5], -1
                                        ; implicit-def: $sgpr10
	s_and_saveexec_b64 s[8:9], s[12:13]
; %bb.2606:
	s_mov_b32 s10, 0x7f800001
	s_xor_b64 s[4:5], exec, -1
; %bb.2607:
	s_or_b64 exec, exec, s[8:9]
	s_and_b64 s[4:5], s[4:5], exec
	s_or_saveexec_b64 s[6:7], s[6:7]
	v_mov_b32_e32 v12, s10
	s_xor_b64 exec, exec, s[6:7]
	s_cbranch_execz .LBB4_558
.LBB4_2608:
	v_mov_b32_e32 v12, 0
	v_cmp_ne_u16_sdwa s[8:9], v6, v12 src0_sel:BYTE_0 src1_sel:DWORD
	s_andn2_b64 s[4:5], s[4:5], exec
	s_and_b64 s[8:9], s[8:9], exec
	s_or_b64 s[4:5], s[4:5], s[8:9]
	s_or_b64 exec, exec, s[6:7]
	s_and_saveexec_b64 s[6:7], s[4:5]
	s_cbranch_execnz .LBB4_559
	s_branch .LBB4_560
.LBB4_2609:
	s_movk_i32 s4, 0x80
	v_cmp_eq_u16_e32 vcc, s4, v6
	s_mov_b64 s[4:5], -1
                                        ; implicit-def: $sgpr10
	s_and_saveexec_b64 s[8:9], vcc
; %bb.2610:
	s_mov_b32 s10, 0x7f800001
	s_xor_b64 s[4:5], exec, -1
; %bb.2611:
	s_or_b64 exec, exec, s[8:9]
	s_and_b64 s[4:5], s[4:5], exec
                                        ; implicit-def: $vgpr6
	s_or_saveexec_b64 s[6:7], s[6:7]
	v_mov_b32_e32 v2, s10
	s_xor_b64 exec, exec, s[6:7]
	s_cbranch_execz .LBB4_562
.LBB4_2612:
	v_cmp_ne_u16_e32 vcc, 0, v6
	s_andn2_b64 s[4:5], s[4:5], exec
	s_and_b64 s[8:9], vcc, exec
	v_mov_b32_e32 v2, 0
	s_or_b64 s[4:5], s[4:5], s[8:9]
	s_or_b64 exec, exec, s[6:7]
	s_and_saveexec_b64 s[6:7], s[4:5]
	s_cbranch_execnz .LBB4_563
	s_branch .LBB4_564
.LBB4_2613:
	s_movk_i32 s4, 0x80
	v_cmp_eq_u16_e32 vcc, s4, v6
	s_mov_b64 s[4:5], -1
                                        ; implicit-def: $sgpr10
	s_and_saveexec_b64 s[8:9], vcc
; %bb.2614:
	s_mov_b32 s10, 0x7f800001
	s_xor_b64 s[4:5], exec, -1
; %bb.2615:
	s_or_b64 exec, exec, s[8:9]
	s_and_b64 s[4:5], s[4:5], exec
                                        ; implicit-def: $vgpr6
	s_or_saveexec_b64 s[6:7], s[6:7]
	v_mov_b32_e32 v12, s10
	s_xor_b64 exec, exec, s[6:7]
	s_cbranch_execz .LBB4_566
.LBB4_2616:
	v_cmp_ne_u16_e32 vcc, 0, v6
	s_andn2_b64 s[4:5], s[4:5], exec
	s_and_b64 s[8:9], vcc, exec
	v_mov_b32_e32 v12, 0
	s_or_b64 s[4:5], s[4:5], s[8:9]
	s_or_b64 exec, exec, s[6:7]
	s_and_saveexec_b64 s[6:7], s[4:5]
	s_cbranch_execnz .LBB4_567
	s_branch .LBB4_568
.LBB4_2617:
	s_movk_i32 s4, 0x80
	v_cmp_eq_u16_sdwa s[12:13], v7, s4 src0_sel:BYTE_3 src1_sel:DWORD
	s_mov_b64 s[4:5], -1
                                        ; implicit-def: $sgpr10
	s_and_saveexec_b64 s[8:9], s[12:13]
; %bb.2618:
	s_mov_b32 s10, 0x7f800001
	s_xor_b64 s[4:5], exec, -1
; %bb.2619:
	s_or_b64 exec, exec, s[8:9]
	s_and_b64 s[4:5], s[4:5], exec
	s_or_saveexec_b64 s[6:7], s[6:7]
	v_mov_b32_e32 v2, s10
	s_xor_b64 exec, exec, s[6:7]
	s_cbranch_execz .LBB4_570
.LBB4_2620:
	v_mov_b32_e32 v2, 0
	v_cmp_ne_u16_sdwa s[8:9], v7, v2 src0_sel:BYTE_3 src1_sel:DWORD
	s_andn2_b64 s[4:5], s[4:5], exec
	s_and_b64 s[8:9], s[8:9], exec
	s_or_b64 s[4:5], s[4:5], s[8:9]
	s_or_b64 exec, exec, s[6:7]
	s_and_saveexec_b64 s[6:7], s[4:5]
	s_cbranch_execnz .LBB4_571
	s_branch .LBB4_572
.LBB4_2621:
	s_movk_i32 s4, 0x80
	v_cmp_eq_u16_sdwa s[12:13], v3, s4 src0_sel:BYTE_3 src1_sel:DWORD
	s_mov_b64 s[4:5], -1
                                        ; implicit-def: $sgpr10
	s_and_saveexec_b64 s[8:9], s[12:13]
; %bb.2622:
	s_mov_b32 s10, 0x7f800001
	s_xor_b64 s[4:5], exec, -1
; %bb.2623:
	s_or_b64 exec, exec, s[8:9]
	s_and_b64 s[4:5], s[4:5], exec
	s_or_saveexec_b64 s[6:7], s[6:7]
	v_mov_b32_e32 v6, s10
	s_xor_b64 exec, exec, s[6:7]
	s_cbranch_execz .LBB4_574
.LBB4_2624:
	v_mov_b32_e32 v6, 0
	v_cmp_ne_u16_sdwa s[8:9], v3, v6 src0_sel:BYTE_3 src1_sel:DWORD
	s_andn2_b64 s[4:5], s[4:5], exec
	s_and_b64 s[8:9], s[8:9], exec
	s_or_b64 s[4:5], s[4:5], s[8:9]
	s_or_b64 exec, exec, s[6:7]
	s_and_saveexec_b64 s[6:7], s[4:5]
	s_cbranch_execnz .LBB4_575
	s_branch .LBB4_576
.LBB4_2625:
	s_movk_i32 s4, 0x80
	v_cmp_eq_u16_sdwa s[12:13], v8, s4 src0_sel:BYTE_0 src1_sel:DWORD
	s_mov_b64 s[4:5], -1
                                        ; implicit-def: $sgpr10
	s_and_saveexec_b64 s[8:9], s[12:13]
; %bb.2626:
	s_mov_b32 s10, 0x7f800001
	s_xor_b64 s[4:5], exec, -1
; %bb.2627:
	s_or_b64 exec, exec, s[8:9]
	s_and_b64 s[4:5], s[4:5], exec
	s_or_saveexec_b64 s[6:7], s[6:7]
	v_mov_b32_e32 v2, s10
	s_xor_b64 exec, exec, s[6:7]
	s_cbranch_execz .LBB4_578
.LBB4_2628:
	v_mov_b32_e32 v2, 0
	v_cmp_ne_u16_sdwa s[8:9], v8, v2 src0_sel:BYTE_0 src1_sel:DWORD
	s_andn2_b64 s[4:5], s[4:5], exec
	s_and_b64 s[8:9], s[8:9], exec
	s_or_b64 s[4:5], s[4:5], s[8:9]
	s_or_b64 exec, exec, s[6:7]
	s_and_saveexec_b64 s[6:7], s[4:5]
	s_cbranch_execnz .LBB4_579
	s_branch .LBB4_580
.LBB4_2629:
	s_movk_i32 s4, 0x80
	v_cmp_eq_u16_sdwa s[12:13], v4, s4 src0_sel:BYTE_0 src1_sel:DWORD
	s_mov_b64 s[4:5], -1
                                        ; implicit-def: $sgpr10
	s_and_saveexec_b64 s[8:9], s[12:13]
; %bb.2630:
	s_mov_b32 s10, 0x7f800001
	s_xor_b64 s[4:5], exec, -1
; %bb.2631:
	s_or_b64 exec, exec, s[8:9]
	s_and_b64 s[4:5], s[4:5], exec
	s_or_saveexec_b64 s[6:7], s[6:7]
	v_mov_b32_e32 v3, s10
	s_xor_b64 exec, exec, s[6:7]
	s_cbranch_execz .LBB4_582
.LBB4_2632:
	v_mov_b32_e32 v3, 0
	v_cmp_ne_u16_sdwa s[8:9], v4, v3 src0_sel:BYTE_0 src1_sel:DWORD
	s_andn2_b64 s[4:5], s[4:5], exec
	s_and_b64 s[8:9], s[8:9], exec
	s_or_b64 s[4:5], s[4:5], s[8:9]
	s_or_b64 exec, exec, s[6:7]
	s_and_saveexec_b64 s[6:7], s[4:5]
	s_cbranch_execnz .LBB4_583
	s_branch .LBB4_584
.LBB4_2633:
	s_movk_i32 s4, 0x80
	v_cmp_eq_u16_sdwa s[12:13], v3, s4 src0_sel:BYTE_0 src1_sel:DWORD
	s_mov_b64 s[4:5], -1
                                        ; implicit-def: $sgpr10
	s_and_saveexec_b64 s[8:9], s[12:13]
; %bb.2634:
	s_mov_b32 s10, 0x7f800001
	s_xor_b64 s[4:5], exec, -1
; %bb.2635:
	s_or_b64 exec, exec, s[8:9]
	s_and_b64 s[4:5], s[4:5], exec
	s_or_saveexec_b64 s[6:7], s[6:7]
	v_mov_b32_e32 v2, s10
	s_xor_b64 exec, exec, s[6:7]
	s_cbranch_execz .LBB4_586
.LBB4_2636:
	v_mov_b32_e32 v2, 0
	v_cmp_ne_u16_sdwa s[8:9], v3, v2 src0_sel:BYTE_0 src1_sel:DWORD
	s_andn2_b64 s[4:5], s[4:5], exec
	s_and_b64 s[8:9], s[8:9], exec
	s_or_b64 s[4:5], s[4:5], s[8:9]
	s_or_b64 exec, exec, s[6:7]
	s_and_saveexec_b64 s[6:7], s[4:5]
	s_cbranch_execnz .LBB4_587
	s_branch .LBB4_588
.LBB4_2637:
	s_movk_i32 s4, 0x80
	v_cmp_eq_u16_sdwa s[12:13], v3, s4 src0_sel:BYTE_0 src1_sel:DWORD
	s_mov_b64 s[4:5], -1
                                        ; implicit-def: $sgpr10
	s_and_saveexec_b64 s[8:9], s[12:13]
; %bb.2638:
	s_mov_b32 s10, 0x7f800001
	s_xor_b64 s[4:5], exec, -1
; %bb.2639:
	s_or_b64 exec, exec, s[8:9]
	s_and_b64 s[4:5], s[4:5], exec
	s_or_saveexec_b64 s[6:7], s[6:7]
	v_mov_b32_e32 v6, s10
	s_xor_b64 exec, exec, s[6:7]
	s_cbranch_execz .LBB4_590
.LBB4_2640:
	v_mov_b32_e32 v6, 0
	v_cmp_ne_u16_sdwa s[8:9], v3, v6 src0_sel:BYTE_0 src1_sel:DWORD
	s_andn2_b64 s[4:5], s[4:5], exec
	s_and_b64 s[8:9], s[8:9], exec
	s_or_b64 s[4:5], s[4:5], s[8:9]
	s_or_b64 exec, exec, s[6:7]
	s_and_saveexec_b64 s[6:7], s[4:5]
	s_cbranch_execnz .LBB4_591
	s_branch .LBB4_592
.LBB4_2641:
	s_movk_i32 s4, 0x80
	v_cmp_eq_u16_e32 vcc, s4, v3
	s_mov_b64 s[4:5], -1
                                        ; implicit-def: $sgpr10
	s_and_saveexec_b64 s[8:9], vcc
; %bb.2642:
	s_mov_b32 s10, 0x7f800001
	s_xor_b64 s[4:5], exec, -1
; %bb.2643:
	s_or_b64 exec, exec, s[8:9]
	s_and_b64 s[4:5], s[4:5], exec
                                        ; implicit-def: $vgpr3
	s_or_saveexec_b64 s[6:7], s[6:7]
	v_mov_b32_e32 v2, s10
	s_xor_b64 exec, exec, s[6:7]
	s_cbranch_execz .LBB4_594
.LBB4_2644:
	v_cmp_ne_u16_e32 vcc, 0, v3
	s_andn2_b64 s[4:5], s[4:5], exec
	s_and_b64 s[8:9], vcc, exec
	v_mov_b32_e32 v2, 0
	s_or_b64 s[4:5], s[4:5], s[8:9]
	s_or_b64 exec, exec, s[6:7]
	s_and_saveexec_b64 s[6:7], s[4:5]
	s_cbranch_execnz .LBB4_595
	s_branch .LBB4_596
.LBB4_2645:
	s_movk_i32 s4, 0x80
	v_cmp_eq_u16_e32 vcc, s4, v3
	s_mov_b64 s[4:5], -1
                                        ; implicit-def: $sgpr10
	s_and_saveexec_b64 s[8:9], vcc
; %bb.2646:
	s_mov_b32 s10, 0x7f800001
	s_xor_b64 s[4:5], exec, -1
; %bb.2647:
	s_or_b64 exec, exec, s[8:9]
	s_and_b64 s[4:5], s[4:5], exec
                                        ; implicit-def: $vgpr3
	s_or_saveexec_b64 s[6:7], s[6:7]
	v_mov_b32_e32 v6, s10
	s_xor_b64 exec, exec, s[6:7]
	s_cbranch_execz .LBB4_598
.LBB4_2648:
	v_cmp_ne_u16_e32 vcc, 0, v3
	s_andn2_b64 s[4:5], s[4:5], exec
	s_and_b64 s[8:9], vcc, exec
	v_mov_b32_e32 v6, 0
	s_or_b64 s[4:5], s[4:5], s[8:9]
	s_or_b64 exec, exec, s[6:7]
	s_and_saveexec_b64 s[6:7], s[4:5]
	s_cbranch_execnz .LBB4_599
	s_branch .LBB4_600
.LBB4_2649:
	s_movk_i32 s4, 0x80
	v_cmp_eq_u16_sdwa s[12:13], v8, s4 src0_sel:BYTE_3 src1_sel:DWORD
	s_mov_b64 s[4:5], -1
                                        ; implicit-def: $sgpr10
	s_and_saveexec_b64 s[8:9], s[12:13]
; %bb.2650:
	s_mov_b32 s10, 0x7f800001
	s_xor_b64 s[4:5], exec, -1
; %bb.2651:
	s_or_b64 exec, exec, s[8:9]
	s_and_b64 s[4:5], s[4:5], exec
	s_or_saveexec_b64 s[6:7], s[6:7]
	v_mov_b32_e32 v2, s10
	s_xor_b64 exec, exec, s[6:7]
	s_cbranch_execz .LBB4_602
.LBB4_2652:
	v_mov_b32_e32 v2, 0
	v_cmp_ne_u16_sdwa s[8:9], v8, v2 src0_sel:BYTE_3 src1_sel:DWORD
	s_andn2_b64 s[4:5], s[4:5], exec
	s_and_b64 s[8:9], s[8:9], exec
	s_or_b64 s[4:5], s[4:5], s[8:9]
	s_or_b64 exec, exec, s[6:7]
	s_and_saveexec_b64 s[6:7], s[4:5]
	s_cbranch_execnz .LBB4_603
	s_branch .LBB4_604
.LBB4_2653:
	s_movk_i32 s4, 0x80
	v_cmp_eq_u16_sdwa s[12:13], v4, s4 src0_sel:BYTE_3 src1_sel:DWORD
	s_mov_b64 s[4:5], -1
                                        ; implicit-def: $sgpr10
	s_and_saveexec_b64 s[8:9], s[12:13]
; %bb.2654:
	s_mov_b32 s10, 0x7f800001
	s_xor_b64 s[4:5], exec, -1
; %bb.2655:
	s_or_b64 exec, exec, s[8:9]
	s_and_b64 s[4:5], s[4:5], exec
	s_or_saveexec_b64 s[6:7], s[6:7]
	v_mov_b32_e32 v3, s10
	s_xor_b64 exec, exec, s[6:7]
	s_cbranch_execz .LBB4_606
.LBB4_2656:
	v_mov_b32_e32 v3, 0
	v_cmp_ne_u16_sdwa s[8:9], v4, v3 src0_sel:BYTE_3 src1_sel:DWORD
	s_andn2_b64 s[4:5], s[4:5], exec
	s_and_b64 s[8:9], s[8:9], exec
	s_or_b64 s[4:5], s[4:5], s[8:9]
	s_or_b64 exec, exec, s[6:7]
	s_and_saveexec_b64 s[6:7], s[4:5]
	s_cbranch_execnz .LBB4_607
	s_branch .LBB4_608
.LBB4_2657:
	s_movk_i32 s4, 0x80
	v_cmp_eq_u16_sdwa s[12:13], v9, s4 src0_sel:BYTE_0 src1_sel:DWORD
	s_mov_b64 s[4:5], -1
                                        ; implicit-def: $sgpr10
	s_and_saveexec_b64 s[8:9], s[12:13]
; %bb.2658:
	s_mov_b32 s10, 0x7f800001
	s_xor_b64 s[4:5], exec, -1
; %bb.2659:
	s_or_b64 exec, exec, s[8:9]
	s_and_b64 s[4:5], s[4:5], exec
	s_or_saveexec_b64 s[6:7], s[6:7]
	v_mov_b32_e32 v2, s10
	s_xor_b64 exec, exec, s[6:7]
	s_cbranch_execz .LBB4_610
.LBB4_2660:
	v_mov_b32_e32 v2, 0
	v_cmp_ne_u16_sdwa s[8:9], v9, v2 src0_sel:BYTE_0 src1_sel:DWORD
	s_andn2_b64 s[4:5], s[4:5], exec
	s_and_b64 s[8:9], s[8:9], exec
	s_or_b64 s[4:5], s[4:5], s[8:9]
	s_or_b64 exec, exec, s[6:7]
	s_and_saveexec_b64 s[6:7], s[4:5]
	s_cbranch_execnz .LBB4_611
	s_branch .LBB4_612
.LBB4_2661:
	s_movk_i32 s4, 0x80
	v_cmp_eq_u16_sdwa s[12:13], v5, s4 src0_sel:BYTE_0 src1_sel:DWORD
	s_mov_b64 s[4:5], -1
                                        ; implicit-def: $sgpr10
	s_and_saveexec_b64 s[8:9], s[12:13]
; %bb.2662:
	s_mov_b32 s10, 0x7f800001
	s_xor_b64 s[4:5], exec, -1
; %bb.2663:
	s_or_b64 exec, exec, s[8:9]
	s_and_b64 s[4:5], s[4:5], exec
	s_or_saveexec_b64 s[6:7], s[6:7]
	v_mov_b32_e32 v3, s10
	s_xor_b64 exec, exec, s[6:7]
	s_cbranch_execz .LBB4_614
.LBB4_2664:
	v_mov_b32_e32 v3, 0
	v_cmp_ne_u16_sdwa s[8:9], v5, v3 src0_sel:BYTE_0 src1_sel:DWORD
	s_andn2_b64 s[4:5], s[4:5], exec
	s_and_b64 s[8:9], s[8:9], exec
	s_or_b64 s[4:5], s[4:5], s[8:9]
	s_or_b64 exec, exec, s[6:7]
	s_and_saveexec_b64 s[6:7], s[4:5]
	s_cbranch_execnz .LBB4_615
	s_branch .LBB4_616
.LBB4_2665:
	s_movk_i32 s4, 0x80
	v_cmp_eq_u16_sdwa s[12:13], v3, s4 src0_sel:BYTE_0 src1_sel:DWORD
	s_mov_b64 s[4:5], -1
                                        ; implicit-def: $sgpr10
	s_and_saveexec_b64 s[8:9], s[12:13]
; %bb.2666:
	s_mov_b32 s10, 0x7f800001
	s_xor_b64 s[4:5], exec, -1
; %bb.2667:
	s_or_b64 exec, exec, s[8:9]
	s_and_b64 s[4:5], s[4:5], exec
	s_or_saveexec_b64 s[6:7], s[6:7]
	v_mov_b32_e32 v2, s10
	s_xor_b64 exec, exec, s[6:7]
	s_cbranch_execz .LBB4_618
.LBB4_2668:
	v_mov_b32_e32 v2, 0
	v_cmp_ne_u16_sdwa s[8:9], v3, v2 src0_sel:BYTE_0 src1_sel:DWORD
	s_andn2_b64 s[4:5], s[4:5], exec
	s_and_b64 s[8:9], s[8:9], exec
	s_or_b64 s[4:5], s[4:5], s[8:9]
	s_or_b64 exec, exec, s[6:7]
	s_and_saveexec_b64 s[6:7], s[4:5]
	s_cbranch_execnz .LBB4_619
	s_branch .LBB4_620
.LBB4_2669:
	s_movk_i32 s4, 0x80
	v_cmp_eq_u16_sdwa s[12:13], v3, s4 src0_sel:BYTE_0 src1_sel:DWORD
	s_mov_b64 s[4:5], -1
                                        ; implicit-def: $sgpr10
	s_and_saveexec_b64 s[8:9], s[12:13]
; %bb.2670:
	s_mov_b32 s10, 0x7f800001
	s_xor_b64 s[4:5], exec, -1
; %bb.2671:
	s_or_b64 exec, exec, s[8:9]
	s_and_b64 s[4:5], s[4:5], exec
	s_or_saveexec_b64 s[6:7], s[6:7]
	v_mov_b32_e32 v4, s10
	s_xor_b64 exec, exec, s[6:7]
	s_cbranch_execz .LBB4_622
.LBB4_2672:
	v_mov_b32_e32 v4, 0
	v_cmp_ne_u16_sdwa s[8:9], v3, v4 src0_sel:BYTE_0 src1_sel:DWORD
	s_andn2_b64 s[4:5], s[4:5], exec
	s_and_b64 s[8:9], s[8:9], exec
	s_or_b64 s[4:5], s[4:5], s[8:9]
	s_or_b64 exec, exec, s[6:7]
	s_and_saveexec_b64 s[6:7], s[4:5]
	s_cbranch_execnz .LBB4_623
	s_branch .LBB4_624
.LBB4_2673:
	s_movk_i32 s4, 0x80
	v_cmp_eq_u16_e32 vcc, s4, v3
	s_mov_b64 s[4:5], -1
                                        ; implicit-def: $sgpr10
	s_and_saveexec_b64 s[8:9], vcc
; %bb.2674:
	s_mov_b32 s10, 0x7f800001
	s_xor_b64 s[4:5], exec, -1
; %bb.2675:
	s_or_b64 exec, exec, s[8:9]
	s_and_b64 s[4:5], s[4:5], exec
                                        ; implicit-def: $vgpr3
	s_or_saveexec_b64 s[6:7], s[6:7]
	v_mov_b32_e32 v2, s10
	s_xor_b64 exec, exec, s[6:7]
	s_cbranch_execz .LBB4_626
.LBB4_2676:
	v_cmp_ne_u16_e32 vcc, 0, v3
	s_andn2_b64 s[4:5], s[4:5], exec
	s_and_b64 s[8:9], vcc, exec
	v_mov_b32_e32 v2, 0
	s_or_b64 s[4:5], s[4:5], s[8:9]
	s_or_b64 exec, exec, s[6:7]
	s_and_saveexec_b64 s[6:7], s[4:5]
	s_cbranch_execnz .LBB4_627
	s_branch .LBB4_628
.LBB4_2677:
	s_movk_i32 s4, 0x80
	v_cmp_eq_u16_e32 vcc, s4, v3
	s_mov_b64 s[4:5], -1
                                        ; implicit-def: $sgpr10
	s_and_saveexec_b64 s[8:9], vcc
; %bb.2678:
	s_mov_b32 s10, 0x7f800001
	s_xor_b64 s[4:5], exec, -1
; %bb.2679:
	s_or_b64 exec, exec, s[8:9]
	s_and_b64 s[4:5], s[4:5], exec
                                        ; implicit-def: $vgpr3
	s_or_saveexec_b64 s[6:7], s[6:7]
	v_mov_b32_e32 v4, s10
	s_xor_b64 exec, exec, s[6:7]
	s_cbranch_execz .LBB4_630
.LBB4_2680:
	v_cmp_ne_u16_e32 vcc, 0, v3
	s_andn2_b64 s[4:5], s[4:5], exec
	s_and_b64 s[8:9], vcc, exec
	v_mov_b32_e32 v4, 0
	s_or_b64 s[4:5], s[4:5], s[8:9]
	s_or_b64 exec, exec, s[6:7]
	s_and_saveexec_b64 s[6:7], s[4:5]
	s_cbranch_execnz .LBB4_631
	s_branch .LBB4_632
.LBB4_2681:
	s_movk_i32 s4, 0x80
	v_cmp_eq_u16_sdwa s[12:13], v9, s4 src0_sel:BYTE_3 src1_sel:DWORD
	s_mov_b64 s[4:5], -1
                                        ; implicit-def: $sgpr10
	s_and_saveexec_b64 s[8:9], s[12:13]
; %bb.2682:
	s_mov_b32 s10, 0x7f800001
	s_xor_b64 s[4:5], exec, -1
; %bb.2683:
	s_or_b64 exec, exec, s[8:9]
	s_and_b64 s[4:5], s[4:5], exec
	s_or_saveexec_b64 s[6:7], s[6:7]
	v_mov_b32_e32 v2, s10
	s_xor_b64 exec, exec, s[6:7]
	s_cbranch_execz .LBB4_634
.LBB4_2684:
	v_mov_b32_e32 v2, 0
	v_cmp_ne_u16_sdwa s[8:9], v9, v2 src0_sel:BYTE_3 src1_sel:DWORD
	s_andn2_b64 s[4:5], s[4:5], exec
	s_and_b64 s[8:9], s[8:9], exec
	s_or_b64 s[4:5], s[4:5], s[8:9]
	s_or_b64 exec, exec, s[6:7]
	s_and_saveexec_b64 s[6:7], s[4:5]
	s_cbranch_execnz .LBB4_635
	s_branch .LBB4_636
.LBB4_2685:
	s_movk_i32 s4, 0x80
	v_cmp_eq_u16_sdwa s[12:13], v5, s4 src0_sel:BYTE_3 src1_sel:DWORD
	s_mov_b64 s[4:5], -1
                                        ; implicit-def: $sgpr10
	s_and_saveexec_b64 s[8:9], s[12:13]
; %bb.2686:
	s_mov_b32 s10, 0x7f800001
	s_xor_b64 s[4:5], exec, -1
; %bb.2687:
	s_or_b64 exec, exec, s[8:9]
	s_and_b64 s[4:5], s[4:5], exec
	s_or_saveexec_b64 s[6:7], s[6:7]
	v_mov_b32_e32 v3, s10
	s_xor_b64 exec, exec, s[6:7]
	s_cbranch_execz .LBB4_638
.LBB4_2688:
	v_mov_b32_e32 v3, 0
	v_cmp_ne_u16_sdwa s[8:9], v5, v3 src0_sel:BYTE_3 src1_sel:DWORD
	s_andn2_b64 s[4:5], s[4:5], exec
	s_and_b64 s[8:9], s[8:9], exec
	s_or_b64 s[4:5], s[4:5], s[8:9]
	s_or_b64 exec, exec, s[6:7]
	s_and_saveexec_b64 s[6:7], s[4:5]
	s_cbranch_execnz .LBB4_639
	s_branch .LBB4_640
.LBB4_2689:
	s_movk_i32 s4, 0x80
	v_cmp_eq_u16_sdwa s[12:13], v6, s4 src0_sel:BYTE_0 src1_sel:DWORD
	s_mov_b64 s[4:5], -1
                                        ; implicit-def: $sgpr10
	s_and_saveexec_b64 s[8:9], s[12:13]
; %bb.2690:
	s_mov_b32 s10, 0x7f800001
	s_xor_b64 s[4:5], exec, -1
; %bb.2691:
	s_or_b64 exec, exec, s[8:9]
	s_and_b64 s[4:5], s[4:5], exec
	s_or_saveexec_b64 s[6:7], s[6:7]
	v_mov_b32_e32 v12, s10
	s_xor_b64 exec, exec, s[6:7]
	s_cbranch_execz .LBB4_642
.LBB4_2692:
	v_mov_b32_e32 v12, 0
	v_cmp_ne_u16_sdwa s[8:9], v6, v12 src0_sel:BYTE_0 src1_sel:DWORD
	s_andn2_b64 s[4:5], s[4:5], exec
	s_and_b64 s[8:9], s[8:9], exec
	s_or_b64 s[4:5], s[4:5], s[8:9]
	s_or_b64 exec, exec, s[6:7]
	s_and_saveexec_b64 s[6:7], s[4:5]
	s_cbranch_execnz .LBB4_643
	s_branch .LBB4_644
.LBB4_2693:
	s_movk_i32 s4, 0x80
	v_cmp_eq_u16_sdwa s[12:13], v2, s4 src0_sel:BYTE_0 src1_sel:DWORD
	s_mov_b64 s[4:5], -1
                                        ; implicit-def: $sgpr10
	s_and_saveexec_b64 s[8:9], s[12:13]
; %bb.2694:
	s_mov_b32 s10, 0x7f800001
	s_xor_b64 s[4:5], exec, -1
; %bb.2695:
	s_or_b64 exec, exec, s[8:9]
	s_and_b64 s[4:5], s[4:5], exec
	s_or_saveexec_b64 s[6:7], s[6:7]
	v_mov_b32_e32 v13, s10
	s_xor_b64 exec, exec, s[6:7]
	s_cbranch_execz .LBB4_646
.LBB4_2696:
	v_mov_b32_e32 v13, 0
	v_cmp_ne_u16_sdwa s[8:9], v2, v13 src0_sel:BYTE_0 src1_sel:DWORD
	s_andn2_b64 s[4:5], s[4:5], exec
	s_and_b64 s[8:9], s[8:9], exec
	s_or_b64 s[4:5], s[4:5], s[8:9]
	s_or_b64 exec, exec, s[6:7]
	s_and_saveexec_b64 s[6:7], s[4:5]
	s_cbranch_execnz .LBB4_647
	s_branch .LBB4_648
.LBB4_2697:
	s_movk_i32 s4, 0x80
	v_cmp_eq_u16_sdwa s[12:13], v13, s4 src0_sel:BYTE_0 src1_sel:DWORD
	s_mov_b64 s[4:5], -1
                                        ; implicit-def: $sgpr10
	s_and_saveexec_b64 s[8:9], s[12:13]
; %bb.2698:
	s_mov_b32 s10, 0x7f800001
	s_xor_b64 s[4:5], exec, -1
; %bb.2699:
	s_or_b64 exec, exec, s[8:9]
	s_and_b64 s[4:5], s[4:5], exec
	s_or_saveexec_b64 s[6:7], s[6:7]
	v_mov_b32_e32 v12, s10
	s_xor_b64 exec, exec, s[6:7]
	s_cbranch_execz .LBB4_650
.LBB4_2700:
	v_mov_b32_e32 v12, 0
	v_cmp_ne_u16_sdwa s[8:9], v13, v12 src0_sel:BYTE_0 src1_sel:DWORD
	s_andn2_b64 s[4:5], s[4:5], exec
	s_and_b64 s[8:9], s[8:9], exec
	s_or_b64 s[4:5], s[4:5], s[8:9]
	s_or_b64 exec, exec, s[6:7]
	s_and_saveexec_b64 s[6:7], s[4:5]
	s_cbranch_execnz .LBB4_651
	s_branch .LBB4_652
.LBB4_2701:
	s_movk_i32 s4, 0x80
	v_cmp_eq_u16_sdwa s[12:13], v13, s4 src0_sel:BYTE_0 src1_sel:DWORD
	s_mov_b64 s[4:5], -1
                                        ; implicit-def: $sgpr10
	s_and_saveexec_b64 s[8:9], s[12:13]
; %bb.2702:
	s_mov_b32 s10, 0x7f800001
	s_xor_b64 s[4:5], exec, -1
; %bb.2703:
	s_or_b64 exec, exec, s[8:9]
	s_and_b64 s[4:5], s[4:5], exec
	s_or_saveexec_b64 s[6:7], s[6:7]
	v_mov_b32_e32 v14, s10
	s_xor_b64 exec, exec, s[6:7]
	s_cbranch_execz .LBB4_654
.LBB4_2704:
	v_mov_b32_e32 v14, 0
	v_cmp_ne_u16_sdwa s[8:9], v13, v14 src0_sel:BYTE_0 src1_sel:DWORD
	s_andn2_b64 s[4:5], s[4:5], exec
	s_and_b64 s[8:9], s[8:9], exec
	s_or_b64 s[4:5], s[4:5], s[8:9]
	s_or_b64 exec, exec, s[6:7]
	s_and_saveexec_b64 s[6:7], s[4:5]
	s_cbranch_execnz .LBB4_655
	s_branch .LBB4_656
.LBB4_2705:
	s_movk_i32 s4, 0x80
	v_cmp_eq_u16_e32 vcc, s4, v13
	s_mov_b64 s[4:5], -1
                                        ; implicit-def: $sgpr10
	s_and_saveexec_b64 s[8:9], vcc
; %bb.2706:
	s_mov_b32 s10, 0x7f800001
	s_xor_b64 s[4:5], exec, -1
; %bb.2707:
	s_or_b64 exec, exec, s[8:9]
	s_and_b64 s[4:5], s[4:5], exec
                                        ; implicit-def: $vgpr13
	s_or_saveexec_b64 s[6:7], s[6:7]
	v_mov_b32_e32 v12, s10
	s_xor_b64 exec, exec, s[6:7]
	s_cbranch_execz .LBB4_658
.LBB4_2708:
	v_cmp_ne_u16_e32 vcc, 0, v13
	s_andn2_b64 s[4:5], s[4:5], exec
	s_and_b64 s[8:9], vcc, exec
	v_mov_b32_e32 v12, 0
	s_or_b64 s[4:5], s[4:5], s[8:9]
	s_or_b64 exec, exec, s[6:7]
	s_and_saveexec_b64 s[6:7], s[4:5]
	s_cbranch_execnz .LBB4_659
	s_branch .LBB4_660
.LBB4_2709:
	s_movk_i32 s4, 0x80
	v_cmp_eq_u16_e32 vcc, s4, v13
	s_mov_b64 s[4:5], -1
                                        ; implicit-def: $sgpr10
	s_and_saveexec_b64 s[8:9], vcc
; %bb.2710:
	s_mov_b32 s10, 0x7f800001
	s_xor_b64 s[4:5], exec, -1
; %bb.2711:
	s_or_b64 exec, exec, s[8:9]
	s_and_b64 s[4:5], s[4:5], exec
                                        ; implicit-def: $vgpr13
	s_or_saveexec_b64 s[6:7], s[6:7]
	v_mov_b32_e32 v14, s10
	s_xor_b64 exec, exec, s[6:7]
	s_cbranch_execz .LBB4_662
.LBB4_2712:
	v_cmp_ne_u16_e32 vcc, 0, v13
	s_andn2_b64 s[4:5], s[4:5], exec
	s_and_b64 s[8:9], vcc, exec
	v_mov_b32_e32 v14, 0
	s_or_b64 s[4:5], s[4:5], s[8:9]
	s_or_b64 exec, exec, s[6:7]
	s_and_saveexec_b64 s[6:7], s[4:5]
	s_cbranch_execnz .LBB4_663
	s_branch .LBB4_664
.LBB4_2713:
	s_movk_i32 s4, 0x80
	v_cmp_eq_u16_sdwa s[12:13], v6, s4 src0_sel:BYTE_3 src1_sel:DWORD
	s_mov_b64 s[4:5], -1
                                        ; implicit-def: $sgpr10
	s_and_saveexec_b64 s[8:9], s[12:13]
; %bb.2714:
	s_mov_b32 s10, 0x7f800001
	s_xor_b64 s[4:5], exec, -1
; %bb.2715:
	s_or_b64 exec, exec, s[8:9]
	s_and_b64 s[4:5], s[4:5], exec
	s_or_saveexec_b64 s[6:7], s[6:7]
	v_mov_b32_e32 v12, s10
	s_xor_b64 exec, exec, s[6:7]
	s_cbranch_execz .LBB4_666
.LBB4_2716:
	v_mov_b32_e32 v12, 0
	v_cmp_ne_u16_sdwa s[8:9], v6, v12 src0_sel:BYTE_3 src1_sel:DWORD
	s_andn2_b64 s[4:5], s[4:5], exec
	s_and_b64 s[8:9], s[8:9], exec
	s_or_b64 s[4:5], s[4:5], s[8:9]
	s_or_b64 exec, exec, s[6:7]
	s_and_saveexec_b64 s[6:7], s[4:5]
	s_cbranch_execnz .LBB4_667
	s_branch .LBB4_668
.LBB4_2717:
	s_movk_i32 s4, 0x80
	v_cmp_eq_u16_sdwa s[12:13], v2, s4 src0_sel:BYTE_3 src1_sel:DWORD
	s_mov_b64 s[4:5], -1
                                        ; implicit-def: $sgpr10
	s_and_saveexec_b64 s[8:9], s[12:13]
; %bb.2718:
	s_mov_b32 s10, 0x7f800001
	s_xor_b64 s[4:5], exec, -1
; %bb.2719:
	s_or_b64 exec, exec, s[8:9]
	s_and_b64 s[4:5], s[4:5], exec
	s_or_saveexec_b64 s[6:7], s[6:7]
	v_mov_b32_e32 v6, s10
	s_xor_b64 exec, exec, s[6:7]
	s_cbranch_execz .LBB4_670
.LBB4_2720:
	v_mov_b32_e32 v6, 0
	v_cmp_ne_u16_sdwa s[8:9], v2, v6 src0_sel:BYTE_3 src1_sel:DWORD
	s_andn2_b64 s[4:5], s[4:5], exec
	s_and_b64 s[8:9], s[8:9], exec
	s_or_b64 s[4:5], s[4:5], s[8:9]
	s_or_b64 exec, exec, s[6:7]
	s_and_saveexec_b64 s[6:7], s[4:5]
	s_cbranch_execnz .LBB4_671
	s_branch .LBB4_672
.LBB4_2721:
	s_movk_i32 s4, 0x80
	v_cmp_eq_u16_sdwa s[12:13], v7, s4 src0_sel:BYTE_0 src1_sel:DWORD
	s_mov_b64 s[4:5], -1
                                        ; implicit-def: $sgpr10
	s_and_saveexec_b64 s[8:9], s[12:13]
; %bb.2722:
	s_mov_b32 s10, 0x7f800001
	s_xor_b64 s[4:5], exec, -1
; %bb.2723:
	s_or_b64 exec, exec, s[8:9]
	s_and_b64 s[4:5], s[4:5], exec
	s_or_saveexec_b64 s[6:7], s[6:7]
	v_mov_b32_e32 v2, s10
	s_xor_b64 exec, exec, s[6:7]
	s_cbranch_execz .LBB4_674
.LBB4_2724:
	v_mov_b32_e32 v2, 0
	v_cmp_ne_u16_sdwa s[8:9], v7, v2 src0_sel:BYTE_0 src1_sel:DWORD
	s_andn2_b64 s[4:5], s[4:5], exec
	s_and_b64 s[8:9], s[8:9], exec
	s_or_b64 s[4:5], s[4:5], s[8:9]
	s_or_b64 exec, exec, s[6:7]
	s_and_saveexec_b64 s[6:7], s[4:5]
	s_cbranch_execnz .LBB4_675
	s_branch .LBB4_676
.LBB4_2725:
	s_movk_i32 s4, 0x80
	v_cmp_eq_u16_sdwa s[12:13], v3, s4 src0_sel:BYTE_0 src1_sel:DWORD
	s_mov_b64 s[4:5], -1
                                        ; implicit-def: $sgpr10
	s_and_saveexec_b64 s[8:9], s[12:13]
; %bb.2726:
	s_mov_b32 s10, 0x7f800001
	s_xor_b64 s[4:5], exec, -1
; %bb.2727:
	s_or_b64 exec, exec, s[8:9]
	s_and_b64 s[4:5], s[4:5], exec
	s_or_saveexec_b64 s[6:7], s[6:7]
	v_mov_b32_e32 v6, s10
	s_xor_b64 exec, exec, s[6:7]
	s_cbranch_execz .LBB4_678
.LBB4_2728:
	v_mov_b32_e32 v6, 0
	v_cmp_ne_u16_sdwa s[8:9], v3, v6 src0_sel:BYTE_0 src1_sel:DWORD
	s_andn2_b64 s[4:5], s[4:5], exec
	s_and_b64 s[8:9], s[8:9], exec
	s_or_b64 s[4:5], s[4:5], s[8:9]
	s_or_b64 exec, exec, s[6:7]
	s_and_saveexec_b64 s[6:7], s[4:5]
	s_cbranch_execnz .LBB4_679
	s_branch .LBB4_680
.LBB4_2729:
	s_movk_i32 s4, 0x80
	v_cmp_eq_u16_sdwa s[12:13], v6, s4 src0_sel:BYTE_0 src1_sel:DWORD
	s_mov_b64 s[4:5], -1
                                        ; implicit-def: $sgpr10
	s_and_saveexec_b64 s[8:9], s[12:13]
; %bb.2730:
	s_mov_b32 s10, 0x7f800001
	s_xor_b64 s[4:5], exec, -1
; %bb.2731:
	s_or_b64 exec, exec, s[8:9]
	s_and_b64 s[4:5], s[4:5], exec
	s_or_saveexec_b64 s[6:7], s[6:7]
	v_mov_b32_e32 v2, s10
	s_xor_b64 exec, exec, s[6:7]
	s_cbranch_execz .LBB4_682
.LBB4_2732:
	v_mov_b32_e32 v2, 0
	v_cmp_ne_u16_sdwa s[8:9], v6, v2 src0_sel:BYTE_0 src1_sel:DWORD
	s_andn2_b64 s[4:5], s[4:5], exec
	s_and_b64 s[8:9], s[8:9], exec
	s_or_b64 s[4:5], s[4:5], s[8:9]
	s_or_b64 exec, exec, s[6:7]
	s_and_saveexec_b64 s[6:7], s[4:5]
	s_cbranch_execnz .LBB4_683
	s_branch .LBB4_684
.LBB4_2733:
	s_movk_i32 s4, 0x80
	v_cmp_eq_u16_sdwa s[12:13], v6, s4 src0_sel:BYTE_0 src1_sel:DWORD
	s_mov_b64 s[4:5], -1
                                        ; implicit-def: $sgpr10
	s_and_saveexec_b64 s[8:9], s[12:13]
; %bb.2734:
	s_mov_b32 s10, 0x7f800001
	s_xor_b64 s[4:5], exec, -1
; %bb.2735:
	s_or_b64 exec, exec, s[8:9]
	s_and_b64 s[4:5], s[4:5], exec
	s_or_saveexec_b64 s[6:7], s[6:7]
	v_mov_b32_e32 v12, s10
	s_xor_b64 exec, exec, s[6:7]
	s_cbranch_execz .LBB4_686
.LBB4_2736:
	v_mov_b32_e32 v12, 0
	v_cmp_ne_u16_sdwa s[8:9], v6, v12 src0_sel:BYTE_0 src1_sel:DWORD
	s_andn2_b64 s[4:5], s[4:5], exec
	s_and_b64 s[8:9], s[8:9], exec
	s_or_b64 s[4:5], s[4:5], s[8:9]
	s_or_b64 exec, exec, s[6:7]
	s_and_saveexec_b64 s[6:7], s[4:5]
	s_cbranch_execnz .LBB4_687
	s_branch .LBB4_688
.LBB4_2737:
	s_movk_i32 s4, 0x80
	v_cmp_eq_u16_e32 vcc, s4, v6
	s_mov_b64 s[4:5], -1
                                        ; implicit-def: $sgpr10
	s_and_saveexec_b64 s[8:9], vcc
; %bb.2738:
	s_mov_b32 s10, 0x7f800001
	s_xor_b64 s[4:5], exec, -1
; %bb.2739:
	s_or_b64 exec, exec, s[8:9]
	s_and_b64 s[4:5], s[4:5], exec
                                        ; implicit-def: $vgpr6
	s_or_saveexec_b64 s[6:7], s[6:7]
	v_mov_b32_e32 v2, s10
	s_xor_b64 exec, exec, s[6:7]
	s_cbranch_execz .LBB4_690
.LBB4_2740:
	v_cmp_ne_u16_e32 vcc, 0, v6
	s_andn2_b64 s[4:5], s[4:5], exec
	s_and_b64 s[8:9], vcc, exec
	v_mov_b32_e32 v2, 0
	s_or_b64 s[4:5], s[4:5], s[8:9]
	s_or_b64 exec, exec, s[6:7]
	s_and_saveexec_b64 s[6:7], s[4:5]
	s_cbranch_execnz .LBB4_691
	s_branch .LBB4_692
.LBB4_2741:
	s_movk_i32 s4, 0x80
	v_cmp_eq_u16_e32 vcc, s4, v6
	s_mov_b64 s[4:5], -1
                                        ; implicit-def: $sgpr10
	s_and_saveexec_b64 s[8:9], vcc
; %bb.2742:
	s_mov_b32 s10, 0x7f800001
	s_xor_b64 s[4:5], exec, -1
; %bb.2743:
	s_or_b64 exec, exec, s[8:9]
	s_and_b64 s[4:5], s[4:5], exec
                                        ; implicit-def: $vgpr6
	s_or_saveexec_b64 s[6:7], s[6:7]
	v_mov_b32_e32 v12, s10
	s_xor_b64 exec, exec, s[6:7]
	s_cbranch_execz .LBB4_694
.LBB4_2744:
	v_cmp_ne_u16_e32 vcc, 0, v6
	s_andn2_b64 s[4:5], s[4:5], exec
	s_and_b64 s[8:9], vcc, exec
	v_mov_b32_e32 v12, 0
	s_or_b64 s[4:5], s[4:5], s[8:9]
	s_or_b64 exec, exec, s[6:7]
	s_and_saveexec_b64 s[6:7], s[4:5]
	s_cbranch_execnz .LBB4_695
	s_branch .LBB4_696
.LBB4_2745:
	s_movk_i32 s4, 0x80
	v_cmp_eq_u16_sdwa s[12:13], v7, s4 src0_sel:BYTE_3 src1_sel:DWORD
	s_mov_b64 s[4:5], -1
                                        ; implicit-def: $sgpr10
	s_and_saveexec_b64 s[8:9], s[12:13]
; %bb.2746:
	s_mov_b32 s10, 0x7f800001
	s_xor_b64 s[4:5], exec, -1
; %bb.2747:
	s_or_b64 exec, exec, s[8:9]
	s_and_b64 s[4:5], s[4:5], exec
	s_or_saveexec_b64 s[6:7], s[6:7]
	v_mov_b32_e32 v2, s10
	s_xor_b64 exec, exec, s[6:7]
	s_cbranch_execz .LBB4_698
.LBB4_2748:
	v_mov_b32_e32 v2, 0
	v_cmp_ne_u16_sdwa s[8:9], v7, v2 src0_sel:BYTE_3 src1_sel:DWORD
	s_andn2_b64 s[4:5], s[4:5], exec
	s_and_b64 s[8:9], s[8:9], exec
	s_or_b64 s[4:5], s[4:5], s[8:9]
	s_or_b64 exec, exec, s[6:7]
	s_and_saveexec_b64 s[6:7], s[4:5]
	s_cbranch_execnz .LBB4_699
	s_branch .LBB4_700
.LBB4_2749:
	s_movk_i32 s4, 0x80
	v_cmp_eq_u16_sdwa s[12:13], v3, s4 src0_sel:BYTE_3 src1_sel:DWORD
	s_mov_b64 s[4:5], -1
                                        ; implicit-def: $sgpr10
	s_and_saveexec_b64 s[8:9], s[12:13]
; %bb.2750:
	s_mov_b32 s10, 0x7f800001
	s_xor_b64 s[4:5], exec, -1
; %bb.2751:
	s_or_b64 exec, exec, s[8:9]
	s_and_b64 s[4:5], s[4:5], exec
	s_or_saveexec_b64 s[6:7], s[6:7]
	v_mov_b32_e32 v6, s10
	s_xor_b64 exec, exec, s[6:7]
	s_cbranch_execz .LBB4_702
.LBB4_2752:
	v_mov_b32_e32 v6, 0
	v_cmp_ne_u16_sdwa s[8:9], v3, v6 src0_sel:BYTE_3 src1_sel:DWORD
	s_andn2_b64 s[4:5], s[4:5], exec
	s_and_b64 s[8:9], s[8:9], exec
	s_or_b64 s[4:5], s[4:5], s[8:9]
	s_or_b64 exec, exec, s[6:7]
	s_and_saveexec_b64 s[6:7], s[4:5]
	s_cbranch_execnz .LBB4_703
	s_branch .LBB4_704
.LBB4_2753:
	s_movk_i32 s4, 0x80
	v_cmp_eq_u16_sdwa s[12:13], v8, s4 src0_sel:BYTE_0 src1_sel:DWORD
	s_mov_b64 s[4:5], -1
                                        ; implicit-def: $sgpr10
	s_and_saveexec_b64 s[8:9], s[12:13]
; %bb.2754:
	s_mov_b32 s10, 0x7f800001
	s_xor_b64 s[4:5], exec, -1
; %bb.2755:
	s_or_b64 exec, exec, s[8:9]
	s_and_b64 s[4:5], s[4:5], exec
	s_or_saveexec_b64 s[6:7], s[6:7]
	v_mov_b32_e32 v2, s10
	s_xor_b64 exec, exec, s[6:7]
	s_cbranch_execz .LBB4_706
.LBB4_2756:
	v_mov_b32_e32 v2, 0
	v_cmp_ne_u16_sdwa s[8:9], v8, v2 src0_sel:BYTE_0 src1_sel:DWORD
	s_andn2_b64 s[4:5], s[4:5], exec
	s_and_b64 s[8:9], s[8:9], exec
	s_or_b64 s[4:5], s[4:5], s[8:9]
	s_or_b64 exec, exec, s[6:7]
	s_and_saveexec_b64 s[6:7], s[4:5]
	s_cbranch_execnz .LBB4_707
	s_branch .LBB4_708
.LBB4_2757:
	s_movk_i32 s4, 0x80
	v_cmp_eq_u16_sdwa s[12:13], v4, s4 src0_sel:BYTE_0 src1_sel:DWORD
	s_mov_b64 s[4:5], -1
                                        ; implicit-def: $sgpr10
	s_and_saveexec_b64 s[8:9], s[12:13]
; %bb.2758:
	s_mov_b32 s10, 0x7f800001
	s_xor_b64 s[4:5], exec, -1
; %bb.2759:
	s_or_b64 exec, exec, s[8:9]
	s_and_b64 s[4:5], s[4:5], exec
	s_or_saveexec_b64 s[6:7], s[6:7]
	v_mov_b32_e32 v3, s10
	s_xor_b64 exec, exec, s[6:7]
	s_cbranch_execz .LBB4_710
.LBB4_2760:
	v_mov_b32_e32 v3, 0
	v_cmp_ne_u16_sdwa s[8:9], v4, v3 src0_sel:BYTE_0 src1_sel:DWORD
	s_andn2_b64 s[4:5], s[4:5], exec
	s_and_b64 s[8:9], s[8:9], exec
	s_or_b64 s[4:5], s[4:5], s[8:9]
	s_or_b64 exec, exec, s[6:7]
	s_and_saveexec_b64 s[6:7], s[4:5]
	s_cbranch_execnz .LBB4_711
	s_branch .LBB4_712
.LBB4_2761:
	s_movk_i32 s4, 0x80
	v_cmp_eq_u16_sdwa s[12:13], v3, s4 src0_sel:BYTE_0 src1_sel:DWORD
	s_mov_b64 s[4:5], -1
                                        ; implicit-def: $sgpr10
	s_and_saveexec_b64 s[8:9], s[12:13]
; %bb.2762:
	s_mov_b32 s10, 0x7f800001
	s_xor_b64 s[4:5], exec, -1
; %bb.2763:
	s_or_b64 exec, exec, s[8:9]
	s_and_b64 s[4:5], s[4:5], exec
	s_or_saveexec_b64 s[6:7], s[6:7]
	v_mov_b32_e32 v2, s10
	s_xor_b64 exec, exec, s[6:7]
	s_cbranch_execz .LBB4_714
.LBB4_2764:
	v_mov_b32_e32 v2, 0
	v_cmp_ne_u16_sdwa s[8:9], v3, v2 src0_sel:BYTE_0 src1_sel:DWORD
	s_andn2_b64 s[4:5], s[4:5], exec
	s_and_b64 s[8:9], s[8:9], exec
	s_or_b64 s[4:5], s[4:5], s[8:9]
	s_or_b64 exec, exec, s[6:7]
	s_and_saveexec_b64 s[6:7], s[4:5]
	s_cbranch_execnz .LBB4_715
	s_branch .LBB4_716
.LBB4_2765:
	s_movk_i32 s4, 0x80
	v_cmp_eq_u16_sdwa s[12:13], v3, s4 src0_sel:BYTE_0 src1_sel:DWORD
	s_mov_b64 s[4:5], -1
                                        ; implicit-def: $sgpr10
	s_and_saveexec_b64 s[8:9], s[12:13]
; %bb.2766:
	s_mov_b32 s10, 0x7f800001
	s_xor_b64 s[4:5], exec, -1
; %bb.2767:
	s_or_b64 exec, exec, s[8:9]
	s_and_b64 s[4:5], s[4:5], exec
	s_or_saveexec_b64 s[6:7], s[6:7]
	v_mov_b32_e32 v6, s10
	s_xor_b64 exec, exec, s[6:7]
	s_cbranch_execz .LBB4_718
.LBB4_2768:
	v_mov_b32_e32 v6, 0
	v_cmp_ne_u16_sdwa s[8:9], v3, v6 src0_sel:BYTE_0 src1_sel:DWORD
	s_andn2_b64 s[4:5], s[4:5], exec
	s_and_b64 s[8:9], s[8:9], exec
	s_or_b64 s[4:5], s[4:5], s[8:9]
	s_or_b64 exec, exec, s[6:7]
	s_and_saveexec_b64 s[6:7], s[4:5]
	s_cbranch_execnz .LBB4_719
	s_branch .LBB4_720
.LBB4_2769:
	s_movk_i32 s4, 0x80
	v_cmp_eq_u16_e32 vcc, s4, v3
	s_mov_b64 s[4:5], -1
                                        ; implicit-def: $sgpr10
	s_and_saveexec_b64 s[8:9], vcc
; %bb.2770:
	s_mov_b32 s10, 0x7f800001
	s_xor_b64 s[4:5], exec, -1
; %bb.2771:
	s_or_b64 exec, exec, s[8:9]
	s_and_b64 s[4:5], s[4:5], exec
                                        ; implicit-def: $vgpr3
	s_or_saveexec_b64 s[6:7], s[6:7]
	v_mov_b32_e32 v2, s10
	s_xor_b64 exec, exec, s[6:7]
	s_cbranch_execz .LBB4_722
.LBB4_2772:
	v_cmp_ne_u16_e32 vcc, 0, v3
	s_andn2_b64 s[4:5], s[4:5], exec
	s_and_b64 s[8:9], vcc, exec
	v_mov_b32_e32 v2, 0
	s_or_b64 s[4:5], s[4:5], s[8:9]
	s_or_b64 exec, exec, s[6:7]
	s_and_saveexec_b64 s[6:7], s[4:5]
	s_cbranch_execnz .LBB4_723
	s_branch .LBB4_724
.LBB4_2773:
	s_movk_i32 s4, 0x80
	v_cmp_eq_u16_e32 vcc, s4, v3
	s_mov_b64 s[4:5], -1
                                        ; implicit-def: $sgpr10
	s_and_saveexec_b64 s[8:9], vcc
; %bb.2774:
	s_mov_b32 s10, 0x7f800001
	s_xor_b64 s[4:5], exec, -1
; %bb.2775:
	s_or_b64 exec, exec, s[8:9]
	s_and_b64 s[4:5], s[4:5], exec
                                        ; implicit-def: $vgpr3
	s_or_saveexec_b64 s[6:7], s[6:7]
	v_mov_b32_e32 v6, s10
	s_xor_b64 exec, exec, s[6:7]
	s_cbranch_execz .LBB4_726
.LBB4_2776:
	v_cmp_ne_u16_e32 vcc, 0, v3
	s_andn2_b64 s[4:5], s[4:5], exec
	s_and_b64 s[8:9], vcc, exec
	v_mov_b32_e32 v6, 0
	s_or_b64 s[4:5], s[4:5], s[8:9]
	s_or_b64 exec, exec, s[6:7]
	s_and_saveexec_b64 s[6:7], s[4:5]
	s_cbranch_execnz .LBB4_727
	s_branch .LBB4_728
.LBB4_2777:
	s_movk_i32 s4, 0x80
	v_cmp_eq_u16_sdwa s[12:13], v8, s4 src0_sel:BYTE_3 src1_sel:DWORD
	s_mov_b64 s[4:5], -1
                                        ; implicit-def: $sgpr10
	s_and_saveexec_b64 s[8:9], s[12:13]
; %bb.2778:
	s_mov_b32 s10, 0x7f800001
	s_xor_b64 s[4:5], exec, -1
; %bb.2779:
	s_or_b64 exec, exec, s[8:9]
	s_and_b64 s[4:5], s[4:5], exec
	s_or_saveexec_b64 s[6:7], s[6:7]
	v_mov_b32_e32 v2, s10
	s_xor_b64 exec, exec, s[6:7]
	s_cbranch_execz .LBB4_730
.LBB4_2780:
	v_mov_b32_e32 v2, 0
	v_cmp_ne_u16_sdwa s[8:9], v8, v2 src0_sel:BYTE_3 src1_sel:DWORD
	s_andn2_b64 s[4:5], s[4:5], exec
	s_and_b64 s[8:9], s[8:9], exec
	s_or_b64 s[4:5], s[4:5], s[8:9]
	s_or_b64 exec, exec, s[6:7]
	s_and_saveexec_b64 s[6:7], s[4:5]
	s_cbranch_execnz .LBB4_731
	s_branch .LBB4_732
.LBB4_2781:
	s_movk_i32 s4, 0x80
	v_cmp_eq_u16_sdwa s[12:13], v4, s4 src0_sel:BYTE_3 src1_sel:DWORD
	s_mov_b64 s[4:5], -1
                                        ; implicit-def: $sgpr10
	s_and_saveexec_b64 s[8:9], s[12:13]
; %bb.2782:
	s_mov_b32 s10, 0x7f800001
	s_xor_b64 s[4:5], exec, -1
; %bb.2783:
	s_or_b64 exec, exec, s[8:9]
	s_and_b64 s[4:5], s[4:5], exec
	s_or_saveexec_b64 s[6:7], s[6:7]
	v_mov_b32_e32 v3, s10
	s_xor_b64 exec, exec, s[6:7]
	s_cbranch_execz .LBB4_734
.LBB4_2784:
	v_mov_b32_e32 v3, 0
	v_cmp_ne_u16_sdwa s[8:9], v4, v3 src0_sel:BYTE_3 src1_sel:DWORD
	s_andn2_b64 s[4:5], s[4:5], exec
	s_and_b64 s[8:9], s[8:9], exec
	s_or_b64 s[4:5], s[4:5], s[8:9]
	s_or_b64 exec, exec, s[6:7]
	s_and_saveexec_b64 s[6:7], s[4:5]
	s_cbranch_execnz .LBB4_735
	s_branch .LBB4_736
.LBB4_2785:
	s_movk_i32 s4, 0x80
	v_cmp_eq_u16_sdwa s[12:13], v9, s4 src0_sel:BYTE_0 src1_sel:DWORD
	s_mov_b64 s[4:5], -1
                                        ; implicit-def: $sgpr10
	s_and_saveexec_b64 s[8:9], s[12:13]
; %bb.2786:
	s_mov_b32 s10, 0x7f800001
	s_xor_b64 s[4:5], exec, -1
; %bb.2787:
	s_or_b64 exec, exec, s[8:9]
	s_and_b64 s[4:5], s[4:5], exec
	s_or_saveexec_b64 s[6:7], s[6:7]
	v_mov_b32_e32 v2, s10
	s_xor_b64 exec, exec, s[6:7]
	s_cbranch_execz .LBB4_738
.LBB4_2788:
	v_mov_b32_e32 v2, 0
	v_cmp_ne_u16_sdwa s[8:9], v9, v2 src0_sel:BYTE_0 src1_sel:DWORD
	s_andn2_b64 s[4:5], s[4:5], exec
	s_and_b64 s[8:9], s[8:9], exec
	s_or_b64 s[4:5], s[4:5], s[8:9]
	s_or_b64 exec, exec, s[6:7]
	s_and_saveexec_b64 s[6:7], s[4:5]
	s_cbranch_execnz .LBB4_739
	s_branch .LBB4_740
.LBB4_2789:
	s_movk_i32 s4, 0x80
	v_cmp_eq_u16_sdwa s[12:13], v5, s4 src0_sel:BYTE_0 src1_sel:DWORD
	s_mov_b64 s[4:5], -1
                                        ; implicit-def: $sgpr10
	s_and_saveexec_b64 s[8:9], s[12:13]
; %bb.2790:
	s_mov_b32 s10, 0x7f800001
	s_xor_b64 s[4:5], exec, -1
; %bb.2791:
	s_or_b64 exec, exec, s[8:9]
	s_and_b64 s[4:5], s[4:5], exec
	s_or_saveexec_b64 s[6:7], s[6:7]
	v_mov_b32_e32 v3, s10
	s_xor_b64 exec, exec, s[6:7]
	s_cbranch_execz .LBB4_742
.LBB4_2792:
	v_mov_b32_e32 v3, 0
	v_cmp_ne_u16_sdwa s[8:9], v5, v3 src0_sel:BYTE_0 src1_sel:DWORD
	s_andn2_b64 s[4:5], s[4:5], exec
	s_and_b64 s[8:9], s[8:9], exec
	s_or_b64 s[4:5], s[4:5], s[8:9]
	s_or_b64 exec, exec, s[6:7]
	s_and_saveexec_b64 s[6:7], s[4:5]
	s_cbranch_execnz .LBB4_743
	s_branch .LBB4_744
.LBB4_2793:
	s_movk_i32 s4, 0x80
	v_cmp_eq_u16_sdwa s[12:13], v3, s4 src0_sel:BYTE_0 src1_sel:DWORD
	s_mov_b64 s[4:5], -1
                                        ; implicit-def: $sgpr10
	s_and_saveexec_b64 s[8:9], s[12:13]
; %bb.2794:
	s_mov_b32 s10, 0x7f800001
	s_xor_b64 s[4:5], exec, -1
; %bb.2795:
	s_or_b64 exec, exec, s[8:9]
	s_and_b64 s[4:5], s[4:5], exec
	s_or_saveexec_b64 s[6:7], s[6:7]
	v_mov_b32_e32 v2, s10
	s_xor_b64 exec, exec, s[6:7]
	s_cbranch_execz .LBB4_746
.LBB4_2796:
	v_mov_b32_e32 v2, 0
	v_cmp_ne_u16_sdwa s[8:9], v3, v2 src0_sel:BYTE_0 src1_sel:DWORD
	s_andn2_b64 s[4:5], s[4:5], exec
	s_and_b64 s[8:9], s[8:9], exec
	s_or_b64 s[4:5], s[4:5], s[8:9]
	s_or_b64 exec, exec, s[6:7]
	s_and_saveexec_b64 s[6:7], s[4:5]
	s_cbranch_execnz .LBB4_747
	s_branch .LBB4_748
.LBB4_2797:
	s_movk_i32 s4, 0x80
	v_cmp_eq_u16_sdwa s[12:13], v3, s4 src0_sel:BYTE_0 src1_sel:DWORD
	s_mov_b64 s[4:5], -1
                                        ; implicit-def: $sgpr10
	s_and_saveexec_b64 s[8:9], s[12:13]
; %bb.2798:
	s_mov_b32 s10, 0x7f800001
	s_xor_b64 s[4:5], exec, -1
; %bb.2799:
	s_or_b64 exec, exec, s[8:9]
	s_and_b64 s[4:5], s[4:5], exec
	s_or_saveexec_b64 s[6:7], s[6:7]
	v_mov_b32_e32 v4, s10
	s_xor_b64 exec, exec, s[6:7]
	s_cbranch_execz .LBB4_750
.LBB4_2800:
	v_mov_b32_e32 v4, 0
	v_cmp_ne_u16_sdwa s[8:9], v3, v4 src0_sel:BYTE_0 src1_sel:DWORD
	s_andn2_b64 s[4:5], s[4:5], exec
	s_and_b64 s[8:9], s[8:9], exec
	s_or_b64 s[4:5], s[4:5], s[8:9]
	s_or_b64 exec, exec, s[6:7]
	s_and_saveexec_b64 s[6:7], s[4:5]
	s_cbranch_execnz .LBB4_751
	s_branch .LBB4_752
.LBB4_2801:
	s_movk_i32 s4, 0x80
	v_cmp_eq_u16_e32 vcc, s4, v3
	s_mov_b64 s[4:5], -1
                                        ; implicit-def: $sgpr10
	s_and_saveexec_b64 s[8:9], vcc
; %bb.2802:
	s_mov_b32 s10, 0x7f800001
	s_xor_b64 s[4:5], exec, -1
; %bb.2803:
	s_or_b64 exec, exec, s[8:9]
	s_and_b64 s[4:5], s[4:5], exec
                                        ; implicit-def: $vgpr3
	s_or_saveexec_b64 s[6:7], s[6:7]
	v_mov_b32_e32 v2, s10
	s_xor_b64 exec, exec, s[6:7]
	s_cbranch_execz .LBB4_754
.LBB4_2804:
	v_cmp_ne_u16_e32 vcc, 0, v3
	s_andn2_b64 s[4:5], s[4:5], exec
	s_and_b64 s[8:9], vcc, exec
	v_mov_b32_e32 v2, 0
	s_or_b64 s[4:5], s[4:5], s[8:9]
	s_or_b64 exec, exec, s[6:7]
	s_and_saveexec_b64 s[6:7], s[4:5]
	s_cbranch_execnz .LBB4_755
	s_branch .LBB4_756
.LBB4_2805:
	s_movk_i32 s4, 0x80
	v_cmp_eq_u16_e32 vcc, s4, v3
	s_mov_b64 s[4:5], -1
                                        ; implicit-def: $sgpr10
	s_and_saveexec_b64 s[8:9], vcc
; %bb.2806:
	s_mov_b32 s10, 0x7f800001
	s_xor_b64 s[4:5], exec, -1
; %bb.2807:
	s_or_b64 exec, exec, s[8:9]
	s_and_b64 s[4:5], s[4:5], exec
                                        ; implicit-def: $vgpr3
	s_or_saveexec_b64 s[6:7], s[6:7]
	v_mov_b32_e32 v4, s10
	s_xor_b64 exec, exec, s[6:7]
	s_cbranch_execz .LBB4_758
.LBB4_2808:
	v_cmp_ne_u16_e32 vcc, 0, v3
	s_andn2_b64 s[4:5], s[4:5], exec
	s_and_b64 s[8:9], vcc, exec
	v_mov_b32_e32 v4, 0
	s_or_b64 s[4:5], s[4:5], s[8:9]
	s_or_b64 exec, exec, s[6:7]
	s_and_saveexec_b64 s[6:7], s[4:5]
	s_cbranch_execnz .LBB4_759
	s_branch .LBB4_760
.LBB4_2809:
	s_movk_i32 s4, 0x80
	v_cmp_eq_u16_sdwa s[12:13], v9, s4 src0_sel:BYTE_3 src1_sel:DWORD
	s_mov_b64 s[4:5], -1
                                        ; implicit-def: $sgpr10
	s_and_saveexec_b64 s[8:9], s[12:13]
; %bb.2810:
	s_mov_b32 s10, 0x7f800001
	s_xor_b64 s[4:5], exec, -1
; %bb.2811:
	s_or_b64 exec, exec, s[8:9]
	s_and_b64 s[4:5], s[4:5], exec
	s_or_saveexec_b64 s[6:7], s[6:7]
	v_mov_b32_e32 v2, s10
	s_xor_b64 exec, exec, s[6:7]
	s_cbranch_execz .LBB4_762
.LBB4_2812:
	v_mov_b32_e32 v2, 0
	v_cmp_ne_u16_sdwa s[8:9], v9, v2 src0_sel:BYTE_3 src1_sel:DWORD
	s_andn2_b64 s[4:5], s[4:5], exec
	s_and_b64 s[8:9], s[8:9], exec
	s_or_b64 s[4:5], s[4:5], s[8:9]
	s_or_b64 exec, exec, s[6:7]
	s_and_saveexec_b64 s[6:7], s[4:5]
	s_cbranch_execnz .LBB4_763
	s_branch .LBB4_764
.LBB4_2813:
	s_movk_i32 s4, 0x80
	v_cmp_eq_u16_sdwa s[12:13], v5, s4 src0_sel:BYTE_3 src1_sel:DWORD
	s_mov_b64 s[4:5], -1
                                        ; implicit-def: $sgpr10
	s_and_saveexec_b64 s[8:9], s[12:13]
; %bb.2814:
	s_mov_b32 s10, 0x7f800001
	s_xor_b64 s[4:5], exec, -1
; %bb.2815:
	s_or_b64 exec, exec, s[8:9]
	s_and_b64 s[4:5], s[4:5], exec
	s_or_saveexec_b64 s[6:7], s[6:7]
	v_mov_b32_e32 v3, s10
	s_xor_b64 exec, exec, s[6:7]
	s_cbranch_execz .LBB4_766
.LBB4_2816:
	v_mov_b32_e32 v3, 0
	v_cmp_ne_u16_sdwa s[8:9], v5, v3 src0_sel:BYTE_3 src1_sel:DWORD
	s_andn2_b64 s[4:5], s[4:5], exec
	s_and_b64 s[8:9], s[8:9], exec
	s_or_b64 s[4:5], s[4:5], s[8:9]
	s_or_b64 exec, exec, s[6:7]
	s_and_saveexec_b64 s[6:7], s[4:5]
	s_cbranch_execnz .LBB4_767
	s_branch .LBB4_768
.LBB4_2817:
	s_movk_i32 s4, 0x80
	v_cmp_eq_u16_sdwa s[12:13], v6, s4 src0_sel:BYTE_0 src1_sel:DWORD
	s_mov_b64 s[4:5], -1
                                        ; implicit-def: $sgpr10
	s_and_saveexec_b64 s[8:9], s[12:13]
; %bb.2818:
	s_mov_b32 s10, 0x7f800001
	s_xor_b64 s[4:5], exec, -1
; %bb.2819:
	s_or_b64 exec, exec, s[8:9]
	s_and_b64 s[4:5], s[4:5], exec
	s_or_saveexec_b64 s[6:7], s[6:7]
	v_mov_b32_e32 v12, s10
	s_xor_b64 exec, exec, s[6:7]
	s_cbranch_execz .LBB4_770
.LBB4_2820:
	v_mov_b32_e32 v12, 0
	v_cmp_ne_u16_sdwa s[8:9], v6, v12 src0_sel:BYTE_0 src1_sel:DWORD
	s_andn2_b64 s[4:5], s[4:5], exec
	s_and_b64 s[8:9], s[8:9], exec
	s_or_b64 s[4:5], s[4:5], s[8:9]
	s_or_b64 exec, exec, s[6:7]
	s_and_saveexec_b64 s[6:7], s[4:5]
	s_cbranch_execnz .LBB4_771
	s_branch .LBB4_772
.LBB4_2821:
	s_movk_i32 s4, 0x80
	v_cmp_eq_u16_sdwa s[12:13], v2, s4 src0_sel:BYTE_0 src1_sel:DWORD
	s_mov_b64 s[4:5], -1
                                        ; implicit-def: $sgpr10
	s_and_saveexec_b64 s[8:9], s[12:13]
; %bb.2822:
	s_mov_b32 s10, 0x7f800001
	s_xor_b64 s[4:5], exec, -1
; %bb.2823:
	s_or_b64 exec, exec, s[8:9]
	s_and_b64 s[4:5], s[4:5], exec
	s_or_saveexec_b64 s[6:7], s[6:7]
	v_mov_b32_e32 v13, s10
	s_xor_b64 exec, exec, s[6:7]
	s_cbranch_execz .LBB4_774
.LBB4_2824:
	v_mov_b32_e32 v13, 0
	v_cmp_ne_u16_sdwa s[8:9], v2, v13 src0_sel:BYTE_0 src1_sel:DWORD
	s_andn2_b64 s[4:5], s[4:5], exec
	s_and_b64 s[8:9], s[8:9], exec
	s_or_b64 s[4:5], s[4:5], s[8:9]
	s_or_b64 exec, exec, s[6:7]
	s_and_saveexec_b64 s[6:7], s[4:5]
	s_cbranch_execnz .LBB4_775
	s_branch .LBB4_776
.LBB4_2825:
	s_movk_i32 s4, 0x80
	v_cmp_eq_u16_sdwa s[12:13], v13, s4 src0_sel:BYTE_0 src1_sel:DWORD
	s_mov_b64 s[4:5], -1
                                        ; implicit-def: $sgpr10
	s_and_saveexec_b64 s[8:9], s[12:13]
; %bb.2826:
	s_mov_b32 s10, 0x7f800001
	s_xor_b64 s[4:5], exec, -1
; %bb.2827:
	s_or_b64 exec, exec, s[8:9]
	s_and_b64 s[4:5], s[4:5], exec
	s_or_saveexec_b64 s[6:7], s[6:7]
	v_mov_b32_e32 v12, s10
	s_xor_b64 exec, exec, s[6:7]
	s_cbranch_execz .LBB4_778
.LBB4_2828:
	v_mov_b32_e32 v12, 0
	v_cmp_ne_u16_sdwa s[8:9], v13, v12 src0_sel:BYTE_0 src1_sel:DWORD
	s_andn2_b64 s[4:5], s[4:5], exec
	s_and_b64 s[8:9], s[8:9], exec
	s_or_b64 s[4:5], s[4:5], s[8:9]
	s_or_b64 exec, exec, s[6:7]
	s_and_saveexec_b64 s[6:7], s[4:5]
	s_cbranch_execnz .LBB4_779
	s_branch .LBB4_780
.LBB4_2829:
	s_movk_i32 s4, 0x80
	v_cmp_eq_u16_sdwa s[12:13], v13, s4 src0_sel:BYTE_0 src1_sel:DWORD
	s_mov_b64 s[4:5], -1
                                        ; implicit-def: $sgpr10
	s_and_saveexec_b64 s[8:9], s[12:13]
; %bb.2830:
	s_mov_b32 s10, 0x7f800001
	s_xor_b64 s[4:5], exec, -1
; %bb.2831:
	s_or_b64 exec, exec, s[8:9]
	s_and_b64 s[4:5], s[4:5], exec
	s_or_saveexec_b64 s[6:7], s[6:7]
	v_mov_b32_e32 v14, s10
	s_xor_b64 exec, exec, s[6:7]
	s_cbranch_execz .LBB4_782
.LBB4_2832:
	v_mov_b32_e32 v14, 0
	v_cmp_ne_u16_sdwa s[8:9], v13, v14 src0_sel:BYTE_0 src1_sel:DWORD
	s_andn2_b64 s[4:5], s[4:5], exec
	s_and_b64 s[8:9], s[8:9], exec
	s_or_b64 s[4:5], s[4:5], s[8:9]
	s_or_b64 exec, exec, s[6:7]
	s_and_saveexec_b64 s[6:7], s[4:5]
	s_cbranch_execnz .LBB4_783
	s_branch .LBB4_784
.LBB4_2833:
	s_movk_i32 s4, 0x80
	v_cmp_eq_u16_e32 vcc, s4, v13
	s_mov_b64 s[4:5], -1
                                        ; implicit-def: $sgpr10
	s_and_saveexec_b64 s[8:9], vcc
; %bb.2834:
	s_mov_b32 s10, 0x7f800001
	s_xor_b64 s[4:5], exec, -1
; %bb.2835:
	s_or_b64 exec, exec, s[8:9]
	s_and_b64 s[4:5], s[4:5], exec
                                        ; implicit-def: $vgpr13
	s_or_saveexec_b64 s[6:7], s[6:7]
	v_mov_b32_e32 v12, s10
	s_xor_b64 exec, exec, s[6:7]
	s_cbranch_execz .LBB4_786
.LBB4_2836:
	v_cmp_ne_u16_e32 vcc, 0, v13
	s_andn2_b64 s[4:5], s[4:5], exec
	s_and_b64 s[8:9], vcc, exec
	v_mov_b32_e32 v12, 0
	s_or_b64 s[4:5], s[4:5], s[8:9]
	s_or_b64 exec, exec, s[6:7]
	s_and_saveexec_b64 s[6:7], s[4:5]
	s_cbranch_execnz .LBB4_787
	s_branch .LBB4_788
.LBB4_2837:
	s_movk_i32 s4, 0x80
	v_cmp_eq_u16_e32 vcc, s4, v13
	s_mov_b64 s[4:5], -1
                                        ; implicit-def: $sgpr10
	s_and_saveexec_b64 s[8:9], vcc
; %bb.2838:
	s_mov_b32 s10, 0x7f800001
	s_xor_b64 s[4:5], exec, -1
; %bb.2839:
	s_or_b64 exec, exec, s[8:9]
	s_and_b64 s[4:5], s[4:5], exec
                                        ; implicit-def: $vgpr13
	s_or_saveexec_b64 s[6:7], s[6:7]
	v_mov_b32_e32 v14, s10
	s_xor_b64 exec, exec, s[6:7]
	s_cbranch_execz .LBB4_790
.LBB4_2840:
	v_cmp_ne_u16_e32 vcc, 0, v13
	s_andn2_b64 s[4:5], s[4:5], exec
	s_and_b64 s[8:9], vcc, exec
	v_mov_b32_e32 v14, 0
	s_or_b64 s[4:5], s[4:5], s[8:9]
	s_or_b64 exec, exec, s[6:7]
	s_and_saveexec_b64 s[6:7], s[4:5]
	s_cbranch_execnz .LBB4_791
	s_branch .LBB4_792
.LBB4_2841:
	s_movk_i32 s4, 0x80
	v_cmp_eq_u16_sdwa s[12:13], v6, s4 src0_sel:BYTE_3 src1_sel:DWORD
	s_mov_b64 s[4:5], -1
                                        ; implicit-def: $sgpr10
	s_and_saveexec_b64 s[8:9], s[12:13]
; %bb.2842:
	s_mov_b32 s10, 0x7f800001
	s_xor_b64 s[4:5], exec, -1
; %bb.2843:
	s_or_b64 exec, exec, s[8:9]
	s_and_b64 s[4:5], s[4:5], exec
	s_or_saveexec_b64 s[6:7], s[6:7]
	v_mov_b32_e32 v12, s10
	s_xor_b64 exec, exec, s[6:7]
	s_cbranch_execz .LBB4_794
.LBB4_2844:
	v_mov_b32_e32 v12, 0
	v_cmp_ne_u16_sdwa s[8:9], v6, v12 src0_sel:BYTE_3 src1_sel:DWORD
	s_andn2_b64 s[4:5], s[4:5], exec
	s_and_b64 s[8:9], s[8:9], exec
	s_or_b64 s[4:5], s[4:5], s[8:9]
	s_or_b64 exec, exec, s[6:7]
	s_and_saveexec_b64 s[6:7], s[4:5]
	s_cbranch_execnz .LBB4_795
	s_branch .LBB4_796
.LBB4_2845:
	s_movk_i32 s4, 0x80
	v_cmp_eq_u16_sdwa s[12:13], v2, s4 src0_sel:BYTE_3 src1_sel:DWORD
	s_mov_b64 s[4:5], -1
                                        ; implicit-def: $sgpr10
	s_and_saveexec_b64 s[8:9], s[12:13]
; %bb.2846:
	s_mov_b32 s10, 0x7f800001
	s_xor_b64 s[4:5], exec, -1
; %bb.2847:
	s_or_b64 exec, exec, s[8:9]
	s_and_b64 s[4:5], s[4:5], exec
	s_or_saveexec_b64 s[6:7], s[6:7]
	v_mov_b32_e32 v6, s10
	s_xor_b64 exec, exec, s[6:7]
	s_cbranch_execz .LBB4_798
.LBB4_2848:
	v_mov_b32_e32 v6, 0
	v_cmp_ne_u16_sdwa s[8:9], v2, v6 src0_sel:BYTE_3 src1_sel:DWORD
	s_andn2_b64 s[4:5], s[4:5], exec
	s_and_b64 s[8:9], s[8:9], exec
	s_or_b64 s[4:5], s[4:5], s[8:9]
	s_or_b64 exec, exec, s[6:7]
	s_and_saveexec_b64 s[6:7], s[4:5]
	s_cbranch_execnz .LBB4_799
	s_branch .LBB4_800
.LBB4_2849:
	s_movk_i32 s4, 0x80
	v_cmp_eq_u16_sdwa s[12:13], v7, s4 src0_sel:BYTE_0 src1_sel:DWORD
	s_mov_b64 s[4:5], -1
                                        ; implicit-def: $sgpr10
	s_and_saveexec_b64 s[8:9], s[12:13]
; %bb.2850:
	s_mov_b32 s10, 0x7f800001
	s_xor_b64 s[4:5], exec, -1
; %bb.2851:
	s_or_b64 exec, exec, s[8:9]
	s_and_b64 s[4:5], s[4:5], exec
	s_or_saveexec_b64 s[6:7], s[6:7]
	v_mov_b32_e32 v2, s10
	s_xor_b64 exec, exec, s[6:7]
	s_cbranch_execz .LBB4_802
.LBB4_2852:
	v_mov_b32_e32 v2, 0
	v_cmp_ne_u16_sdwa s[8:9], v7, v2 src0_sel:BYTE_0 src1_sel:DWORD
	s_andn2_b64 s[4:5], s[4:5], exec
	s_and_b64 s[8:9], s[8:9], exec
	s_or_b64 s[4:5], s[4:5], s[8:9]
	s_or_b64 exec, exec, s[6:7]
	s_and_saveexec_b64 s[6:7], s[4:5]
	s_cbranch_execnz .LBB4_803
	s_branch .LBB4_804
.LBB4_2853:
	s_movk_i32 s4, 0x80
	v_cmp_eq_u16_sdwa s[12:13], v3, s4 src0_sel:BYTE_0 src1_sel:DWORD
	s_mov_b64 s[4:5], -1
                                        ; implicit-def: $sgpr10
	s_and_saveexec_b64 s[8:9], s[12:13]
; %bb.2854:
	s_mov_b32 s10, 0x7f800001
	s_xor_b64 s[4:5], exec, -1
; %bb.2855:
	s_or_b64 exec, exec, s[8:9]
	s_and_b64 s[4:5], s[4:5], exec
	s_or_saveexec_b64 s[6:7], s[6:7]
	v_mov_b32_e32 v6, s10
	s_xor_b64 exec, exec, s[6:7]
	s_cbranch_execz .LBB4_806
.LBB4_2856:
	v_mov_b32_e32 v6, 0
	v_cmp_ne_u16_sdwa s[8:9], v3, v6 src0_sel:BYTE_0 src1_sel:DWORD
	s_andn2_b64 s[4:5], s[4:5], exec
	s_and_b64 s[8:9], s[8:9], exec
	s_or_b64 s[4:5], s[4:5], s[8:9]
	s_or_b64 exec, exec, s[6:7]
	s_and_saveexec_b64 s[6:7], s[4:5]
	s_cbranch_execnz .LBB4_807
	s_branch .LBB4_808
.LBB4_2857:
	s_movk_i32 s4, 0x80
	v_cmp_eq_u16_sdwa s[12:13], v6, s4 src0_sel:BYTE_0 src1_sel:DWORD
	s_mov_b64 s[4:5], -1
                                        ; implicit-def: $sgpr10
	s_and_saveexec_b64 s[8:9], s[12:13]
; %bb.2858:
	s_mov_b32 s10, 0x7f800001
	s_xor_b64 s[4:5], exec, -1
; %bb.2859:
	s_or_b64 exec, exec, s[8:9]
	s_and_b64 s[4:5], s[4:5], exec
	s_or_saveexec_b64 s[6:7], s[6:7]
	v_mov_b32_e32 v2, s10
	s_xor_b64 exec, exec, s[6:7]
	s_cbranch_execz .LBB4_810
.LBB4_2860:
	v_mov_b32_e32 v2, 0
	v_cmp_ne_u16_sdwa s[8:9], v6, v2 src0_sel:BYTE_0 src1_sel:DWORD
	s_andn2_b64 s[4:5], s[4:5], exec
	s_and_b64 s[8:9], s[8:9], exec
	s_or_b64 s[4:5], s[4:5], s[8:9]
	s_or_b64 exec, exec, s[6:7]
	s_and_saveexec_b64 s[6:7], s[4:5]
	s_cbranch_execnz .LBB4_811
	s_branch .LBB4_812
.LBB4_2861:
	s_movk_i32 s4, 0x80
	v_cmp_eq_u16_sdwa s[12:13], v6, s4 src0_sel:BYTE_0 src1_sel:DWORD
	s_mov_b64 s[4:5], -1
                                        ; implicit-def: $sgpr10
	s_and_saveexec_b64 s[8:9], s[12:13]
; %bb.2862:
	s_mov_b32 s10, 0x7f800001
	s_xor_b64 s[4:5], exec, -1
; %bb.2863:
	s_or_b64 exec, exec, s[8:9]
	s_and_b64 s[4:5], s[4:5], exec
	s_or_saveexec_b64 s[6:7], s[6:7]
	v_mov_b32_e32 v12, s10
	s_xor_b64 exec, exec, s[6:7]
	s_cbranch_execz .LBB4_814
.LBB4_2864:
	v_mov_b32_e32 v12, 0
	v_cmp_ne_u16_sdwa s[8:9], v6, v12 src0_sel:BYTE_0 src1_sel:DWORD
	s_andn2_b64 s[4:5], s[4:5], exec
	s_and_b64 s[8:9], s[8:9], exec
	s_or_b64 s[4:5], s[4:5], s[8:9]
	s_or_b64 exec, exec, s[6:7]
	s_and_saveexec_b64 s[6:7], s[4:5]
	s_cbranch_execnz .LBB4_815
	s_branch .LBB4_816
.LBB4_2865:
	s_movk_i32 s4, 0x80
	v_cmp_eq_u16_e32 vcc, s4, v6
	s_mov_b64 s[4:5], -1
                                        ; implicit-def: $sgpr10
	s_and_saveexec_b64 s[8:9], vcc
; %bb.2866:
	s_mov_b32 s10, 0x7f800001
	s_xor_b64 s[4:5], exec, -1
; %bb.2867:
	s_or_b64 exec, exec, s[8:9]
	s_and_b64 s[4:5], s[4:5], exec
                                        ; implicit-def: $vgpr6
	s_or_saveexec_b64 s[6:7], s[6:7]
	v_mov_b32_e32 v2, s10
	s_xor_b64 exec, exec, s[6:7]
	s_cbranch_execz .LBB4_818
.LBB4_2868:
	v_cmp_ne_u16_e32 vcc, 0, v6
	s_andn2_b64 s[4:5], s[4:5], exec
	s_and_b64 s[8:9], vcc, exec
	v_mov_b32_e32 v2, 0
	s_or_b64 s[4:5], s[4:5], s[8:9]
	s_or_b64 exec, exec, s[6:7]
	s_and_saveexec_b64 s[6:7], s[4:5]
	s_cbranch_execnz .LBB4_819
	s_branch .LBB4_820
.LBB4_2869:
	s_movk_i32 s4, 0x80
	v_cmp_eq_u16_e32 vcc, s4, v6
	s_mov_b64 s[4:5], -1
                                        ; implicit-def: $sgpr10
	s_and_saveexec_b64 s[8:9], vcc
; %bb.2870:
	s_mov_b32 s10, 0x7f800001
	s_xor_b64 s[4:5], exec, -1
; %bb.2871:
	s_or_b64 exec, exec, s[8:9]
	s_and_b64 s[4:5], s[4:5], exec
                                        ; implicit-def: $vgpr6
	s_or_saveexec_b64 s[6:7], s[6:7]
	v_mov_b32_e32 v12, s10
	s_xor_b64 exec, exec, s[6:7]
	s_cbranch_execz .LBB4_822
.LBB4_2872:
	v_cmp_ne_u16_e32 vcc, 0, v6
	s_andn2_b64 s[4:5], s[4:5], exec
	s_and_b64 s[8:9], vcc, exec
	v_mov_b32_e32 v12, 0
	s_or_b64 s[4:5], s[4:5], s[8:9]
	s_or_b64 exec, exec, s[6:7]
	s_and_saveexec_b64 s[6:7], s[4:5]
	s_cbranch_execnz .LBB4_823
	s_branch .LBB4_824
.LBB4_2873:
	s_movk_i32 s4, 0x80
	v_cmp_eq_u16_sdwa s[12:13], v7, s4 src0_sel:BYTE_3 src1_sel:DWORD
	s_mov_b64 s[4:5], -1
                                        ; implicit-def: $sgpr10
	s_and_saveexec_b64 s[8:9], s[12:13]
; %bb.2874:
	s_mov_b32 s10, 0x7f800001
	s_xor_b64 s[4:5], exec, -1
; %bb.2875:
	s_or_b64 exec, exec, s[8:9]
	s_and_b64 s[4:5], s[4:5], exec
	s_or_saveexec_b64 s[6:7], s[6:7]
	v_mov_b32_e32 v2, s10
	s_xor_b64 exec, exec, s[6:7]
	s_cbranch_execz .LBB4_826
.LBB4_2876:
	v_mov_b32_e32 v2, 0
	v_cmp_ne_u16_sdwa s[8:9], v7, v2 src0_sel:BYTE_3 src1_sel:DWORD
	s_andn2_b64 s[4:5], s[4:5], exec
	s_and_b64 s[8:9], s[8:9], exec
	s_or_b64 s[4:5], s[4:5], s[8:9]
	s_or_b64 exec, exec, s[6:7]
	s_and_saveexec_b64 s[6:7], s[4:5]
	s_cbranch_execnz .LBB4_827
	s_branch .LBB4_828
.LBB4_2877:
	s_movk_i32 s4, 0x80
	v_cmp_eq_u16_sdwa s[12:13], v3, s4 src0_sel:BYTE_3 src1_sel:DWORD
	s_mov_b64 s[4:5], -1
                                        ; implicit-def: $sgpr10
	s_and_saveexec_b64 s[8:9], s[12:13]
; %bb.2878:
	s_mov_b32 s10, 0x7f800001
	s_xor_b64 s[4:5], exec, -1
; %bb.2879:
	s_or_b64 exec, exec, s[8:9]
	s_and_b64 s[4:5], s[4:5], exec
	s_or_saveexec_b64 s[6:7], s[6:7]
	v_mov_b32_e32 v6, s10
	s_xor_b64 exec, exec, s[6:7]
	s_cbranch_execz .LBB4_830
.LBB4_2880:
	v_mov_b32_e32 v6, 0
	v_cmp_ne_u16_sdwa s[8:9], v3, v6 src0_sel:BYTE_3 src1_sel:DWORD
	s_andn2_b64 s[4:5], s[4:5], exec
	s_and_b64 s[8:9], s[8:9], exec
	s_or_b64 s[4:5], s[4:5], s[8:9]
	s_or_b64 exec, exec, s[6:7]
	s_and_saveexec_b64 s[6:7], s[4:5]
	s_cbranch_execnz .LBB4_831
	s_branch .LBB4_832
.LBB4_2881:
	s_movk_i32 s4, 0x80
	v_cmp_eq_u16_sdwa s[12:13], v8, s4 src0_sel:BYTE_0 src1_sel:DWORD
	s_mov_b64 s[4:5], -1
                                        ; implicit-def: $sgpr10
	s_and_saveexec_b64 s[8:9], s[12:13]
; %bb.2882:
	s_mov_b32 s10, 0x7f800001
	s_xor_b64 s[4:5], exec, -1
; %bb.2883:
	s_or_b64 exec, exec, s[8:9]
	s_and_b64 s[4:5], s[4:5], exec
	s_or_saveexec_b64 s[6:7], s[6:7]
	v_mov_b32_e32 v2, s10
	s_xor_b64 exec, exec, s[6:7]
	s_cbranch_execz .LBB4_834
.LBB4_2884:
	v_mov_b32_e32 v2, 0
	v_cmp_ne_u16_sdwa s[8:9], v8, v2 src0_sel:BYTE_0 src1_sel:DWORD
	s_andn2_b64 s[4:5], s[4:5], exec
	s_and_b64 s[8:9], s[8:9], exec
	s_or_b64 s[4:5], s[4:5], s[8:9]
	s_or_b64 exec, exec, s[6:7]
	s_and_saveexec_b64 s[6:7], s[4:5]
	s_cbranch_execnz .LBB4_835
	s_branch .LBB4_836
.LBB4_2885:
	s_movk_i32 s4, 0x80
	v_cmp_eq_u16_sdwa s[12:13], v4, s4 src0_sel:BYTE_0 src1_sel:DWORD
	s_mov_b64 s[4:5], -1
                                        ; implicit-def: $sgpr10
	s_and_saveexec_b64 s[8:9], s[12:13]
; %bb.2886:
	s_mov_b32 s10, 0x7f800001
	s_xor_b64 s[4:5], exec, -1
; %bb.2887:
	s_or_b64 exec, exec, s[8:9]
	s_and_b64 s[4:5], s[4:5], exec
	s_or_saveexec_b64 s[6:7], s[6:7]
	v_mov_b32_e32 v3, s10
	s_xor_b64 exec, exec, s[6:7]
	s_cbranch_execz .LBB4_838
.LBB4_2888:
	v_mov_b32_e32 v3, 0
	v_cmp_ne_u16_sdwa s[8:9], v4, v3 src0_sel:BYTE_0 src1_sel:DWORD
	s_andn2_b64 s[4:5], s[4:5], exec
	s_and_b64 s[8:9], s[8:9], exec
	s_or_b64 s[4:5], s[4:5], s[8:9]
	s_or_b64 exec, exec, s[6:7]
	s_and_saveexec_b64 s[6:7], s[4:5]
	s_cbranch_execnz .LBB4_839
	s_branch .LBB4_840
.LBB4_2889:
	s_movk_i32 s4, 0x80
	v_cmp_eq_u16_sdwa s[12:13], v3, s4 src0_sel:BYTE_0 src1_sel:DWORD
	s_mov_b64 s[4:5], -1
                                        ; implicit-def: $sgpr10
	s_and_saveexec_b64 s[8:9], s[12:13]
; %bb.2890:
	s_mov_b32 s10, 0x7f800001
	s_xor_b64 s[4:5], exec, -1
; %bb.2891:
	s_or_b64 exec, exec, s[8:9]
	s_and_b64 s[4:5], s[4:5], exec
	s_or_saveexec_b64 s[6:7], s[6:7]
	v_mov_b32_e32 v2, s10
	s_xor_b64 exec, exec, s[6:7]
	s_cbranch_execz .LBB4_842
.LBB4_2892:
	v_mov_b32_e32 v2, 0
	v_cmp_ne_u16_sdwa s[8:9], v3, v2 src0_sel:BYTE_0 src1_sel:DWORD
	s_andn2_b64 s[4:5], s[4:5], exec
	s_and_b64 s[8:9], s[8:9], exec
	s_or_b64 s[4:5], s[4:5], s[8:9]
	s_or_b64 exec, exec, s[6:7]
	s_and_saveexec_b64 s[6:7], s[4:5]
	s_cbranch_execnz .LBB4_843
	s_branch .LBB4_844
.LBB4_2893:
	s_movk_i32 s4, 0x80
	v_cmp_eq_u16_sdwa s[12:13], v3, s4 src0_sel:BYTE_0 src1_sel:DWORD
	s_mov_b64 s[4:5], -1
                                        ; implicit-def: $sgpr10
	s_and_saveexec_b64 s[8:9], s[12:13]
; %bb.2894:
	s_mov_b32 s10, 0x7f800001
	s_xor_b64 s[4:5], exec, -1
; %bb.2895:
	s_or_b64 exec, exec, s[8:9]
	s_and_b64 s[4:5], s[4:5], exec
	s_or_saveexec_b64 s[6:7], s[6:7]
	v_mov_b32_e32 v6, s10
	s_xor_b64 exec, exec, s[6:7]
	s_cbranch_execz .LBB4_846
.LBB4_2896:
	v_mov_b32_e32 v6, 0
	v_cmp_ne_u16_sdwa s[8:9], v3, v6 src0_sel:BYTE_0 src1_sel:DWORD
	s_andn2_b64 s[4:5], s[4:5], exec
	s_and_b64 s[8:9], s[8:9], exec
	s_or_b64 s[4:5], s[4:5], s[8:9]
	s_or_b64 exec, exec, s[6:7]
	s_and_saveexec_b64 s[6:7], s[4:5]
	s_cbranch_execnz .LBB4_847
	s_branch .LBB4_848
.LBB4_2897:
	s_movk_i32 s4, 0x80
	v_cmp_eq_u16_e32 vcc, s4, v3
	s_mov_b64 s[4:5], -1
                                        ; implicit-def: $sgpr10
	s_and_saveexec_b64 s[8:9], vcc
; %bb.2898:
	s_mov_b32 s10, 0x7f800001
	s_xor_b64 s[4:5], exec, -1
; %bb.2899:
	s_or_b64 exec, exec, s[8:9]
	s_and_b64 s[4:5], s[4:5], exec
                                        ; implicit-def: $vgpr3
	s_or_saveexec_b64 s[6:7], s[6:7]
	v_mov_b32_e32 v2, s10
	s_xor_b64 exec, exec, s[6:7]
	s_cbranch_execz .LBB4_850
.LBB4_2900:
	v_cmp_ne_u16_e32 vcc, 0, v3
	s_andn2_b64 s[4:5], s[4:5], exec
	s_and_b64 s[8:9], vcc, exec
	v_mov_b32_e32 v2, 0
	s_or_b64 s[4:5], s[4:5], s[8:9]
	s_or_b64 exec, exec, s[6:7]
	s_and_saveexec_b64 s[6:7], s[4:5]
	s_cbranch_execnz .LBB4_851
	s_branch .LBB4_852
.LBB4_2901:
	s_movk_i32 s4, 0x80
	v_cmp_eq_u16_e32 vcc, s4, v3
	s_mov_b64 s[4:5], -1
                                        ; implicit-def: $sgpr10
	s_and_saveexec_b64 s[8:9], vcc
; %bb.2902:
	s_mov_b32 s10, 0x7f800001
	s_xor_b64 s[4:5], exec, -1
; %bb.2903:
	s_or_b64 exec, exec, s[8:9]
	s_and_b64 s[4:5], s[4:5], exec
                                        ; implicit-def: $vgpr3
	s_or_saveexec_b64 s[6:7], s[6:7]
	v_mov_b32_e32 v6, s10
	s_xor_b64 exec, exec, s[6:7]
	s_cbranch_execz .LBB4_854
.LBB4_2904:
	v_cmp_ne_u16_e32 vcc, 0, v3
	s_andn2_b64 s[4:5], s[4:5], exec
	s_and_b64 s[8:9], vcc, exec
	v_mov_b32_e32 v6, 0
	s_or_b64 s[4:5], s[4:5], s[8:9]
	s_or_b64 exec, exec, s[6:7]
	s_and_saveexec_b64 s[6:7], s[4:5]
	s_cbranch_execnz .LBB4_855
	s_branch .LBB4_856
.LBB4_2905:
	s_movk_i32 s4, 0x80
	v_cmp_eq_u16_sdwa s[12:13], v8, s4 src0_sel:BYTE_3 src1_sel:DWORD
	s_mov_b64 s[4:5], -1
                                        ; implicit-def: $sgpr10
	s_and_saveexec_b64 s[8:9], s[12:13]
; %bb.2906:
	s_mov_b32 s10, 0x7f800001
	s_xor_b64 s[4:5], exec, -1
; %bb.2907:
	s_or_b64 exec, exec, s[8:9]
	s_and_b64 s[4:5], s[4:5], exec
	s_or_saveexec_b64 s[6:7], s[6:7]
	v_mov_b32_e32 v2, s10
	s_xor_b64 exec, exec, s[6:7]
	s_cbranch_execz .LBB4_858
.LBB4_2908:
	v_mov_b32_e32 v2, 0
	v_cmp_ne_u16_sdwa s[8:9], v8, v2 src0_sel:BYTE_3 src1_sel:DWORD
	s_andn2_b64 s[4:5], s[4:5], exec
	s_and_b64 s[8:9], s[8:9], exec
	s_or_b64 s[4:5], s[4:5], s[8:9]
	s_or_b64 exec, exec, s[6:7]
	s_and_saveexec_b64 s[6:7], s[4:5]
	s_cbranch_execnz .LBB4_859
	s_branch .LBB4_860
.LBB4_2909:
	s_movk_i32 s4, 0x80
	v_cmp_eq_u16_sdwa s[12:13], v4, s4 src0_sel:BYTE_3 src1_sel:DWORD
	s_mov_b64 s[4:5], -1
                                        ; implicit-def: $sgpr10
	s_and_saveexec_b64 s[8:9], s[12:13]
; %bb.2910:
	s_mov_b32 s10, 0x7f800001
	s_xor_b64 s[4:5], exec, -1
; %bb.2911:
	s_or_b64 exec, exec, s[8:9]
	s_and_b64 s[4:5], s[4:5], exec
	s_or_saveexec_b64 s[6:7], s[6:7]
	v_mov_b32_e32 v3, s10
	s_xor_b64 exec, exec, s[6:7]
	s_cbranch_execz .LBB4_862
.LBB4_2912:
	v_mov_b32_e32 v3, 0
	v_cmp_ne_u16_sdwa s[8:9], v4, v3 src0_sel:BYTE_3 src1_sel:DWORD
	s_andn2_b64 s[4:5], s[4:5], exec
	s_and_b64 s[8:9], s[8:9], exec
	s_or_b64 s[4:5], s[4:5], s[8:9]
	s_or_b64 exec, exec, s[6:7]
	s_and_saveexec_b64 s[6:7], s[4:5]
	s_cbranch_execnz .LBB4_863
	s_branch .LBB4_864
.LBB4_2913:
	s_movk_i32 s4, 0x80
	v_cmp_eq_u16_sdwa s[12:13], v9, s4 src0_sel:BYTE_0 src1_sel:DWORD
	s_mov_b64 s[4:5], -1
                                        ; implicit-def: $sgpr10
	s_and_saveexec_b64 s[8:9], s[12:13]
; %bb.2914:
	s_mov_b32 s10, 0x7f800001
	s_xor_b64 s[4:5], exec, -1
; %bb.2915:
	s_or_b64 exec, exec, s[8:9]
	s_and_b64 s[4:5], s[4:5], exec
	s_or_saveexec_b64 s[6:7], s[6:7]
	v_mov_b32_e32 v2, s10
	s_xor_b64 exec, exec, s[6:7]
	s_cbranch_execz .LBB4_866
.LBB4_2916:
	v_mov_b32_e32 v2, 0
	v_cmp_ne_u16_sdwa s[8:9], v9, v2 src0_sel:BYTE_0 src1_sel:DWORD
	s_andn2_b64 s[4:5], s[4:5], exec
	s_and_b64 s[8:9], s[8:9], exec
	s_or_b64 s[4:5], s[4:5], s[8:9]
	s_or_b64 exec, exec, s[6:7]
	s_and_saveexec_b64 s[6:7], s[4:5]
	s_cbranch_execnz .LBB4_867
	s_branch .LBB4_868
.LBB4_2917:
	s_movk_i32 s4, 0x80
	v_cmp_eq_u16_sdwa s[12:13], v5, s4 src0_sel:BYTE_0 src1_sel:DWORD
	s_mov_b64 s[4:5], -1
                                        ; implicit-def: $sgpr10
	s_and_saveexec_b64 s[8:9], s[12:13]
; %bb.2918:
	s_mov_b32 s10, 0x7f800001
	s_xor_b64 s[4:5], exec, -1
; %bb.2919:
	s_or_b64 exec, exec, s[8:9]
	s_and_b64 s[4:5], s[4:5], exec
	s_or_saveexec_b64 s[6:7], s[6:7]
	v_mov_b32_e32 v3, s10
	s_xor_b64 exec, exec, s[6:7]
	s_cbranch_execz .LBB4_870
.LBB4_2920:
	v_mov_b32_e32 v3, 0
	v_cmp_ne_u16_sdwa s[8:9], v5, v3 src0_sel:BYTE_0 src1_sel:DWORD
	s_andn2_b64 s[4:5], s[4:5], exec
	s_and_b64 s[8:9], s[8:9], exec
	s_or_b64 s[4:5], s[4:5], s[8:9]
	s_or_b64 exec, exec, s[6:7]
	s_and_saveexec_b64 s[6:7], s[4:5]
	s_cbranch_execnz .LBB4_871
	s_branch .LBB4_872
.LBB4_2921:
	s_movk_i32 s4, 0x80
	v_cmp_eq_u16_sdwa s[12:13], v3, s4 src0_sel:BYTE_0 src1_sel:DWORD
	s_mov_b64 s[4:5], -1
                                        ; implicit-def: $sgpr10
	s_and_saveexec_b64 s[8:9], s[12:13]
; %bb.2922:
	s_mov_b32 s10, 0x7f800001
	s_xor_b64 s[4:5], exec, -1
; %bb.2923:
	s_or_b64 exec, exec, s[8:9]
	s_and_b64 s[4:5], s[4:5], exec
	s_or_saveexec_b64 s[6:7], s[6:7]
	v_mov_b32_e32 v2, s10
	s_xor_b64 exec, exec, s[6:7]
	s_cbranch_execz .LBB4_874
.LBB4_2924:
	v_mov_b32_e32 v2, 0
	v_cmp_ne_u16_sdwa s[8:9], v3, v2 src0_sel:BYTE_0 src1_sel:DWORD
	s_andn2_b64 s[4:5], s[4:5], exec
	s_and_b64 s[8:9], s[8:9], exec
	s_or_b64 s[4:5], s[4:5], s[8:9]
	s_or_b64 exec, exec, s[6:7]
	s_and_saveexec_b64 s[6:7], s[4:5]
	s_cbranch_execnz .LBB4_875
	s_branch .LBB4_876
.LBB4_2925:
	s_movk_i32 s4, 0x80
	v_cmp_eq_u16_sdwa s[12:13], v3, s4 src0_sel:BYTE_0 src1_sel:DWORD
	s_mov_b64 s[4:5], -1
                                        ; implicit-def: $sgpr10
	s_and_saveexec_b64 s[8:9], s[12:13]
; %bb.2926:
	s_mov_b32 s10, 0x7f800001
	s_xor_b64 s[4:5], exec, -1
; %bb.2927:
	s_or_b64 exec, exec, s[8:9]
	s_and_b64 s[4:5], s[4:5], exec
	s_or_saveexec_b64 s[6:7], s[6:7]
	v_mov_b32_e32 v4, s10
	s_xor_b64 exec, exec, s[6:7]
	s_cbranch_execz .LBB4_878
.LBB4_2928:
	v_mov_b32_e32 v4, 0
	v_cmp_ne_u16_sdwa s[8:9], v3, v4 src0_sel:BYTE_0 src1_sel:DWORD
	s_andn2_b64 s[4:5], s[4:5], exec
	s_and_b64 s[8:9], s[8:9], exec
	s_or_b64 s[4:5], s[4:5], s[8:9]
	s_or_b64 exec, exec, s[6:7]
	s_and_saveexec_b64 s[6:7], s[4:5]
	s_cbranch_execnz .LBB4_879
	s_branch .LBB4_880
.LBB4_2929:
	s_movk_i32 s4, 0x80
	v_cmp_eq_u16_e32 vcc, s4, v3
	s_mov_b64 s[4:5], -1
                                        ; implicit-def: $sgpr10
	s_and_saveexec_b64 s[8:9], vcc
; %bb.2930:
	s_mov_b32 s10, 0x7f800001
	s_xor_b64 s[4:5], exec, -1
; %bb.2931:
	s_or_b64 exec, exec, s[8:9]
	s_and_b64 s[4:5], s[4:5], exec
                                        ; implicit-def: $vgpr3
	s_or_saveexec_b64 s[6:7], s[6:7]
	v_mov_b32_e32 v2, s10
	s_xor_b64 exec, exec, s[6:7]
	s_cbranch_execz .LBB4_882
.LBB4_2932:
	v_cmp_ne_u16_e32 vcc, 0, v3
	s_andn2_b64 s[4:5], s[4:5], exec
	s_and_b64 s[8:9], vcc, exec
	v_mov_b32_e32 v2, 0
	s_or_b64 s[4:5], s[4:5], s[8:9]
	s_or_b64 exec, exec, s[6:7]
	s_and_saveexec_b64 s[6:7], s[4:5]
	s_cbranch_execnz .LBB4_883
	s_branch .LBB4_884
.LBB4_2933:
	s_movk_i32 s4, 0x80
	v_cmp_eq_u16_e32 vcc, s4, v3
	s_mov_b64 s[4:5], -1
                                        ; implicit-def: $sgpr10
	s_and_saveexec_b64 s[8:9], vcc
; %bb.2934:
	s_mov_b32 s10, 0x7f800001
	s_xor_b64 s[4:5], exec, -1
; %bb.2935:
	s_or_b64 exec, exec, s[8:9]
	s_and_b64 s[4:5], s[4:5], exec
                                        ; implicit-def: $vgpr3
	s_or_saveexec_b64 s[6:7], s[6:7]
	v_mov_b32_e32 v4, s10
	s_xor_b64 exec, exec, s[6:7]
	s_cbranch_execz .LBB4_886
.LBB4_2936:
	v_cmp_ne_u16_e32 vcc, 0, v3
	s_andn2_b64 s[4:5], s[4:5], exec
	s_and_b64 s[8:9], vcc, exec
	v_mov_b32_e32 v4, 0
	s_or_b64 s[4:5], s[4:5], s[8:9]
	s_or_b64 exec, exec, s[6:7]
	s_and_saveexec_b64 s[6:7], s[4:5]
	s_cbranch_execnz .LBB4_887
	s_branch .LBB4_888
.LBB4_2937:
	s_movk_i32 s4, 0x80
	v_cmp_eq_u16_sdwa s[12:13], v9, s4 src0_sel:BYTE_3 src1_sel:DWORD
	s_mov_b64 s[4:5], -1
                                        ; implicit-def: $sgpr10
	s_and_saveexec_b64 s[8:9], s[12:13]
; %bb.2938:
	s_mov_b32 s10, 0x7f800001
	s_xor_b64 s[4:5], exec, -1
; %bb.2939:
	s_or_b64 exec, exec, s[8:9]
	s_and_b64 s[4:5], s[4:5], exec
	s_or_saveexec_b64 s[6:7], s[6:7]
	v_mov_b32_e32 v2, s10
	s_xor_b64 exec, exec, s[6:7]
	s_cbranch_execz .LBB4_890
.LBB4_2940:
	v_mov_b32_e32 v2, 0
	v_cmp_ne_u16_sdwa s[8:9], v9, v2 src0_sel:BYTE_3 src1_sel:DWORD
	s_andn2_b64 s[4:5], s[4:5], exec
	s_and_b64 s[8:9], s[8:9], exec
	s_or_b64 s[4:5], s[4:5], s[8:9]
	s_or_b64 exec, exec, s[6:7]
	s_and_saveexec_b64 s[6:7], s[4:5]
	s_cbranch_execnz .LBB4_891
	s_branch .LBB4_892
.LBB4_2941:
	s_movk_i32 s4, 0x80
	v_cmp_eq_u16_sdwa s[12:13], v5, s4 src0_sel:BYTE_3 src1_sel:DWORD
	s_mov_b64 s[4:5], -1
                                        ; implicit-def: $sgpr10
	s_and_saveexec_b64 s[8:9], s[12:13]
; %bb.2942:
	s_mov_b32 s10, 0x7f800001
	s_xor_b64 s[4:5], exec, -1
; %bb.2943:
	s_or_b64 exec, exec, s[8:9]
	s_and_b64 s[4:5], s[4:5], exec
	s_or_saveexec_b64 s[6:7], s[6:7]
	v_mov_b32_e32 v3, s10
	s_xor_b64 exec, exec, s[6:7]
	s_cbranch_execz .LBB4_894
.LBB4_2944:
	v_mov_b32_e32 v3, 0
	v_cmp_ne_u16_sdwa s[8:9], v5, v3 src0_sel:BYTE_3 src1_sel:DWORD
	s_andn2_b64 s[4:5], s[4:5], exec
	s_and_b64 s[8:9], s[8:9], exec
	s_or_b64 s[4:5], s[4:5], s[8:9]
	s_or_b64 exec, exec, s[6:7]
	s_and_saveexec_b64 s[6:7], s[4:5]
	s_cbranch_execnz .LBB4_895
	s_branch .LBB4_896
.LBB4_2945:
	s_movk_i32 s4, 0x80
	v_cmp_eq_u16_sdwa s[12:13], v6, s4 src0_sel:BYTE_0 src1_sel:DWORD
	s_mov_b64 s[4:5], -1
                                        ; implicit-def: $sgpr10
	s_and_saveexec_b64 s[8:9], s[12:13]
; %bb.2946:
	s_mov_b32 s10, 0x7f800001
	s_xor_b64 s[4:5], exec, -1
; %bb.2947:
	s_or_b64 exec, exec, s[8:9]
	s_and_b64 s[4:5], s[4:5], exec
	s_or_saveexec_b64 s[6:7], s[6:7]
	v_mov_b32_e32 v12, s10
	s_xor_b64 exec, exec, s[6:7]
	s_cbranch_execz .LBB4_898
.LBB4_2948:
	v_mov_b32_e32 v12, 0
	v_cmp_ne_u16_sdwa s[8:9], v6, v12 src0_sel:BYTE_0 src1_sel:DWORD
	s_andn2_b64 s[4:5], s[4:5], exec
	s_and_b64 s[8:9], s[8:9], exec
	s_or_b64 s[4:5], s[4:5], s[8:9]
	s_or_b64 exec, exec, s[6:7]
	s_and_saveexec_b64 s[6:7], s[4:5]
	s_cbranch_execnz .LBB4_899
	s_branch .LBB4_900
.LBB4_2949:
	s_movk_i32 s4, 0x80
	v_cmp_eq_u16_sdwa s[12:13], v2, s4 src0_sel:BYTE_0 src1_sel:DWORD
	s_mov_b64 s[4:5], -1
                                        ; implicit-def: $sgpr10
	s_and_saveexec_b64 s[8:9], s[12:13]
; %bb.2950:
	s_mov_b32 s10, 0x7f800001
	s_xor_b64 s[4:5], exec, -1
; %bb.2951:
	s_or_b64 exec, exec, s[8:9]
	s_and_b64 s[4:5], s[4:5], exec
	s_or_saveexec_b64 s[6:7], s[6:7]
	v_mov_b32_e32 v13, s10
	s_xor_b64 exec, exec, s[6:7]
	s_cbranch_execz .LBB4_902
.LBB4_2952:
	v_mov_b32_e32 v13, 0
	v_cmp_ne_u16_sdwa s[8:9], v2, v13 src0_sel:BYTE_0 src1_sel:DWORD
	s_andn2_b64 s[4:5], s[4:5], exec
	s_and_b64 s[8:9], s[8:9], exec
	s_or_b64 s[4:5], s[4:5], s[8:9]
	s_or_b64 exec, exec, s[6:7]
	s_and_saveexec_b64 s[6:7], s[4:5]
	s_cbranch_execnz .LBB4_903
	s_branch .LBB4_904
.LBB4_2953:
	s_movk_i32 s4, 0x80
	v_cmp_eq_u16_sdwa s[12:13], v13, s4 src0_sel:BYTE_0 src1_sel:DWORD
	s_mov_b64 s[4:5], -1
                                        ; implicit-def: $sgpr10
	s_and_saveexec_b64 s[8:9], s[12:13]
; %bb.2954:
	s_mov_b32 s10, 0x7f800001
	s_xor_b64 s[4:5], exec, -1
; %bb.2955:
	s_or_b64 exec, exec, s[8:9]
	s_and_b64 s[4:5], s[4:5], exec
	s_or_saveexec_b64 s[6:7], s[6:7]
	v_mov_b32_e32 v12, s10
	s_xor_b64 exec, exec, s[6:7]
	s_cbranch_execz .LBB4_906
.LBB4_2956:
	v_mov_b32_e32 v12, 0
	v_cmp_ne_u16_sdwa s[8:9], v13, v12 src0_sel:BYTE_0 src1_sel:DWORD
	s_andn2_b64 s[4:5], s[4:5], exec
	s_and_b64 s[8:9], s[8:9], exec
	s_or_b64 s[4:5], s[4:5], s[8:9]
	s_or_b64 exec, exec, s[6:7]
	s_and_saveexec_b64 s[6:7], s[4:5]
	s_cbranch_execnz .LBB4_907
	s_branch .LBB4_908
.LBB4_2957:
	s_movk_i32 s4, 0x80
	v_cmp_eq_u16_sdwa s[12:13], v13, s4 src0_sel:BYTE_0 src1_sel:DWORD
	s_mov_b64 s[4:5], -1
                                        ; implicit-def: $sgpr10
	s_and_saveexec_b64 s[8:9], s[12:13]
; %bb.2958:
	s_mov_b32 s10, 0x7f800001
	s_xor_b64 s[4:5], exec, -1
; %bb.2959:
	s_or_b64 exec, exec, s[8:9]
	s_and_b64 s[4:5], s[4:5], exec
	s_or_saveexec_b64 s[6:7], s[6:7]
	v_mov_b32_e32 v14, s10
	s_xor_b64 exec, exec, s[6:7]
	s_cbranch_execz .LBB4_910
.LBB4_2960:
	v_mov_b32_e32 v14, 0
	v_cmp_ne_u16_sdwa s[8:9], v13, v14 src0_sel:BYTE_0 src1_sel:DWORD
	s_andn2_b64 s[4:5], s[4:5], exec
	s_and_b64 s[8:9], s[8:9], exec
	s_or_b64 s[4:5], s[4:5], s[8:9]
	s_or_b64 exec, exec, s[6:7]
	s_and_saveexec_b64 s[6:7], s[4:5]
	s_cbranch_execnz .LBB4_911
	s_branch .LBB4_912
.LBB4_2961:
	s_movk_i32 s4, 0x80
	v_cmp_eq_u16_e32 vcc, s4, v13
	s_mov_b64 s[4:5], -1
                                        ; implicit-def: $sgpr10
	s_and_saveexec_b64 s[8:9], vcc
; %bb.2962:
	s_mov_b32 s10, 0x7f800001
	s_xor_b64 s[4:5], exec, -1
; %bb.2963:
	s_or_b64 exec, exec, s[8:9]
	s_and_b64 s[4:5], s[4:5], exec
                                        ; implicit-def: $vgpr13
	s_or_saveexec_b64 s[6:7], s[6:7]
	v_mov_b32_e32 v12, s10
	s_xor_b64 exec, exec, s[6:7]
	s_cbranch_execz .LBB4_914
.LBB4_2964:
	v_cmp_ne_u16_e32 vcc, 0, v13
	s_andn2_b64 s[4:5], s[4:5], exec
	s_and_b64 s[8:9], vcc, exec
	v_mov_b32_e32 v12, 0
	s_or_b64 s[4:5], s[4:5], s[8:9]
	s_or_b64 exec, exec, s[6:7]
	s_and_saveexec_b64 s[6:7], s[4:5]
	s_cbranch_execnz .LBB4_915
	s_branch .LBB4_916
.LBB4_2965:
	s_movk_i32 s4, 0x80
	v_cmp_eq_u16_e32 vcc, s4, v13
	s_mov_b64 s[4:5], -1
                                        ; implicit-def: $sgpr10
	s_and_saveexec_b64 s[8:9], vcc
; %bb.2966:
	s_mov_b32 s10, 0x7f800001
	s_xor_b64 s[4:5], exec, -1
; %bb.2967:
	s_or_b64 exec, exec, s[8:9]
	s_and_b64 s[4:5], s[4:5], exec
                                        ; implicit-def: $vgpr13
	s_or_saveexec_b64 s[6:7], s[6:7]
	v_mov_b32_e32 v14, s10
	s_xor_b64 exec, exec, s[6:7]
	s_cbranch_execz .LBB4_918
.LBB4_2968:
	v_cmp_ne_u16_e32 vcc, 0, v13
	s_andn2_b64 s[4:5], s[4:5], exec
	s_and_b64 s[8:9], vcc, exec
	v_mov_b32_e32 v14, 0
	s_or_b64 s[4:5], s[4:5], s[8:9]
	s_or_b64 exec, exec, s[6:7]
	s_and_saveexec_b64 s[6:7], s[4:5]
	s_cbranch_execnz .LBB4_919
	s_branch .LBB4_920
.LBB4_2969:
	s_movk_i32 s4, 0x80
	v_cmp_eq_u16_sdwa s[12:13], v6, s4 src0_sel:BYTE_3 src1_sel:DWORD
	s_mov_b64 s[4:5], -1
                                        ; implicit-def: $sgpr10
	s_and_saveexec_b64 s[8:9], s[12:13]
; %bb.2970:
	s_mov_b32 s10, 0x7f800001
	s_xor_b64 s[4:5], exec, -1
; %bb.2971:
	s_or_b64 exec, exec, s[8:9]
	s_and_b64 s[4:5], s[4:5], exec
	s_or_saveexec_b64 s[6:7], s[6:7]
	v_mov_b32_e32 v12, s10
	s_xor_b64 exec, exec, s[6:7]
	s_cbranch_execz .LBB4_922
.LBB4_2972:
	v_mov_b32_e32 v12, 0
	v_cmp_ne_u16_sdwa s[8:9], v6, v12 src0_sel:BYTE_3 src1_sel:DWORD
	s_andn2_b64 s[4:5], s[4:5], exec
	s_and_b64 s[8:9], s[8:9], exec
	s_or_b64 s[4:5], s[4:5], s[8:9]
	s_or_b64 exec, exec, s[6:7]
	s_and_saveexec_b64 s[6:7], s[4:5]
	s_cbranch_execnz .LBB4_923
	s_branch .LBB4_924
.LBB4_2973:
	s_movk_i32 s4, 0x80
	v_cmp_eq_u16_sdwa s[12:13], v2, s4 src0_sel:BYTE_3 src1_sel:DWORD
	s_mov_b64 s[4:5], -1
                                        ; implicit-def: $sgpr10
	s_and_saveexec_b64 s[8:9], s[12:13]
; %bb.2974:
	s_mov_b32 s10, 0x7f800001
	s_xor_b64 s[4:5], exec, -1
; %bb.2975:
	s_or_b64 exec, exec, s[8:9]
	s_and_b64 s[4:5], s[4:5], exec
	s_or_saveexec_b64 s[6:7], s[6:7]
	v_mov_b32_e32 v6, s10
	s_xor_b64 exec, exec, s[6:7]
	s_cbranch_execz .LBB4_926
.LBB4_2976:
	v_mov_b32_e32 v6, 0
	v_cmp_ne_u16_sdwa s[8:9], v2, v6 src0_sel:BYTE_3 src1_sel:DWORD
	s_andn2_b64 s[4:5], s[4:5], exec
	s_and_b64 s[8:9], s[8:9], exec
	s_or_b64 s[4:5], s[4:5], s[8:9]
	s_or_b64 exec, exec, s[6:7]
	s_and_saveexec_b64 s[6:7], s[4:5]
	s_cbranch_execnz .LBB4_927
	s_branch .LBB4_928
.LBB4_2977:
	s_movk_i32 s4, 0x80
	v_cmp_eq_u16_sdwa s[12:13], v7, s4 src0_sel:BYTE_0 src1_sel:DWORD
	s_mov_b64 s[4:5], -1
                                        ; implicit-def: $sgpr10
	s_and_saveexec_b64 s[8:9], s[12:13]
; %bb.2978:
	s_mov_b32 s10, 0x7f800001
	s_xor_b64 s[4:5], exec, -1
; %bb.2979:
	s_or_b64 exec, exec, s[8:9]
	s_and_b64 s[4:5], s[4:5], exec
	s_or_saveexec_b64 s[6:7], s[6:7]
	v_mov_b32_e32 v2, s10
	s_xor_b64 exec, exec, s[6:7]
	s_cbranch_execz .LBB4_930
.LBB4_2980:
	v_mov_b32_e32 v2, 0
	v_cmp_ne_u16_sdwa s[8:9], v7, v2 src0_sel:BYTE_0 src1_sel:DWORD
	s_andn2_b64 s[4:5], s[4:5], exec
	s_and_b64 s[8:9], s[8:9], exec
	s_or_b64 s[4:5], s[4:5], s[8:9]
	s_or_b64 exec, exec, s[6:7]
	s_and_saveexec_b64 s[6:7], s[4:5]
	s_cbranch_execnz .LBB4_931
	s_branch .LBB4_932
.LBB4_2981:
	s_movk_i32 s4, 0x80
	v_cmp_eq_u16_sdwa s[12:13], v3, s4 src0_sel:BYTE_0 src1_sel:DWORD
	s_mov_b64 s[4:5], -1
                                        ; implicit-def: $sgpr10
	s_and_saveexec_b64 s[8:9], s[12:13]
; %bb.2982:
	s_mov_b32 s10, 0x7f800001
	s_xor_b64 s[4:5], exec, -1
; %bb.2983:
	s_or_b64 exec, exec, s[8:9]
	s_and_b64 s[4:5], s[4:5], exec
	s_or_saveexec_b64 s[6:7], s[6:7]
	v_mov_b32_e32 v6, s10
	s_xor_b64 exec, exec, s[6:7]
	s_cbranch_execz .LBB4_934
.LBB4_2984:
	v_mov_b32_e32 v6, 0
	v_cmp_ne_u16_sdwa s[8:9], v3, v6 src0_sel:BYTE_0 src1_sel:DWORD
	s_andn2_b64 s[4:5], s[4:5], exec
	s_and_b64 s[8:9], s[8:9], exec
	s_or_b64 s[4:5], s[4:5], s[8:9]
	s_or_b64 exec, exec, s[6:7]
	s_and_saveexec_b64 s[6:7], s[4:5]
	s_cbranch_execnz .LBB4_935
	s_branch .LBB4_936
.LBB4_2985:
	s_movk_i32 s4, 0x80
	v_cmp_eq_u16_sdwa s[12:13], v6, s4 src0_sel:BYTE_0 src1_sel:DWORD
	s_mov_b64 s[4:5], -1
                                        ; implicit-def: $sgpr10
	s_and_saveexec_b64 s[8:9], s[12:13]
; %bb.2986:
	s_mov_b32 s10, 0x7f800001
	s_xor_b64 s[4:5], exec, -1
; %bb.2987:
	s_or_b64 exec, exec, s[8:9]
	s_and_b64 s[4:5], s[4:5], exec
	s_or_saveexec_b64 s[6:7], s[6:7]
	v_mov_b32_e32 v2, s10
	s_xor_b64 exec, exec, s[6:7]
	s_cbranch_execz .LBB4_938
.LBB4_2988:
	v_mov_b32_e32 v2, 0
	v_cmp_ne_u16_sdwa s[8:9], v6, v2 src0_sel:BYTE_0 src1_sel:DWORD
	s_andn2_b64 s[4:5], s[4:5], exec
	s_and_b64 s[8:9], s[8:9], exec
	s_or_b64 s[4:5], s[4:5], s[8:9]
	s_or_b64 exec, exec, s[6:7]
	s_and_saveexec_b64 s[6:7], s[4:5]
	s_cbranch_execnz .LBB4_939
	s_branch .LBB4_940
.LBB4_2989:
	s_movk_i32 s4, 0x80
	v_cmp_eq_u16_sdwa s[12:13], v6, s4 src0_sel:BYTE_0 src1_sel:DWORD
	s_mov_b64 s[4:5], -1
                                        ; implicit-def: $sgpr10
	s_and_saveexec_b64 s[8:9], s[12:13]
; %bb.2990:
	s_mov_b32 s10, 0x7f800001
	s_xor_b64 s[4:5], exec, -1
; %bb.2991:
	s_or_b64 exec, exec, s[8:9]
	s_and_b64 s[4:5], s[4:5], exec
	s_or_saveexec_b64 s[6:7], s[6:7]
	v_mov_b32_e32 v12, s10
	s_xor_b64 exec, exec, s[6:7]
	s_cbranch_execz .LBB4_942
.LBB4_2992:
	v_mov_b32_e32 v12, 0
	v_cmp_ne_u16_sdwa s[8:9], v6, v12 src0_sel:BYTE_0 src1_sel:DWORD
	s_andn2_b64 s[4:5], s[4:5], exec
	s_and_b64 s[8:9], s[8:9], exec
	s_or_b64 s[4:5], s[4:5], s[8:9]
	s_or_b64 exec, exec, s[6:7]
	s_and_saveexec_b64 s[6:7], s[4:5]
	s_cbranch_execnz .LBB4_943
	s_branch .LBB4_944
.LBB4_2993:
	s_movk_i32 s4, 0x80
	v_cmp_eq_u16_e32 vcc, s4, v6
	s_mov_b64 s[4:5], -1
                                        ; implicit-def: $sgpr10
	s_and_saveexec_b64 s[8:9], vcc
; %bb.2994:
	s_mov_b32 s10, 0x7f800001
	s_xor_b64 s[4:5], exec, -1
; %bb.2995:
	s_or_b64 exec, exec, s[8:9]
	s_and_b64 s[4:5], s[4:5], exec
                                        ; implicit-def: $vgpr6
	s_or_saveexec_b64 s[6:7], s[6:7]
	v_mov_b32_e32 v2, s10
	s_xor_b64 exec, exec, s[6:7]
	s_cbranch_execz .LBB4_946
.LBB4_2996:
	v_cmp_ne_u16_e32 vcc, 0, v6
	s_andn2_b64 s[4:5], s[4:5], exec
	s_and_b64 s[8:9], vcc, exec
	v_mov_b32_e32 v2, 0
	s_or_b64 s[4:5], s[4:5], s[8:9]
	s_or_b64 exec, exec, s[6:7]
	s_and_saveexec_b64 s[6:7], s[4:5]
	s_cbranch_execnz .LBB4_947
	s_branch .LBB4_948
.LBB4_2997:
	s_movk_i32 s4, 0x80
	v_cmp_eq_u16_e32 vcc, s4, v6
	s_mov_b64 s[4:5], -1
                                        ; implicit-def: $sgpr10
	s_and_saveexec_b64 s[8:9], vcc
; %bb.2998:
	s_mov_b32 s10, 0x7f800001
	s_xor_b64 s[4:5], exec, -1
; %bb.2999:
	s_or_b64 exec, exec, s[8:9]
	s_and_b64 s[4:5], s[4:5], exec
                                        ; implicit-def: $vgpr6
	s_or_saveexec_b64 s[6:7], s[6:7]
	v_mov_b32_e32 v12, s10
	s_xor_b64 exec, exec, s[6:7]
	s_cbranch_execz .LBB4_950
.LBB4_3000:
	v_cmp_ne_u16_e32 vcc, 0, v6
	s_andn2_b64 s[4:5], s[4:5], exec
	s_and_b64 s[8:9], vcc, exec
	v_mov_b32_e32 v12, 0
	s_or_b64 s[4:5], s[4:5], s[8:9]
	s_or_b64 exec, exec, s[6:7]
	s_and_saveexec_b64 s[6:7], s[4:5]
	s_cbranch_execnz .LBB4_951
	s_branch .LBB4_952
.LBB4_3001:
	s_movk_i32 s4, 0x80
	v_cmp_eq_u16_sdwa s[12:13], v7, s4 src0_sel:BYTE_3 src1_sel:DWORD
	s_mov_b64 s[4:5], -1
                                        ; implicit-def: $sgpr10
	s_and_saveexec_b64 s[8:9], s[12:13]
; %bb.3002:
	s_mov_b32 s10, 0x7f800001
	s_xor_b64 s[4:5], exec, -1
; %bb.3003:
	s_or_b64 exec, exec, s[8:9]
	s_and_b64 s[4:5], s[4:5], exec
	s_or_saveexec_b64 s[6:7], s[6:7]
	v_mov_b32_e32 v2, s10
	s_xor_b64 exec, exec, s[6:7]
	s_cbranch_execz .LBB4_954
.LBB4_3004:
	v_mov_b32_e32 v2, 0
	v_cmp_ne_u16_sdwa s[8:9], v7, v2 src0_sel:BYTE_3 src1_sel:DWORD
	s_andn2_b64 s[4:5], s[4:5], exec
	s_and_b64 s[8:9], s[8:9], exec
	s_or_b64 s[4:5], s[4:5], s[8:9]
	s_or_b64 exec, exec, s[6:7]
	s_and_saveexec_b64 s[6:7], s[4:5]
	s_cbranch_execnz .LBB4_955
	s_branch .LBB4_956
.LBB4_3005:
	s_movk_i32 s4, 0x80
	v_cmp_eq_u16_sdwa s[12:13], v3, s4 src0_sel:BYTE_3 src1_sel:DWORD
	s_mov_b64 s[4:5], -1
                                        ; implicit-def: $sgpr10
	s_and_saveexec_b64 s[8:9], s[12:13]
; %bb.3006:
	s_mov_b32 s10, 0x7f800001
	s_xor_b64 s[4:5], exec, -1
; %bb.3007:
	s_or_b64 exec, exec, s[8:9]
	s_and_b64 s[4:5], s[4:5], exec
	s_or_saveexec_b64 s[6:7], s[6:7]
	v_mov_b32_e32 v6, s10
	s_xor_b64 exec, exec, s[6:7]
	s_cbranch_execz .LBB4_958
.LBB4_3008:
	v_mov_b32_e32 v6, 0
	v_cmp_ne_u16_sdwa s[8:9], v3, v6 src0_sel:BYTE_3 src1_sel:DWORD
	s_andn2_b64 s[4:5], s[4:5], exec
	s_and_b64 s[8:9], s[8:9], exec
	s_or_b64 s[4:5], s[4:5], s[8:9]
	s_or_b64 exec, exec, s[6:7]
	s_and_saveexec_b64 s[6:7], s[4:5]
	s_cbranch_execnz .LBB4_959
	s_branch .LBB4_960
.LBB4_3009:
	s_movk_i32 s4, 0x80
	v_cmp_eq_u16_sdwa s[12:13], v8, s4 src0_sel:BYTE_0 src1_sel:DWORD
	s_mov_b64 s[4:5], -1
                                        ; implicit-def: $sgpr10
	s_and_saveexec_b64 s[8:9], s[12:13]
; %bb.3010:
	s_mov_b32 s10, 0x7f800001
	s_xor_b64 s[4:5], exec, -1
; %bb.3011:
	s_or_b64 exec, exec, s[8:9]
	s_and_b64 s[4:5], s[4:5], exec
	s_or_saveexec_b64 s[6:7], s[6:7]
	v_mov_b32_e32 v2, s10
	s_xor_b64 exec, exec, s[6:7]
	s_cbranch_execz .LBB4_962
.LBB4_3012:
	v_mov_b32_e32 v2, 0
	v_cmp_ne_u16_sdwa s[8:9], v8, v2 src0_sel:BYTE_0 src1_sel:DWORD
	s_andn2_b64 s[4:5], s[4:5], exec
	s_and_b64 s[8:9], s[8:9], exec
	s_or_b64 s[4:5], s[4:5], s[8:9]
	s_or_b64 exec, exec, s[6:7]
	s_and_saveexec_b64 s[6:7], s[4:5]
	s_cbranch_execnz .LBB4_963
	s_branch .LBB4_964
.LBB4_3013:
	s_movk_i32 s4, 0x80
	v_cmp_eq_u16_sdwa s[12:13], v4, s4 src0_sel:BYTE_0 src1_sel:DWORD
	s_mov_b64 s[4:5], -1
                                        ; implicit-def: $sgpr10
	s_and_saveexec_b64 s[8:9], s[12:13]
; %bb.3014:
	s_mov_b32 s10, 0x7f800001
	s_xor_b64 s[4:5], exec, -1
; %bb.3015:
	s_or_b64 exec, exec, s[8:9]
	s_and_b64 s[4:5], s[4:5], exec
	s_or_saveexec_b64 s[6:7], s[6:7]
	v_mov_b32_e32 v3, s10
	s_xor_b64 exec, exec, s[6:7]
	s_cbranch_execz .LBB4_966
.LBB4_3016:
	v_mov_b32_e32 v3, 0
	v_cmp_ne_u16_sdwa s[8:9], v4, v3 src0_sel:BYTE_0 src1_sel:DWORD
	s_andn2_b64 s[4:5], s[4:5], exec
	s_and_b64 s[8:9], s[8:9], exec
	s_or_b64 s[4:5], s[4:5], s[8:9]
	s_or_b64 exec, exec, s[6:7]
	s_and_saveexec_b64 s[6:7], s[4:5]
	s_cbranch_execnz .LBB4_967
	s_branch .LBB4_968
.LBB4_3017:
	s_movk_i32 s4, 0x80
	v_cmp_eq_u16_sdwa s[12:13], v3, s4 src0_sel:BYTE_0 src1_sel:DWORD
	s_mov_b64 s[4:5], -1
                                        ; implicit-def: $sgpr10
	s_and_saveexec_b64 s[8:9], s[12:13]
; %bb.3018:
	s_mov_b32 s10, 0x7f800001
	s_xor_b64 s[4:5], exec, -1
; %bb.3019:
	s_or_b64 exec, exec, s[8:9]
	s_and_b64 s[4:5], s[4:5], exec
	s_or_saveexec_b64 s[6:7], s[6:7]
	v_mov_b32_e32 v2, s10
	s_xor_b64 exec, exec, s[6:7]
	s_cbranch_execz .LBB4_970
.LBB4_3020:
	v_mov_b32_e32 v2, 0
	v_cmp_ne_u16_sdwa s[8:9], v3, v2 src0_sel:BYTE_0 src1_sel:DWORD
	s_andn2_b64 s[4:5], s[4:5], exec
	s_and_b64 s[8:9], s[8:9], exec
	s_or_b64 s[4:5], s[4:5], s[8:9]
	s_or_b64 exec, exec, s[6:7]
	s_and_saveexec_b64 s[6:7], s[4:5]
	s_cbranch_execnz .LBB4_971
	s_branch .LBB4_972
.LBB4_3021:
	s_movk_i32 s4, 0x80
	v_cmp_eq_u16_sdwa s[12:13], v3, s4 src0_sel:BYTE_0 src1_sel:DWORD
	s_mov_b64 s[4:5], -1
                                        ; implicit-def: $sgpr10
	s_and_saveexec_b64 s[8:9], s[12:13]
; %bb.3022:
	s_mov_b32 s10, 0x7f800001
	s_xor_b64 s[4:5], exec, -1
; %bb.3023:
	s_or_b64 exec, exec, s[8:9]
	s_and_b64 s[4:5], s[4:5], exec
	s_or_saveexec_b64 s[6:7], s[6:7]
	v_mov_b32_e32 v6, s10
	s_xor_b64 exec, exec, s[6:7]
	s_cbranch_execz .LBB4_974
.LBB4_3024:
	v_mov_b32_e32 v6, 0
	v_cmp_ne_u16_sdwa s[8:9], v3, v6 src0_sel:BYTE_0 src1_sel:DWORD
	s_andn2_b64 s[4:5], s[4:5], exec
	s_and_b64 s[8:9], s[8:9], exec
	s_or_b64 s[4:5], s[4:5], s[8:9]
	s_or_b64 exec, exec, s[6:7]
	s_and_saveexec_b64 s[6:7], s[4:5]
	s_cbranch_execnz .LBB4_975
	s_branch .LBB4_976
.LBB4_3025:
	s_movk_i32 s4, 0x80
	v_cmp_eq_u16_e32 vcc, s4, v3
	s_mov_b64 s[4:5], -1
                                        ; implicit-def: $sgpr10
	s_and_saveexec_b64 s[8:9], vcc
; %bb.3026:
	s_mov_b32 s10, 0x7f800001
	s_xor_b64 s[4:5], exec, -1
; %bb.3027:
	s_or_b64 exec, exec, s[8:9]
	s_and_b64 s[4:5], s[4:5], exec
                                        ; implicit-def: $vgpr3
	s_or_saveexec_b64 s[6:7], s[6:7]
	v_mov_b32_e32 v2, s10
	s_xor_b64 exec, exec, s[6:7]
	s_cbranch_execz .LBB4_978
.LBB4_3028:
	v_cmp_ne_u16_e32 vcc, 0, v3
	s_andn2_b64 s[4:5], s[4:5], exec
	s_and_b64 s[8:9], vcc, exec
	v_mov_b32_e32 v2, 0
	s_or_b64 s[4:5], s[4:5], s[8:9]
	s_or_b64 exec, exec, s[6:7]
	s_and_saveexec_b64 s[6:7], s[4:5]
	s_cbranch_execnz .LBB4_979
	s_branch .LBB4_980
.LBB4_3029:
	s_movk_i32 s4, 0x80
	v_cmp_eq_u16_e32 vcc, s4, v3
	s_mov_b64 s[4:5], -1
                                        ; implicit-def: $sgpr10
	s_and_saveexec_b64 s[8:9], vcc
; %bb.3030:
	s_mov_b32 s10, 0x7f800001
	s_xor_b64 s[4:5], exec, -1
; %bb.3031:
	s_or_b64 exec, exec, s[8:9]
	s_and_b64 s[4:5], s[4:5], exec
                                        ; implicit-def: $vgpr3
	s_or_saveexec_b64 s[6:7], s[6:7]
	v_mov_b32_e32 v6, s10
	s_xor_b64 exec, exec, s[6:7]
	s_cbranch_execz .LBB4_982
.LBB4_3032:
	v_cmp_ne_u16_e32 vcc, 0, v3
	s_andn2_b64 s[4:5], s[4:5], exec
	s_and_b64 s[8:9], vcc, exec
	v_mov_b32_e32 v6, 0
	s_or_b64 s[4:5], s[4:5], s[8:9]
	s_or_b64 exec, exec, s[6:7]
	s_and_saveexec_b64 s[6:7], s[4:5]
	s_cbranch_execnz .LBB4_983
	s_branch .LBB4_984
.LBB4_3033:
	s_movk_i32 s4, 0x80
	v_cmp_eq_u16_sdwa s[12:13], v8, s4 src0_sel:BYTE_3 src1_sel:DWORD
	s_mov_b64 s[4:5], -1
                                        ; implicit-def: $sgpr10
	s_and_saveexec_b64 s[8:9], s[12:13]
; %bb.3034:
	s_mov_b32 s10, 0x7f800001
	s_xor_b64 s[4:5], exec, -1
; %bb.3035:
	s_or_b64 exec, exec, s[8:9]
	s_and_b64 s[4:5], s[4:5], exec
	s_or_saveexec_b64 s[6:7], s[6:7]
	v_mov_b32_e32 v2, s10
	s_xor_b64 exec, exec, s[6:7]
	s_cbranch_execz .LBB4_986
.LBB4_3036:
	v_mov_b32_e32 v2, 0
	v_cmp_ne_u16_sdwa s[8:9], v8, v2 src0_sel:BYTE_3 src1_sel:DWORD
	s_andn2_b64 s[4:5], s[4:5], exec
	s_and_b64 s[8:9], s[8:9], exec
	s_or_b64 s[4:5], s[4:5], s[8:9]
	s_or_b64 exec, exec, s[6:7]
	s_and_saveexec_b64 s[6:7], s[4:5]
	s_cbranch_execnz .LBB4_987
	s_branch .LBB4_988
.LBB4_3037:
	s_movk_i32 s4, 0x80
	v_cmp_eq_u16_sdwa s[12:13], v4, s4 src0_sel:BYTE_3 src1_sel:DWORD
	s_mov_b64 s[4:5], -1
                                        ; implicit-def: $sgpr10
	s_and_saveexec_b64 s[8:9], s[12:13]
; %bb.3038:
	s_mov_b32 s10, 0x7f800001
	s_xor_b64 s[4:5], exec, -1
; %bb.3039:
	s_or_b64 exec, exec, s[8:9]
	s_and_b64 s[4:5], s[4:5], exec
	s_or_saveexec_b64 s[6:7], s[6:7]
	v_mov_b32_e32 v3, s10
	s_xor_b64 exec, exec, s[6:7]
	s_cbranch_execz .LBB4_990
.LBB4_3040:
	v_mov_b32_e32 v3, 0
	v_cmp_ne_u16_sdwa s[8:9], v4, v3 src0_sel:BYTE_3 src1_sel:DWORD
	s_andn2_b64 s[4:5], s[4:5], exec
	s_and_b64 s[8:9], s[8:9], exec
	s_or_b64 s[4:5], s[4:5], s[8:9]
	s_or_b64 exec, exec, s[6:7]
	s_and_saveexec_b64 s[6:7], s[4:5]
	s_cbranch_execnz .LBB4_991
	s_branch .LBB4_992
.LBB4_3041:
	s_movk_i32 s4, 0x80
	v_cmp_eq_u16_sdwa s[12:13], v9, s4 src0_sel:BYTE_0 src1_sel:DWORD
	s_mov_b64 s[4:5], -1
                                        ; implicit-def: $sgpr10
	s_and_saveexec_b64 s[8:9], s[12:13]
; %bb.3042:
	s_mov_b32 s10, 0x7f800001
	s_xor_b64 s[4:5], exec, -1
; %bb.3043:
	s_or_b64 exec, exec, s[8:9]
	s_and_b64 s[4:5], s[4:5], exec
	s_or_saveexec_b64 s[6:7], s[6:7]
	v_mov_b32_e32 v2, s10
	s_xor_b64 exec, exec, s[6:7]
	s_cbranch_execz .LBB4_994
.LBB4_3044:
	v_mov_b32_e32 v2, 0
	v_cmp_ne_u16_sdwa s[8:9], v9, v2 src0_sel:BYTE_0 src1_sel:DWORD
	s_andn2_b64 s[4:5], s[4:5], exec
	s_and_b64 s[8:9], s[8:9], exec
	s_or_b64 s[4:5], s[4:5], s[8:9]
	s_or_b64 exec, exec, s[6:7]
	s_and_saveexec_b64 s[6:7], s[4:5]
	s_cbranch_execnz .LBB4_995
	s_branch .LBB4_996
.LBB4_3045:
	s_movk_i32 s4, 0x80
	v_cmp_eq_u16_sdwa s[12:13], v5, s4 src0_sel:BYTE_0 src1_sel:DWORD
	s_mov_b64 s[4:5], -1
                                        ; implicit-def: $sgpr10
	s_and_saveexec_b64 s[8:9], s[12:13]
; %bb.3046:
	s_mov_b32 s10, 0x7f800001
	s_xor_b64 s[4:5], exec, -1
; %bb.3047:
	s_or_b64 exec, exec, s[8:9]
	s_and_b64 s[4:5], s[4:5], exec
	s_or_saveexec_b64 s[6:7], s[6:7]
	v_mov_b32_e32 v3, s10
	s_xor_b64 exec, exec, s[6:7]
	s_cbranch_execz .LBB4_998
.LBB4_3048:
	v_mov_b32_e32 v3, 0
	v_cmp_ne_u16_sdwa s[8:9], v5, v3 src0_sel:BYTE_0 src1_sel:DWORD
	s_andn2_b64 s[4:5], s[4:5], exec
	s_and_b64 s[8:9], s[8:9], exec
	s_or_b64 s[4:5], s[4:5], s[8:9]
	s_or_b64 exec, exec, s[6:7]
	s_and_saveexec_b64 s[6:7], s[4:5]
	s_cbranch_execnz .LBB4_999
	s_branch .LBB4_1000
.LBB4_3049:
	s_movk_i32 s4, 0x80
	v_cmp_eq_u16_sdwa s[12:13], v3, s4 src0_sel:BYTE_0 src1_sel:DWORD
	s_mov_b64 s[4:5], -1
                                        ; implicit-def: $sgpr10
	s_and_saveexec_b64 s[8:9], s[12:13]
; %bb.3050:
	s_mov_b32 s10, 0x7f800001
	s_xor_b64 s[4:5], exec, -1
; %bb.3051:
	s_or_b64 exec, exec, s[8:9]
	s_and_b64 s[4:5], s[4:5], exec
	s_or_saveexec_b64 s[6:7], s[6:7]
	v_mov_b32_e32 v2, s10
	s_xor_b64 exec, exec, s[6:7]
	s_cbranch_execz .LBB4_1002
.LBB4_3052:
	v_mov_b32_e32 v2, 0
	v_cmp_ne_u16_sdwa s[8:9], v3, v2 src0_sel:BYTE_0 src1_sel:DWORD
	s_andn2_b64 s[4:5], s[4:5], exec
	s_and_b64 s[8:9], s[8:9], exec
	s_or_b64 s[4:5], s[4:5], s[8:9]
	s_or_b64 exec, exec, s[6:7]
	s_and_saveexec_b64 s[6:7], s[4:5]
	s_cbranch_execnz .LBB4_1003
	s_branch .LBB4_1004
.LBB4_3053:
	s_movk_i32 s4, 0x80
	v_cmp_eq_u16_sdwa s[12:13], v3, s4 src0_sel:BYTE_0 src1_sel:DWORD
	s_mov_b64 s[4:5], -1
                                        ; implicit-def: $sgpr10
	s_and_saveexec_b64 s[8:9], s[12:13]
; %bb.3054:
	s_mov_b32 s10, 0x7f800001
	s_xor_b64 s[4:5], exec, -1
; %bb.3055:
	s_or_b64 exec, exec, s[8:9]
	s_and_b64 s[4:5], s[4:5], exec
	s_or_saveexec_b64 s[6:7], s[6:7]
	v_mov_b32_e32 v4, s10
	s_xor_b64 exec, exec, s[6:7]
	s_cbranch_execz .LBB4_1006
.LBB4_3056:
	v_mov_b32_e32 v4, 0
	v_cmp_ne_u16_sdwa s[8:9], v3, v4 src0_sel:BYTE_0 src1_sel:DWORD
	s_andn2_b64 s[4:5], s[4:5], exec
	s_and_b64 s[8:9], s[8:9], exec
	s_or_b64 s[4:5], s[4:5], s[8:9]
	s_or_b64 exec, exec, s[6:7]
	s_and_saveexec_b64 s[6:7], s[4:5]
	s_cbranch_execnz .LBB4_1007
	s_branch .LBB4_1008
.LBB4_3057:
	s_movk_i32 s4, 0x80
	v_cmp_eq_u16_e32 vcc, s4, v3
	s_mov_b64 s[4:5], -1
                                        ; implicit-def: $sgpr10
	s_and_saveexec_b64 s[8:9], vcc
; %bb.3058:
	s_mov_b32 s10, 0x7f800001
	s_xor_b64 s[4:5], exec, -1
; %bb.3059:
	s_or_b64 exec, exec, s[8:9]
	s_and_b64 s[4:5], s[4:5], exec
                                        ; implicit-def: $vgpr3
	s_or_saveexec_b64 s[6:7], s[6:7]
	v_mov_b32_e32 v2, s10
	s_xor_b64 exec, exec, s[6:7]
	s_cbranch_execz .LBB4_1010
.LBB4_3060:
	v_cmp_ne_u16_e32 vcc, 0, v3
	s_andn2_b64 s[4:5], s[4:5], exec
	s_and_b64 s[8:9], vcc, exec
	v_mov_b32_e32 v2, 0
	s_or_b64 s[4:5], s[4:5], s[8:9]
	s_or_b64 exec, exec, s[6:7]
	s_and_saveexec_b64 s[6:7], s[4:5]
	s_cbranch_execnz .LBB4_1011
	s_branch .LBB4_1012
.LBB4_3061:
	s_movk_i32 s4, 0x80
	v_cmp_eq_u16_e32 vcc, s4, v3
	s_mov_b64 s[4:5], -1
                                        ; implicit-def: $sgpr10
	s_and_saveexec_b64 s[8:9], vcc
; %bb.3062:
	s_mov_b32 s10, 0x7f800001
	s_xor_b64 s[4:5], exec, -1
; %bb.3063:
	s_or_b64 exec, exec, s[8:9]
	s_and_b64 s[4:5], s[4:5], exec
                                        ; implicit-def: $vgpr3
	s_or_saveexec_b64 s[6:7], s[6:7]
	v_mov_b32_e32 v4, s10
	s_xor_b64 exec, exec, s[6:7]
	s_cbranch_execz .LBB4_1014
.LBB4_3064:
	v_cmp_ne_u16_e32 vcc, 0, v3
	s_andn2_b64 s[4:5], s[4:5], exec
	s_and_b64 s[8:9], vcc, exec
	v_mov_b32_e32 v4, 0
	s_or_b64 s[4:5], s[4:5], s[8:9]
	s_or_b64 exec, exec, s[6:7]
	s_and_saveexec_b64 s[6:7], s[4:5]
	s_cbranch_execnz .LBB4_1015
	s_branch .LBB4_1016
.LBB4_3065:
	s_movk_i32 s4, 0x80
	v_cmp_eq_u16_sdwa s[12:13], v9, s4 src0_sel:BYTE_3 src1_sel:DWORD
	s_mov_b64 s[4:5], -1
                                        ; implicit-def: $sgpr10
	s_and_saveexec_b64 s[8:9], s[12:13]
; %bb.3066:
	s_mov_b32 s10, 0x7f800001
	s_xor_b64 s[4:5], exec, -1
; %bb.3067:
	s_or_b64 exec, exec, s[8:9]
	s_and_b64 s[4:5], s[4:5], exec
	s_or_saveexec_b64 s[6:7], s[6:7]
	v_mov_b32_e32 v2, s10
	s_xor_b64 exec, exec, s[6:7]
	s_cbranch_execz .LBB4_1018
.LBB4_3068:
	v_mov_b32_e32 v2, 0
	v_cmp_ne_u16_sdwa s[8:9], v9, v2 src0_sel:BYTE_3 src1_sel:DWORD
	s_andn2_b64 s[4:5], s[4:5], exec
	s_and_b64 s[8:9], s[8:9], exec
	s_or_b64 s[4:5], s[4:5], s[8:9]
	s_or_b64 exec, exec, s[6:7]
	s_and_saveexec_b64 s[6:7], s[4:5]
	s_cbranch_execnz .LBB4_1019
	s_branch .LBB4_1020
.LBB4_3069:
	s_movk_i32 s4, 0x80
	v_cmp_eq_u16_sdwa s[12:13], v5, s4 src0_sel:BYTE_3 src1_sel:DWORD
	s_mov_b64 s[4:5], -1
                                        ; implicit-def: $sgpr10
	s_and_saveexec_b64 s[8:9], s[12:13]
; %bb.3070:
	s_mov_b32 s10, 0x7f800001
	s_xor_b64 s[4:5], exec, -1
; %bb.3071:
	s_or_b64 exec, exec, s[8:9]
	s_and_b64 s[4:5], s[4:5], exec
	s_or_saveexec_b64 s[6:7], s[6:7]
	v_mov_b32_e32 v3, s10
	s_xor_b64 exec, exec, s[6:7]
	s_cbranch_execz .LBB4_1022
.LBB4_3072:
	v_mov_b32_e32 v3, 0
	v_cmp_ne_u16_sdwa s[8:9], v5, v3 src0_sel:BYTE_3 src1_sel:DWORD
	s_andn2_b64 s[4:5], s[4:5], exec
	s_and_b64 s[8:9], s[8:9], exec
	s_or_b64 s[4:5], s[4:5], s[8:9]
	s_or_b64 exec, exec, s[6:7]
	s_and_saveexec_b64 s[6:7], s[4:5]
	s_cbranch_execnz .LBB4_1023
	s_branch .LBB4_1024
.LBB4_3073:
	s_movk_i32 s4, 0x80
	v_cmp_eq_u16_sdwa s[12:13], v6, s4 src0_sel:BYTE_0 src1_sel:DWORD
	s_mov_b64 s[4:5], -1
                                        ; implicit-def: $sgpr10
	s_and_saveexec_b64 s[8:9], s[12:13]
; %bb.3074:
	s_mov_b32 s10, 0x7f800001
	s_xor_b64 s[4:5], exec, -1
; %bb.3075:
	s_or_b64 exec, exec, s[8:9]
	s_and_b64 s[4:5], s[4:5], exec
	s_or_saveexec_b64 s[6:7], s[6:7]
	v_mov_b32_e32 v12, s10
	s_xor_b64 exec, exec, s[6:7]
	s_cbranch_execz .LBB4_1026
.LBB4_3076:
	v_mov_b32_e32 v12, 0
	v_cmp_ne_u16_sdwa s[8:9], v6, v12 src0_sel:BYTE_0 src1_sel:DWORD
	s_andn2_b64 s[4:5], s[4:5], exec
	s_and_b64 s[8:9], s[8:9], exec
	s_or_b64 s[4:5], s[4:5], s[8:9]
	s_or_b64 exec, exec, s[6:7]
	s_and_saveexec_b64 s[6:7], s[4:5]
	s_cbranch_execnz .LBB4_1027
	s_branch .LBB4_1028
.LBB4_3077:
	s_movk_i32 s4, 0x80
	v_cmp_eq_u16_sdwa s[12:13], v2, s4 src0_sel:BYTE_0 src1_sel:DWORD
	s_mov_b64 s[4:5], -1
                                        ; implicit-def: $sgpr10
	s_and_saveexec_b64 s[8:9], s[12:13]
; %bb.3078:
	s_mov_b32 s10, 0x7f800001
	s_xor_b64 s[4:5], exec, -1
; %bb.3079:
	s_or_b64 exec, exec, s[8:9]
	s_and_b64 s[4:5], s[4:5], exec
	s_or_saveexec_b64 s[6:7], s[6:7]
	v_mov_b32_e32 v13, s10
	s_xor_b64 exec, exec, s[6:7]
	s_cbranch_execz .LBB4_1030
.LBB4_3080:
	v_mov_b32_e32 v13, 0
	v_cmp_ne_u16_sdwa s[8:9], v2, v13 src0_sel:BYTE_0 src1_sel:DWORD
	s_andn2_b64 s[4:5], s[4:5], exec
	s_and_b64 s[8:9], s[8:9], exec
	s_or_b64 s[4:5], s[4:5], s[8:9]
	s_or_b64 exec, exec, s[6:7]
	s_and_saveexec_b64 s[6:7], s[4:5]
	s_cbranch_execnz .LBB4_1031
	s_branch .LBB4_1032
.LBB4_3081:
	s_movk_i32 s4, 0x80
	v_cmp_eq_u16_sdwa s[12:13], v13, s4 src0_sel:BYTE_0 src1_sel:DWORD
	s_mov_b64 s[4:5], -1
                                        ; implicit-def: $sgpr10
	s_and_saveexec_b64 s[8:9], s[12:13]
; %bb.3082:
	s_mov_b32 s10, 0x7f800001
	s_xor_b64 s[4:5], exec, -1
; %bb.3083:
	s_or_b64 exec, exec, s[8:9]
	s_and_b64 s[4:5], s[4:5], exec
	s_or_saveexec_b64 s[6:7], s[6:7]
	v_mov_b32_e32 v12, s10
	s_xor_b64 exec, exec, s[6:7]
	s_cbranch_execz .LBB4_1034
.LBB4_3084:
	v_mov_b32_e32 v12, 0
	v_cmp_ne_u16_sdwa s[8:9], v13, v12 src0_sel:BYTE_0 src1_sel:DWORD
	s_andn2_b64 s[4:5], s[4:5], exec
	s_and_b64 s[8:9], s[8:9], exec
	s_or_b64 s[4:5], s[4:5], s[8:9]
	s_or_b64 exec, exec, s[6:7]
	s_and_saveexec_b64 s[6:7], s[4:5]
	s_cbranch_execnz .LBB4_1035
	s_branch .LBB4_1036
.LBB4_3085:
	s_movk_i32 s4, 0x80
	v_cmp_eq_u16_sdwa s[12:13], v13, s4 src0_sel:BYTE_0 src1_sel:DWORD
	s_mov_b64 s[4:5], -1
                                        ; implicit-def: $sgpr10
	s_and_saveexec_b64 s[8:9], s[12:13]
; %bb.3086:
	s_mov_b32 s10, 0x7f800001
	s_xor_b64 s[4:5], exec, -1
; %bb.3087:
	s_or_b64 exec, exec, s[8:9]
	s_and_b64 s[4:5], s[4:5], exec
	s_or_saveexec_b64 s[6:7], s[6:7]
	v_mov_b32_e32 v14, s10
	s_xor_b64 exec, exec, s[6:7]
	s_cbranch_execz .LBB4_1038
.LBB4_3088:
	v_mov_b32_e32 v14, 0
	v_cmp_ne_u16_sdwa s[8:9], v13, v14 src0_sel:BYTE_0 src1_sel:DWORD
	s_andn2_b64 s[4:5], s[4:5], exec
	s_and_b64 s[8:9], s[8:9], exec
	s_or_b64 s[4:5], s[4:5], s[8:9]
	s_or_b64 exec, exec, s[6:7]
	s_and_saveexec_b64 s[6:7], s[4:5]
	s_cbranch_execnz .LBB4_1039
	s_branch .LBB4_1040
.LBB4_3089:
	s_movk_i32 s4, 0x80
	v_cmp_eq_u16_e32 vcc, s4, v13
	s_mov_b64 s[4:5], -1
                                        ; implicit-def: $sgpr10
	s_and_saveexec_b64 s[8:9], vcc
; %bb.3090:
	s_mov_b32 s10, 0x7f800001
	s_xor_b64 s[4:5], exec, -1
; %bb.3091:
	s_or_b64 exec, exec, s[8:9]
	s_and_b64 s[4:5], s[4:5], exec
                                        ; implicit-def: $vgpr13
	s_or_saveexec_b64 s[6:7], s[6:7]
	v_mov_b32_e32 v12, s10
	s_xor_b64 exec, exec, s[6:7]
	s_cbranch_execz .LBB4_1042
.LBB4_3092:
	v_cmp_ne_u16_e32 vcc, 0, v13
	s_andn2_b64 s[4:5], s[4:5], exec
	s_and_b64 s[8:9], vcc, exec
	v_mov_b32_e32 v12, 0
	s_or_b64 s[4:5], s[4:5], s[8:9]
	s_or_b64 exec, exec, s[6:7]
	s_and_saveexec_b64 s[6:7], s[4:5]
	s_cbranch_execnz .LBB4_1043
	s_branch .LBB4_1044
.LBB4_3093:
	s_movk_i32 s4, 0x80
	v_cmp_eq_u16_e32 vcc, s4, v13
	s_mov_b64 s[4:5], -1
                                        ; implicit-def: $sgpr10
	s_and_saveexec_b64 s[8:9], vcc
; %bb.3094:
	s_mov_b32 s10, 0x7f800001
	s_xor_b64 s[4:5], exec, -1
; %bb.3095:
	s_or_b64 exec, exec, s[8:9]
	s_and_b64 s[4:5], s[4:5], exec
                                        ; implicit-def: $vgpr13
	s_or_saveexec_b64 s[6:7], s[6:7]
	v_mov_b32_e32 v14, s10
	s_xor_b64 exec, exec, s[6:7]
	s_cbranch_execz .LBB4_1046
.LBB4_3096:
	v_cmp_ne_u16_e32 vcc, 0, v13
	s_andn2_b64 s[4:5], s[4:5], exec
	s_and_b64 s[8:9], vcc, exec
	v_mov_b32_e32 v14, 0
	s_or_b64 s[4:5], s[4:5], s[8:9]
	s_or_b64 exec, exec, s[6:7]
	s_and_saveexec_b64 s[6:7], s[4:5]
	s_cbranch_execnz .LBB4_1047
	s_branch .LBB4_1048
.LBB4_3097:
	s_movk_i32 s4, 0x80
	v_cmp_eq_u16_sdwa s[12:13], v6, s4 src0_sel:BYTE_3 src1_sel:DWORD
	s_mov_b64 s[4:5], -1
                                        ; implicit-def: $sgpr10
	s_and_saveexec_b64 s[8:9], s[12:13]
; %bb.3098:
	s_mov_b32 s10, 0x7f800001
	s_xor_b64 s[4:5], exec, -1
; %bb.3099:
	s_or_b64 exec, exec, s[8:9]
	s_and_b64 s[4:5], s[4:5], exec
	s_or_saveexec_b64 s[6:7], s[6:7]
	v_mov_b32_e32 v12, s10
	s_xor_b64 exec, exec, s[6:7]
	s_cbranch_execz .LBB4_1050
.LBB4_3100:
	v_mov_b32_e32 v12, 0
	v_cmp_ne_u16_sdwa s[8:9], v6, v12 src0_sel:BYTE_3 src1_sel:DWORD
	s_andn2_b64 s[4:5], s[4:5], exec
	s_and_b64 s[8:9], s[8:9], exec
	s_or_b64 s[4:5], s[4:5], s[8:9]
	s_or_b64 exec, exec, s[6:7]
	s_and_saveexec_b64 s[6:7], s[4:5]
	s_cbranch_execnz .LBB4_1051
	s_branch .LBB4_1052
.LBB4_3101:
	s_movk_i32 s4, 0x80
	v_cmp_eq_u16_sdwa s[12:13], v2, s4 src0_sel:BYTE_3 src1_sel:DWORD
	s_mov_b64 s[4:5], -1
                                        ; implicit-def: $sgpr10
	s_and_saveexec_b64 s[8:9], s[12:13]
; %bb.3102:
	s_mov_b32 s10, 0x7f800001
	s_xor_b64 s[4:5], exec, -1
; %bb.3103:
	s_or_b64 exec, exec, s[8:9]
	s_and_b64 s[4:5], s[4:5], exec
	s_or_saveexec_b64 s[6:7], s[6:7]
	v_mov_b32_e32 v6, s10
	s_xor_b64 exec, exec, s[6:7]
	s_cbranch_execz .LBB4_1054
.LBB4_3104:
	v_mov_b32_e32 v6, 0
	v_cmp_ne_u16_sdwa s[8:9], v2, v6 src0_sel:BYTE_3 src1_sel:DWORD
	s_andn2_b64 s[4:5], s[4:5], exec
	s_and_b64 s[8:9], s[8:9], exec
	s_or_b64 s[4:5], s[4:5], s[8:9]
	s_or_b64 exec, exec, s[6:7]
	s_and_saveexec_b64 s[6:7], s[4:5]
	s_cbranch_execnz .LBB4_1055
	s_branch .LBB4_1056
.LBB4_3105:
	s_movk_i32 s4, 0x80
	v_cmp_eq_u16_sdwa s[12:13], v7, s4 src0_sel:BYTE_0 src1_sel:DWORD
	s_mov_b64 s[4:5], -1
                                        ; implicit-def: $sgpr10
	s_and_saveexec_b64 s[8:9], s[12:13]
; %bb.3106:
	s_mov_b32 s10, 0x7f800001
	s_xor_b64 s[4:5], exec, -1
; %bb.3107:
	s_or_b64 exec, exec, s[8:9]
	s_and_b64 s[4:5], s[4:5], exec
	s_or_saveexec_b64 s[6:7], s[6:7]
	v_mov_b32_e32 v2, s10
	s_xor_b64 exec, exec, s[6:7]
	s_cbranch_execz .LBB4_1058
.LBB4_3108:
	v_mov_b32_e32 v2, 0
	v_cmp_ne_u16_sdwa s[8:9], v7, v2 src0_sel:BYTE_0 src1_sel:DWORD
	s_andn2_b64 s[4:5], s[4:5], exec
	s_and_b64 s[8:9], s[8:9], exec
	s_or_b64 s[4:5], s[4:5], s[8:9]
	s_or_b64 exec, exec, s[6:7]
	s_and_saveexec_b64 s[6:7], s[4:5]
	s_cbranch_execnz .LBB4_1059
	s_branch .LBB4_1060
.LBB4_3109:
	s_movk_i32 s4, 0x80
	v_cmp_eq_u16_sdwa s[12:13], v3, s4 src0_sel:BYTE_0 src1_sel:DWORD
	s_mov_b64 s[4:5], -1
                                        ; implicit-def: $sgpr10
	s_and_saveexec_b64 s[8:9], s[12:13]
; %bb.3110:
	s_mov_b32 s10, 0x7f800001
	s_xor_b64 s[4:5], exec, -1
; %bb.3111:
	s_or_b64 exec, exec, s[8:9]
	s_and_b64 s[4:5], s[4:5], exec
	s_or_saveexec_b64 s[6:7], s[6:7]
	v_mov_b32_e32 v6, s10
	s_xor_b64 exec, exec, s[6:7]
	s_cbranch_execz .LBB4_1062
.LBB4_3112:
	v_mov_b32_e32 v6, 0
	v_cmp_ne_u16_sdwa s[8:9], v3, v6 src0_sel:BYTE_0 src1_sel:DWORD
	s_andn2_b64 s[4:5], s[4:5], exec
	s_and_b64 s[8:9], s[8:9], exec
	s_or_b64 s[4:5], s[4:5], s[8:9]
	s_or_b64 exec, exec, s[6:7]
	s_and_saveexec_b64 s[6:7], s[4:5]
	s_cbranch_execnz .LBB4_1063
	s_branch .LBB4_1064
.LBB4_3113:
	s_movk_i32 s4, 0x80
	v_cmp_eq_u16_sdwa s[12:13], v6, s4 src0_sel:BYTE_0 src1_sel:DWORD
	s_mov_b64 s[4:5], -1
                                        ; implicit-def: $sgpr10
	s_and_saveexec_b64 s[8:9], s[12:13]
; %bb.3114:
	s_mov_b32 s10, 0x7f800001
	s_xor_b64 s[4:5], exec, -1
; %bb.3115:
	s_or_b64 exec, exec, s[8:9]
	s_and_b64 s[4:5], s[4:5], exec
	s_or_saveexec_b64 s[6:7], s[6:7]
	v_mov_b32_e32 v2, s10
	s_xor_b64 exec, exec, s[6:7]
	s_cbranch_execz .LBB4_1066
.LBB4_3116:
	v_mov_b32_e32 v2, 0
	v_cmp_ne_u16_sdwa s[8:9], v6, v2 src0_sel:BYTE_0 src1_sel:DWORD
	s_andn2_b64 s[4:5], s[4:5], exec
	s_and_b64 s[8:9], s[8:9], exec
	s_or_b64 s[4:5], s[4:5], s[8:9]
	s_or_b64 exec, exec, s[6:7]
	s_and_saveexec_b64 s[6:7], s[4:5]
	s_cbranch_execnz .LBB4_1067
	s_branch .LBB4_1068
.LBB4_3117:
	s_movk_i32 s4, 0x80
	v_cmp_eq_u16_sdwa s[12:13], v6, s4 src0_sel:BYTE_0 src1_sel:DWORD
	s_mov_b64 s[4:5], -1
                                        ; implicit-def: $sgpr10
	s_and_saveexec_b64 s[8:9], s[12:13]
; %bb.3118:
	s_mov_b32 s10, 0x7f800001
	s_xor_b64 s[4:5], exec, -1
; %bb.3119:
	s_or_b64 exec, exec, s[8:9]
	s_and_b64 s[4:5], s[4:5], exec
	s_or_saveexec_b64 s[6:7], s[6:7]
	v_mov_b32_e32 v12, s10
	s_xor_b64 exec, exec, s[6:7]
	s_cbranch_execz .LBB4_1070
.LBB4_3120:
	v_mov_b32_e32 v12, 0
	v_cmp_ne_u16_sdwa s[8:9], v6, v12 src0_sel:BYTE_0 src1_sel:DWORD
	s_andn2_b64 s[4:5], s[4:5], exec
	s_and_b64 s[8:9], s[8:9], exec
	s_or_b64 s[4:5], s[4:5], s[8:9]
	s_or_b64 exec, exec, s[6:7]
	s_and_saveexec_b64 s[6:7], s[4:5]
	s_cbranch_execnz .LBB4_1071
	s_branch .LBB4_1072
.LBB4_3121:
	s_movk_i32 s4, 0x80
	v_cmp_eq_u16_e32 vcc, s4, v6
	s_mov_b64 s[4:5], -1
                                        ; implicit-def: $sgpr10
	s_and_saveexec_b64 s[8:9], vcc
; %bb.3122:
	s_mov_b32 s10, 0x7f800001
	s_xor_b64 s[4:5], exec, -1
; %bb.3123:
	s_or_b64 exec, exec, s[8:9]
	s_and_b64 s[4:5], s[4:5], exec
                                        ; implicit-def: $vgpr6
	s_or_saveexec_b64 s[6:7], s[6:7]
	v_mov_b32_e32 v2, s10
	s_xor_b64 exec, exec, s[6:7]
	s_cbranch_execz .LBB4_1074
.LBB4_3124:
	v_cmp_ne_u16_e32 vcc, 0, v6
	s_andn2_b64 s[4:5], s[4:5], exec
	s_and_b64 s[8:9], vcc, exec
	v_mov_b32_e32 v2, 0
	s_or_b64 s[4:5], s[4:5], s[8:9]
	s_or_b64 exec, exec, s[6:7]
	s_and_saveexec_b64 s[6:7], s[4:5]
	s_cbranch_execnz .LBB4_1075
	s_branch .LBB4_1076
.LBB4_3125:
	s_movk_i32 s4, 0x80
	v_cmp_eq_u16_e32 vcc, s4, v6
	s_mov_b64 s[4:5], -1
                                        ; implicit-def: $sgpr10
	s_and_saveexec_b64 s[8:9], vcc
; %bb.3126:
	s_mov_b32 s10, 0x7f800001
	s_xor_b64 s[4:5], exec, -1
; %bb.3127:
	s_or_b64 exec, exec, s[8:9]
	s_and_b64 s[4:5], s[4:5], exec
                                        ; implicit-def: $vgpr6
	s_or_saveexec_b64 s[6:7], s[6:7]
	v_mov_b32_e32 v12, s10
	s_xor_b64 exec, exec, s[6:7]
	s_cbranch_execz .LBB4_1078
.LBB4_3128:
	v_cmp_ne_u16_e32 vcc, 0, v6
	s_andn2_b64 s[4:5], s[4:5], exec
	s_and_b64 s[8:9], vcc, exec
	v_mov_b32_e32 v12, 0
	s_or_b64 s[4:5], s[4:5], s[8:9]
	s_or_b64 exec, exec, s[6:7]
	s_and_saveexec_b64 s[6:7], s[4:5]
	s_cbranch_execnz .LBB4_1079
	s_branch .LBB4_1080
.LBB4_3129:
	s_movk_i32 s4, 0x80
	v_cmp_eq_u16_sdwa s[12:13], v7, s4 src0_sel:BYTE_3 src1_sel:DWORD
	s_mov_b64 s[4:5], -1
                                        ; implicit-def: $sgpr10
	s_and_saveexec_b64 s[8:9], s[12:13]
; %bb.3130:
	s_mov_b32 s10, 0x7f800001
	s_xor_b64 s[4:5], exec, -1
; %bb.3131:
	s_or_b64 exec, exec, s[8:9]
	s_and_b64 s[4:5], s[4:5], exec
	s_or_saveexec_b64 s[6:7], s[6:7]
	v_mov_b32_e32 v2, s10
	s_xor_b64 exec, exec, s[6:7]
	s_cbranch_execz .LBB4_1082
.LBB4_3132:
	v_mov_b32_e32 v2, 0
	v_cmp_ne_u16_sdwa s[8:9], v7, v2 src0_sel:BYTE_3 src1_sel:DWORD
	s_andn2_b64 s[4:5], s[4:5], exec
	s_and_b64 s[8:9], s[8:9], exec
	s_or_b64 s[4:5], s[4:5], s[8:9]
	s_or_b64 exec, exec, s[6:7]
	s_and_saveexec_b64 s[6:7], s[4:5]
	s_cbranch_execnz .LBB4_1083
	s_branch .LBB4_1084
.LBB4_3133:
	s_movk_i32 s4, 0x80
	v_cmp_eq_u16_sdwa s[12:13], v3, s4 src0_sel:BYTE_3 src1_sel:DWORD
	s_mov_b64 s[4:5], -1
                                        ; implicit-def: $sgpr10
	s_and_saveexec_b64 s[8:9], s[12:13]
; %bb.3134:
	s_mov_b32 s10, 0x7f800001
	s_xor_b64 s[4:5], exec, -1
; %bb.3135:
	s_or_b64 exec, exec, s[8:9]
	s_and_b64 s[4:5], s[4:5], exec
	s_or_saveexec_b64 s[6:7], s[6:7]
	v_mov_b32_e32 v6, s10
	s_xor_b64 exec, exec, s[6:7]
	s_cbranch_execz .LBB4_1086
.LBB4_3136:
	v_mov_b32_e32 v6, 0
	v_cmp_ne_u16_sdwa s[8:9], v3, v6 src0_sel:BYTE_3 src1_sel:DWORD
	s_andn2_b64 s[4:5], s[4:5], exec
	s_and_b64 s[8:9], s[8:9], exec
	s_or_b64 s[4:5], s[4:5], s[8:9]
	s_or_b64 exec, exec, s[6:7]
	s_and_saveexec_b64 s[6:7], s[4:5]
	s_cbranch_execnz .LBB4_1087
	s_branch .LBB4_1088
.LBB4_3137:
	s_movk_i32 s4, 0x80
	v_cmp_eq_u16_sdwa s[12:13], v8, s4 src0_sel:BYTE_0 src1_sel:DWORD
	s_mov_b64 s[4:5], -1
                                        ; implicit-def: $sgpr10
	s_and_saveexec_b64 s[8:9], s[12:13]
; %bb.3138:
	s_mov_b32 s10, 0x7f800001
	s_xor_b64 s[4:5], exec, -1
; %bb.3139:
	s_or_b64 exec, exec, s[8:9]
	s_and_b64 s[4:5], s[4:5], exec
	s_or_saveexec_b64 s[6:7], s[6:7]
	v_mov_b32_e32 v2, s10
	s_xor_b64 exec, exec, s[6:7]
	s_cbranch_execz .LBB4_1090
.LBB4_3140:
	v_mov_b32_e32 v2, 0
	v_cmp_ne_u16_sdwa s[8:9], v8, v2 src0_sel:BYTE_0 src1_sel:DWORD
	s_andn2_b64 s[4:5], s[4:5], exec
	s_and_b64 s[8:9], s[8:9], exec
	s_or_b64 s[4:5], s[4:5], s[8:9]
	s_or_b64 exec, exec, s[6:7]
	s_and_saveexec_b64 s[6:7], s[4:5]
	s_cbranch_execnz .LBB4_1091
	s_branch .LBB4_1092
.LBB4_3141:
	s_movk_i32 s4, 0x80
	v_cmp_eq_u16_sdwa s[12:13], v4, s4 src0_sel:BYTE_0 src1_sel:DWORD
	s_mov_b64 s[4:5], -1
                                        ; implicit-def: $sgpr10
	s_and_saveexec_b64 s[8:9], s[12:13]
; %bb.3142:
	s_mov_b32 s10, 0x7f800001
	s_xor_b64 s[4:5], exec, -1
; %bb.3143:
	s_or_b64 exec, exec, s[8:9]
	s_and_b64 s[4:5], s[4:5], exec
	s_or_saveexec_b64 s[6:7], s[6:7]
	v_mov_b32_e32 v3, s10
	s_xor_b64 exec, exec, s[6:7]
	s_cbranch_execz .LBB4_1094
.LBB4_3144:
	v_mov_b32_e32 v3, 0
	v_cmp_ne_u16_sdwa s[8:9], v4, v3 src0_sel:BYTE_0 src1_sel:DWORD
	s_andn2_b64 s[4:5], s[4:5], exec
	s_and_b64 s[8:9], s[8:9], exec
	s_or_b64 s[4:5], s[4:5], s[8:9]
	s_or_b64 exec, exec, s[6:7]
	s_and_saveexec_b64 s[6:7], s[4:5]
	s_cbranch_execnz .LBB4_1095
	s_branch .LBB4_1096
.LBB4_3145:
	s_movk_i32 s4, 0x80
	v_cmp_eq_u16_sdwa s[12:13], v3, s4 src0_sel:BYTE_0 src1_sel:DWORD
	s_mov_b64 s[4:5], -1
                                        ; implicit-def: $sgpr10
	s_and_saveexec_b64 s[8:9], s[12:13]
; %bb.3146:
	s_mov_b32 s10, 0x7f800001
	s_xor_b64 s[4:5], exec, -1
; %bb.3147:
	s_or_b64 exec, exec, s[8:9]
	s_and_b64 s[4:5], s[4:5], exec
	s_or_saveexec_b64 s[6:7], s[6:7]
	v_mov_b32_e32 v2, s10
	s_xor_b64 exec, exec, s[6:7]
	s_cbranch_execz .LBB4_1098
.LBB4_3148:
	v_mov_b32_e32 v2, 0
	v_cmp_ne_u16_sdwa s[8:9], v3, v2 src0_sel:BYTE_0 src1_sel:DWORD
	s_andn2_b64 s[4:5], s[4:5], exec
	s_and_b64 s[8:9], s[8:9], exec
	s_or_b64 s[4:5], s[4:5], s[8:9]
	s_or_b64 exec, exec, s[6:7]
	s_and_saveexec_b64 s[6:7], s[4:5]
	s_cbranch_execnz .LBB4_1099
	s_branch .LBB4_1100
.LBB4_3149:
	s_movk_i32 s4, 0x80
	v_cmp_eq_u16_sdwa s[12:13], v3, s4 src0_sel:BYTE_0 src1_sel:DWORD
	s_mov_b64 s[4:5], -1
                                        ; implicit-def: $sgpr10
	s_and_saveexec_b64 s[8:9], s[12:13]
; %bb.3150:
	s_mov_b32 s10, 0x7f800001
	s_xor_b64 s[4:5], exec, -1
; %bb.3151:
	s_or_b64 exec, exec, s[8:9]
	s_and_b64 s[4:5], s[4:5], exec
	s_or_saveexec_b64 s[6:7], s[6:7]
	v_mov_b32_e32 v6, s10
	s_xor_b64 exec, exec, s[6:7]
	s_cbranch_execz .LBB4_1102
.LBB4_3152:
	v_mov_b32_e32 v6, 0
	v_cmp_ne_u16_sdwa s[8:9], v3, v6 src0_sel:BYTE_0 src1_sel:DWORD
	s_andn2_b64 s[4:5], s[4:5], exec
	s_and_b64 s[8:9], s[8:9], exec
	s_or_b64 s[4:5], s[4:5], s[8:9]
	s_or_b64 exec, exec, s[6:7]
	s_and_saveexec_b64 s[6:7], s[4:5]
	s_cbranch_execnz .LBB4_1103
	s_branch .LBB4_1104
.LBB4_3153:
	s_movk_i32 s4, 0x80
	v_cmp_eq_u16_e32 vcc, s4, v3
	s_mov_b64 s[4:5], -1
                                        ; implicit-def: $sgpr10
	s_and_saveexec_b64 s[8:9], vcc
; %bb.3154:
	s_mov_b32 s10, 0x7f800001
	s_xor_b64 s[4:5], exec, -1
; %bb.3155:
	s_or_b64 exec, exec, s[8:9]
	s_and_b64 s[4:5], s[4:5], exec
                                        ; implicit-def: $vgpr3
	s_or_saveexec_b64 s[6:7], s[6:7]
	v_mov_b32_e32 v2, s10
	s_xor_b64 exec, exec, s[6:7]
	s_cbranch_execz .LBB4_1106
.LBB4_3156:
	v_cmp_ne_u16_e32 vcc, 0, v3
	s_andn2_b64 s[4:5], s[4:5], exec
	s_and_b64 s[8:9], vcc, exec
	v_mov_b32_e32 v2, 0
	s_or_b64 s[4:5], s[4:5], s[8:9]
	s_or_b64 exec, exec, s[6:7]
	s_and_saveexec_b64 s[6:7], s[4:5]
	s_cbranch_execnz .LBB4_1107
	s_branch .LBB4_1108
.LBB4_3157:
	s_movk_i32 s4, 0x80
	v_cmp_eq_u16_e32 vcc, s4, v3
	s_mov_b64 s[4:5], -1
                                        ; implicit-def: $sgpr10
	s_and_saveexec_b64 s[8:9], vcc
; %bb.3158:
	s_mov_b32 s10, 0x7f800001
	s_xor_b64 s[4:5], exec, -1
; %bb.3159:
	s_or_b64 exec, exec, s[8:9]
	s_and_b64 s[4:5], s[4:5], exec
                                        ; implicit-def: $vgpr3
	s_or_saveexec_b64 s[6:7], s[6:7]
	v_mov_b32_e32 v6, s10
	s_xor_b64 exec, exec, s[6:7]
	s_cbranch_execz .LBB4_1110
.LBB4_3160:
	v_cmp_ne_u16_e32 vcc, 0, v3
	s_andn2_b64 s[4:5], s[4:5], exec
	s_and_b64 s[8:9], vcc, exec
	v_mov_b32_e32 v6, 0
	s_or_b64 s[4:5], s[4:5], s[8:9]
	s_or_b64 exec, exec, s[6:7]
	s_and_saveexec_b64 s[6:7], s[4:5]
	s_cbranch_execnz .LBB4_1111
	s_branch .LBB4_1112
.LBB4_3161:
	s_movk_i32 s4, 0x80
	v_cmp_eq_u16_sdwa s[12:13], v8, s4 src0_sel:BYTE_3 src1_sel:DWORD
	s_mov_b64 s[4:5], -1
                                        ; implicit-def: $sgpr10
	s_and_saveexec_b64 s[8:9], s[12:13]
; %bb.3162:
	s_mov_b32 s10, 0x7f800001
	s_xor_b64 s[4:5], exec, -1
; %bb.3163:
	s_or_b64 exec, exec, s[8:9]
	s_and_b64 s[4:5], s[4:5], exec
	s_or_saveexec_b64 s[6:7], s[6:7]
	v_mov_b32_e32 v2, s10
	s_xor_b64 exec, exec, s[6:7]
	s_cbranch_execz .LBB4_1114
.LBB4_3164:
	v_mov_b32_e32 v2, 0
	v_cmp_ne_u16_sdwa s[8:9], v8, v2 src0_sel:BYTE_3 src1_sel:DWORD
	s_andn2_b64 s[4:5], s[4:5], exec
	s_and_b64 s[8:9], s[8:9], exec
	s_or_b64 s[4:5], s[4:5], s[8:9]
	s_or_b64 exec, exec, s[6:7]
	s_and_saveexec_b64 s[6:7], s[4:5]
	s_cbranch_execnz .LBB4_1115
	s_branch .LBB4_1116
.LBB4_3165:
	s_movk_i32 s4, 0x80
	v_cmp_eq_u16_sdwa s[12:13], v4, s4 src0_sel:BYTE_3 src1_sel:DWORD
	s_mov_b64 s[4:5], -1
                                        ; implicit-def: $sgpr10
	s_and_saveexec_b64 s[8:9], s[12:13]
; %bb.3166:
	s_mov_b32 s10, 0x7f800001
	s_xor_b64 s[4:5], exec, -1
; %bb.3167:
	s_or_b64 exec, exec, s[8:9]
	s_and_b64 s[4:5], s[4:5], exec
	s_or_saveexec_b64 s[6:7], s[6:7]
	v_mov_b32_e32 v3, s10
	s_xor_b64 exec, exec, s[6:7]
	s_cbranch_execz .LBB4_1118
.LBB4_3168:
	v_mov_b32_e32 v3, 0
	v_cmp_ne_u16_sdwa s[8:9], v4, v3 src0_sel:BYTE_3 src1_sel:DWORD
	s_andn2_b64 s[4:5], s[4:5], exec
	s_and_b64 s[8:9], s[8:9], exec
	s_or_b64 s[4:5], s[4:5], s[8:9]
	s_or_b64 exec, exec, s[6:7]
	s_and_saveexec_b64 s[6:7], s[4:5]
	s_cbranch_execnz .LBB4_1119
	s_branch .LBB4_1120
.LBB4_3169:
	s_movk_i32 s4, 0x80
	v_cmp_eq_u16_sdwa s[12:13], v9, s4 src0_sel:BYTE_0 src1_sel:DWORD
	s_mov_b64 s[4:5], -1
                                        ; implicit-def: $sgpr10
	s_and_saveexec_b64 s[8:9], s[12:13]
; %bb.3170:
	s_mov_b32 s10, 0x7f800001
	s_xor_b64 s[4:5], exec, -1
; %bb.3171:
	s_or_b64 exec, exec, s[8:9]
	s_and_b64 s[4:5], s[4:5], exec
	s_or_saveexec_b64 s[6:7], s[6:7]
	v_mov_b32_e32 v2, s10
	s_xor_b64 exec, exec, s[6:7]
	s_cbranch_execz .LBB4_1122
.LBB4_3172:
	v_mov_b32_e32 v2, 0
	v_cmp_ne_u16_sdwa s[8:9], v9, v2 src0_sel:BYTE_0 src1_sel:DWORD
	s_andn2_b64 s[4:5], s[4:5], exec
	s_and_b64 s[8:9], s[8:9], exec
	s_or_b64 s[4:5], s[4:5], s[8:9]
	s_or_b64 exec, exec, s[6:7]
	s_and_saveexec_b64 s[6:7], s[4:5]
	s_cbranch_execnz .LBB4_1123
	s_branch .LBB4_1124
.LBB4_3173:
	s_movk_i32 s4, 0x80
	v_cmp_eq_u16_sdwa s[12:13], v5, s4 src0_sel:BYTE_0 src1_sel:DWORD
	s_mov_b64 s[4:5], -1
                                        ; implicit-def: $sgpr10
	s_and_saveexec_b64 s[8:9], s[12:13]
; %bb.3174:
	s_mov_b32 s10, 0x7f800001
	s_xor_b64 s[4:5], exec, -1
; %bb.3175:
	s_or_b64 exec, exec, s[8:9]
	s_and_b64 s[4:5], s[4:5], exec
	s_or_saveexec_b64 s[6:7], s[6:7]
	v_mov_b32_e32 v3, s10
	s_xor_b64 exec, exec, s[6:7]
	s_cbranch_execz .LBB4_1126
.LBB4_3176:
	v_mov_b32_e32 v3, 0
	v_cmp_ne_u16_sdwa s[8:9], v5, v3 src0_sel:BYTE_0 src1_sel:DWORD
	s_andn2_b64 s[4:5], s[4:5], exec
	s_and_b64 s[8:9], s[8:9], exec
	s_or_b64 s[4:5], s[4:5], s[8:9]
	s_or_b64 exec, exec, s[6:7]
	s_and_saveexec_b64 s[6:7], s[4:5]
	s_cbranch_execnz .LBB4_1127
	s_branch .LBB4_1128
.LBB4_3177:
	s_movk_i32 s4, 0x80
	v_cmp_eq_u16_sdwa s[12:13], v3, s4 src0_sel:BYTE_0 src1_sel:DWORD
	s_mov_b64 s[4:5], -1
                                        ; implicit-def: $sgpr10
	s_and_saveexec_b64 s[8:9], s[12:13]
; %bb.3178:
	s_mov_b32 s10, 0x7f800001
	s_xor_b64 s[4:5], exec, -1
; %bb.3179:
	s_or_b64 exec, exec, s[8:9]
	s_and_b64 s[4:5], s[4:5], exec
	s_or_saveexec_b64 s[6:7], s[6:7]
	v_mov_b32_e32 v2, s10
	s_xor_b64 exec, exec, s[6:7]
	s_cbranch_execz .LBB4_1130
.LBB4_3180:
	v_mov_b32_e32 v2, 0
	v_cmp_ne_u16_sdwa s[8:9], v3, v2 src0_sel:BYTE_0 src1_sel:DWORD
	s_andn2_b64 s[4:5], s[4:5], exec
	s_and_b64 s[8:9], s[8:9], exec
	s_or_b64 s[4:5], s[4:5], s[8:9]
	s_or_b64 exec, exec, s[6:7]
	s_and_saveexec_b64 s[6:7], s[4:5]
	s_cbranch_execnz .LBB4_1131
	s_branch .LBB4_1132
.LBB4_3181:
	s_movk_i32 s4, 0x80
	v_cmp_eq_u16_sdwa s[12:13], v3, s4 src0_sel:BYTE_0 src1_sel:DWORD
	s_mov_b64 s[4:5], -1
                                        ; implicit-def: $sgpr10
	s_and_saveexec_b64 s[8:9], s[12:13]
; %bb.3182:
	s_mov_b32 s10, 0x7f800001
	s_xor_b64 s[4:5], exec, -1
; %bb.3183:
	s_or_b64 exec, exec, s[8:9]
	s_and_b64 s[4:5], s[4:5], exec
	s_or_saveexec_b64 s[6:7], s[6:7]
	v_mov_b32_e32 v4, s10
	s_xor_b64 exec, exec, s[6:7]
	s_cbranch_execz .LBB4_1134
.LBB4_3184:
	v_mov_b32_e32 v4, 0
	v_cmp_ne_u16_sdwa s[8:9], v3, v4 src0_sel:BYTE_0 src1_sel:DWORD
	s_andn2_b64 s[4:5], s[4:5], exec
	s_and_b64 s[8:9], s[8:9], exec
	s_or_b64 s[4:5], s[4:5], s[8:9]
	s_or_b64 exec, exec, s[6:7]
	s_and_saveexec_b64 s[6:7], s[4:5]
	s_cbranch_execnz .LBB4_1135
	s_branch .LBB4_1136
.LBB4_3185:
	s_movk_i32 s4, 0x80
	v_cmp_eq_u16_e32 vcc, s4, v3
	s_mov_b64 s[4:5], -1
                                        ; implicit-def: $sgpr10
	s_and_saveexec_b64 s[8:9], vcc
; %bb.3186:
	s_mov_b32 s10, 0x7f800001
	s_xor_b64 s[4:5], exec, -1
; %bb.3187:
	s_or_b64 exec, exec, s[8:9]
	s_and_b64 s[4:5], s[4:5], exec
                                        ; implicit-def: $vgpr3
	s_or_saveexec_b64 s[6:7], s[6:7]
	v_mov_b32_e32 v2, s10
	s_xor_b64 exec, exec, s[6:7]
	s_cbranch_execz .LBB4_1138
.LBB4_3188:
	v_cmp_ne_u16_e32 vcc, 0, v3
	s_andn2_b64 s[4:5], s[4:5], exec
	s_and_b64 s[8:9], vcc, exec
	v_mov_b32_e32 v2, 0
	s_or_b64 s[4:5], s[4:5], s[8:9]
	s_or_b64 exec, exec, s[6:7]
	s_and_saveexec_b64 s[6:7], s[4:5]
	s_cbranch_execnz .LBB4_1139
	s_branch .LBB4_1140
.LBB4_3189:
	s_movk_i32 s4, 0x80
	v_cmp_eq_u16_e32 vcc, s4, v3
	s_mov_b64 s[4:5], -1
                                        ; implicit-def: $sgpr10
	s_and_saveexec_b64 s[8:9], vcc
; %bb.3190:
	s_mov_b32 s10, 0x7f800001
	s_xor_b64 s[4:5], exec, -1
; %bb.3191:
	s_or_b64 exec, exec, s[8:9]
	s_and_b64 s[4:5], s[4:5], exec
                                        ; implicit-def: $vgpr3
	s_or_saveexec_b64 s[6:7], s[6:7]
	v_mov_b32_e32 v4, s10
	s_xor_b64 exec, exec, s[6:7]
	s_cbranch_execz .LBB4_1142
.LBB4_3192:
	v_cmp_ne_u16_e32 vcc, 0, v3
	s_andn2_b64 s[4:5], s[4:5], exec
	s_and_b64 s[8:9], vcc, exec
	v_mov_b32_e32 v4, 0
	s_or_b64 s[4:5], s[4:5], s[8:9]
	s_or_b64 exec, exec, s[6:7]
	s_and_saveexec_b64 s[6:7], s[4:5]
	s_cbranch_execnz .LBB4_1143
	s_branch .LBB4_1144
.LBB4_3193:
	s_movk_i32 s4, 0x80
	v_cmp_eq_u16_sdwa s[12:13], v9, s4 src0_sel:BYTE_3 src1_sel:DWORD
	s_mov_b64 s[4:5], -1
                                        ; implicit-def: $sgpr10
	s_and_saveexec_b64 s[8:9], s[12:13]
; %bb.3194:
	s_mov_b32 s10, 0x7f800001
	s_xor_b64 s[4:5], exec, -1
; %bb.3195:
	s_or_b64 exec, exec, s[8:9]
	s_and_b64 s[4:5], s[4:5], exec
	s_or_saveexec_b64 s[6:7], s[6:7]
	v_mov_b32_e32 v2, s10
	s_xor_b64 exec, exec, s[6:7]
	s_cbranch_execz .LBB4_1146
.LBB4_3196:
	v_mov_b32_e32 v2, 0
	v_cmp_ne_u16_sdwa s[8:9], v9, v2 src0_sel:BYTE_3 src1_sel:DWORD
	s_andn2_b64 s[4:5], s[4:5], exec
	s_and_b64 s[8:9], s[8:9], exec
	s_or_b64 s[4:5], s[4:5], s[8:9]
	s_or_b64 exec, exec, s[6:7]
	s_and_saveexec_b64 s[6:7], s[4:5]
	s_cbranch_execnz .LBB4_1147
	s_branch .LBB4_1148
.LBB4_3197:
	s_movk_i32 s4, 0x80
	v_cmp_eq_u16_sdwa s[12:13], v5, s4 src0_sel:BYTE_3 src1_sel:DWORD
	s_mov_b64 s[4:5], -1
                                        ; implicit-def: $sgpr10
	s_and_saveexec_b64 s[8:9], s[12:13]
; %bb.3198:
	s_mov_b32 s10, 0x7f800001
	s_xor_b64 s[4:5], exec, -1
; %bb.3199:
	s_or_b64 exec, exec, s[8:9]
	s_and_b64 s[4:5], s[4:5], exec
	s_or_saveexec_b64 s[6:7], s[6:7]
	v_mov_b32_e32 v3, s10
	s_xor_b64 exec, exec, s[6:7]
	s_cbranch_execz .LBB4_1150
.LBB4_3200:
	v_mov_b32_e32 v3, 0
	v_cmp_ne_u16_sdwa s[8:9], v5, v3 src0_sel:BYTE_3 src1_sel:DWORD
	s_andn2_b64 s[4:5], s[4:5], exec
	s_and_b64 s[8:9], s[8:9], exec
	s_or_b64 s[4:5], s[4:5], s[8:9]
	s_or_b64 exec, exec, s[6:7]
	s_and_saveexec_b64 s[6:7], s[4:5]
	s_cbranch_execnz .LBB4_1151
	s_branch .LBB4_1152
.LBB4_3201:
	s_movk_i32 s4, 0x80
	v_cmp_eq_u16_sdwa s[12:13], v6, s4 src0_sel:BYTE_0 src1_sel:DWORD
	s_mov_b64 s[4:5], -1
                                        ; implicit-def: $sgpr10
	s_and_saveexec_b64 s[8:9], s[12:13]
; %bb.3202:
	s_mov_b32 s10, 0x7f800001
	s_xor_b64 s[4:5], exec, -1
; %bb.3203:
	s_or_b64 exec, exec, s[8:9]
	s_and_b64 s[4:5], s[4:5], exec
	s_or_saveexec_b64 s[6:7], s[6:7]
	v_mov_b32_e32 v12, s10
	s_xor_b64 exec, exec, s[6:7]
	s_cbranch_execz .LBB4_1154
.LBB4_3204:
	v_mov_b32_e32 v12, 0
	v_cmp_ne_u16_sdwa s[8:9], v6, v12 src0_sel:BYTE_0 src1_sel:DWORD
	s_andn2_b64 s[4:5], s[4:5], exec
	s_and_b64 s[8:9], s[8:9], exec
	s_or_b64 s[4:5], s[4:5], s[8:9]
	s_or_b64 exec, exec, s[6:7]
	s_and_saveexec_b64 s[6:7], s[4:5]
	s_cbranch_execnz .LBB4_1155
	s_branch .LBB4_1156
.LBB4_3205:
	s_movk_i32 s4, 0x80
	v_cmp_eq_u16_sdwa s[12:13], v2, s4 src0_sel:BYTE_0 src1_sel:DWORD
	s_mov_b64 s[4:5], -1
                                        ; implicit-def: $sgpr10
	s_and_saveexec_b64 s[8:9], s[12:13]
; %bb.3206:
	s_mov_b32 s10, 0x7f800001
	s_xor_b64 s[4:5], exec, -1
; %bb.3207:
	s_or_b64 exec, exec, s[8:9]
	s_and_b64 s[4:5], s[4:5], exec
	s_or_saveexec_b64 s[6:7], s[6:7]
	v_mov_b32_e32 v13, s10
	s_xor_b64 exec, exec, s[6:7]
	s_cbranch_execz .LBB4_1158
.LBB4_3208:
	v_mov_b32_e32 v13, 0
	v_cmp_ne_u16_sdwa s[8:9], v2, v13 src0_sel:BYTE_0 src1_sel:DWORD
	s_andn2_b64 s[4:5], s[4:5], exec
	s_and_b64 s[8:9], s[8:9], exec
	s_or_b64 s[4:5], s[4:5], s[8:9]
	s_or_b64 exec, exec, s[6:7]
	s_and_saveexec_b64 s[6:7], s[4:5]
	s_cbranch_execnz .LBB4_1159
	s_branch .LBB4_1160
.LBB4_3209:
	s_movk_i32 s4, 0x80
	v_cmp_eq_u16_sdwa s[12:13], v13, s4 src0_sel:BYTE_0 src1_sel:DWORD
	s_mov_b64 s[4:5], -1
                                        ; implicit-def: $sgpr10
	s_and_saveexec_b64 s[8:9], s[12:13]
; %bb.3210:
	s_mov_b32 s10, 0x7f800001
	s_xor_b64 s[4:5], exec, -1
; %bb.3211:
	s_or_b64 exec, exec, s[8:9]
	s_and_b64 s[4:5], s[4:5], exec
	s_or_saveexec_b64 s[6:7], s[6:7]
	v_mov_b32_e32 v12, s10
	s_xor_b64 exec, exec, s[6:7]
	s_cbranch_execz .LBB4_1162
.LBB4_3212:
	v_mov_b32_e32 v12, 0
	v_cmp_ne_u16_sdwa s[8:9], v13, v12 src0_sel:BYTE_0 src1_sel:DWORD
	s_andn2_b64 s[4:5], s[4:5], exec
	s_and_b64 s[8:9], s[8:9], exec
	s_or_b64 s[4:5], s[4:5], s[8:9]
	s_or_b64 exec, exec, s[6:7]
	s_and_saveexec_b64 s[6:7], s[4:5]
	s_cbranch_execnz .LBB4_1163
	s_branch .LBB4_1164
.LBB4_3213:
	s_movk_i32 s4, 0x80
	v_cmp_eq_u16_sdwa s[12:13], v13, s4 src0_sel:BYTE_0 src1_sel:DWORD
	s_mov_b64 s[4:5], -1
                                        ; implicit-def: $sgpr10
	s_and_saveexec_b64 s[8:9], s[12:13]
; %bb.3214:
	s_mov_b32 s10, 0x7f800001
	s_xor_b64 s[4:5], exec, -1
; %bb.3215:
	s_or_b64 exec, exec, s[8:9]
	s_and_b64 s[4:5], s[4:5], exec
	s_or_saveexec_b64 s[6:7], s[6:7]
	v_mov_b32_e32 v14, s10
	s_xor_b64 exec, exec, s[6:7]
	s_cbranch_execz .LBB4_1166
.LBB4_3216:
	v_mov_b32_e32 v14, 0
	v_cmp_ne_u16_sdwa s[8:9], v13, v14 src0_sel:BYTE_0 src1_sel:DWORD
	s_andn2_b64 s[4:5], s[4:5], exec
	s_and_b64 s[8:9], s[8:9], exec
	s_or_b64 s[4:5], s[4:5], s[8:9]
	s_or_b64 exec, exec, s[6:7]
	s_and_saveexec_b64 s[6:7], s[4:5]
	s_cbranch_execnz .LBB4_1167
	s_branch .LBB4_1168
.LBB4_3217:
	s_movk_i32 s4, 0x80
	v_cmp_eq_u16_e32 vcc, s4, v13
	s_mov_b64 s[4:5], -1
                                        ; implicit-def: $sgpr10
	s_and_saveexec_b64 s[8:9], vcc
; %bb.3218:
	s_mov_b32 s10, 0x7f800001
	s_xor_b64 s[4:5], exec, -1
; %bb.3219:
	s_or_b64 exec, exec, s[8:9]
	s_and_b64 s[4:5], s[4:5], exec
                                        ; implicit-def: $vgpr13
	s_or_saveexec_b64 s[6:7], s[6:7]
	v_mov_b32_e32 v12, s10
	s_xor_b64 exec, exec, s[6:7]
	s_cbranch_execz .LBB4_1170
.LBB4_3220:
	v_cmp_ne_u16_e32 vcc, 0, v13
	s_andn2_b64 s[4:5], s[4:5], exec
	s_and_b64 s[8:9], vcc, exec
	v_mov_b32_e32 v12, 0
	s_or_b64 s[4:5], s[4:5], s[8:9]
	s_or_b64 exec, exec, s[6:7]
	s_and_saveexec_b64 s[6:7], s[4:5]
	s_cbranch_execnz .LBB4_1171
	s_branch .LBB4_1172
.LBB4_3221:
	s_movk_i32 s4, 0x80
	v_cmp_eq_u16_e32 vcc, s4, v13
	s_mov_b64 s[4:5], -1
                                        ; implicit-def: $sgpr10
	s_and_saveexec_b64 s[8:9], vcc
; %bb.3222:
	s_mov_b32 s10, 0x7f800001
	s_xor_b64 s[4:5], exec, -1
; %bb.3223:
	s_or_b64 exec, exec, s[8:9]
	s_and_b64 s[4:5], s[4:5], exec
                                        ; implicit-def: $vgpr13
	s_or_saveexec_b64 s[6:7], s[6:7]
	v_mov_b32_e32 v14, s10
	s_xor_b64 exec, exec, s[6:7]
	s_cbranch_execz .LBB4_1174
.LBB4_3224:
	v_cmp_ne_u16_e32 vcc, 0, v13
	s_andn2_b64 s[4:5], s[4:5], exec
	s_and_b64 s[8:9], vcc, exec
	v_mov_b32_e32 v14, 0
	s_or_b64 s[4:5], s[4:5], s[8:9]
	s_or_b64 exec, exec, s[6:7]
	s_and_saveexec_b64 s[6:7], s[4:5]
	s_cbranch_execnz .LBB4_1175
	s_branch .LBB4_1176
.LBB4_3225:
	s_movk_i32 s4, 0x80
	v_cmp_eq_u16_sdwa s[12:13], v6, s4 src0_sel:BYTE_3 src1_sel:DWORD
	s_mov_b64 s[4:5], -1
                                        ; implicit-def: $sgpr10
	s_and_saveexec_b64 s[8:9], s[12:13]
; %bb.3226:
	s_mov_b32 s10, 0x7f800001
	s_xor_b64 s[4:5], exec, -1
; %bb.3227:
	s_or_b64 exec, exec, s[8:9]
	s_and_b64 s[4:5], s[4:5], exec
	s_or_saveexec_b64 s[6:7], s[6:7]
	v_mov_b32_e32 v12, s10
	s_xor_b64 exec, exec, s[6:7]
	s_cbranch_execz .LBB4_1178
.LBB4_3228:
	v_mov_b32_e32 v12, 0
	v_cmp_ne_u16_sdwa s[8:9], v6, v12 src0_sel:BYTE_3 src1_sel:DWORD
	s_andn2_b64 s[4:5], s[4:5], exec
	s_and_b64 s[8:9], s[8:9], exec
	s_or_b64 s[4:5], s[4:5], s[8:9]
	s_or_b64 exec, exec, s[6:7]
	s_and_saveexec_b64 s[6:7], s[4:5]
	s_cbranch_execnz .LBB4_1179
	s_branch .LBB4_1180
.LBB4_3229:
	s_movk_i32 s4, 0x80
	v_cmp_eq_u16_sdwa s[12:13], v2, s4 src0_sel:BYTE_3 src1_sel:DWORD
	s_mov_b64 s[4:5], -1
                                        ; implicit-def: $sgpr10
	s_and_saveexec_b64 s[8:9], s[12:13]
; %bb.3230:
	s_mov_b32 s10, 0x7f800001
	s_xor_b64 s[4:5], exec, -1
; %bb.3231:
	s_or_b64 exec, exec, s[8:9]
	s_and_b64 s[4:5], s[4:5], exec
	s_or_saveexec_b64 s[6:7], s[6:7]
	v_mov_b32_e32 v6, s10
	s_xor_b64 exec, exec, s[6:7]
	s_cbranch_execz .LBB4_1182
.LBB4_3232:
	v_mov_b32_e32 v6, 0
	v_cmp_ne_u16_sdwa s[8:9], v2, v6 src0_sel:BYTE_3 src1_sel:DWORD
	s_andn2_b64 s[4:5], s[4:5], exec
	s_and_b64 s[8:9], s[8:9], exec
	s_or_b64 s[4:5], s[4:5], s[8:9]
	s_or_b64 exec, exec, s[6:7]
	s_and_saveexec_b64 s[6:7], s[4:5]
	s_cbranch_execnz .LBB4_1183
	s_branch .LBB4_1184
.LBB4_3233:
	s_movk_i32 s4, 0x80
	v_cmp_eq_u16_sdwa s[12:13], v7, s4 src0_sel:BYTE_0 src1_sel:DWORD
	s_mov_b64 s[4:5], -1
                                        ; implicit-def: $sgpr10
	s_and_saveexec_b64 s[8:9], s[12:13]
; %bb.3234:
	s_mov_b32 s10, 0x7f800001
	s_xor_b64 s[4:5], exec, -1
; %bb.3235:
	s_or_b64 exec, exec, s[8:9]
	s_and_b64 s[4:5], s[4:5], exec
	s_or_saveexec_b64 s[6:7], s[6:7]
	v_mov_b32_e32 v2, s10
	s_xor_b64 exec, exec, s[6:7]
	s_cbranch_execz .LBB4_1186
.LBB4_3236:
	v_mov_b32_e32 v2, 0
	v_cmp_ne_u16_sdwa s[8:9], v7, v2 src0_sel:BYTE_0 src1_sel:DWORD
	s_andn2_b64 s[4:5], s[4:5], exec
	s_and_b64 s[8:9], s[8:9], exec
	s_or_b64 s[4:5], s[4:5], s[8:9]
	s_or_b64 exec, exec, s[6:7]
	s_and_saveexec_b64 s[6:7], s[4:5]
	s_cbranch_execnz .LBB4_1187
	s_branch .LBB4_1188
.LBB4_3237:
	s_movk_i32 s4, 0x80
	v_cmp_eq_u16_sdwa s[12:13], v3, s4 src0_sel:BYTE_0 src1_sel:DWORD
	s_mov_b64 s[4:5], -1
                                        ; implicit-def: $sgpr10
	s_and_saveexec_b64 s[8:9], s[12:13]
; %bb.3238:
	s_mov_b32 s10, 0x7f800001
	s_xor_b64 s[4:5], exec, -1
; %bb.3239:
	s_or_b64 exec, exec, s[8:9]
	s_and_b64 s[4:5], s[4:5], exec
	s_or_saveexec_b64 s[6:7], s[6:7]
	v_mov_b32_e32 v6, s10
	s_xor_b64 exec, exec, s[6:7]
	s_cbranch_execz .LBB4_1190
.LBB4_3240:
	v_mov_b32_e32 v6, 0
	v_cmp_ne_u16_sdwa s[8:9], v3, v6 src0_sel:BYTE_0 src1_sel:DWORD
	s_andn2_b64 s[4:5], s[4:5], exec
	s_and_b64 s[8:9], s[8:9], exec
	s_or_b64 s[4:5], s[4:5], s[8:9]
	s_or_b64 exec, exec, s[6:7]
	s_and_saveexec_b64 s[6:7], s[4:5]
	s_cbranch_execnz .LBB4_1191
	s_branch .LBB4_1192
.LBB4_3241:
	s_movk_i32 s4, 0x80
	v_cmp_eq_u16_sdwa s[12:13], v6, s4 src0_sel:BYTE_0 src1_sel:DWORD
	s_mov_b64 s[4:5], -1
                                        ; implicit-def: $sgpr10
	s_and_saveexec_b64 s[8:9], s[12:13]
; %bb.3242:
	s_mov_b32 s10, 0x7f800001
	s_xor_b64 s[4:5], exec, -1
; %bb.3243:
	s_or_b64 exec, exec, s[8:9]
	s_and_b64 s[4:5], s[4:5], exec
	s_or_saveexec_b64 s[6:7], s[6:7]
	v_mov_b32_e32 v2, s10
	s_xor_b64 exec, exec, s[6:7]
	s_cbranch_execz .LBB4_1194
.LBB4_3244:
	v_mov_b32_e32 v2, 0
	v_cmp_ne_u16_sdwa s[8:9], v6, v2 src0_sel:BYTE_0 src1_sel:DWORD
	s_andn2_b64 s[4:5], s[4:5], exec
	s_and_b64 s[8:9], s[8:9], exec
	s_or_b64 s[4:5], s[4:5], s[8:9]
	s_or_b64 exec, exec, s[6:7]
	s_and_saveexec_b64 s[6:7], s[4:5]
	s_cbranch_execnz .LBB4_1195
	s_branch .LBB4_1196
.LBB4_3245:
	s_movk_i32 s4, 0x80
	v_cmp_eq_u16_sdwa s[12:13], v6, s4 src0_sel:BYTE_0 src1_sel:DWORD
	s_mov_b64 s[4:5], -1
                                        ; implicit-def: $sgpr10
	s_and_saveexec_b64 s[8:9], s[12:13]
; %bb.3246:
	s_mov_b32 s10, 0x7f800001
	s_xor_b64 s[4:5], exec, -1
; %bb.3247:
	s_or_b64 exec, exec, s[8:9]
	s_and_b64 s[4:5], s[4:5], exec
	s_or_saveexec_b64 s[6:7], s[6:7]
	v_mov_b32_e32 v12, s10
	s_xor_b64 exec, exec, s[6:7]
	s_cbranch_execz .LBB4_1198
.LBB4_3248:
	v_mov_b32_e32 v12, 0
	v_cmp_ne_u16_sdwa s[8:9], v6, v12 src0_sel:BYTE_0 src1_sel:DWORD
	s_andn2_b64 s[4:5], s[4:5], exec
	s_and_b64 s[8:9], s[8:9], exec
	s_or_b64 s[4:5], s[4:5], s[8:9]
	s_or_b64 exec, exec, s[6:7]
	s_and_saveexec_b64 s[6:7], s[4:5]
	s_cbranch_execnz .LBB4_1199
	s_branch .LBB4_1200
.LBB4_3249:
	s_movk_i32 s4, 0x80
	v_cmp_eq_u16_e32 vcc, s4, v6
	s_mov_b64 s[4:5], -1
                                        ; implicit-def: $sgpr10
	s_and_saveexec_b64 s[8:9], vcc
; %bb.3250:
	s_mov_b32 s10, 0x7f800001
	s_xor_b64 s[4:5], exec, -1
; %bb.3251:
	s_or_b64 exec, exec, s[8:9]
	s_and_b64 s[4:5], s[4:5], exec
                                        ; implicit-def: $vgpr6
	s_or_saveexec_b64 s[6:7], s[6:7]
	v_mov_b32_e32 v2, s10
	s_xor_b64 exec, exec, s[6:7]
	s_cbranch_execz .LBB4_1202
.LBB4_3252:
	v_cmp_ne_u16_e32 vcc, 0, v6
	s_andn2_b64 s[4:5], s[4:5], exec
	s_and_b64 s[8:9], vcc, exec
	v_mov_b32_e32 v2, 0
	s_or_b64 s[4:5], s[4:5], s[8:9]
	s_or_b64 exec, exec, s[6:7]
	s_and_saveexec_b64 s[6:7], s[4:5]
	s_cbranch_execnz .LBB4_1203
	s_branch .LBB4_1204
.LBB4_3253:
	s_movk_i32 s4, 0x80
	v_cmp_eq_u16_e32 vcc, s4, v6
	s_mov_b64 s[4:5], -1
                                        ; implicit-def: $sgpr10
	s_and_saveexec_b64 s[8:9], vcc
; %bb.3254:
	s_mov_b32 s10, 0x7f800001
	s_xor_b64 s[4:5], exec, -1
; %bb.3255:
	s_or_b64 exec, exec, s[8:9]
	s_and_b64 s[4:5], s[4:5], exec
                                        ; implicit-def: $vgpr6
	s_or_saveexec_b64 s[6:7], s[6:7]
	v_mov_b32_e32 v12, s10
	s_xor_b64 exec, exec, s[6:7]
	s_cbranch_execz .LBB4_1206
.LBB4_3256:
	v_cmp_ne_u16_e32 vcc, 0, v6
	s_andn2_b64 s[4:5], s[4:5], exec
	s_and_b64 s[8:9], vcc, exec
	v_mov_b32_e32 v12, 0
	s_or_b64 s[4:5], s[4:5], s[8:9]
	s_or_b64 exec, exec, s[6:7]
	s_and_saveexec_b64 s[6:7], s[4:5]
	s_cbranch_execnz .LBB4_1207
	s_branch .LBB4_1208
.LBB4_3257:
	s_movk_i32 s4, 0x80
	v_cmp_eq_u16_sdwa s[12:13], v7, s4 src0_sel:BYTE_3 src1_sel:DWORD
	s_mov_b64 s[4:5], -1
                                        ; implicit-def: $sgpr10
	s_and_saveexec_b64 s[8:9], s[12:13]
; %bb.3258:
	s_mov_b32 s10, 0x7f800001
	s_xor_b64 s[4:5], exec, -1
; %bb.3259:
	s_or_b64 exec, exec, s[8:9]
	s_and_b64 s[4:5], s[4:5], exec
	s_or_saveexec_b64 s[6:7], s[6:7]
	v_mov_b32_e32 v2, s10
	s_xor_b64 exec, exec, s[6:7]
	s_cbranch_execz .LBB4_1210
.LBB4_3260:
	v_mov_b32_e32 v2, 0
	v_cmp_ne_u16_sdwa s[8:9], v7, v2 src0_sel:BYTE_3 src1_sel:DWORD
	s_andn2_b64 s[4:5], s[4:5], exec
	s_and_b64 s[8:9], s[8:9], exec
	s_or_b64 s[4:5], s[4:5], s[8:9]
	s_or_b64 exec, exec, s[6:7]
	s_and_saveexec_b64 s[6:7], s[4:5]
	s_cbranch_execnz .LBB4_1211
	s_branch .LBB4_1212
.LBB4_3261:
	s_movk_i32 s4, 0x80
	v_cmp_eq_u16_sdwa s[12:13], v3, s4 src0_sel:BYTE_3 src1_sel:DWORD
	s_mov_b64 s[4:5], -1
                                        ; implicit-def: $sgpr10
	s_and_saveexec_b64 s[8:9], s[12:13]
; %bb.3262:
	s_mov_b32 s10, 0x7f800001
	s_xor_b64 s[4:5], exec, -1
; %bb.3263:
	s_or_b64 exec, exec, s[8:9]
	s_and_b64 s[4:5], s[4:5], exec
	s_or_saveexec_b64 s[6:7], s[6:7]
	v_mov_b32_e32 v6, s10
	s_xor_b64 exec, exec, s[6:7]
	s_cbranch_execz .LBB4_1214
.LBB4_3264:
	v_mov_b32_e32 v6, 0
	v_cmp_ne_u16_sdwa s[8:9], v3, v6 src0_sel:BYTE_3 src1_sel:DWORD
	s_andn2_b64 s[4:5], s[4:5], exec
	s_and_b64 s[8:9], s[8:9], exec
	s_or_b64 s[4:5], s[4:5], s[8:9]
	s_or_b64 exec, exec, s[6:7]
	s_and_saveexec_b64 s[6:7], s[4:5]
	s_cbranch_execnz .LBB4_1215
	s_branch .LBB4_1216
.LBB4_3265:
	s_movk_i32 s4, 0x80
	v_cmp_eq_u16_sdwa s[12:13], v8, s4 src0_sel:BYTE_0 src1_sel:DWORD
	s_mov_b64 s[4:5], -1
                                        ; implicit-def: $sgpr10
	s_and_saveexec_b64 s[8:9], s[12:13]
; %bb.3266:
	s_mov_b32 s10, 0x7f800001
	s_xor_b64 s[4:5], exec, -1
; %bb.3267:
	s_or_b64 exec, exec, s[8:9]
	s_and_b64 s[4:5], s[4:5], exec
	s_or_saveexec_b64 s[6:7], s[6:7]
	v_mov_b32_e32 v2, s10
	s_xor_b64 exec, exec, s[6:7]
	s_cbranch_execz .LBB4_1218
.LBB4_3268:
	v_mov_b32_e32 v2, 0
	v_cmp_ne_u16_sdwa s[8:9], v8, v2 src0_sel:BYTE_0 src1_sel:DWORD
	s_andn2_b64 s[4:5], s[4:5], exec
	s_and_b64 s[8:9], s[8:9], exec
	s_or_b64 s[4:5], s[4:5], s[8:9]
	s_or_b64 exec, exec, s[6:7]
	s_and_saveexec_b64 s[6:7], s[4:5]
	s_cbranch_execnz .LBB4_1219
	s_branch .LBB4_1220
.LBB4_3269:
	s_movk_i32 s4, 0x80
	v_cmp_eq_u16_sdwa s[12:13], v4, s4 src0_sel:BYTE_0 src1_sel:DWORD
	s_mov_b64 s[4:5], -1
                                        ; implicit-def: $sgpr10
	s_and_saveexec_b64 s[8:9], s[12:13]
; %bb.3270:
	s_mov_b32 s10, 0x7f800001
	s_xor_b64 s[4:5], exec, -1
; %bb.3271:
	s_or_b64 exec, exec, s[8:9]
	s_and_b64 s[4:5], s[4:5], exec
	s_or_saveexec_b64 s[6:7], s[6:7]
	v_mov_b32_e32 v3, s10
	s_xor_b64 exec, exec, s[6:7]
	s_cbranch_execz .LBB4_1222
.LBB4_3272:
	v_mov_b32_e32 v3, 0
	v_cmp_ne_u16_sdwa s[8:9], v4, v3 src0_sel:BYTE_0 src1_sel:DWORD
	s_andn2_b64 s[4:5], s[4:5], exec
	s_and_b64 s[8:9], s[8:9], exec
	s_or_b64 s[4:5], s[4:5], s[8:9]
	s_or_b64 exec, exec, s[6:7]
	s_and_saveexec_b64 s[6:7], s[4:5]
	s_cbranch_execnz .LBB4_1223
	s_branch .LBB4_1224
.LBB4_3273:
	s_movk_i32 s4, 0x80
	v_cmp_eq_u16_sdwa s[12:13], v3, s4 src0_sel:BYTE_0 src1_sel:DWORD
	s_mov_b64 s[4:5], -1
                                        ; implicit-def: $sgpr10
	s_and_saveexec_b64 s[8:9], s[12:13]
; %bb.3274:
	s_mov_b32 s10, 0x7f800001
	s_xor_b64 s[4:5], exec, -1
; %bb.3275:
	s_or_b64 exec, exec, s[8:9]
	s_and_b64 s[4:5], s[4:5], exec
	s_or_saveexec_b64 s[6:7], s[6:7]
	v_mov_b32_e32 v2, s10
	s_xor_b64 exec, exec, s[6:7]
	s_cbranch_execz .LBB4_1226
.LBB4_3276:
	v_mov_b32_e32 v2, 0
	v_cmp_ne_u16_sdwa s[8:9], v3, v2 src0_sel:BYTE_0 src1_sel:DWORD
	s_andn2_b64 s[4:5], s[4:5], exec
	s_and_b64 s[8:9], s[8:9], exec
	s_or_b64 s[4:5], s[4:5], s[8:9]
	s_or_b64 exec, exec, s[6:7]
	s_and_saveexec_b64 s[6:7], s[4:5]
	s_cbranch_execnz .LBB4_1227
	s_branch .LBB4_1228
.LBB4_3277:
	s_movk_i32 s4, 0x80
	v_cmp_eq_u16_sdwa s[12:13], v3, s4 src0_sel:BYTE_0 src1_sel:DWORD
	s_mov_b64 s[4:5], -1
                                        ; implicit-def: $sgpr10
	s_and_saveexec_b64 s[8:9], s[12:13]
; %bb.3278:
	s_mov_b32 s10, 0x7f800001
	s_xor_b64 s[4:5], exec, -1
; %bb.3279:
	s_or_b64 exec, exec, s[8:9]
	s_and_b64 s[4:5], s[4:5], exec
	s_or_saveexec_b64 s[6:7], s[6:7]
	v_mov_b32_e32 v6, s10
	s_xor_b64 exec, exec, s[6:7]
	s_cbranch_execz .LBB4_1230
.LBB4_3280:
	v_mov_b32_e32 v6, 0
	v_cmp_ne_u16_sdwa s[8:9], v3, v6 src0_sel:BYTE_0 src1_sel:DWORD
	s_andn2_b64 s[4:5], s[4:5], exec
	s_and_b64 s[8:9], s[8:9], exec
	s_or_b64 s[4:5], s[4:5], s[8:9]
	s_or_b64 exec, exec, s[6:7]
	s_and_saveexec_b64 s[6:7], s[4:5]
	s_cbranch_execnz .LBB4_1231
	s_branch .LBB4_1232
.LBB4_3281:
	s_movk_i32 s4, 0x80
	v_cmp_eq_u16_e32 vcc, s4, v3
	s_mov_b64 s[4:5], -1
                                        ; implicit-def: $sgpr10
	s_and_saveexec_b64 s[8:9], vcc
; %bb.3282:
	s_mov_b32 s10, 0x7f800001
	s_xor_b64 s[4:5], exec, -1
; %bb.3283:
	s_or_b64 exec, exec, s[8:9]
	s_and_b64 s[4:5], s[4:5], exec
                                        ; implicit-def: $vgpr3
	s_or_saveexec_b64 s[6:7], s[6:7]
	v_mov_b32_e32 v2, s10
	s_xor_b64 exec, exec, s[6:7]
	s_cbranch_execz .LBB4_1234
.LBB4_3284:
	v_cmp_ne_u16_e32 vcc, 0, v3
	s_andn2_b64 s[4:5], s[4:5], exec
	s_and_b64 s[8:9], vcc, exec
	v_mov_b32_e32 v2, 0
	s_or_b64 s[4:5], s[4:5], s[8:9]
	s_or_b64 exec, exec, s[6:7]
	s_and_saveexec_b64 s[6:7], s[4:5]
	s_cbranch_execnz .LBB4_1235
	s_branch .LBB4_1236
.LBB4_3285:
	s_movk_i32 s4, 0x80
	v_cmp_eq_u16_e32 vcc, s4, v3
	s_mov_b64 s[4:5], -1
                                        ; implicit-def: $sgpr10
	s_and_saveexec_b64 s[8:9], vcc
; %bb.3286:
	s_mov_b32 s10, 0x7f800001
	s_xor_b64 s[4:5], exec, -1
; %bb.3287:
	s_or_b64 exec, exec, s[8:9]
	s_and_b64 s[4:5], s[4:5], exec
                                        ; implicit-def: $vgpr3
	s_or_saveexec_b64 s[6:7], s[6:7]
	v_mov_b32_e32 v6, s10
	s_xor_b64 exec, exec, s[6:7]
	s_cbranch_execz .LBB4_1238
.LBB4_3288:
	v_cmp_ne_u16_e32 vcc, 0, v3
	s_andn2_b64 s[4:5], s[4:5], exec
	s_and_b64 s[8:9], vcc, exec
	v_mov_b32_e32 v6, 0
	s_or_b64 s[4:5], s[4:5], s[8:9]
	s_or_b64 exec, exec, s[6:7]
	s_and_saveexec_b64 s[6:7], s[4:5]
	s_cbranch_execnz .LBB4_1239
	s_branch .LBB4_1240
.LBB4_3289:
	s_movk_i32 s4, 0x80
	v_cmp_eq_u16_sdwa s[12:13], v8, s4 src0_sel:BYTE_3 src1_sel:DWORD
	s_mov_b64 s[4:5], -1
                                        ; implicit-def: $sgpr10
	s_and_saveexec_b64 s[8:9], s[12:13]
; %bb.3290:
	s_mov_b32 s10, 0x7f800001
	s_xor_b64 s[4:5], exec, -1
; %bb.3291:
	s_or_b64 exec, exec, s[8:9]
	s_and_b64 s[4:5], s[4:5], exec
	s_or_saveexec_b64 s[6:7], s[6:7]
	v_mov_b32_e32 v2, s10
	s_xor_b64 exec, exec, s[6:7]
	s_cbranch_execz .LBB4_1242
.LBB4_3292:
	v_mov_b32_e32 v2, 0
	v_cmp_ne_u16_sdwa s[8:9], v8, v2 src0_sel:BYTE_3 src1_sel:DWORD
	s_andn2_b64 s[4:5], s[4:5], exec
	s_and_b64 s[8:9], s[8:9], exec
	s_or_b64 s[4:5], s[4:5], s[8:9]
	s_or_b64 exec, exec, s[6:7]
	s_and_saveexec_b64 s[6:7], s[4:5]
	s_cbranch_execnz .LBB4_1243
	s_branch .LBB4_1244
.LBB4_3293:
	s_movk_i32 s4, 0x80
	v_cmp_eq_u16_sdwa s[12:13], v4, s4 src0_sel:BYTE_3 src1_sel:DWORD
	s_mov_b64 s[4:5], -1
                                        ; implicit-def: $sgpr10
	s_and_saveexec_b64 s[8:9], s[12:13]
; %bb.3294:
	s_mov_b32 s10, 0x7f800001
	s_xor_b64 s[4:5], exec, -1
; %bb.3295:
	s_or_b64 exec, exec, s[8:9]
	s_and_b64 s[4:5], s[4:5], exec
	s_or_saveexec_b64 s[6:7], s[6:7]
	v_mov_b32_e32 v3, s10
	s_xor_b64 exec, exec, s[6:7]
	s_cbranch_execz .LBB4_1246
.LBB4_3296:
	v_mov_b32_e32 v3, 0
	v_cmp_ne_u16_sdwa s[8:9], v4, v3 src0_sel:BYTE_3 src1_sel:DWORD
	s_andn2_b64 s[4:5], s[4:5], exec
	s_and_b64 s[8:9], s[8:9], exec
	s_or_b64 s[4:5], s[4:5], s[8:9]
	s_or_b64 exec, exec, s[6:7]
	s_and_saveexec_b64 s[6:7], s[4:5]
	s_cbranch_execnz .LBB4_1247
	s_branch .LBB4_1248
.LBB4_3297:
	s_movk_i32 s4, 0x80
	v_cmp_eq_u16_sdwa s[12:13], v9, s4 src0_sel:BYTE_0 src1_sel:DWORD
	s_mov_b64 s[4:5], -1
                                        ; implicit-def: $sgpr10
	s_and_saveexec_b64 s[8:9], s[12:13]
; %bb.3298:
	s_mov_b32 s10, 0x7f800001
	s_xor_b64 s[4:5], exec, -1
; %bb.3299:
	s_or_b64 exec, exec, s[8:9]
	s_and_b64 s[4:5], s[4:5], exec
	s_or_saveexec_b64 s[6:7], s[6:7]
	v_mov_b32_e32 v2, s10
	s_xor_b64 exec, exec, s[6:7]
	s_cbranch_execz .LBB4_1250
.LBB4_3300:
	v_mov_b32_e32 v2, 0
	v_cmp_ne_u16_sdwa s[8:9], v9, v2 src0_sel:BYTE_0 src1_sel:DWORD
	s_andn2_b64 s[4:5], s[4:5], exec
	s_and_b64 s[8:9], s[8:9], exec
	s_or_b64 s[4:5], s[4:5], s[8:9]
	s_or_b64 exec, exec, s[6:7]
	s_and_saveexec_b64 s[6:7], s[4:5]
	s_cbranch_execnz .LBB4_1251
	s_branch .LBB4_1252
.LBB4_3301:
	s_movk_i32 s4, 0x80
	v_cmp_eq_u16_sdwa s[12:13], v5, s4 src0_sel:BYTE_0 src1_sel:DWORD
	s_mov_b64 s[4:5], -1
                                        ; implicit-def: $sgpr10
	s_and_saveexec_b64 s[8:9], s[12:13]
; %bb.3302:
	s_mov_b32 s10, 0x7f800001
	s_xor_b64 s[4:5], exec, -1
; %bb.3303:
	s_or_b64 exec, exec, s[8:9]
	s_and_b64 s[4:5], s[4:5], exec
	s_or_saveexec_b64 s[6:7], s[6:7]
	v_mov_b32_e32 v3, s10
	s_xor_b64 exec, exec, s[6:7]
	s_cbranch_execz .LBB4_1254
.LBB4_3304:
	v_mov_b32_e32 v3, 0
	v_cmp_ne_u16_sdwa s[8:9], v5, v3 src0_sel:BYTE_0 src1_sel:DWORD
	s_andn2_b64 s[4:5], s[4:5], exec
	s_and_b64 s[8:9], s[8:9], exec
	s_or_b64 s[4:5], s[4:5], s[8:9]
	s_or_b64 exec, exec, s[6:7]
	s_and_saveexec_b64 s[6:7], s[4:5]
	s_cbranch_execnz .LBB4_1255
	s_branch .LBB4_1256
.LBB4_3305:
	s_movk_i32 s4, 0x80
	v_cmp_eq_u16_sdwa s[12:13], v3, s4 src0_sel:BYTE_0 src1_sel:DWORD
	s_mov_b64 s[4:5], -1
                                        ; implicit-def: $sgpr10
	s_and_saveexec_b64 s[8:9], s[12:13]
; %bb.3306:
	s_mov_b32 s10, 0x7f800001
	s_xor_b64 s[4:5], exec, -1
; %bb.3307:
	s_or_b64 exec, exec, s[8:9]
	s_and_b64 s[4:5], s[4:5], exec
	s_or_saveexec_b64 s[6:7], s[6:7]
	v_mov_b32_e32 v2, s10
	s_xor_b64 exec, exec, s[6:7]
	s_cbranch_execz .LBB4_1258
.LBB4_3308:
	v_mov_b32_e32 v2, 0
	v_cmp_ne_u16_sdwa s[8:9], v3, v2 src0_sel:BYTE_0 src1_sel:DWORD
	s_andn2_b64 s[4:5], s[4:5], exec
	s_and_b64 s[8:9], s[8:9], exec
	s_or_b64 s[4:5], s[4:5], s[8:9]
	s_or_b64 exec, exec, s[6:7]
	s_and_saveexec_b64 s[6:7], s[4:5]
	s_cbranch_execnz .LBB4_1259
	s_branch .LBB4_1260
.LBB4_3309:
	s_movk_i32 s4, 0x80
	v_cmp_eq_u16_sdwa s[12:13], v3, s4 src0_sel:BYTE_0 src1_sel:DWORD
	s_mov_b64 s[4:5], -1
                                        ; implicit-def: $sgpr10
	s_and_saveexec_b64 s[8:9], s[12:13]
; %bb.3310:
	s_mov_b32 s10, 0x7f800001
	s_xor_b64 s[4:5], exec, -1
; %bb.3311:
	s_or_b64 exec, exec, s[8:9]
	s_and_b64 s[4:5], s[4:5], exec
	s_or_saveexec_b64 s[6:7], s[6:7]
	v_mov_b32_e32 v4, s10
	s_xor_b64 exec, exec, s[6:7]
	s_cbranch_execz .LBB4_1262
.LBB4_3312:
	v_mov_b32_e32 v4, 0
	v_cmp_ne_u16_sdwa s[8:9], v3, v4 src0_sel:BYTE_0 src1_sel:DWORD
	s_andn2_b64 s[4:5], s[4:5], exec
	s_and_b64 s[8:9], s[8:9], exec
	s_or_b64 s[4:5], s[4:5], s[8:9]
	s_or_b64 exec, exec, s[6:7]
	s_and_saveexec_b64 s[6:7], s[4:5]
	s_cbranch_execnz .LBB4_1263
	s_branch .LBB4_1264
.LBB4_3313:
	s_movk_i32 s4, 0x80
	v_cmp_eq_u16_e32 vcc, s4, v3
	s_mov_b64 s[4:5], -1
                                        ; implicit-def: $sgpr10
	s_and_saveexec_b64 s[8:9], vcc
; %bb.3314:
	s_mov_b32 s10, 0x7f800001
	s_xor_b64 s[4:5], exec, -1
; %bb.3315:
	s_or_b64 exec, exec, s[8:9]
	s_and_b64 s[4:5], s[4:5], exec
                                        ; implicit-def: $vgpr3
	s_or_saveexec_b64 s[6:7], s[6:7]
	v_mov_b32_e32 v2, s10
	s_xor_b64 exec, exec, s[6:7]
	s_cbranch_execz .LBB4_1266
.LBB4_3316:
	v_cmp_ne_u16_e32 vcc, 0, v3
	s_andn2_b64 s[4:5], s[4:5], exec
	s_and_b64 s[8:9], vcc, exec
	v_mov_b32_e32 v2, 0
	s_or_b64 s[4:5], s[4:5], s[8:9]
	s_or_b64 exec, exec, s[6:7]
	s_and_saveexec_b64 s[6:7], s[4:5]
	s_cbranch_execnz .LBB4_1267
	s_branch .LBB4_1268
.LBB4_3317:
	s_movk_i32 s4, 0x80
	v_cmp_eq_u16_e32 vcc, s4, v3
	s_mov_b64 s[4:5], -1
                                        ; implicit-def: $sgpr10
	s_and_saveexec_b64 s[8:9], vcc
; %bb.3318:
	s_mov_b32 s10, 0x7f800001
	s_xor_b64 s[4:5], exec, -1
; %bb.3319:
	s_or_b64 exec, exec, s[8:9]
	s_and_b64 s[4:5], s[4:5], exec
                                        ; implicit-def: $vgpr3
	s_or_saveexec_b64 s[6:7], s[6:7]
	v_mov_b32_e32 v4, s10
	s_xor_b64 exec, exec, s[6:7]
	s_cbranch_execz .LBB4_1270
.LBB4_3320:
	v_cmp_ne_u16_e32 vcc, 0, v3
	s_andn2_b64 s[4:5], s[4:5], exec
	s_and_b64 s[8:9], vcc, exec
	v_mov_b32_e32 v4, 0
	s_or_b64 s[4:5], s[4:5], s[8:9]
	s_or_b64 exec, exec, s[6:7]
	s_and_saveexec_b64 s[6:7], s[4:5]
	s_cbranch_execnz .LBB4_1271
	s_branch .LBB4_1272
.LBB4_3321:
	s_movk_i32 s4, 0x80
	v_cmp_eq_u16_sdwa s[12:13], v9, s4 src0_sel:BYTE_3 src1_sel:DWORD
	s_mov_b64 s[4:5], -1
                                        ; implicit-def: $sgpr10
	s_and_saveexec_b64 s[8:9], s[12:13]
; %bb.3322:
	s_mov_b32 s10, 0x7f800001
	s_xor_b64 s[4:5], exec, -1
; %bb.3323:
	s_or_b64 exec, exec, s[8:9]
	s_and_b64 s[4:5], s[4:5], exec
	s_or_saveexec_b64 s[6:7], s[6:7]
	v_mov_b32_e32 v2, s10
	s_xor_b64 exec, exec, s[6:7]
	s_cbranch_execz .LBB4_1274
.LBB4_3324:
	v_mov_b32_e32 v2, 0
	v_cmp_ne_u16_sdwa s[8:9], v9, v2 src0_sel:BYTE_3 src1_sel:DWORD
	s_andn2_b64 s[4:5], s[4:5], exec
	s_and_b64 s[8:9], s[8:9], exec
	s_or_b64 s[4:5], s[4:5], s[8:9]
	s_or_b64 exec, exec, s[6:7]
	s_and_saveexec_b64 s[6:7], s[4:5]
	s_cbranch_execnz .LBB4_1275
	s_branch .LBB4_1276
.LBB4_3325:
	s_movk_i32 s4, 0x80
	v_cmp_eq_u16_sdwa s[12:13], v5, s4 src0_sel:BYTE_3 src1_sel:DWORD
	s_mov_b64 s[4:5], -1
                                        ; implicit-def: $sgpr10
	s_and_saveexec_b64 s[8:9], s[12:13]
; %bb.3326:
	s_mov_b32 s10, 0x7f800001
	s_xor_b64 s[4:5], exec, -1
; %bb.3327:
	s_or_b64 exec, exec, s[8:9]
	s_and_b64 s[4:5], s[4:5], exec
	s_or_saveexec_b64 s[6:7], s[6:7]
	v_mov_b32_e32 v3, s10
	s_xor_b64 exec, exec, s[6:7]
	s_cbranch_execz .LBB4_1278
.LBB4_3328:
	v_mov_b32_e32 v3, 0
	v_cmp_ne_u16_sdwa s[8:9], v5, v3 src0_sel:BYTE_3 src1_sel:DWORD
	s_andn2_b64 s[4:5], s[4:5], exec
	s_and_b64 s[8:9], s[8:9], exec
	s_or_b64 s[4:5], s[4:5], s[8:9]
	s_or_b64 exec, exec, s[6:7]
	s_and_saveexec_b64 s[6:7], s[4:5]
	s_cbranch_execnz .LBB4_1279
	s_branch .LBB4_1280
.LBB4_3329:
	s_movk_i32 s4, 0x80
	v_cmp_eq_u16_sdwa s[12:13], v6, s4 src0_sel:BYTE_0 src1_sel:DWORD
	s_mov_b64 s[4:5], -1
                                        ; implicit-def: $sgpr10
	s_and_saveexec_b64 s[8:9], s[12:13]
; %bb.3330:
	s_mov_b32 s10, 0x7f800001
	s_xor_b64 s[4:5], exec, -1
; %bb.3331:
	s_or_b64 exec, exec, s[8:9]
	s_and_b64 s[4:5], s[4:5], exec
	s_or_saveexec_b64 s[6:7], s[6:7]
	v_mov_b32_e32 v12, s10
	s_xor_b64 exec, exec, s[6:7]
	s_cbranch_execz .LBB4_1282
.LBB4_3332:
	v_mov_b32_e32 v12, 0
	v_cmp_ne_u16_sdwa s[8:9], v6, v12 src0_sel:BYTE_0 src1_sel:DWORD
	s_andn2_b64 s[4:5], s[4:5], exec
	s_and_b64 s[8:9], s[8:9], exec
	s_or_b64 s[4:5], s[4:5], s[8:9]
	s_or_b64 exec, exec, s[6:7]
	s_and_saveexec_b64 s[6:7], s[4:5]
	s_cbranch_execnz .LBB4_1283
	s_branch .LBB4_1284
.LBB4_3333:
	s_movk_i32 s4, 0x80
	v_cmp_eq_u16_sdwa s[12:13], v2, s4 src0_sel:BYTE_0 src1_sel:DWORD
	s_mov_b64 s[4:5], -1
                                        ; implicit-def: $sgpr10
	s_and_saveexec_b64 s[8:9], s[12:13]
; %bb.3334:
	s_mov_b32 s10, 0x7f800001
	s_xor_b64 s[4:5], exec, -1
; %bb.3335:
	s_or_b64 exec, exec, s[8:9]
	s_and_b64 s[4:5], s[4:5], exec
	s_or_saveexec_b64 s[6:7], s[6:7]
	v_mov_b32_e32 v13, s10
	s_xor_b64 exec, exec, s[6:7]
	s_cbranch_execz .LBB4_1286
.LBB4_3336:
	v_mov_b32_e32 v13, 0
	v_cmp_ne_u16_sdwa s[8:9], v2, v13 src0_sel:BYTE_0 src1_sel:DWORD
	s_andn2_b64 s[4:5], s[4:5], exec
	s_and_b64 s[8:9], s[8:9], exec
	s_or_b64 s[4:5], s[4:5], s[8:9]
	s_or_b64 exec, exec, s[6:7]
	s_and_saveexec_b64 s[6:7], s[4:5]
	s_cbranch_execnz .LBB4_1287
	s_branch .LBB4_1288
.LBB4_3337:
	s_movk_i32 s4, 0x80
	v_cmp_eq_u16_sdwa s[12:13], v13, s4 src0_sel:BYTE_0 src1_sel:DWORD
	s_mov_b64 s[4:5], -1
                                        ; implicit-def: $sgpr10
	s_and_saveexec_b64 s[8:9], s[12:13]
; %bb.3338:
	s_mov_b32 s10, 0x7f800001
	s_xor_b64 s[4:5], exec, -1
; %bb.3339:
	s_or_b64 exec, exec, s[8:9]
	s_and_b64 s[4:5], s[4:5], exec
	s_or_saveexec_b64 s[6:7], s[6:7]
	v_mov_b32_e32 v12, s10
	s_xor_b64 exec, exec, s[6:7]
	s_cbranch_execz .LBB4_1290
.LBB4_3340:
	v_mov_b32_e32 v12, 0
	v_cmp_ne_u16_sdwa s[8:9], v13, v12 src0_sel:BYTE_0 src1_sel:DWORD
	s_andn2_b64 s[4:5], s[4:5], exec
	s_and_b64 s[8:9], s[8:9], exec
	s_or_b64 s[4:5], s[4:5], s[8:9]
	s_or_b64 exec, exec, s[6:7]
	s_and_saveexec_b64 s[6:7], s[4:5]
	s_cbranch_execnz .LBB4_1291
	s_branch .LBB4_1292
.LBB4_3341:
	s_movk_i32 s4, 0x80
	v_cmp_eq_u16_sdwa s[12:13], v13, s4 src0_sel:BYTE_0 src1_sel:DWORD
	s_mov_b64 s[4:5], -1
                                        ; implicit-def: $sgpr10
	s_and_saveexec_b64 s[8:9], s[12:13]
; %bb.3342:
	s_mov_b32 s10, 0x7f800001
	s_xor_b64 s[4:5], exec, -1
; %bb.3343:
	s_or_b64 exec, exec, s[8:9]
	s_and_b64 s[4:5], s[4:5], exec
	s_or_saveexec_b64 s[6:7], s[6:7]
	v_mov_b32_e32 v14, s10
	s_xor_b64 exec, exec, s[6:7]
	s_cbranch_execz .LBB4_1294
.LBB4_3344:
	v_mov_b32_e32 v14, 0
	v_cmp_ne_u16_sdwa s[8:9], v13, v14 src0_sel:BYTE_0 src1_sel:DWORD
	s_andn2_b64 s[4:5], s[4:5], exec
	s_and_b64 s[8:9], s[8:9], exec
	s_or_b64 s[4:5], s[4:5], s[8:9]
	s_or_b64 exec, exec, s[6:7]
	s_and_saveexec_b64 s[6:7], s[4:5]
	s_cbranch_execnz .LBB4_1295
	s_branch .LBB4_1296
.LBB4_3345:
	s_movk_i32 s4, 0x80
	v_cmp_eq_u16_e32 vcc, s4, v13
	s_mov_b64 s[4:5], -1
                                        ; implicit-def: $sgpr10
	s_and_saveexec_b64 s[8:9], vcc
; %bb.3346:
	s_mov_b32 s10, 0x7f800001
	s_xor_b64 s[4:5], exec, -1
; %bb.3347:
	s_or_b64 exec, exec, s[8:9]
	s_and_b64 s[4:5], s[4:5], exec
                                        ; implicit-def: $vgpr13
	s_or_saveexec_b64 s[6:7], s[6:7]
	v_mov_b32_e32 v12, s10
	s_xor_b64 exec, exec, s[6:7]
	s_cbranch_execz .LBB4_1298
.LBB4_3348:
	v_cmp_ne_u16_e32 vcc, 0, v13
	s_andn2_b64 s[4:5], s[4:5], exec
	s_and_b64 s[8:9], vcc, exec
	v_mov_b32_e32 v12, 0
	s_or_b64 s[4:5], s[4:5], s[8:9]
	s_or_b64 exec, exec, s[6:7]
	s_and_saveexec_b64 s[6:7], s[4:5]
	s_cbranch_execnz .LBB4_1299
	s_branch .LBB4_1300
.LBB4_3349:
	s_movk_i32 s4, 0x80
	v_cmp_eq_u16_e32 vcc, s4, v13
	s_mov_b64 s[4:5], -1
                                        ; implicit-def: $sgpr10
	s_and_saveexec_b64 s[8:9], vcc
; %bb.3350:
	s_mov_b32 s10, 0x7f800001
	s_xor_b64 s[4:5], exec, -1
; %bb.3351:
	s_or_b64 exec, exec, s[8:9]
	s_and_b64 s[4:5], s[4:5], exec
                                        ; implicit-def: $vgpr13
	s_or_saveexec_b64 s[6:7], s[6:7]
	v_mov_b32_e32 v14, s10
	s_xor_b64 exec, exec, s[6:7]
	s_cbranch_execz .LBB4_1302
.LBB4_3352:
	v_cmp_ne_u16_e32 vcc, 0, v13
	s_andn2_b64 s[4:5], s[4:5], exec
	s_and_b64 s[8:9], vcc, exec
	v_mov_b32_e32 v14, 0
	s_or_b64 s[4:5], s[4:5], s[8:9]
	s_or_b64 exec, exec, s[6:7]
	s_and_saveexec_b64 s[6:7], s[4:5]
	s_cbranch_execnz .LBB4_1303
	s_branch .LBB4_1304
.LBB4_3353:
	s_movk_i32 s4, 0x80
	v_cmp_eq_u16_sdwa s[12:13], v6, s4 src0_sel:BYTE_3 src1_sel:DWORD
	s_mov_b64 s[4:5], -1
                                        ; implicit-def: $sgpr10
	s_and_saveexec_b64 s[8:9], s[12:13]
; %bb.3354:
	s_mov_b32 s10, 0x7f800001
	s_xor_b64 s[4:5], exec, -1
; %bb.3355:
	s_or_b64 exec, exec, s[8:9]
	s_and_b64 s[4:5], s[4:5], exec
	s_or_saveexec_b64 s[6:7], s[6:7]
	v_mov_b32_e32 v12, s10
	s_xor_b64 exec, exec, s[6:7]
	s_cbranch_execz .LBB4_1306
.LBB4_3356:
	v_mov_b32_e32 v12, 0
	v_cmp_ne_u16_sdwa s[8:9], v6, v12 src0_sel:BYTE_3 src1_sel:DWORD
	s_andn2_b64 s[4:5], s[4:5], exec
	s_and_b64 s[8:9], s[8:9], exec
	s_or_b64 s[4:5], s[4:5], s[8:9]
	s_or_b64 exec, exec, s[6:7]
	s_and_saveexec_b64 s[6:7], s[4:5]
	s_cbranch_execnz .LBB4_1307
	s_branch .LBB4_1308
.LBB4_3357:
	s_movk_i32 s4, 0x80
	v_cmp_eq_u16_sdwa s[12:13], v2, s4 src0_sel:BYTE_3 src1_sel:DWORD
	s_mov_b64 s[4:5], -1
                                        ; implicit-def: $sgpr10
	s_and_saveexec_b64 s[8:9], s[12:13]
; %bb.3358:
	s_mov_b32 s10, 0x7f800001
	s_xor_b64 s[4:5], exec, -1
; %bb.3359:
	s_or_b64 exec, exec, s[8:9]
	s_and_b64 s[4:5], s[4:5], exec
	s_or_saveexec_b64 s[6:7], s[6:7]
	v_mov_b32_e32 v6, s10
	s_xor_b64 exec, exec, s[6:7]
	s_cbranch_execz .LBB4_1310
.LBB4_3360:
	v_mov_b32_e32 v6, 0
	v_cmp_ne_u16_sdwa s[8:9], v2, v6 src0_sel:BYTE_3 src1_sel:DWORD
	s_andn2_b64 s[4:5], s[4:5], exec
	s_and_b64 s[8:9], s[8:9], exec
	s_or_b64 s[4:5], s[4:5], s[8:9]
	s_or_b64 exec, exec, s[6:7]
	s_and_saveexec_b64 s[6:7], s[4:5]
	s_cbranch_execnz .LBB4_1311
	s_branch .LBB4_1312
.LBB4_3361:
	s_movk_i32 s4, 0x80
	v_cmp_eq_u16_sdwa s[12:13], v7, s4 src0_sel:BYTE_0 src1_sel:DWORD
	s_mov_b64 s[4:5], -1
                                        ; implicit-def: $sgpr10
	s_and_saveexec_b64 s[8:9], s[12:13]
; %bb.3362:
	s_mov_b32 s10, 0x7f800001
	s_xor_b64 s[4:5], exec, -1
; %bb.3363:
	s_or_b64 exec, exec, s[8:9]
	s_and_b64 s[4:5], s[4:5], exec
	s_or_saveexec_b64 s[6:7], s[6:7]
	v_mov_b32_e32 v2, s10
	s_xor_b64 exec, exec, s[6:7]
	s_cbranch_execz .LBB4_1314
.LBB4_3364:
	v_mov_b32_e32 v2, 0
	v_cmp_ne_u16_sdwa s[8:9], v7, v2 src0_sel:BYTE_0 src1_sel:DWORD
	s_andn2_b64 s[4:5], s[4:5], exec
	s_and_b64 s[8:9], s[8:9], exec
	s_or_b64 s[4:5], s[4:5], s[8:9]
	s_or_b64 exec, exec, s[6:7]
	s_and_saveexec_b64 s[6:7], s[4:5]
	s_cbranch_execnz .LBB4_1315
	s_branch .LBB4_1316
.LBB4_3365:
	s_movk_i32 s4, 0x80
	v_cmp_eq_u16_sdwa s[12:13], v3, s4 src0_sel:BYTE_0 src1_sel:DWORD
	s_mov_b64 s[4:5], -1
                                        ; implicit-def: $sgpr10
	s_and_saveexec_b64 s[8:9], s[12:13]
; %bb.3366:
	s_mov_b32 s10, 0x7f800001
	s_xor_b64 s[4:5], exec, -1
; %bb.3367:
	s_or_b64 exec, exec, s[8:9]
	s_and_b64 s[4:5], s[4:5], exec
	s_or_saveexec_b64 s[6:7], s[6:7]
	v_mov_b32_e32 v6, s10
	s_xor_b64 exec, exec, s[6:7]
	s_cbranch_execz .LBB4_1318
.LBB4_3368:
	v_mov_b32_e32 v6, 0
	v_cmp_ne_u16_sdwa s[8:9], v3, v6 src0_sel:BYTE_0 src1_sel:DWORD
	s_andn2_b64 s[4:5], s[4:5], exec
	s_and_b64 s[8:9], s[8:9], exec
	s_or_b64 s[4:5], s[4:5], s[8:9]
	s_or_b64 exec, exec, s[6:7]
	s_and_saveexec_b64 s[6:7], s[4:5]
	s_cbranch_execnz .LBB4_1319
	s_branch .LBB4_1320
.LBB4_3369:
	s_movk_i32 s4, 0x80
	v_cmp_eq_u16_sdwa s[12:13], v6, s4 src0_sel:BYTE_0 src1_sel:DWORD
	s_mov_b64 s[4:5], -1
                                        ; implicit-def: $sgpr10
	s_and_saveexec_b64 s[8:9], s[12:13]
; %bb.3370:
	s_mov_b32 s10, 0x7f800001
	s_xor_b64 s[4:5], exec, -1
; %bb.3371:
	s_or_b64 exec, exec, s[8:9]
	s_and_b64 s[4:5], s[4:5], exec
	s_or_saveexec_b64 s[6:7], s[6:7]
	v_mov_b32_e32 v2, s10
	s_xor_b64 exec, exec, s[6:7]
	s_cbranch_execz .LBB4_1322
.LBB4_3372:
	v_mov_b32_e32 v2, 0
	v_cmp_ne_u16_sdwa s[8:9], v6, v2 src0_sel:BYTE_0 src1_sel:DWORD
	s_andn2_b64 s[4:5], s[4:5], exec
	s_and_b64 s[8:9], s[8:9], exec
	s_or_b64 s[4:5], s[4:5], s[8:9]
	s_or_b64 exec, exec, s[6:7]
	s_and_saveexec_b64 s[6:7], s[4:5]
	s_cbranch_execnz .LBB4_1323
	s_branch .LBB4_1324
.LBB4_3373:
	s_movk_i32 s4, 0x80
	v_cmp_eq_u16_sdwa s[12:13], v6, s4 src0_sel:BYTE_0 src1_sel:DWORD
	s_mov_b64 s[4:5], -1
                                        ; implicit-def: $sgpr10
	s_and_saveexec_b64 s[8:9], s[12:13]
; %bb.3374:
	s_mov_b32 s10, 0x7f800001
	s_xor_b64 s[4:5], exec, -1
; %bb.3375:
	s_or_b64 exec, exec, s[8:9]
	s_and_b64 s[4:5], s[4:5], exec
	s_or_saveexec_b64 s[6:7], s[6:7]
	v_mov_b32_e32 v12, s10
	s_xor_b64 exec, exec, s[6:7]
	s_cbranch_execz .LBB4_1326
.LBB4_3376:
	v_mov_b32_e32 v12, 0
	v_cmp_ne_u16_sdwa s[8:9], v6, v12 src0_sel:BYTE_0 src1_sel:DWORD
	s_andn2_b64 s[4:5], s[4:5], exec
	s_and_b64 s[8:9], s[8:9], exec
	s_or_b64 s[4:5], s[4:5], s[8:9]
	s_or_b64 exec, exec, s[6:7]
	s_and_saveexec_b64 s[6:7], s[4:5]
	s_cbranch_execnz .LBB4_1327
	s_branch .LBB4_1328
.LBB4_3377:
	s_movk_i32 s4, 0x80
	v_cmp_eq_u16_e32 vcc, s4, v6
	s_mov_b64 s[4:5], -1
                                        ; implicit-def: $sgpr10
	s_and_saveexec_b64 s[8:9], vcc
; %bb.3378:
	s_mov_b32 s10, 0x7f800001
	s_xor_b64 s[4:5], exec, -1
; %bb.3379:
	s_or_b64 exec, exec, s[8:9]
	s_and_b64 s[4:5], s[4:5], exec
                                        ; implicit-def: $vgpr6
	s_or_saveexec_b64 s[6:7], s[6:7]
	v_mov_b32_e32 v2, s10
	s_xor_b64 exec, exec, s[6:7]
	s_cbranch_execz .LBB4_1330
.LBB4_3380:
	v_cmp_ne_u16_e32 vcc, 0, v6
	s_andn2_b64 s[4:5], s[4:5], exec
	s_and_b64 s[8:9], vcc, exec
	v_mov_b32_e32 v2, 0
	s_or_b64 s[4:5], s[4:5], s[8:9]
	s_or_b64 exec, exec, s[6:7]
	s_and_saveexec_b64 s[6:7], s[4:5]
	s_cbranch_execnz .LBB4_1331
	s_branch .LBB4_1332
.LBB4_3381:
	s_movk_i32 s4, 0x80
	v_cmp_eq_u16_e32 vcc, s4, v6
	s_mov_b64 s[4:5], -1
                                        ; implicit-def: $sgpr10
	s_and_saveexec_b64 s[8:9], vcc
; %bb.3382:
	s_mov_b32 s10, 0x7f800001
	s_xor_b64 s[4:5], exec, -1
; %bb.3383:
	s_or_b64 exec, exec, s[8:9]
	s_and_b64 s[4:5], s[4:5], exec
                                        ; implicit-def: $vgpr6
	s_or_saveexec_b64 s[6:7], s[6:7]
	v_mov_b32_e32 v12, s10
	s_xor_b64 exec, exec, s[6:7]
	s_cbranch_execz .LBB4_1334
.LBB4_3384:
	v_cmp_ne_u16_e32 vcc, 0, v6
	s_andn2_b64 s[4:5], s[4:5], exec
	s_and_b64 s[8:9], vcc, exec
	v_mov_b32_e32 v12, 0
	s_or_b64 s[4:5], s[4:5], s[8:9]
	s_or_b64 exec, exec, s[6:7]
	s_and_saveexec_b64 s[6:7], s[4:5]
	s_cbranch_execnz .LBB4_1335
	s_branch .LBB4_1336
.LBB4_3385:
	s_movk_i32 s4, 0x80
	v_cmp_eq_u16_sdwa s[12:13], v7, s4 src0_sel:BYTE_3 src1_sel:DWORD
	s_mov_b64 s[4:5], -1
                                        ; implicit-def: $sgpr10
	s_and_saveexec_b64 s[8:9], s[12:13]
; %bb.3386:
	s_mov_b32 s10, 0x7f800001
	s_xor_b64 s[4:5], exec, -1
; %bb.3387:
	s_or_b64 exec, exec, s[8:9]
	s_and_b64 s[4:5], s[4:5], exec
	s_or_saveexec_b64 s[6:7], s[6:7]
	v_mov_b32_e32 v2, s10
	s_xor_b64 exec, exec, s[6:7]
	s_cbranch_execz .LBB4_1338
.LBB4_3388:
	v_mov_b32_e32 v2, 0
	v_cmp_ne_u16_sdwa s[8:9], v7, v2 src0_sel:BYTE_3 src1_sel:DWORD
	s_andn2_b64 s[4:5], s[4:5], exec
	s_and_b64 s[8:9], s[8:9], exec
	s_or_b64 s[4:5], s[4:5], s[8:9]
	s_or_b64 exec, exec, s[6:7]
	s_and_saveexec_b64 s[6:7], s[4:5]
	s_cbranch_execnz .LBB4_1339
	s_branch .LBB4_1340
.LBB4_3389:
	s_movk_i32 s4, 0x80
	v_cmp_eq_u16_sdwa s[12:13], v3, s4 src0_sel:BYTE_3 src1_sel:DWORD
	s_mov_b64 s[4:5], -1
                                        ; implicit-def: $sgpr10
	s_and_saveexec_b64 s[8:9], s[12:13]
; %bb.3390:
	s_mov_b32 s10, 0x7f800001
	s_xor_b64 s[4:5], exec, -1
; %bb.3391:
	s_or_b64 exec, exec, s[8:9]
	s_and_b64 s[4:5], s[4:5], exec
	s_or_saveexec_b64 s[6:7], s[6:7]
	v_mov_b32_e32 v6, s10
	s_xor_b64 exec, exec, s[6:7]
	s_cbranch_execz .LBB4_1342
.LBB4_3392:
	v_mov_b32_e32 v6, 0
	v_cmp_ne_u16_sdwa s[8:9], v3, v6 src0_sel:BYTE_3 src1_sel:DWORD
	s_andn2_b64 s[4:5], s[4:5], exec
	s_and_b64 s[8:9], s[8:9], exec
	s_or_b64 s[4:5], s[4:5], s[8:9]
	s_or_b64 exec, exec, s[6:7]
	s_and_saveexec_b64 s[6:7], s[4:5]
	s_cbranch_execnz .LBB4_1343
	s_branch .LBB4_1344
.LBB4_3393:
	s_movk_i32 s4, 0x80
	v_cmp_eq_u16_sdwa s[12:13], v8, s4 src0_sel:BYTE_0 src1_sel:DWORD
	s_mov_b64 s[4:5], -1
                                        ; implicit-def: $sgpr10
	s_and_saveexec_b64 s[8:9], s[12:13]
; %bb.3394:
	s_mov_b32 s10, 0x7f800001
	s_xor_b64 s[4:5], exec, -1
; %bb.3395:
	s_or_b64 exec, exec, s[8:9]
	s_and_b64 s[4:5], s[4:5], exec
	s_or_saveexec_b64 s[6:7], s[6:7]
	v_mov_b32_e32 v2, s10
	s_xor_b64 exec, exec, s[6:7]
	s_cbranch_execz .LBB4_1346
.LBB4_3396:
	v_mov_b32_e32 v2, 0
	v_cmp_ne_u16_sdwa s[8:9], v8, v2 src0_sel:BYTE_0 src1_sel:DWORD
	s_andn2_b64 s[4:5], s[4:5], exec
	s_and_b64 s[8:9], s[8:9], exec
	s_or_b64 s[4:5], s[4:5], s[8:9]
	s_or_b64 exec, exec, s[6:7]
	s_and_saveexec_b64 s[6:7], s[4:5]
	s_cbranch_execnz .LBB4_1347
	s_branch .LBB4_1348
.LBB4_3397:
	s_movk_i32 s4, 0x80
	v_cmp_eq_u16_sdwa s[12:13], v4, s4 src0_sel:BYTE_0 src1_sel:DWORD
	s_mov_b64 s[4:5], -1
                                        ; implicit-def: $sgpr10
	s_and_saveexec_b64 s[8:9], s[12:13]
; %bb.3398:
	s_mov_b32 s10, 0x7f800001
	s_xor_b64 s[4:5], exec, -1
; %bb.3399:
	s_or_b64 exec, exec, s[8:9]
	s_and_b64 s[4:5], s[4:5], exec
	s_or_saveexec_b64 s[6:7], s[6:7]
	v_mov_b32_e32 v3, s10
	s_xor_b64 exec, exec, s[6:7]
	s_cbranch_execz .LBB4_1350
.LBB4_3400:
	v_mov_b32_e32 v3, 0
	v_cmp_ne_u16_sdwa s[8:9], v4, v3 src0_sel:BYTE_0 src1_sel:DWORD
	s_andn2_b64 s[4:5], s[4:5], exec
	s_and_b64 s[8:9], s[8:9], exec
	s_or_b64 s[4:5], s[4:5], s[8:9]
	s_or_b64 exec, exec, s[6:7]
	s_and_saveexec_b64 s[6:7], s[4:5]
	s_cbranch_execnz .LBB4_1351
	s_branch .LBB4_1352
.LBB4_3401:
	s_movk_i32 s4, 0x80
	v_cmp_eq_u16_sdwa s[12:13], v3, s4 src0_sel:BYTE_0 src1_sel:DWORD
	s_mov_b64 s[4:5], -1
                                        ; implicit-def: $sgpr10
	s_and_saveexec_b64 s[8:9], s[12:13]
; %bb.3402:
	s_mov_b32 s10, 0x7f800001
	s_xor_b64 s[4:5], exec, -1
; %bb.3403:
	s_or_b64 exec, exec, s[8:9]
	s_and_b64 s[4:5], s[4:5], exec
	s_or_saveexec_b64 s[6:7], s[6:7]
	v_mov_b32_e32 v2, s10
	s_xor_b64 exec, exec, s[6:7]
	s_cbranch_execz .LBB4_1354
.LBB4_3404:
	v_mov_b32_e32 v2, 0
	v_cmp_ne_u16_sdwa s[8:9], v3, v2 src0_sel:BYTE_0 src1_sel:DWORD
	s_andn2_b64 s[4:5], s[4:5], exec
	s_and_b64 s[8:9], s[8:9], exec
	s_or_b64 s[4:5], s[4:5], s[8:9]
	s_or_b64 exec, exec, s[6:7]
	s_and_saveexec_b64 s[6:7], s[4:5]
	s_cbranch_execnz .LBB4_1355
	s_branch .LBB4_1356
.LBB4_3405:
	s_movk_i32 s4, 0x80
	v_cmp_eq_u16_sdwa s[12:13], v3, s4 src0_sel:BYTE_0 src1_sel:DWORD
	s_mov_b64 s[4:5], -1
                                        ; implicit-def: $sgpr10
	s_and_saveexec_b64 s[8:9], s[12:13]
; %bb.3406:
	s_mov_b32 s10, 0x7f800001
	s_xor_b64 s[4:5], exec, -1
; %bb.3407:
	s_or_b64 exec, exec, s[8:9]
	s_and_b64 s[4:5], s[4:5], exec
	s_or_saveexec_b64 s[6:7], s[6:7]
	v_mov_b32_e32 v6, s10
	s_xor_b64 exec, exec, s[6:7]
	s_cbranch_execz .LBB4_1358
.LBB4_3408:
	v_mov_b32_e32 v6, 0
	v_cmp_ne_u16_sdwa s[8:9], v3, v6 src0_sel:BYTE_0 src1_sel:DWORD
	s_andn2_b64 s[4:5], s[4:5], exec
	s_and_b64 s[8:9], s[8:9], exec
	s_or_b64 s[4:5], s[4:5], s[8:9]
	s_or_b64 exec, exec, s[6:7]
	s_and_saveexec_b64 s[6:7], s[4:5]
	s_cbranch_execnz .LBB4_1359
	s_branch .LBB4_1360
.LBB4_3409:
	s_movk_i32 s4, 0x80
	v_cmp_eq_u16_e32 vcc, s4, v3
	s_mov_b64 s[4:5], -1
                                        ; implicit-def: $sgpr10
	s_and_saveexec_b64 s[8:9], vcc
; %bb.3410:
	s_mov_b32 s10, 0x7f800001
	s_xor_b64 s[4:5], exec, -1
; %bb.3411:
	s_or_b64 exec, exec, s[8:9]
	s_and_b64 s[4:5], s[4:5], exec
                                        ; implicit-def: $vgpr3
	s_or_saveexec_b64 s[6:7], s[6:7]
	v_mov_b32_e32 v2, s10
	s_xor_b64 exec, exec, s[6:7]
	s_cbranch_execz .LBB4_1362
.LBB4_3412:
	v_cmp_ne_u16_e32 vcc, 0, v3
	s_andn2_b64 s[4:5], s[4:5], exec
	s_and_b64 s[8:9], vcc, exec
	v_mov_b32_e32 v2, 0
	s_or_b64 s[4:5], s[4:5], s[8:9]
	s_or_b64 exec, exec, s[6:7]
	s_and_saveexec_b64 s[6:7], s[4:5]
	s_cbranch_execnz .LBB4_1363
	s_branch .LBB4_1364
.LBB4_3413:
	s_movk_i32 s4, 0x80
	v_cmp_eq_u16_e32 vcc, s4, v3
	s_mov_b64 s[4:5], -1
                                        ; implicit-def: $sgpr10
	s_and_saveexec_b64 s[8:9], vcc
; %bb.3414:
	s_mov_b32 s10, 0x7f800001
	s_xor_b64 s[4:5], exec, -1
; %bb.3415:
	s_or_b64 exec, exec, s[8:9]
	s_and_b64 s[4:5], s[4:5], exec
                                        ; implicit-def: $vgpr3
	s_or_saveexec_b64 s[6:7], s[6:7]
	v_mov_b32_e32 v6, s10
	s_xor_b64 exec, exec, s[6:7]
	s_cbranch_execz .LBB4_1366
.LBB4_3416:
	v_cmp_ne_u16_e32 vcc, 0, v3
	s_andn2_b64 s[4:5], s[4:5], exec
	s_and_b64 s[8:9], vcc, exec
	v_mov_b32_e32 v6, 0
	s_or_b64 s[4:5], s[4:5], s[8:9]
	s_or_b64 exec, exec, s[6:7]
	s_and_saveexec_b64 s[6:7], s[4:5]
	s_cbranch_execnz .LBB4_1367
	s_branch .LBB4_1368
.LBB4_3417:
	s_movk_i32 s4, 0x80
	v_cmp_eq_u16_sdwa s[12:13], v8, s4 src0_sel:BYTE_3 src1_sel:DWORD
	s_mov_b64 s[4:5], -1
                                        ; implicit-def: $sgpr10
	s_and_saveexec_b64 s[8:9], s[12:13]
; %bb.3418:
	s_mov_b32 s10, 0x7f800001
	s_xor_b64 s[4:5], exec, -1
; %bb.3419:
	s_or_b64 exec, exec, s[8:9]
	s_and_b64 s[4:5], s[4:5], exec
	s_or_saveexec_b64 s[6:7], s[6:7]
	v_mov_b32_e32 v2, s10
	s_xor_b64 exec, exec, s[6:7]
	s_cbranch_execz .LBB4_1370
.LBB4_3420:
	v_mov_b32_e32 v2, 0
	v_cmp_ne_u16_sdwa s[8:9], v8, v2 src0_sel:BYTE_3 src1_sel:DWORD
	s_andn2_b64 s[4:5], s[4:5], exec
	s_and_b64 s[8:9], s[8:9], exec
	s_or_b64 s[4:5], s[4:5], s[8:9]
	s_or_b64 exec, exec, s[6:7]
	s_and_saveexec_b64 s[6:7], s[4:5]
	s_cbranch_execnz .LBB4_1371
	s_branch .LBB4_1372
.LBB4_3421:
	s_movk_i32 s4, 0x80
	v_cmp_eq_u16_sdwa s[12:13], v4, s4 src0_sel:BYTE_3 src1_sel:DWORD
	s_mov_b64 s[4:5], -1
                                        ; implicit-def: $sgpr10
	s_and_saveexec_b64 s[8:9], s[12:13]
; %bb.3422:
	s_mov_b32 s10, 0x7f800001
	s_xor_b64 s[4:5], exec, -1
; %bb.3423:
	s_or_b64 exec, exec, s[8:9]
	s_and_b64 s[4:5], s[4:5], exec
	s_or_saveexec_b64 s[6:7], s[6:7]
	v_mov_b32_e32 v3, s10
	s_xor_b64 exec, exec, s[6:7]
	s_cbranch_execz .LBB4_1374
.LBB4_3424:
	v_mov_b32_e32 v3, 0
	v_cmp_ne_u16_sdwa s[8:9], v4, v3 src0_sel:BYTE_3 src1_sel:DWORD
	s_andn2_b64 s[4:5], s[4:5], exec
	s_and_b64 s[8:9], s[8:9], exec
	s_or_b64 s[4:5], s[4:5], s[8:9]
	s_or_b64 exec, exec, s[6:7]
	s_and_saveexec_b64 s[6:7], s[4:5]
	s_cbranch_execnz .LBB4_1375
	s_branch .LBB4_1376
.LBB4_3425:
	s_movk_i32 s4, 0x80
	v_cmp_eq_u16_sdwa s[12:13], v9, s4 src0_sel:BYTE_0 src1_sel:DWORD
	s_mov_b64 s[4:5], -1
                                        ; implicit-def: $sgpr10
	s_and_saveexec_b64 s[8:9], s[12:13]
; %bb.3426:
	s_mov_b32 s10, 0x7f800001
	s_xor_b64 s[4:5], exec, -1
; %bb.3427:
	s_or_b64 exec, exec, s[8:9]
	s_and_b64 s[4:5], s[4:5], exec
	s_or_saveexec_b64 s[6:7], s[6:7]
	v_mov_b32_e32 v2, s10
	s_xor_b64 exec, exec, s[6:7]
	s_cbranch_execz .LBB4_1378
.LBB4_3428:
	v_mov_b32_e32 v2, 0
	v_cmp_ne_u16_sdwa s[8:9], v9, v2 src0_sel:BYTE_0 src1_sel:DWORD
	s_andn2_b64 s[4:5], s[4:5], exec
	s_and_b64 s[8:9], s[8:9], exec
	s_or_b64 s[4:5], s[4:5], s[8:9]
	s_or_b64 exec, exec, s[6:7]
	s_and_saveexec_b64 s[6:7], s[4:5]
	s_cbranch_execnz .LBB4_1379
	s_branch .LBB4_1380
.LBB4_3429:
	s_movk_i32 s4, 0x80
	v_cmp_eq_u16_sdwa s[12:13], v5, s4 src0_sel:BYTE_0 src1_sel:DWORD
	s_mov_b64 s[4:5], -1
                                        ; implicit-def: $sgpr10
	s_and_saveexec_b64 s[8:9], s[12:13]
; %bb.3430:
	s_mov_b32 s10, 0x7f800001
	s_xor_b64 s[4:5], exec, -1
; %bb.3431:
	s_or_b64 exec, exec, s[8:9]
	s_and_b64 s[4:5], s[4:5], exec
	s_or_saveexec_b64 s[6:7], s[6:7]
	v_mov_b32_e32 v3, s10
	s_xor_b64 exec, exec, s[6:7]
	s_cbranch_execz .LBB4_1382
.LBB4_3432:
	v_mov_b32_e32 v3, 0
	v_cmp_ne_u16_sdwa s[8:9], v5, v3 src0_sel:BYTE_0 src1_sel:DWORD
	s_andn2_b64 s[4:5], s[4:5], exec
	s_and_b64 s[8:9], s[8:9], exec
	s_or_b64 s[4:5], s[4:5], s[8:9]
	s_or_b64 exec, exec, s[6:7]
	s_and_saveexec_b64 s[6:7], s[4:5]
	s_cbranch_execnz .LBB4_1383
	s_branch .LBB4_1384
.LBB4_3433:
	s_movk_i32 s4, 0x80
	v_cmp_eq_u16_sdwa s[12:13], v3, s4 src0_sel:BYTE_0 src1_sel:DWORD
	s_mov_b64 s[4:5], -1
                                        ; implicit-def: $sgpr10
	s_and_saveexec_b64 s[8:9], s[12:13]
; %bb.3434:
	s_mov_b32 s10, 0x7f800001
	s_xor_b64 s[4:5], exec, -1
; %bb.3435:
	s_or_b64 exec, exec, s[8:9]
	s_and_b64 s[4:5], s[4:5], exec
	s_or_saveexec_b64 s[6:7], s[6:7]
	v_mov_b32_e32 v2, s10
	s_xor_b64 exec, exec, s[6:7]
	s_cbranch_execz .LBB4_1386
.LBB4_3436:
	v_mov_b32_e32 v2, 0
	v_cmp_ne_u16_sdwa s[8:9], v3, v2 src0_sel:BYTE_0 src1_sel:DWORD
	s_andn2_b64 s[4:5], s[4:5], exec
	s_and_b64 s[8:9], s[8:9], exec
	s_or_b64 s[4:5], s[4:5], s[8:9]
	s_or_b64 exec, exec, s[6:7]
	s_and_saveexec_b64 s[6:7], s[4:5]
	s_cbranch_execnz .LBB4_1387
	s_branch .LBB4_1388
.LBB4_3437:
	s_movk_i32 s4, 0x80
	v_cmp_eq_u16_sdwa s[12:13], v3, s4 src0_sel:BYTE_0 src1_sel:DWORD
	s_mov_b64 s[4:5], -1
                                        ; implicit-def: $sgpr10
	s_and_saveexec_b64 s[8:9], s[12:13]
; %bb.3438:
	s_mov_b32 s10, 0x7f800001
	s_xor_b64 s[4:5], exec, -1
; %bb.3439:
	s_or_b64 exec, exec, s[8:9]
	s_and_b64 s[4:5], s[4:5], exec
	s_or_saveexec_b64 s[6:7], s[6:7]
	v_mov_b32_e32 v4, s10
	s_xor_b64 exec, exec, s[6:7]
	s_cbranch_execz .LBB4_1390
.LBB4_3440:
	v_mov_b32_e32 v4, 0
	v_cmp_ne_u16_sdwa s[8:9], v3, v4 src0_sel:BYTE_0 src1_sel:DWORD
	s_andn2_b64 s[4:5], s[4:5], exec
	s_and_b64 s[8:9], s[8:9], exec
	s_or_b64 s[4:5], s[4:5], s[8:9]
	s_or_b64 exec, exec, s[6:7]
	s_and_saveexec_b64 s[6:7], s[4:5]
	s_cbranch_execnz .LBB4_1391
	s_branch .LBB4_1392
.LBB4_3441:
	s_movk_i32 s4, 0x80
	v_cmp_eq_u16_e32 vcc, s4, v3
	s_mov_b64 s[4:5], -1
                                        ; implicit-def: $sgpr10
	s_and_saveexec_b64 s[8:9], vcc
; %bb.3442:
	s_mov_b32 s10, 0x7f800001
	s_xor_b64 s[4:5], exec, -1
; %bb.3443:
	s_or_b64 exec, exec, s[8:9]
	s_and_b64 s[4:5], s[4:5], exec
                                        ; implicit-def: $vgpr3
	s_or_saveexec_b64 s[6:7], s[6:7]
	v_mov_b32_e32 v2, s10
	s_xor_b64 exec, exec, s[6:7]
	s_cbranch_execz .LBB4_1394
.LBB4_3444:
	v_cmp_ne_u16_e32 vcc, 0, v3
	s_andn2_b64 s[4:5], s[4:5], exec
	s_and_b64 s[8:9], vcc, exec
	v_mov_b32_e32 v2, 0
	s_or_b64 s[4:5], s[4:5], s[8:9]
	s_or_b64 exec, exec, s[6:7]
	s_and_saveexec_b64 s[6:7], s[4:5]
	s_cbranch_execnz .LBB4_1395
	s_branch .LBB4_1396
.LBB4_3445:
	s_movk_i32 s4, 0x80
	v_cmp_eq_u16_e32 vcc, s4, v3
	s_mov_b64 s[4:5], -1
                                        ; implicit-def: $sgpr10
	s_and_saveexec_b64 s[8:9], vcc
; %bb.3446:
	s_mov_b32 s10, 0x7f800001
	s_xor_b64 s[4:5], exec, -1
; %bb.3447:
	s_or_b64 exec, exec, s[8:9]
	s_and_b64 s[4:5], s[4:5], exec
                                        ; implicit-def: $vgpr3
	s_or_saveexec_b64 s[6:7], s[6:7]
	v_mov_b32_e32 v4, s10
	s_xor_b64 exec, exec, s[6:7]
	s_cbranch_execz .LBB4_1398
.LBB4_3448:
	v_cmp_ne_u16_e32 vcc, 0, v3
	s_andn2_b64 s[4:5], s[4:5], exec
	s_and_b64 s[8:9], vcc, exec
	v_mov_b32_e32 v4, 0
	s_or_b64 s[4:5], s[4:5], s[8:9]
	s_or_b64 exec, exec, s[6:7]
	s_and_saveexec_b64 s[6:7], s[4:5]
	s_cbranch_execnz .LBB4_1399
	s_branch .LBB4_1400
.LBB4_3449:
	s_movk_i32 s4, 0x80
	v_cmp_eq_u16_sdwa s[12:13], v9, s4 src0_sel:BYTE_3 src1_sel:DWORD
	s_mov_b64 s[4:5], -1
                                        ; implicit-def: $sgpr10
	s_and_saveexec_b64 s[8:9], s[12:13]
; %bb.3450:
	s_mov_b32 s10, 0x7f800001
	s_xor_b64 s[4:5], exec, -1
; %bb.3451:
	s_or_b64 exec, exec, s[8:9]
	s_and_b64 s[4:5], s[4:5], exec
	s_or_saveexec_b64 s[6:7], s[6:7]
	v_mov_b32_e32 v2, s10
	s_xor_b64 exec, exec, s[6:7]
	s_cbranch_execz .LBB4_1402
.LBB4_3452:
	v_mov_b32_e32 v2, 0
	v_cmp_ne_u16_sdwa s[8:9], v9, v2 src0_sel:BYTE_3 src1_sel:DWORD
	s_andn2_b64 s[4:5], s[4:5], exec
	s_and_b64 s[8:9], s[8:9], exec
	s_or_b64 s[4:5], s[4:5], s[8:9]
	s_or_b64 exec, exec, s[6:7]
	s_and_saveexec_b64 s[6:7], s[4:5]
	s_cbranch_execnz .LBB4_1403
	s_branch .LBB4_1404
.LBB4_3453:
	s_movk_i32 s4, 0x80
	v_cmp_eq_u16_sdwa s[12:13], v5, s4 src0_sel:BYTE_3 src1_sel:DWORD
	s_mov_b64 s[4:5], -1
                                        ; implicit-def: $sgpr10
	s_and_saveexec_b64 s[8:9], s[12:13]
; %bb.3454:
	s_mov_b32 s10, 0x7f800001
	s_xor_b64 s[4:5], exec, -1
; %bb.3455:
	s_or_b64 exec, exec, s[8:9]
	s_and_b64 s[4:5], s[4:5], exec
	s_or_saveexec_b64 s[6:7], s[6:7]
	v_mov_b32_e32 v3, s10
	s_xor_b64 exec, exec, s[6:7]
	s_cbranch_execz .LBB4_1406
.LBB4_3456:
	v_mov_b32_e32 v3, 0
	v_cmp_ne_u16_sdwa s[8:9], v5, v3 src0_sel:BYTE_3 src1_sel:DWORD
	s_andn2_b64 s[4:5], s[4:5], exec
	s_and_b64 s[8:9], s[8:9], exec
	s_or_b64 s[4:5], s[4:5], s[8:9]
	s_or_b64 exec, exec, s[6:7]
	s_and_saveexec_b64 s[6:7], s[4:5]
	s_cbranch_execnz .LBB4_1407
	s_branch .LBB4_1408
.LBB4_3457:
	s_movk_i32 s4, 0x80
	v_cmp_eq_u16_sdwa s[12:13], v6, s4 src0_sel:BYTE_0 src1_sel:DWORD
	s_mov_b64 s[4:5], -1
                                        ; implicit-def: $sgpr10
	s_and_saveexec_b64 s[8:9], s[12:13]
; %bb.3458:
	s_mov_b32 s10, 0x7f800001
	s_xor_b64 s[4:5], exec, -1
; %bb.3459:
	s_or_b64 exec, exec, s[8:9]
	s_and_b64 s[4:5], s[4:5], exec
	s_or_saveexec_b64 s[6:7], s[6:7]
	v_mov_b32_e32 v12, s10
	s_xor_b64 exec, exec, s[6:7]
	s_cbranch_execz .LBB4_1410
.LBB4_3460:
	v_mov_b32_e32 v12, 0
	v_cmp_ne_u16_sdwa s[8:9], v6, v12 src0_sel:BYTE_0 src1_sel:DWORD
	s_andn2_b64 s[4:5], s[4:5], exec
	s_and_b64 s[8:9], s[8:9], exec
	s_or_b64 s[4:5], s[4:5], s[8:9]
	s_or_b64 exec, exec, s[6:7]
	s_and_saveexec_b64 s[6:7], s[4:5]
	s_cbranch_execnz .LBB4_1411
	s_branch .LBB4_1412
.LBB4_3461:
	s_movk_i32 s4, 0x80
	v_cmp_eq_u16_sdwa s[12:13], v2, s4 src0_sel:BYTE_0 src1_sel:DWORD
	s_mov_b64 s[4:5], -1
                                        ; implicit-def: $sgpr10
	s_and_saveexec_b64 s[8:9], s[12:13]
; %bb.3462:
	s_mov_b32 s10, 0x7f800001
	s_xor_b64 s[4:5], exec, -1
; %bb.3463:
	s_or_b64 exec, exec, s[8:9]
	s_and_b64 s[4:5], s[4:5], exec
	s_or_saveexec_b64 s[6:7], s[6:7]
	v_mov_b32_e32 v13, s10
	s_xor_b64 exec, exec, s[6:7]
	s_cbranch_execz .LBB4_1414
.LBB4_3464:
	v_mov_b32_e32 v13, 0
	v_cmp_ne_u16_sdwa s[8:9], v2, v13 src0_sel:BYTE_0 src1_sel:DWORD
	s_andn2_b64 s[4:5], s[4:5], exec
	s_and_b64 s[8:9], s[8:9], exec
	s_or_b64 s[4:5], s[4:5], s[8:9]
	s_or_b64 exec, exec, s[6:7]
	s_and_saveexec_b64 s[6:7], s[4:5]
	s_cbranch_execnz .LBB4_1415
	s_branch .LBB4_1416
.LBB4_3465:
	s_movk_i32 s4, 0x80
	v_cmp_eq_u16_sdwa s[12:13], v13, s4 src0_sel:BYTE_0 src1_sel:DWORD
	s_mov_b64 s[4:5], -1
                                        ; implicit-def: $sgpr10
	s_and_saveexec_b64 s[8:9], s[12:13]
; %bb.3466:
	s_mov_b32 s10, 0x7f800001
	s_xor_b64 s[4:5], exec, -1
; %bb.3467:
	s_or_b64 exec, exec, s[8:9]
	s_and_b64 s[4:5], s[4:5], exec
	s_or_saveexec_b64 s[6:7], s[6:7]
	v_mov_b32_e32 v12, s10
	s_xor_b64 exec, exec, s[6:7]
	s_cbranch_execz .LBB4_1418
.LBB4_3468:
	v_mov_b32_e32 v12, 0
	v_cmp_ne_u16_sdwa s[8:9], v13, v12 src0_sel:BYTE_0 src1_sel:DWORD
	s_andn2_b64 s[4:5], s[4:5], exec
	s_and_b64 s[8:9], s[8:9], exec
	s_or_b64 s[4:5], s[4:5], s[8:9]
	s_or_b64 exec, exec, s[6:7]
	s_and_saveexec_b64 s[6:7], s[4:5]
	s_cbranch_execnz .LBB4_1419
	s_branch .LBB4_1420
.LBB4_3469:
	s_movk_i32 s4, 0x80
	v_cmp_eq_u16_sdwa s[12:13], v13, s4 src0_sel:BYTE_0 src1_sel:DWORD
	s_mov_b64 s[4:5], -1
                                        ; implicit-def: $sgpr10
	s_and_saveexec_b64 s[8:9], s[12:13]
; %bb.3470:
	s_mov_b32 s10, 0x7f800001
	s_xor_b64 s[4:5], exec, -1
; %bb.3471:
	s_or_b64 exec, exec, s[8:9]
	s_and_b64 s[4:5], s[4:5], exec
	s_or_saveexec_b64 s[6:7], s[6:7]
	v_mov_b32_e32 v14, s10
	s_xor_b64 exec, exec, s[6:7]
	s_cbranch_execz .LBB4_1422
.LBB4_3472:
	v_mov_b32_e32 v14, 0
	v_cmp_ne_u16_sdwa s[8:9], v13, v14 src0_sel:BYTE_0 src1_sel:DWORD
	s_andn2_b64 s[4:5], s[4:5], exec
	s_and_b64 s[8:9], s[8:9], exec
	s_or_b64 s[4:5], s[4:5], s[8:9]
	s_or_b64 exec, exec, s[6:7]
	s_and_saveexec_b64 s[6:7], s[4:5]
	s_cbranch_execnz .LBB4_1423
	s_branch .LBB4_1424
.LBB4_3473:
	s_movk_i32 s4, 0x80
	v_cmp_eq_u16_e32 vcc, s4, v13
	s_mov_b64 s[4:5], -1
                                        ; implicit-def: $sgpr10
	s_and_saveexec_b64 s[8:9], vcc
; %bb.3474:
	s_mov_b32 s10, 0x7f800001
	s_xor_b64 s[4:5], exec, -1
; %bb.3475:
	s_or_b64 exec, exec, s[8:9]
	s_and_b64 s[4:5], s[4:5], exec
                                        ; implicit-def: $vgpr13
	s_or_saveexec_b64 s[6:7], s[6:7]
	v_mov_b32_e32 v12, s10
	s_xor_b64 exec, exec, s[6:7]
	s_cbranch_execz .LBB4_1426
.LBB4_3476:
	v_cmp_ne_u16_e32 vcc, 0, v13
	s_andn2_b64 s[4:5], s[4:5], exec
	s_and_b64 s[8:9], vcc, exec
	v_mov_b32_e32 v12, 0
	s_or_b64 s[4:5], s[4:5], s[8:9]
	s_or_b64 exec, exec, s[6:7]
	s_and_saveexec_b64 s[6:7], s[4:5]
	s_cbranch_execnz .LBB4_1427
	s_branch .LBB4_1428
.LBB4_3477:
	s_movk_i32 s4, 0x80
	v_cmp_eq_u16_e32 vcc, s4, v13
	s_mov_b64 s[4:5], -1
                                        ; implicit-def: $sgpr10
	s_and_saveexec_b64 s[8:9], vcc
; %bb.3478:
	s_mov_b32 s10, 0x7f800001
	s_xor_b64 s[4:5], exec, -1
; %bb.3479:
	s_or_b64 exec, exec, s[8:9]
	s_and_b64 s[4:5], s[4:5], exec
                                        ; implicit-def: $vgpr13
	s_or_saveexec_b64 s[6:7], s[6:7]
	v_mov_b32_e32 v14, s10
	s_xor_b64 exec, exec, s[6:7]
	s_cbranch_execz .LBB4_1430
.LBB4_3480:
	v_cmp_ne_u16_e32 vcc, 0, v13
	s_andn2_b64 s[4:5], s[4:5], exec
	s_and_b64 s[8:9], vcc, exec
	v_mov_b32_e32 v14, 0
	s_or_b64 s[4:5], s[4:5], s[8:9]
	s_or_b64 exec, exec, s[6:7]
	s_and_saveexec_b64 s[6:7], s[4:5]
	s_cbranch_execnz .LBB4_1431
	s_branch .LBB4_1432
.LBB4_3481:
	s_movk_i32 s4, 0x80
	v_cmp_eq_u16_sdwa s[12:13], v6, s4 src0_sel:BYTE_3 src1_sel:DWORD
	s_mov_b64 s[4:5], -1
                                        ; implicit-def: $sgpr10
	s_and_saveexec_b64 s[8:9], s[12:13]
; %bb.3482:
	s_mov_b32 s10, 0x7f800001
	s_xor_b64 s[4:5], exec, -1
; %bb.3483:
	s_or_b64 exec, exec, s[8:9]
	s_and_b64 s[4:5], s[4:5], exec
	s_or_saveexec_b64 s[6:7], s[6:7]
	v_mov_b32_e32 v12, s10
	s_xor_b64 exec, exec, s[6:7]
	s_cbranch_execz .LBB4_1434
.LBB4_3484:
	v_mov_b32_e32 v12, 0
	v_cmp_ne_u16_sdwa s[8:9], v6, v12 src0_sel:BYTE_3 src1_sel:DWORD
	s_andn2_b64 s[4:5], s[4:5], exec
	s_and_b64 s[8:9], s[8:9], exec
	s_or_b64 s[4:5], s[4:5], s[8:9]
	s_or_b64 exec, exec, s[6:7]
	s_and_saveexec_b64 s[6:7], s[4:5]
	s_cbranch_execnz .LBB4_1435
	s_branch .LBB4_1436
.LBB4_3485:
	s_movk_i32 s4, 0x80
	v_cmp_eq_u16_sdwa s[12:13], v2, s4 src0_sel:BYTE_3 src1_sel:DWORD
	s_mov_b64 s[4:5], -1
                                        ; implicit-def: $sgpr10
	s_and_saveexec_b64 s[8:9], s[12:13]
; %bb.3486:
	s_mov_b32 s10, 0x7f800001
	s_xor_b64 s[4:5], exec, -1
; %bb.3487:
	s_or_b64 exec, exec, s[8:9]
	s_and_b64 s[4:5], s[4:5], exec
	s_or_saveexec_b64 s[6:7], s[6:7]
	v_mov_b32_e32 v6, s10
	s_xor_b64 exec, exec, s[6:7]
	s_cbranch_execz .LBB4_1438
.LBB4_3488:
	v_mov_b32_e32 v6, 0
	v_cmp_ne_u16_sdwa s[8:9], v2, v6 src0_sel:BYTE_3 src1_sel:DWORD
	s_andn2_b64 s[4:5], s[4:5], exec
	s_and_b64 s[8:9], s[8:9], exec
	s_or_b64 s[4:5], s[4:5], s[8:9]
	s_or_b64 exec, exec, s[6:7]
	s_and_saveexec_b64 s[6:7], s[4:5]
	s_cbranch_execnz .LBB4_1439
	s_branch .LBB4_1440
.LBB4_3489:
	s_movk_i32 s4, 0x80
	v_cmp_eq_u16_sdwa s[12:13], v7, s4 src0_sel:BYTE_0 src1_sel:DWORD
	s_mov_b64 s[4:5], -1
                                        ; implicit-def: $sgpr10
	s_and_saveexec_b64 s[8:9], s[12:13]
; %bb.3490:
	s_mov_b32 s10, 0x7f800001
	s_xor_b64 s[4:5], exec, -1
; %bb.3491:
	s_or_b64 exec, exec, s[8:9]
	s_and_b64 s[4:5], s[4:5], exec
	s_or_saveexec_b64 s[6:7], s[6:7]
	v_mov_b32_e32 v2, s10
	s_xor_b64 exec, exec, s[6:7]
	s_cbranch_execz .LBB4_1442
.LBB4_3492:
	v_mov_b32_e32 v2, 0
	v_cmp_ne_u16_sdwa s[8:9], v7, v2 src0_sel:BYTE_0 src1_sel:DWORD
	s_andn2_b64 s[4:5], s[4:5], exec
	s_and_b64 s[8:9], s[8:9], exec
	s_or_b64 s[4:5], s[4:5], s[8:9]
	s_or_b64 exec, exec, s[6:7]
	s_and_saveexec_b64 s[6:7], s[4:5]
	s_cbranch_execnz .LBB4_1443
	s_branch .LBB4_1444
.LBB4_3493:
	s_movk_i32 s4, 0x80
	v_cmp_eq_u16_sdwa s[12:13], v3, s4 src0_sel:BYTE_0 src1_sel:DWORD
	s_mov_b64 s[4:5], -1
                                        ; implicit-def: $sgpr10
	s_and_saveexec_b64 s[8:9], s[12:13]
; %bb.3494:
	s_mov_b32 s10, 0x7f800001
	s_xor_b64 s[4:5], exec, -1
; %bb.3495:
	s_or_b64 exec, exec, s[8:9]
	s_and_b64 s[4:5], s[4:5], exec
	s_or_saveexec_b64 s[6:7], s[6:7]
	v_mov_b32_e32 v6, s10
	s_xor_b64 exec, exec, s[6:7]
	s_cbranch_execz .LBB4_1446
.LBB4_3496:
	v_mov_b32_e32 v6, 0
	v_cmp_ne_u16_sdwa s[8:9], v3, v6 src0_sel:BYTE_0 src1_sel:DWORD
	s_andn2_b64 s[4:5], s[4:5], exec
	s_and_b64 s[8:9], s[8:9], exec
	s_or_b64 s[4:5], s[4:5], s[8:9]
	s_or_b64 exec, exec, s[6:7]
	s_and_saveexec_b64 s[6:7], s[4:5]
	s_cbranch_execnz .LBB4_1447
	s_branch .LBB4_1448
.LBB4_3497:
	s_movk_i32 s4, 0x80
	v_cmp_eq_u16_sdwa s[12:13], v6, s4 src0_sel:BYTE_0 src1_sel:DWORD
	s_mov_b64 s[4:5], -1
                                        ; implicit-def: $sgpr10
	s_and_saveexec_b64 s[8:9], s[12:13]
; %bb.3498:
	s_mov_b32 s10, 0x7f800001
	s_xor_b64 s[4:5], exec, -1
; %bb.3499:
	s_or_b64 exec, exec, s[8:9]
	s_and_b64 s[4:5], s[4:5], exec
	s_or_saveexec_b64 s[6:7], s[6:7]
	v_mov_b32_e32 v2, s10
	s_xor_b64 exec, exec, s[6:7]
	s_cbranch_execz .LBB4_1450
.LBB4_3500:
	v_mov_b32_e32 v2, 0
	v_cmp_ne_u16_sdwa s[8:9], v6, v2 src0_sel:BYTE_0 src1_sel:DWORD
	s_andn2_b64 s[4:5], s[4:5], exec
	s_and_b64 s[8:9], s[8:9], exec
	s_or_b64 s[4:5], s[4:5], s[8:9]
	s_or_b64 exec, exec, s[6:7]
	s_and_saveexec_b64 s[6:7], s[4:5]
	s_cbranch_execnz .LBB4_1451
	s_branch .LBB4_1452
.LBB4_3501:
	s_movk_i32 s4, 0x80
	v_cmp_eq_u16_sdwa s[12:13], v6, s4 src0_sel:BYTE_0 src1_sel:DWORD
	s_mov_b64 s[4:5], -1
                                        ; implicit-def: $sgpr10
	s_and_saveexec_b64 s[8:9], s[12:13]
; %bb.3502:
	s_mov_b32 s10, 0x7f800001
	s_xor_b64 s[4:5], exec, -1
; %bb.3503:
	s_or_b64 exec, exec, s[8:9]
	s_and_b64 s[4:5], s[4:5], exec
	s_or_saveexec_b64 s[6:7], s[6:7]
	v_mov_b32_e32 v12, s10
	s_xor_b64 exec, exec, s[6:7]
	s_cbranch_execz .LBB4_1454
.LBB4_3504:
	v_mov_b32_e32 v12, 0
	v_cmp_ne_u16_sdwa s[8:9], v6, v12 src0_sel:BYTE_0 src1_sel:DWORD
	s_andn2_b64 s[4:5], s[4:5], exec
	s_and_b64 s[8:9], s[8:9], exec
	s_or_b64 s[4:5], s[4:5], s[8:9]
	s_or_b64 exec, exec, s[6:7]
	s_and_saveexec_b64 s[6:7], s[4:5]
	s_cbranch_execnz .LBB4_1455
	s_branch .LBB4_1456
.LBB4_3505:
	s_movk_i32 s4, 0x80
	v_cmp_eq_u16_e32 vcc, s4, v6
	s_mov_b64 s[4:5], -1
                                        ; implicit-def: $sgpr10
	s_and_saveexec_b64 s[8:9], vcc
; %bb.3506:
	s_mov_b32 s10, 0x7f800001
	s_xor_b64 s[4:5], exec, -1
; %bb.3507:
	s_or_b64 exec, exec, s[8:9]
	s_and_b64 s[4:5], s[4:5], exec
                                        ; implicit-def: $vgpr6
	s_or_saveexec_b64 s[6:7], s[6:7]
	v_mov_b32_e32 v2, s10
	s_xor_b64 exec, exec, s[6:7]
	s_cbranch_execz .LBB4_1458
.LBB4_3508:
	v_cmp_ne_u16_e32 vcc, 0, v6
	s_andn2_b64 s[4:5], s[4:5], exec
	s_and_b64 s[8:9], vcc, exec
	v_mov_b32_e32 v2, 0
	s_or_b64 s[4:5], s[4:5], s[8:9]
	s_or_b64 exec, exec, s[6:7]
	s_and_saveexec_b64 s[6:7], s[4:5]
	s_cbranch_execnz .LBB4_1459
	s_branch .LBB4_1460
.LBB4_3509:
	s_movk_i32 s4, 0x80
	v_cmp_eq_u16_e32 vcc, s4, v6
	s_mov_b64 s[4:5], -1
                                        ; implicit-def: $sgpr10
	s_and_saveexec_b64 s[8:9], vcc
; %bb.3510:
	s_mov_b32 s10, 0x7f800001
	s_xor_b64 s[4:5], exec, -1
; %bb.3511:
	s_or_b64 exec, exec, s[8:9]
	s_and_b64 s[4:5], s[4:5], exec
                                        ; implicit-def: $vgpr6
	s_or_saveexec_b64 s[6:7], s[6:7]
	v_mov_b32_e32 v12, s10
	s_xor_b64 exec, exec, s[6:7]
	s_cbranch_execz .LBB4_1462
.LBB4_3512:
	v_cmp_ne_u16_e32 vcc, 0, v6
	s_andn2_b64 s[4:5], s[4:5], exec
	s_and_b64 s[8:9], vcc, exec
	v_mov_b32_e32 v12, 0
	s_or_b64 s[4:5], s[4:5], s[8:9]
	s_or_b64 exec, exec, s[6:7]
	s_and_saveexec_b64 s[6:7], s[4:5]
	s_cbranch_execnz .LBB4_1463
	s_branch .LBB4_1464
.LBB4_3513:
	s_movk_i32 s4, 0x80
	v_cmp_eq_u16_sdwa s[12:13], v7, s4 src0_sel:BYTE_3 src1_sel:DWORD
	s_mov_b64 s[4:5], -1
                                        ; implicit-def: $sgpr10
	s_and_saveexec_b64 s[8:9], s[12:13]
; %bb.3514:
	s_mov_b32 s10, 0x7f800001
	s_xor_b64 s[4:5], exec, -1
; %bb.3515:
	s_or_b64 exec, exec, s[8:9]
	s_and_b64 s[4:5], s[4:5], exec
	s_or_saveexec_b64 s[6:7], s[6:7]
	v_mov_b32_e32 v2, s10
	s_xor_b64 exec, exec, s[6:7]
	s_cbranch_execz .LBB4_1466
.LBB4_3516:
	v_mov_b32_e32 v2, 0
	v_cmp_ne_u16_sdwa s[8:9], v7, v2 src0_sel:BYTE_3 src1_sel:DWORD
	s_andn2_b64 s[4:5], s[4:5], exec
	s_and_b64 s[8:9], s[8:9], exec
	s_or_b64 s[4:5], s[4:5], s[8:9]
	s_or_b64 exec, exec, s[6:7]
	s_and_saveexec_b64 s[6:7], s[4:5]
	s_cbranch_execnz .LBB4_1467
	s_branch .LBB4_1468
.LBB4_3517:
	s_movk_i32 s4, 0x80
	v_cmp_eq_u16_sdwa s[12:13], v3, s4 src0_sel:BYTE_3 src1_sel:DWORD
	s_mov_b64 s[4:5], -1
                                        ; implicit-def: $sgpr10
	s_and_saveexec_b64 s[8:9], s[12:13]
; %bb.3518:
	s_mov_b32 s10, 0x7f800001
	s_xor_b64 s[4:5], exec, -1
; %bb.3519:
	s_or_b64 exec, exec, s[8:9]
	s_and_b64 s[4:5], s[4:5], exec
	s_or_saveexec_b64 s[6:7], s[6:7]
	v_mov_b32_e32 v6, s10
	s_xor_b64 exec, exec, s[6:7]
	s_cbranch_execz .LBB4_1470
.LBB4_3520:
	v_mov_b32_e32 v6, 0
	v_cmp_ne_u16_sdwa s[8:9], v3, v6 src0_sel:BYTE_3 src1_sel:DWORD
	s_andn2_b64 s[4:5], s[4:5], exec
	s_and_b64 s[8:9], s[8:9], exec
	s_or_b64 s[4:5], s[4:5], s[8:9]
	s_or_b64 exec, exec, s[6:7]
	s_and_saveexec_b64 s[6:7], s[4:5]
	s_cbranch_execnz .LBB4_1471
	s_branch .LBB4_1472
.LBB4_3521:
	s_movk_i32 s4, 0x80
	v_cmp_eq_u16_sdwa s[12:13], v8, s4 src0_sel:BYTE_0 src1_sel:DWORD
	s_mov_b64 s[4:5], -1
                                        ; implicit-def: $sgpr10
	s_and_saveexec_b64 s[8:9], s[12:13]
; %bb.3522:
	s_mov_b32 s10, 0x7f800001
	s_xor_b64 s[4:5], exec, -1
; %bb.3523:
	s_or_b64 exec, exec, s[8:9]
	s_and_b64 s[4:5], s[4:5], exec
	s_or_saveexec_b64 s[6:7], s[6:7]
	v_mov_b32_e32 v2, s10
	s_xor_b64 exec, exec, s[6:7]
	s_cbranch_execz .LBB4_1474
.LBB4_3524:
	v_mov_b32_e32 v2, 0
	v_cmp_ne_u16_sdwa s[8:9], v8, v2 src0_sel:BYTE_0 src1_sel:DWORD
	s_andn2_b64 s[4:5], s[4:5], exec
	s_and_b64 s[8:9], s[8:9], exec
	s_or_b64 s[4:5], s[4:5], s[8:9]
	s_or_b64 exec, exec, s[6:7]
	s_and_saveexec_b64 s[6:7], s[4:5]
	s_cbranch_execnz .LBB4_1475
	s_branch .LBB4_1476
.LBB4_3525:
	s_movk_i32 s4, 0x80
	v_cmp_eq_u16_sdwa s[12:13], v4, s4 src0_sel:BYTE_0 src1_sel:DWORD
	s_mov_b64 s[4:5], -1
                                        ; implicit-def: $sgpr10
	s_and_saveexec_b64 s[8:9], s[12:13]
; %bb.3526:
	s_mov_b32 s10, 0x7f800001
	s_xor_b64 s[4:5], exec, -1
; %bb.3527:
	s_or_b64 exec, exec, s[8:9]
	s_and_b64 s[4:5], s[4:5], exec
	s_or_saveexec_b64 s[6:7], s[6:7]
	v_mov_b32_e32 v3, s10
	s_xor_b64 exec, exec, s[6:7]
	s_cbranch_execz .LBB4_1478
.LBB4_3528:
	v_mov_b32_e32 v3, 0
	v_cmp_ne_u16_sdwa s[8:9], v4, v3 src0_sel:BYTE_0 src1_sel:DWORD
	s_andn2_b64 s[4:5], s[4:5], exec
	s_and_b64 s[8:9], s[8:9], exec
	s_or_b64 s[4:5], s[4:5], s[8:9]
	s_or_b64 exec, exec, s[6:7]
	s_and_saveexec_b64 s[6:7], s[4:5]
	s_cbranch_execnz .LBB4_1479
	s_branch .LBB4_1480
.LBB4_3529:
	s_movk_i32 s4, 0x80
	v_cmp_eq_u16_sdwa s[12:13], v3, s4 src0_sel:BYTE_0 src1_sel:DWORD
	s_mov_b64 s[4:5], -1
                                        ; implicit-def: $sgpr10
	s_and_saveexec_b64 s[8:9], s[12:13]
; %bb.3530:
	s_mov_b32 s10, 0x7f800001
	s_xor_b64 s[4:5], exec, -1
; %bb.3531:
	s_or_b64 exec, exec, s[8:9]
	s_and_b64 s[4:5], s[4:5], exec
	s_or_saveexec_b64 s[6:7], s[6:7]
	v_mov_b32_e32 v2, s10
	s_xor_b64 exec, exec, s[6:7]
	s_cbranch_execz .LBB4_1482
.LBB4_3532:
	v_mov_b32_e32 v2, 0
	v_cmp_ne_u16_sdwa s[8:9], v3, v2 src0_sel:BYTE_0 src1_sel:DWORD
	s_andn2_b64 s[4:5], s[4:5], exec
	s_and_b64 s[8:9], s[8:9], exec
	s_or_b64 s[4:5], s[4:5], s[8:9]
	s_or_b64 exec, exec, s[6:7]
	s_and_saveexec_b64 s[6:7], s[4:5]
	s_cbranch_execnz .LBB4_1483
	s_branch .LBB4_1484
.LBB4_3533:
	s_movk_i32 s4, 0x80
	v_cmp_eq_u16_sdwa s[12:13], v3, s4 src0_sel:BYTE_0 src1_sel:DWORD
	s_mov_b64 s[4:5], -1
                                        ; implicit-def: $sgpr10
	s_and_saveexec_b64 s[8:9], s[12:13]
; %bb.3534:
	s_mov_b32 s10, 0x7f800001
	s_xor_b64 s[4:5], exec, -1
; %bb.3535:
	s_or_b64 exec, exec, s[8:9]
	s_and_b64 s[4:5], s[4:5], exec
	s_or_saveexec_b64 s[6:7], s[6:7]
	v_mov_b32_e32 v6, s10
	s_xor_b64 exec, exec, s[6:7]
	s_cbranch_execz .LBB4_1486
.LBB4_3536:
	v_mov_b32_e32 v6, 0
	v_cmp_ne_u16_sdwa s[8:9], v3, v6 src0_sel:BYTE_0 src1_sel:DWORD
	s_andn2_b64 s[4:5], s[4:5], exec
	s_and_b64 s[8:9], s[8:9], exec
	s_or_b64 s[4:5], s[4:5], s[8:9]
	s_or_b64 exec, exec, s[6:7]
	s_and_saveexec_b64 s[6:7], s[4:5]
	s_cbranch_execnz .LBB4_1487
	s_branch .LBB4_1488
.LBB4_3537:
	s_movk_i32 s4, 0x80
	v_cmp_eq_u16_e32 vcc, s4, v3
	s_mov_b64 s[4:5], -1
                                        ; implicit-def: $sgpr10
	s_and_saveexec_b64 s[8:9], vcc
; %bb.3538:
	s_mov_b32 s10, 0x7f800001
	s_xor_b64 s[4:5], exec, -1
; %bb.3539:
	s_or_b64 exec, exec, s[8:9]
	s_and_b64 s[4:5], s[4:5], exec
                                        ; implicit-def: $vgpr3
	s_or_saveexec_b64 s[6:7], s[6:7]
	v_mov_b32_e32 v2, s10
	s_xor_b64 exec, exec, s[6:7]
	s_cbranch_execz .LBB4_1490
.LBB4_3540:
	v_cmp_ne_u16_e32 vcc, 0, v3
	s_andn2_b64 s[4:5], s[4:5], exec
	s_and_b64 s[8:9], vcc, exec
	v_mov_b32_e32 v2, 0
	s_or_b64 s[4:5], s[4:5], s[8:9]
	s_or_b64 exec, exec, s[6:7]
	s_and_saveexec_b64 s[6:7], s[4:5]
	s_cbranch_execnz .LBB4_1491
	s_branch .LBB4_1492
.LBB4_3541:
	s_movk_i32 s4, 0x80
	v_cmp_eq_u16_e32 vcc, s4, v3
	s_mov_b64 s[4:5], -1
                                        ; implicit-def: $sgpr10
	s_and_saveexec_b64 s[8:9], vcc
; %bb.3542:
	s_mov_b32 s10, 0x7f800001
	s_xor_b64 s[4:5], exec, -1
; %bb.3543:
	s_or_b64 exec, exec, s[8:9]
	s_and_b64 s[4:5], s[4:5], exec
                                        ; implicit-def: $vgpr3
	s_or_saveexec_b64 s[6:7], s[6:7]
	v_mov_b32_e32 v6, s10
	s_xor_b64 exec, exec, s[6:7]
	s_cbranch_execz .LBB4_1494
.LBB4_3544:
	v_cmp_ne_u16_e32 vcc, 0, v3
	s_andn2_b64 s[4:5], s[4:5], exec
	s_and_b64 s[8:9], vcc, exec
	v_mov_b32_e32 v6, 0
	s_or_b64 s[4:5], s[4:5], s[8:9]
	s_or_b64 exec, exec, s[6:7]
	s_and_saveexec_b64 s[6:7], s[4:5]
	s_cbranch_execnz .LBB4_1495
	s_branch .LBB4_1496
.LBB4_3545:
	s_movk_i32 s4, 0x80
	v_cmp_eq_u16_sdwa s[12:13], v8, s4 src0_sel:BYTE_3 src1_sel:DWORD
	s_mov_b64 s[4:5], -1
                                        ; implicit-def: $sgpr10
	s_and_saveexec_b64 s[8:9], s[12:13]
; %bb.3546:
	s_mov_b32 s10, 0x7f800001
	s_xor_b64 s[4:5], exec, -1
; %bb.3547:
	s_or_b64 exec, exec, s[8:9]
	s_and_b64 s[4:5], s[4:5], exec
	s_or_saveexec_b64 s[6:7], s[6:7]
	v_mov_b32_e32 v2, s10
	s_xor_b64 exec, exec, s[6:7]
	s_cbranch_execz .LBB4_1498
.LBB4_3548:
	v_mov_b32_e32 v2, 0
	v_cmp_ne_u16_sdwa s[8:9], v8, v2 src0_sel:BYTE_3 src1_sel:DWORD
	s_andn2_b64 s[4:5], s[4:5], exec
	s_and_b64 s[8:9], s[8:9], exec
	s_or_b64 s[4:5], s[4:5], s[8:9]
	s_or_b64 exec, exec, s[6:7]
	s_and_saveexec_b64 s[6:7], s[4:5]
	s_cbranch_execnz .LBB4_1499
	s_branch .LBB4_1500
.LBB4_3549:
	s_movk_i32 s4, 0x80
	v_cmp_eq_u16_sdwa s[12:13], v4, s4 src0_sel:BYTE_3 src1_sel:DWORD
	s_mov_b64 s[4:5], -1
                                        ; implicit-def: $sgpr10
	s_and_saveexec_b64 s[8:9], s[12:13]
; %bb.3550:
	s_mov_b32 s10, 0x7f800001
	s_xor_b64 s[4:5], exec, -1
; %bb.3551:
	s_or_b64 exec, exec, s[8:9]
	s_and_b64 s[4:5], s[4:5], exec
	s_or_saveexec_b64 s[6:7], s[6:7]
	v_mov_b32_e32 v3, s10
	s_xor_b64 exec, exec, s[6:7]
	s_cbranch_execz .LBB4_1502
.LBB4_3552:
	v_mov_b32_e32 v3, 0
	v_cmp_ne_u16_sdwa s[8:9], v4, v3 src0_sel:BYTE_3 src1_sel:DWORD
	s_andn2_b64 s[4:5], s[4:5], exec
	s_and_b64 s[8:9], s[8:9], exec
	s_or_b64 s[4:5], s[4:5], s[8:9]
	s_or_b64 exec, exec, s[6:7]
	s_and_saveexec_b64 s[6:7], s[4:5]
	s_cbranch_execnz .LBB4_1503
	s_branch .LBB4_1504
.LBB4_3553:
	s_movk_i32 s4, 0x80
	v_cmp_eq_u16_sdwa s[12:13], v9, s4 src0_sel:BYTE_0 src1_sel:DWORD
	s_mov_b64 s[4:5], -1
                                        ; implicit-def: $sgpr10
	s_and_saveexec_b64 s[8:9], s[12:13]
; %bb.3554:
	s_mov_b32 s10, 0x7f800001
	s_xor_b64 s[4:5], exec, -1
; %bb.3555:
	s_or_b64 exec, exec, s[8:9]
	s_and_b64 s[4:5], s[4:5], exec
	s_or_saveexec_b64 s[6:7], s[6:7]
	v_mov_b32_e32 v2, s10
	s_xor_b64 exec, exec, s[6:7]
	s_cbranch_execz .LBB4_1506
.LBB4_3556:
	v_mov_b32_e32 v2, 0
	v_cmp_ne_u16_sdwa s[8:9], v9, v2 src0_sel:BYTE_0 src1_sel:DWORD
	s_andn2_b64 s[4:5], s[4:5], exec
	s_and_b64 s[8:9], s[8:9], exec
	s_or_b64 s[4:5], s[4:5], s[8:9]
	s_or_b64 exec, exec, s[6:7]
	s_and_saveexec_b64 s[6:7], s[4:5]
	s_cbranch_execnz .LBB4_1507
	s_branch .LBB4_1508
.LBB4_3557:
	s_movk_i32 s4, 0x80
	v_cmp_eq_u16_sdwa s[12:13], v5, s4 src0_sel:BYTE_0 src1_sel:DWORD
	s_mov_b64 s[4:5], -1
                                        ; implicit-def: $sgpr10
	s_and_saveexec_b64 s[8:9], s[12:13]
; %bb.3558:
	s_mov_b32 s10, 0x7f800001
	s_xor_b64 s[4:5], exec, -1
; %bb.3559:
	s_or_b64 exec, exec, s[8:9]
	s_and_b64 s[4:5], s[4:5], exec
	s_or_saveexec_b64 s[6:7], s[6:7]
	v_mov_b32_e32 v3, s10
	s_xor_b64 exec, exec, s[6:7]
	s_cbranch_execz .LBB4_1510
.LBB4_3560:
	v_mov_b32_e32 v3, 0
	v_cmp_ne_u16_sdwa s[8:9], v5, v3 src0_sel:BYTE_0 src1_sel:DWORD
	s_andn2_b64 s[4:5], s[4:5], exec
	s_and_b64 s[8:9], s[8:9], exec
	s_or_b64 s[4:5], s[4:5], s[8:9]
	s_or_b64 exec, exec, s[6:7]
	s_and_saveexec_b64 s[6:7], s[4:5]
	s_cbranch_execnz .LBB4_1511
	s_branch .LBB4_1512
.LBB4_3561:
	s_movk_i32 s4, 0x80
	v_cmp_eq_u16_sdwa s[12:13], v3, s4 src0_sel:BYTE_0 src1_sel:DWORD
	s_mov_b64 s[4:5], -1
                                        ; implicit-def: $sgpr10
	s_and_saveexec_b64 s[8:9], s[12:13]
; %bb.3562:
	s_mov_b32 s10, 0x7f800001
	s_xor_b64 s[4:5], exec, -1
; %bb.3563:
	s_or_b64 exec, exec, s[8:9]
	s_and_b64 s[4:5], s[4:5], exec
	s_or_saveexec_b64 s[6:7], s[6:7]
	v_mov_b32_e32 v2, s10
	s_xor_b64 exec, exec, s[6:7]
	s_cbranch_execz .LBB4_1514
.LBB4_3564:
	v_mov_b32_e32 v2, 0
	v_cmp_ne_u16_sdwa s[8:9], v3, v2 src0_sel:BYTE_0 src1_sel:DWORD
	s_andn2_b64 s[4:5], s[4:5], exec
	s_and_b64 s[8:9], s[8:9], exec
	s_or_b64 s[4:5], s[4:5], s[8:9]
	s_or_b64 exec, exec, s[6:7]
	s_and_saveexec_b64 s[6:7], s[4:5]
	s_cbranch_execnz .LBB4_1515
	s_branch .LBB4_1516
.LBB4_3565:
	s_movk_i32 s4, 0x80
	v_cmp_eq_u16_sdwa s[12:13], v3, s4 src0_sel:BYTE_0 src1_sel:DWORD
	s_mov_b64 s[4:5], -1
                                        ; implicit-def: $sgpr10
	s_and_saveexec_b64 s[8:9], s[12:13]
; %bb.3566:
	s_mov_b32 s10, 0x7f800001
	s_xor_b64 s[4:5], exec, -1
; %bb.3567:
	s_or_b64 exec, exec, s[8:9]
	s_and_b64 s[4:5], s[4:5], exec
	s_or_saveexec_b64 s[6:7], s[6:7]
	v_mov_b32_e32 v4, s10
	s_xor_b64 exec, exec, s[6:7]
	s_cbranch_execz .LBB4_1518
.LBB4_3568:
	v_mov_b32_e32 v4, 0
	v_cmp_ne_u16_sdwa s[8:9], v3, v4 src0_sel:BYTE_0 src1_sel:DWORD
	s_andn2_b64 s[4:5], s[4:5], exec
	s_and_b64 s[8:9], s[8:9], exec
	s_or_b64 s[4:5], s[4:5], s[8:9]
	s_or_b64 exec, exec, s[6:7]
	s_and_saveexec_b64 s[6:7], s[4:5]
	s_cbranch_execnz .LBB4_1519
	s_branch .LBB4_1520
.LBB4_3569:
	s_movk_i32 s4, 0x80
	v_cmp_eq_u16_e32 vcc, s4, v3
	s_mov_b64 s[4:5], -1
                                        ; implicit-def: $sgpr10
	s_and_saveexec_b64 s[8:9], vcc
; %bb.3570:
	s_mov_b32 s10, 0x7f800001
	s_xor_b64 s[4:5], exec, -1
; %bb.3571:
	s_or_b64 exec, exec, s[8:9]
	s_and_b64 s[4:5], s[4:5], exec
                                        ; implicit-def: $vgpr3
	s_or_saveexec_b64 s[6:7], s[6:7]
	v_mov_b32_e32 v2, s10
	s_xor_b64 exec, exec, s[6:7]
	s_cbranch_execz .LBB4_1522
.LBB4_3572:
	v_cmp_ne_u16_e32 vcc, 0, v3
	s_andn2_b64 s[4:5], s[4:5], exec
	s_and_b64 s[8:9], vcc, exec
	v_mov_b32_e32 v2, 0
	s_or_b64 s[4:5], s[4:5], s[8:9]
	s_or_b64 exec, exec, s[6:7]
	s_and_saveexec_b64 s[6:7], s[4:5]
	s_cbranch_execnz .LBB4_1523
	s_branch .LBB4_1524
.LBB4_3573:
	s_movk_i32 s4, 0x80
	v_cmp_eq_u16_e32 vcc, s4, v3
	s_mov_b64 s[4:5], -1
                                        ; implicit-def: $sgpr10
	s_and_saveexec_b64 s[8:9], vcc
; %bb.3574:
	s_mov_b32 s10, 0x7f800001
	s_xor_b64 s[4:5], exec, -1
; %bb.3575:
	s_or_b64 exec, exec, s[8:9]
	s_and_b64 s[4:5], s[4:5], exec
                                        ; implicit-def: $vgpr3
	s_or_saveexec_b64 s[6:7], s[6:7]
	v_mov_b32_e32 v4, s10
	s_xor_b64 exec, exec, s[6:7]
	s_cbranch_execz .LBB4_1526
.LBB4_3576:
	v_cmp_ne_u16_e32 vcc, 0, v3
	s_andn2_b64 s[4:5], s[4:5], exec
	s_and_b64 s[8:9], vcc, exec
	v_mov_b32_e32 v4, 0
	s_or_b64 s[4:5], s[4:5], s[8:9]
	s_or_b64 exec, exec, s[6:7]
	s_and_saveexec_b64 s[6:7], s[4:5]
	s_cbranch_execnz .LBB4_1527
	s_branch .LBB4_1528
.LBB4_3577:
	s_movk_i32 s4, 0x80
	v_cmp_eq_u16_sdwa s[12:13], v9, s4 src0_sel:BYTE_3 src1_sel:DWORD
	s_mov_b64 s[4:5], -1
                                        ; implicit-def: $sgpr10
	s_and_saveexec_b64 s[8:9], s[12:13]
; %bb.3578:
	s_mov_b32 s10, 0x7f800001
	s_xor_b64 s[4:5], exec, -1
; %bb.3579:
	s_or_b64 exec, exec, s[8:9]
	s_and_b64 s[4:5], s[4:5], exec
	s_or_saveexec_b64 s[6:7], s[6:7]
	v_mov_b32_e32 v2, s10
	s_xor_b64 exec, exec, s[6:7]
	s_cbranch_execz .LBB4_1530
.LBB4_3580:
	v_mov_b32_e32 v2, 0
	v_cmp_ne_u16_sdwa s[8:9], v9, v2 src0_sel:BYTE_3 src1_sel:DWORD
	s_andn2_b64 s[4:5], s[4:5], exec
	s_and_b64 s[8:9], s[8:9], exec
	s_or_b64 s[4:5], s[4:5], s[8:9]
	s_or_b64 exec, exec, s[6:7]
	s_and_saveexec_b64 s[6:7], s[4:5]
	s_cbranch_execnz .LBB4_1531
	s_branch .LBB4_1532
.LBB4_3581:
	s_movk_i32 s4, 0x80
	v_cmp_eq_u16_sdwa s[12:13], v5, s4 src0_sel:BYTE_3 src1_sel:DWORD
	s_mov_b64 s[4:5], -1
                                        ; implicit-def: $sgpr10
	s_and_saveexec_b64 s[8:9], s[12:13]
; %bb.3582:
	s_mov_b32 s10, 0x7f800001
	s_xor_b64 s[4:5], exec, -1
; %bb.3583:
	s_or_b64 exec, exec, s[8:9]
	s_and_b64 s[4:5], s[4:5], exec
	s_or_saveexec_b64 s[6:7], s[6:7]
	v_mov_b32_e32 v3, s10
	s_xor_b64 exec, exec, s[6:7]
	s_cbranch_execz .LBB4_1534
.LBB4_3584:
	v_mov_b32_e32 v3, 0
	v_cmp_ne_u16_sdwa s[8:9], v5, v3 src0_sel:BYTE_3 src1_sel:DWORD
	s_andn2_b64 s[4:5], s[4:5], exec
	s_and_b64 s[8:9], s[8:9], exec
	s_or_b64 s[4:5], s[4:5], s[8:9]
	s_or_b64 exec, exec, s[6:7]
	s_and_saveexec_b64 s[6:7], s[4:5]
	s_cbranch_execnz .LBB4_1535
	s_branch .LBB4_1536
.LBB4_3585:
	s_movk_i32 s4, 0x80
	v_cmp_eq_u16_sdwa s[12:13], v6, s4 src0_sel:BYTE_0 src1_sel:DWORD
	s_mov_b64 s[4:5], -1
                                        ; implicit-def: $sgpr10
	s_and_saveexec_b64 s[8:9], s[12:13]
; %bb.3586:
	s_mov_b32 s10, 0x7f800001
	s_xor_b64 s[4:5], exec, -1
; %bb.3587:
	s_or_b64 exec, exec, s[8:9]
	s_and_b64 s[4:5], s[4:5], exec
	s_or_saveexec_b64 s[6:7], s[6:7]
	v_mov_b32_e32 v12, s10
	s_xor_b64 exec, exec, s[6:7]
	s_cbranch_execz .LBB4_1538
.LBB4_3588:
	v_mov_b32_e32 v12, 0
	v_cmp_ne_u16_sdwa s[8:9], v6, v12 src0_sel:BYTE_0 src1_sel:DWORD
	s_andn2_b64 s[4:5], s[4:5], exec
	s_and_b64 s[8:9], s[8:9], exec
	s_or_b64 s[4:5], s[4:5], s[8:9]
	s_or_b64 exec, exec, s[6:7]
	s_and_saveexec_b64 s[6:7], s[4:5]
	s_cbranch_execnz .LBB4_1539
	s_branch .LBB4_1540
.LBB4_3589:
	s_movk_i32 s4, 0x80
	v_cmp_eq_u16_sdwa s[12:13], v2, s4 src0_sel:BYTE_0 src1_sel:DWORD
	s_mov_b64 s[4:5], -1
                                        ; implicit-def: $sgpr10
	s_and_saveexec_b64 s[8:9], s[12:13]
; %bb.3590:
	s_mov_b32 s10, 0x7f800001
	s_xor_b64 s[4:5], exec, -1
; %bb.3591:
	s_or_b64 exec, exec, s[8:9]
	s_and_b64 s[4:5], s[4:5], exec
	s_or_saveexec_b64 s[6:7], s[6:7]
	v_mov_b32_e32 v13, s10
	s_xor_b64 exec, exec, s[6:7]
	s_cbranch_execz .LBB4_1542
.LBB4_3592:
	v_mov_b32_e32 v13, 0
	v_cmp_ne_u16_sdwa s[8:9], v2, v13 src0_sel:BYTE_0 src1_sel:DWORD
	s_andn2_b64 s[4:5], s[4:5], exec
	s_and_b64 s[8:9], s[8:9], exec
	s_or_b64 s[4:5], s[4:5], s[8:9]
	s_or_b64 exec, exec, s[6:7]
	s_and_saveexec_b64 s[6:7], s[4:5]
	s_cbranch_execnz .LBB4_1543
	s_branch .LBB4_1544
.LBB4_3593:
	s_movk_i32 s4, 0x80
	v_cmp_eq_u16_sdwa s[12:13], v13, s4 src0_sel:BYTE_0 src1_sel:DWORD
	s_mov_b64 s[4:5], -1
                                        ; implicit-def: $sgpr10
	s_and_saveexec_b64 s[8:9], s[12:13]
; %bb.3594:
	s_mov_b32 s10, 0x7f800001
	s_xor_b64 s[4:5], exec, -1
; %bb.3595:
	s_or_b64 exec, exec, s[8:9]
	s_and_b64 s[4:5], s[4:5], exec
	s_or_saveexec_b64 s[6:7], s[6:7]
	v_mov_b32_e32 v12, s10
	s_xor_b64 exec, exec, s[6:7]
	s_cbranch_execz .LBB4_1546
.LBB4_3596:
	v_mov_b32_e32 v12, 0
	v_cmp_ne_u16_sdwa s[8:9], v13, v12 src0_sel:BYTE_0 src1_sel:DWORD
	s_andn2_b64 s[4:5], s[4:5], exec
	s_and_b64 s[8:9], s[8:9], exec
	s_or_b64 s[4:5], s[4:5], s[8:9]
	s_or_b64 exec, exec, s[6:7]
	s_and_saveexec_b64 s[6:7], s[4:5]
	s_cbranch_execnz .LBB4_1547
	s_branch .LBB4_1548
.LBB4_3597:
	s_movk_i32 s4, 0x80
	v_cmp_eq_u16_sdwa s[12:13], v13, s4 src0_sel:BYTE_0 src1_sel:DWORD
	s_mov_b64 s[4:5], -1
                                        ; implicit-def: $sgpr10
	s_and_saveexec_b64 s[8:9], s[12:13]
; %bb.3598:
	s_mov_b32 s10, 0x7f800001
	s_xor_b64 s[4:5], exec, -1
; %bb.3599:
	s_or_b64 exec, exec, s[8:9]
	s_and_b64 s[4:5], s[4:5], exec
	s_or_saveexec_b64 s[6:7], s[6:7]
	v_mov_b32_e32 v14, s10
	s_xor_b64 exec, exec, s[6:7]
	s_cbranch_execz .LBB4_1550
.LBB4_3600:
	v_mov_b32_e32 v14, 0
	v_cmp_ne_u16_sdwa s[8:9], v13, v14 src0_sel:BYTE_0 src1_sel:DWORD
	s_andn2_b64 s[4:5], s[4:5], exec
	s_and_b64 s[8:9], s[8:9], exec
	s_or_b64 s[4:5], s[4:5], s[8:9]
	s_or_b64 exec, exec, s[6:7]
	s_and_saveexec_b64 s[6:7], s[4:5]
	s_cbranch_execnz .LBB4_1551
	s_branch .LBB4_1552
.LBB4_3601:
	s_movk_i32 s4, 0x80
	v_cmp_eq_u16_e32 vcc, s4, v13
	s_mov_b64 s[4:5], -1
                                        ; implicit-def: $sgpr10
	s_and_saveexec_b64 s[8:9], vcc
; %bb.3602:
	s_mov_b32 s10, 0x7f800001
	s_xor_b64 s[4:5], exec, -1
; %bb.3603:
	s_or_b64 exec, exec, s[8:9]
	s_and_b64 s[4:5], s[4:5], exec
                                        ; implicit-def: $vgpr13
	s_or_saveexec_b64 s[6:7], s[6:7]
	v_mov_b32_e32 v12, s10
	s_xor_b64 exec, exec, s[6:7]
	s_cbranch_execz .LBB4_1554
.LBB4_3604:
	v_cmp_ne_u16_e32 vcc, 0, v13
	s_andn2_b64 s[4:5], s[4:5], exec
	s_and_b64 s[8:9], vcc, exec
	v_mov_b32_e32 v12, 0
	s_or_b64 s[4:5], s[4:5], s[8:9]
	s_or_b64 exec, exec, s[6:7]
	s_and_saveexec_b64 s[6:7], s[4:5]
	s_cbranch_execnz .LBB4_1555
	s_branch .LBB4_1556
.LBB4_3605:
	s_movk_i32 s4, 0x80
	v_cmp_eq_u16_e32 vcc, s4, v13
	s_mov_b64 s[4:5], -1
                                        ; implicit-def: $sgpr10
	s_and_saveexec_b64 s[8:9], vcc
; %bb.3606:
	s_mov_b32 s10, 0x7f800001
	s_xor_b64 s[4:5], exec, -1
; %bb.3607:
	s_or_b64 exec, exec, s[8:9]
	s_and_b64 s[4:5], s[4:5], exec
                                        ; implicit-def: $vgpr13
	s_or_saveexec_b64 s[6:7], s[6:7]
	v_mov_b32_e32 v14, s10
	s_xor_b64 exec, exec, s[6:7]
	s_cbranch_execz .LBB4_1558
.LBB4_3608:
	v_cmp_ne_u16_e32 vcc, 0, v13
	s_andn2_b64 s[4:5], s[4:5], exec
	s_and_b64 s[8:9], vcc, exec
	v_mov_b32_e32 v14, 0
	s_or_b64 s[4:5], s[4:5], s[8:9]
	s_or_b64 exec, exec, s[6:7]
	s_and_saveexec_b64 s[6:7], s[4:5]
	s_cbranch_execnz .LBB4_1559
	s_branch .LBB4_1560
.LBB4_3609:
	s_movk_i32 s4, 0x80
	v_cmp_eq_u16_sdwa s[12:13], v6, s4 src0_sel:BYTE_3 src1_sel:DWORD
	s_mov_b64 s[4:5], -1
                                        ; implicit-def: $sgpr10
	s_and_saveexec_b64 s[8:9], s[12:13]
; %bb.3610:
	s_mov_b32 s10, 0x7f800001
	s_xor_b64 s[4:5], exec, -1
; %bb.3611:
	s_or_b64 exec, exec, s[8:9]
	s_and_b64 s[4:5], s[4:5], exec
	s_or_saveexec_b64 s[6:7], s[6:7]
	v_mov_b32_e32 v12, s10
	s_xor_b64 exec, exec, s[6:7]
	s_cbranch_execz .LBB4_1562
.LBB4_3612:
	v_mov_b32_e32 v12, 0
	v_cmp_ne_u16_sdwa s[8:9], v6, v12 src0_sel:BYTE_3 src1_sel:DWORD
	s_andn2_b64 s[4:5], s[4:5], exec
	s_and_b64 s[8:9], s[8:9], exec
	s_or_b64 s[4:5], s[4:5], s[8:9]
	s_or_b64 exec, exec, s[6:7]
	s_and_saveexec_b64 s[6:7], s[4:5]
	s_cbranch_execnz .LBB4_1563
	s_branch .LBB4_1564
.LBB4_3613:
	s_movk_i32 s4, 0x80
	v_cmp_eq_u16_sdwa s[12:13], v2, s4 src0_sel:BYTE_3 src1_sel:DWORD
	s_mov_b64 s[4:5], -1
                                        ; implicit-def: $sgpr10
	s_and_saveexec_b64 s[8:9], s[12:13]
; %bb.3614:
	s_mov_b32 s10, 0x7f800001
	s_xor_b64 s[4:5], exec, -1
; %bb.3615:
	s_or_b64 exec, exec, s[8:9]
	s_and_b64 s[4:5], s[4:5], exec
	s_or_saveexec_b64 s[6:7], s[6:7]
	v_mov_b32_e32 v6, s10
	s_xor_b64 exec, exec, s[6:7]
	s_cbranch_execz .LBB4_1566
.LBB4_3616:
	v_mov_b32_e32 v6, 0
	v_cmp_ne_u16_sdwa s[8:9], v2, v6 src0_sel:BYTE_3 src1_sel:DWORD
	s_andn2_b64 s[4:5], s[4:5], exec
	s_and_b64 s[8:9], s[8:9], exec
	s_or_b64 s[4:5], s[4:5], s[8:9]
	s_or_b64 exec, exec, s[6:7]
	s_and_saveexec_b64 s[6:7], s[4:5]
	s_cbranch_execnz .LBB4_1567
	s_branch .LBB4_1568
.LBB4_3617:
	s_movk_i32 s4, 0x80
	v_cmp_eq_u16_sdwa s[12:13], v7, s4 src0_sel:BYTE_0 src1_sel:DWORD
	s_mov_b64 s[4:5], -1
                                        ; implicit-def: $sgpr10
	s_and_saveexec_b64 s[8:9], s[12:13]
; %bb.3618:
	s_mov_b32 s10, 0x7f800001
	s_xor_b64 s[4:5], exec, -1
; %bb.3619:
	s_or_b64 exec, exec, s[8:9]
	s_and_b64 s[4:5], s[4:5], exec
	s_or_saveexec_b64 s[6:7], s[6:7]
	v_mov_b32_e32 v2, s10
	s_xor_b64 exec, exec, s[6:7]
	s_cbranch_execz .LBB4_1570
.LBB4_3620:
	v_mov_b32_e32 v2, 0
	v_cmp_ne_u16_sdwa s[8:9], v7, v2 src0_sel:BYTE_0 src1_sel:DWORD
	s_andn2_b64 s[4:5], s[4:5], exec
	s_and_b64 s[8:9], s[8:9], exec
	s_or_b64 s[4:5], s[4:5], s[8:9]
	s_or_b64 exec, exec, s[6:7]
	s_and_saveexec_b64 s[6:7], s[4:5]
	s_cbranch_execnz .LBB4_1571
	s_branch .LBB4_1572
.LBB4_3621:
	s_movk_i32 s4, 0x80
	v_cmp_eq_u16_sdwa s[12:13], v3, s4 src0_sel:BYTE_0 src1_sel:DWORD
	s_mov_b64 s[4:5], -1
                                        ; implicit-def: $sgpr10
	s_and_saveexec_b64 s[8:9], s[12:13]
; %bb.3622:
	s_mov_b32 s10, 0x7f800001
	s_xor_b64 s[4:5], exec, -1
; %bb.3623:
	s_or_b64 exec, exec, s[8:9]
	s_and_b64 s[4:5], s[4:5], exec
	s_or_saveexec_b64 s[6:7], s[6:7]
	v_mov_b32_e32 v6, s10
	s_xor_b64 exec, exec, s[6:7]
	s_cbranch_execz .LBB4_1574
.LBB4_3624:
	v_mov_b32_e32 v6, 0
	v_cmp_ne_u16_sdwa s[8:9], v3, v6 src0_sel:BYTE_0 src1_sel:DWORD
	s_andn2_b64 s[4:5], s[4:5], exec
	s_and_b64 s[8:9], s[8:9], exec
	s_or_b64 s[4:5], s[4:5], s[8:9]
	s_or_b64 exec, exec, s[6:7]
	s_and_saveexec_b64 s[6:7], s[4:5]
	s_cbranch_execnz .LBB4_1575
	s_branch .LBB4_1576
.LBB4_3625:
	s_movk_i32 s4, 0x80
	v_cmp_eq_u16_sdwa s[12:13], v6, s4 src0_sel:BYTE_0 src1_sel:DWORD
	s_mov_b64 s[4:5], -1
                                        ; implicit-def: $sgpr10
	s_and_saveexec_b64 s[8:9], s[12:13]
; %bb.3626:
	s_mov_b32 s10, 0x7f800001
	s_xor_b64 s[4:5], exec, -1
; %bb.3627:
	s_or_b64 exec, exec, s[8:9]
	s_and_b64 s[4:5], s[4:5], exec
	s_or_saveexec_b64 s[6:7], s[6:7]
	v_mov_b32_e32 v2, s10
	s_xor_b64 exec, exec, s[6:7]
	s_cbranch_execz .LBB4_1578
.LBB4_3628:
	v_mov_b32_e32 v2, 0
	v_cmp_ne_u16_sdwa s[8:9], v6, v2 src0_sel:BYTE_0 src1_sel:DWORD
	s_andn2_b64 s[4:5], s[4:5], exec
	s_and_b64 s[8:9], s[8:9], exec
	s_or_b64 s[4:5], s[4:5], s[8:9]
	s_or_b64 exec, exec, s[6:7]
	s_and_saveexec_b64 s[6:7], s[4:5]
	s_cbranch_execnz .LBB4_1579
	s_branch .LBB4_1580
.LBB4_3629:
	s_movk_i32 s4, 0x80
	v_cmp_eq_u16_sdwa s[12:13], v6, s4 src0_sel:BYTE_0 src1_sel:DWORD
	s_mov_b64 s[4:5], -1
                                        ; implicit-def: $sgpr10
	s_and_saveexec_b64 s[8:9], s[12:13]
; %bb.3630:
	s_mov_b32 s10, 0x7f800001
	s_xor_b64 s[4:5], exec, -1
; %bb.3631:
	s_or_b64 exec, exec, s[8:9]
	s_and_b64 s[4:5], s[4:5], exec
	s_or_saveexec_b64 s[6:7], s[6:7]
	v_mov_b32_e32 v12, s10
	s_xor_b64 exec, exec, s[6:7]
	s_cbranch_execz .LBB4_1582
.LBB4_3632:
	v_mov_b32_e32 v12, 0
	v_cmp_ne_u16_sdwa s[8:9], v6, v12 src0_sel:BYTE_0 src1_sel:DWORD
	s_andn2_b64 s[4:5], s[4:5], exec
	s_and_b64 s[8:9], s[8:9], exec
	s_or_b64 s[4:5], s[4:5], s[8:9]
	s_or_b64 exec, exec, s[6:7]
	s_and_saveexec_b64 s[6:7], s[4:5]
	s_cbranch_execnz .LBB4_1583
	s_branch .LBB4_1584
.LBB4_3633:
	s_movk_i32 s4, 0x80
	v_cmp_eq_u16_e32 vcc, s4, v6
	s_mov_b64 s[4:5], -1
                                        ; implicit-def: $sgpr10
	s_and_saveexec_b64 s[8:9], vcc
; %bb.3634:
	s_mov_b32 s10, 0x7f800001
	s_xor_b64 s[4:5], exec, -1
; %bb.3635:
	s_or_b64 exec, exec, s[8:9]
	s_and_b64 s[4:5], s[4:5], exec
                                        ; implicit-def: $vgpr6
	s_or_saveexec_b64 s[6:7], s[6:7]
	v_mov_b32_e32 v2, s10
	s_xor_b64 exec, exec, s[6:7]
	s_cbranch_execz .LBB4_1586
.LBB4_3636:
	v_cmp_ne_u16_e32 vcc, 0, v6
	s_andn2_b64 s[4:5], s[4:5], exec
	s_and_b64 s[8:9], vcc, exec
	v_mov_b32_e32 v2, 0
	s_or_b64 s[4:5], s[4:5], s[8:9]
	s_or_b64 exec, exec, s[6:7]
	s_and_saveexec_b64 s[6:7], s[4:5]
	s_cbranch_execnz .LBB4_1587
	s_branch .LBB4_1588
.LBB4_3637:
	s_movk_i32 s4, 0x80
	v_cmp_eq_u16_e32 vcc, s4, v6
	s_mov_b64 s[4:5], -1
                                        ; implicit-def: $sgpr10
	s_and_saveexec_b64 s[8:9], vcc
; %bb.3638:
	s_mov_b32 s10, 0x7f800001
	s_xor_b64 s[4:5], exec, -1
; %bb.3639:
	s_or_b64 exec, exec, s[8:9]
	s_and_b64 s[4:5], s[4:5], exec
                                        ; implicit-def: $vgpr6
	s_or_saveexec_b64 s[6:7], s[6:7]
	v_mov_b32_e32 v12, s10
	s_xor_b64 exec, exec, s[6:7]
	s_cbranch_execz .LBB4_1590
.LBB4_3640:
	v_cmp_ne_u16_e32 vcc, 0, v6
	s_andn2_b64 s[4:5], s[4:5], exec
	s_and_b64 s[8:9], vcc, exec
	v_mov_b32_e32 v12, 0
	s_or_b64 s[4:5], s[4:5], s[8:9]
	s_or_b64 exec, exec, s[6:7]
	s_and_saveexec_b64 s[6:7], s[4:5]
	s_cbranch_execnz .LBB4_1591
	s_branch .LBB4_1592
.LBB4_3641:
	s_movk_i32 s4, 0x80
	v_cmp_eq_u16_sdwa s[12:13], v7, s4 src0_sel:BYTE_3 src1_sel:DWORD
	s_mov_b64 s[4:5], -1
                                        ; implicit-def: $sgpr10
	s_and_saveexec_b64 s[8:9], s[12:13]
; %bb.3642:
	s_mov_b32 s10, 0x7f800001
	s_xor_b64 s[4:5], exec, -1
; %bb.3643:
	s_or_b64 exec, exec, s[8:9]
	s_and_b64 s[4:5], s[4:5], exec
	s_or_saveexec_b64 s[6:7], s[6:7]
	v_mov_b32_e32 v2, s10
	s_xor_b64 exec, exec, s[6:7]
	s_cbranch_execz .LBB4_1594
.LBB4_3644:
	v_mov_b32_e32 v2, 0
	v_cmp_ne_u16_sdwa s[8:9], v7, v2 src0_sel:BYTE_3 src1_sel:DWORD
	s_andn2_b64 s[4:5], s[4:5], exec
	s_and_b64 s[8:9], s[8:9], exec
	s_or_b64 s[4:5], s[4:5], s[8:9]
	s_or_b64 exec, exec, s[6:7]
	s_and_saveexec_b64 s[6:7], s[4:5]
	s_cbranch_execnz .LBB4_1595
	s_branch .LBB4_1596
.LBB4_3645:
	s_movk_i32 s4, 0x80
	v_cmp_eq_u16_sdwa s[12:13], v3, s4 src0_sel:BYTE_3 src1_sel:DWORD
	s_mov_b64 s[4:5], -1
                                        ; implicit-def: $sgpr10
	s_and_saveexec_b64 s[8:9], s[12:13]
; %bb.3646:
	s_mov_b32 s10, 0x7f800001
	s_xor_b64 s[4:5], exec, -1
; %bb.3647:
	s_or_b64 exec, exec, s[8:9]
	s_and_b64 s[4:5], s[4:5], exec
	s_or_saveexec_b64 s[6:7], s[6:7]
	v_mov_b32_e32 v6, s10
	s_xor_b64 exec, exec, s[6:7]
	s_cbranch_execz .LBB4_1598
.LBB4_3648:
	v_mov_b32_e32 v6, 0
	v_cmp_ne_u16_sdwa s[8:9], v3, v6 src0_sel:BYTE_3 src1_sel:DWORD
	s_andn2_b64 s[4:5], s[4:5], exec
	s_and_b64 s[8:9], s[8:9], exec
	s_or_b64 s[4:5], s[4:5], s[8:9]
	s_or_b64 exec, exec, s[6:7]
	s_and_saveexec_b64 s[6:7], s[4:5]
	s_cbranch_execnz .LBB4_1599
	s_branch .LBB4_1600
.LBB4_3649:
	s_movk_i32 s4, 0x80
	v_cmp_eq_u16_sdwa s[12:13], v8, s4 src0_sel:BYTE_0 src1_sel:DWORD
	s_mov_b64 s[4:5], -1
                                        ; implicit-def: $sgpr10
	s_and_saveexec_b64 s[8:9], s[12:13]
; %bb.3650:
	s_mov_b32 s10, 0x7f800001
	s_xor_b64 s[4:5], exec, -1
; %bb.3651:
	s_or_b64 exec, exec, s[8:9]
	s_and_b64 s[4:5], s[4:5], exec
	s_or_saveexec_b64 s[6:7], s[6:7]
	v_mov_b32_e32 v2, s10
	s_xor_b64 exec, exec, s[6:7]
	s_cbranch_execz .LBB4_1602
.LBB4_3652:
	v_mov_b32_e32 v2, 0
	v_cmp_ne_u16_sdwa s[8:9], v8, v2 src0_sel:BYTE_0 src1_sel:DWORD
	s_andn2_b64 s[4:5], s[4:5], exec
	s_and_b64 s[8:9], s[8:9], exec
	s_or_b64 s[4:5], s[4:5], s[8:9]
	s_or_b64 exec, exec, s[6:7]
	s_and_saveexec_b64 s[6:7], s[4:5]
	s_cbranch_execnz .LBB4_1603
	s_branch .LBB4_1604
.LBB4_3653:
	s_movk_i32 s4, 0x80
	v_cmp_eq_u16_sdwa s[12:13], v4, s4 src0_sel:BYTE_0 src1_sel:DWORD
	s_mov_b64 s[4:5], -1
                                        ; implicit-def: $sgpr10
	s_and_saveexec_b64 s[8:9], s[12:13]
; %bb.3654:
	s_mov_b32 s10, 0x7f800001
	s_xor_b64 s[4:5], exec, -1
; %bb.3655:
	s_or_b64 exec, exec, s[8:9]
	s_and_b64 s[4:5], s[4:5], exec
	s_or_saveexec_b64 s[6:7], s[6:7]
	v_mov_b32_e32 v3, s10
	s_xor_b64 exec, exec, s[6:7]
	s_cbranch_execz .LBB4_1606
.LBB4_3656:
	v_mov_b32_e32 v3, 0
	v_cmp_ne_u16_sdwa s[8:9], v4, v3 src0_sel:BYTE_0 src1_sel:DWORD
	s_andn2_b64 s[4:5], s[4:5], exec
	s_and_b64 s[8:9], s[8:9], exec
	s_or_b64 s[4:5], s[4:5], s[8:9]
	s_or_b64 exec, exec, s[6:7]
	s_and_saveexec_b64 s[6:7], s[4:5]
	s_cbranch_execnz .LBB4_1607
	s_branch .LBB4_1608
.LBB4_3657:
	s_movk_i32 s4, 0x80
	v_cmp_eq_u16_sdwa s[12:13], v3, s4 src0_sel:BYTE_0 src1_sel:DWORD
	s_mov_b64 s[4:5], -1
                                        ; implicit-def: $sgpr10
	s_and_saveexec_b64 s[8:9], s[12:13]
; %bb.3658:
	s_mov_b32 s10, 0x7f800001
	s_xor_b64 s[4:5], exec, -1
; %bb.3659:
	s_or_b64 exec, exec, s[8:9]
	s_and_b64 s[4:5], s[4:5], exec
	s_or_saveexec_b64 s[6:7], s[6:7]
	v_mov_b32_e32 v2, s10
	s_xor_b64 exec, exec, s[6:7]
	s_cbranch_execz .LBB4_1610
.LBB4_3660:
	v_mov_b32_e32 v2, 0
	v_cmp_ne_u16_sdwa s[8:9], v3, v2 src0_sel:BYTE_0 src1_sel:DWORD
	s_andn2_b64 s[4:5], s[4:5], exec
	s_and_b64 s[8:9], s[8:9], exec
	s_or_b64 s[4:5], s[4:5], s[8:9]
	s_or_b64 exec, exec, s[6:7]
	s_and_saveexec_b64 s[6:7], s[4:5]
	s_cbranch_execnz .LBB4_1611
	s_branch .LBB4_1612
.LBB4_3661:
	s_movk_i32 s4, 0x80
	v_cmp_eq_u16_sdwa s[12:13], v3, s4 src0_sel:BYTE_0 src1_sel:DWORD
	s_mov_b64 s[4:5], -1
                                        ; implicit-def: $sgpr10
	s_and_saveexec_b64 s[8:9], s[12:13]
; %bb.3662:
	s_mov_b32 s10, 0x7f800001
	s_xor_b64 s[4:5], exec, -1
; %bb.3663:
	s_or_b64 exec, exec, s[8:9]
	s_and_b64 s[4:5], s[4:5], exec
	s_or_saveexec_b64 s[6:7], s[6:7]
	v_mov_b32_e32 v6, s10
	s_xor_b64 exec, exec, s[6:7]
	s_cbranch_execz .LBB4_1614
.LBB4_3664:
	v_mov_b32_e32 v6, 0
	v_cmp_ne_u16_sdwa s[8:9], v3, v6 src0_sel:BYTE_0 src1_sel:DWORD
	s_andn2_b64 s[4:5], s[4:5], exec
	s_and_b64 s[8:9], s[8:9], exec
	s_or_b64 s[4:5], s[4:5], s[8:9]
	s_or_b64 exec, exec, s[6:7]
	s_and_saveexec_b64 s[6:7], s[4:5]
	s_cbranch_execnz .LBB4_1615
	s_branch .LBB4_1616
.LBB4_3665:
	s_movk_i32 s4, 0x80
	v_cmp_eq_u16_e32 vcc, s4, v3
	s_mov_b64 s[4:5], -1
                                        ; implicit-def: $sgpr10
	s_and_saveexec_b64 s[8:9], vcc
; %bb.3666:
	s_mov_b32 s10, 0x7f800001
	s_xor_b64 s[4:5], exec, -1
; %bb.3667:
	s_or_b64 exec, exec, s[8:9]
	s_and_b64 s[4:5], s[4:5], exec
                                        ; implicit-def: $vgpr3
	s_or_saveexec_b64 s[6:7], s[6:7]
	v_mov_b32_e32 v2, s10
	s_xor_b64 exec, exec, s[6:7]
	s_cbranch_execz .LBB4_1618
.LBB4_3668:
	v_cmp_ne_u16_e32 vcc, 0, v3
	s_andn2_b64 s[4:5], s[4:5], exec
	s_and_b64 s[8:9], vcc, exec
	v_mov_b32_e32 v2, 0
	s_or_b64 s[4:5], s[4:5], s[8:9]
	s_or_b64 exec, exec, s[6:7]
	s_and_saveexec_b64 s[6:7], s[4:5]
	s_cbranch_execnz .LBB4_1619
	s_branch .LBB4_1620
.LBB4_3669:
	s_movk_i32 s4, 0x80
	v_cmp_eq_u16_e32 vcc, s4, v3
	s_mov_b64 s[4:5], -1
                                        ; implicit-def: $sgpr10
	s_and_saveexec_b64 s[8:9], vcc
; %bb.3670:
	s_mov_b32 s10, 0x7f800001
	s_xor_b64 s[4:5], exec, -1
; %bb.3671:
	s_or_b64 exec, exec, s[8:9]
	s_and_b64 s[4:5], s[4:5], exec
                                        ; implicit-def: $vgpr3
	s_or_saveexec_b64 s[6:7], s[6:7]
	v_mov_b32_e32 v6, s10
	s_xor_b64 exec, exec, s[6:7]
	s_cbranch_execz .LBB4_1622
.LBB4_3672:
	v_cmp_ne_u16_e32 vcc, 0, v3
	s_andn2_b64 s[4:5], s[4:5], exec
	s_and_b64 s[8:9], vcc, exec
	v_mov_b32_e32 v6, 0
	s_or_b64 s[4:5], s[4:5], s[8:9]
	s_or_b64 exec, exec, s[6:7]
	s_and_saveexec_b64 s[6:7], s[4:5]
	s_cbranch_execnz .LBB4_1623
	s_branch .LBB4_1624
.LBB4_3673:
	s_movk_i32 s4, 0x80
	v_cmp_eq_u16_sdwa s[12:13], v8, s4 src0_sel:BYTE_3 src1_sel:DWORD
	s_mov_b64 s[4:5], -1
                                        ; implicit-def: $sgpr10
	s_and_saveexec_b64 s[8:9], s[12:13]
; %bb.3674:
	s_mov_b32 s10, 0x7f800001
	s_xor_b64 s[4:5], exec, -1
; %bb.3675:
	s_or_b64 exec, exec, s[8:9]
	s_and_b64 s[4:5], s[4:5], exec
	s_or_saveexec_b64 s[6:7], s[6:7]
	v_mov_b32_e32 v2, s10
	s_xor_b64 exec, exec, s[6:7]
	s_cbranch_execz .LBB4_1626
.LBB4_3676:
	v_mov_b32_e32 v2, 0
	v_cmp_ne_u16_sdwa s[8:9], v8, v2 src0_sel:BYTE_3 src1_sel:DWORD
	s_andn2_b64 s[4:5], s[4:5], exec
	s_and_b64 s[8:9], s[8:9], exec
	s_or_b64 s[4:5], s[4:5], s[8:9]
	s_or_b64 exec, exec, s[6:7]
	s_and_saveexec_b64 s[6:7], s[4:5]
	s_cbranch_execnz .LBB4_1627
	s_branch .LBB4_1628
.LBB4_3677:
	s_movk_i32 s4, 0x80
	v_cmp_eq_u16_sdwa s[12:13], v4, s4 src0_sel:BYTE_3 src1_sel:DWORD
	s_mov_b64 s[4:5], -1
                                        ; implicit-def: $sgpr10
	s_and_saveexec_b64 s[8:9], s[12:13]
; %bb.3678:
	s_mov_b32 s10, 0x7f800001
	s_xor_b64 s[4:5], exec, -1
; %bb.3679:
	s_or_b64 exec, exec, s[8:9]
	s_and_b64 s[4:5], s[4:5], exec
	s_or_saveexec_b64 s[6:7], s[6:7]
	v_mov_b32_e32 v3, s10
	s_xor_b64 exec, exec, s[6:7]
	s_cbranch_execz .LBB4_1630
.LBB4_3680:
	v_mov_b32_e32 v3, 0
	v_cmp_ne_u16_sdwa s[8:9], v4, v3 src0_sel:BYTE_3 src1_sel:DWORD
	s_andn2_b64 s[4:5], s[4:5], exec
	s_and_b64 s[8:9], s[8:9], exec
	s_or_b64 s[4:5], s[4:5], s[8:9]
	s_or_b64 exec, exec, s[6:7]
	s_and_saveexec_b64 s[6:7], s[4:5]
	s_cbranch_execnz .LBB4_1631
	s_branch .LBB4_1632
.LBB4_3681:
	s_movk_i32 s4, 0x80
	v_cmp_eq_u16_sdwa s[12:13], v9, s4 src0_sel:BYTE_0 src1_sel:DWORD
	s_mov_b64 s[4:5], -1
                                        ; implicit-def: $sgpr10
	s_and_saveexec_b64 s[8:9], s[12:13]
; %bb.3682:
	s_mov_b32 s10, 0x7f800001
	s_xor_b64 s[4:5], exec, -1
; %bb.3683:
	s_or_b64 exec, exec, s[8:9]
	s_and_b64 s[4:5], s[4:5], exec
	s_or_saveexec_b64 s[6:7], s[6:7]
	v_mov_b32_e32 v2, s10
	s_xor_b64 exec, exec, s[6:7]
	s_cbranch_execz .LBB4_1634
.LBB4_3684:
	v_mov_b32_e32 v2, 0
	v_cmp_ne_u16_sdwa s[8:9], v9, v2 src0_sel:BYTE_0 src1_sel:DWORD
	s_andn2_b64 s[4:5], s[4:5], exec
	s_and_b64 s[8:9], s[8:9], exec
	s_or_b64 s[4:5], s[4:5], s[8:9]
	s_or_b64 exec, exec, s[6:7]
	s_and_saveexec_b64 s[6:7], s[4:5]
	s_cbranch_execnz .LBB4_1635
	s_branch .LBB4_1636
.LBB4_3685:
	s_movk_i32 s4, 0x80
	v_cmp_eq_u16_sdwa s[12:13], v5, s4 src0_sel:BYTE_0 src1_sel:DWORD
	s_mov_b64 s[4:5], -1
                                        ; implicit-def: $sgpr10
	s_and_saveexec_b64 s[8:9], s[12:13]
; %bb.3686:
	s_mov_b32 s10, 0x7f800001
	s_xor_b64 s[4:5], exec, -1
; %bb.3687:
	s_or_b64 exec, exec, s[8:9]
	s_and_b64 s[4:5], s[4:5], exec
	s_or_saveexec_b64 s[6:7], s[6:7]
	v_mov_b32_e32 v3, s10
	s_xor_b64 exec, exec, s[6:7]
	s_cbranch_execz .LBB4_1638
.LBB4_3688:
	v_mov_b32_e32 v3, 0
	v_cmp_ne_u16_sdwa s[8:9], v5, v3 src0_sel:BYTE_0 src1_sel:DWORD
	s_andn2_b64 s[4:5], s[4:5], exec
	s_and_b64 s[8:9], s[8:9], exec
	s_or_b64 s[4:5], s[4:5], s[8:9]
	s_or_b64 exec, exec, s[6:7]
	s_and_saveexec_b64 s[6:7], s[4:5]
	s_cbranch_execnz .LBB4_1639
	s_branch .LBB4_1640
.LBB4_3689:
	s_movk_i32 s4, 0x80
	v_cmp_eq_u16_sdwa s[12:13], v3, s4 src0_sel:BYTE_0 src1_sel:DWORD
	s_mov_b64 s[4:5], -1
                                        ; implicit-def: $sgpr10
	s_and_saveexec_b64 s[8:9], s[12:13]
; %bb.3690:
	s_mov_b32 s10, 0x7f800001
	s_xor_b64 s[4:5], exec, -1
; %bb.3691:
	s_or_b64 exec, exec, s[8:9]
	s_and_b64 s[4:5], s[4:5], exec
	s_or_saveexec_b64 s[6:7], s[6:7]
	v_mov_b32_e32 v2, s10
	s_xor_b64 exec, exec, s[6:7]
	s_cbranch_execz .LBB4_1642
.LBB4_3692:
	v_mov_b32_e32 v2, 0
	v_cmp_ne_u16_sdwa s[8:9], v3, v2 src0_sel:BYTE_0 src1_sel:DWORD
	s_andn2_b64 s[4:5], s[4:5], exec
	s_and_b64 s[8:9], s[8:9], exec
	s_or_b64 s[4:5], s[4:5], s[8:9]
	s_or_b64 exec, exec, s[6:7]
	s_and_saveexec_b64 s[6:7], s[4:5]
	s_cbranch_execnz .LBB4_1643
	s_branch .LBB4_1644
.LBB4_3693:
	s_movk_i32 s4, 0x80
	v_cmp_eq_u16_sdwa s[12:13], v3, s4 src0_sel:BYTE_0 src1_sel:DWORD
	s_mov_b64 s[4:5], -1
                                        ; implicit-def: $sgpr10
	s_and_saveexec_b64 s[8:9], s[12:13]
; %bb.3694:
	s_mov_b32 s10, 0x7f800001
	s_xor_b64 s[4:5], exec, -1
; %bb.3695:
	s_or_b64 exec, exec, s[8:9]
	s_and_b64 s[4:5], s[4:5], exec
	s_or_saveexec_b64 s[6:7], s[6:7]
	v_mov_b32_e32 v4, s10
	s_xor_b64 exec, exec, s[6:7]
	s_cbranch_execz .LBB4_1646
.LBB4_3696:
	v_mov_b32_e32 v4, 0
	v_cmp_ne_u16_sdwa s[8:9], v3, v4 src0_sel:BYTE_0 src1_sel:DWORD
	s_andn2_b64 s[4:5], s[4:5], exec
	s_and_b64 s[8:9], s[8:9], exec
	s_or_b64 s[4:5], s[4:5], s[8:9]
	s_or_b64 exec, exec, s[6:7]
	s_and_saveexec_b64 s[6:7], s[4:5]
	s_cbranch_execnz .LBB4_1647
	s_branch .LBB4_1648
.LBB4_3697:
	s_movk_i32 s4, 0x80
	v_cmp_eq_u16_e32 vcc, s4, v3
	s_mov_b64 s[4:5], -1
                                        ; implicit-def: $sgpr10
	s_and_saveexec_b64 s[8:9], vcc
; %bb.3698:
	s_mov_b32 s10, 0x7f800001
	s_xor_b64 s[4:5], exec, -1
; %bb.3699:
	s_or_b64 exec, exec, s[8:9]
	s_and_b64 s[4:5], s[4:5], exec
                                        ; implicit-def: $vgpr3
	s_or_saveexec_b64 s[6:7], s[6:7]
	v_mov_b32_e32 v2, s10
	s_xor_b64 exec, exec, s[6:7]
	s_cbranch_execz .LBB4_1650
.LBB4_3700:
	v_cmp_ne_u16_e32 vcc, 0, v3
	s_andn2_b64 s[4:5], s[4:5], exec
	s_and_b64 s[8:9], vcc, exec
	v_mov_b32_e32 v2, 0
	s_or_b64 s[4:5], s[4:5], s[8:9]
	s_or_b64 exec, exec, s[6:7]
	s_and_saveexec_b64 s[6:7], s[4:5]
	s_cbranch_execnz .LBB4_1651
	s_branch .LBB4_1652
.LBB4_3701:
	s_movk_i32 s4, 0x80
	v_cmp_eq_u16_e32 vcc, s4, v3
	s_mov_b64 s[4:5], -1
                                        ; implicit-def: $sgpr10
	s_and_saveexec_b64 s[8:9], vcc
; %bb.3702:
	s_mov_b32 s10, 0x7f800001
	s_xor_b64 s[4:5], exec, -1
; %bb.3703:
	s_or_b64 exec, exec, s[8:9]
	s_and_b64 s[4:5], s[4:5], exec
                                        ; implicit-def: $vgpr3
	s_or_saveexec_b64 s[6:7], s[6:7]
	v_mov_b32_e32 v4, s10
	s_xor_b64 exec, exec, s[6:7]
	s_cbranch_execz .LBB4_1654
.LBB4_3704:
	v_cmp_ne_u16_e32 vcc, 0, v3
	s_andn2_b64 s[4:5], s[4:5], exec
	s_and_b64 s[8:9], vcc, exec
	v_mov_b32_e32 v4, 0
	s_or_b64 s[4:5], s[4:5], s[8:9]
	s_or_b64 exec, exec, s[6:7]
	s_and_saveexec_b64 s[6:7], s[4:5]
	s_cbranch_execnz .LBB4_1655
	s_branch .LBB4_1656
.LBB4_3705:
	s_movk_i32 s4, 0x80
	v_cmp_eq_u16_sdwa s[12:13], v9, s4 src0_sel:BYTE_3 src1_sel:DWORD
	s_mov_b64 s[4:5], -1
                                        ; implicit-def: $sgpr10
	s_and_saveexec_b64 s[8:9], s[12:13]
; %bb.3706:
	s_mov_b32 s10, 0x7f800001
	s_xor_b64 s[4:5], exec, -1
; %bb.3707:
	s_or_b64 exec, exec, s[8:9]
	s_and_b64 s[4:5], s[4:5], exec
	s_or_saveexec_b64 s[6:7], s[6:7]
	v_mov_b32_e32 v2, s10
	s_xor_b64 exec, exec, s[6:7]
	s_cbranch_execz .LBB4_1658
.LBB4_3708:
	v_mov_b32_e32 v2, 0
	v_cmp_ne_u16_sdwa s[8:9], v9, v2 src0_sel:BYTE_3 src1_sel:DWORD
	s_andn2_b64 s[4:5], s[4:5], exec
	s_and_b64 s[8:9], s[8:9], exec
	s_or_b64 s[4:5], s[4:5], s[8:9]
	s_or_b64 exec, exec, s[6:7]
	s_and_saveexec_b64 s[6:7], s[4:5]
	s_cbranch_execnz .LBB4_1659
	s_branch .LBB4_1660
.LBB4_3709:
	s_movk_i32 s4, 0x80
	v_cmp_eq_u16_sdwa s[12:13], v5, s4 src0_sel:BYTE_3 src1_sel:DWORD
	s_mov_b64 s[4:5], -1
                                        ; implicit-def: $sgpr10
	s_and_saveexec_b64 s[8:9], s[12:13]
; %bb.3710:
	s_mov_b32 s10, 0x7f800001
	s_xor_b64 s[4:5], exec, -1
; %bb.3711:
	s_or_b64 exec, exec, s[8:9]
	s_and_b64 s[4:5], s[4:5], exec
	s_or_saveexec_b64 s[6:7], s[6:7]
	v_mov_b32_e32 v3, s10
	s_xor_b64 exec, exec, s[6:7]
	s_cbranch_execz .LBB4_1662
.LBB4_3712:
	v_mov_b32_e32 v3, 0
	v_cmp_ne_u16_sdwa s[8:9], v5, v3 src0_sel:BYTE_3 src1_sel:DWORD
	s_andn2_b64 s[4:5], s[4:5], exec
	s_and_b64 s[8:9], s[8:9], exec
	s_or_b64 s[4:5], s[4:5], s[8:9]
	s_or_b64 exec, exec, s[6:7]
	s_and_saveexec_b64 s[6:7], s[4:5]
	s_cbranch_execnz .LBB4_1663
	s_branch .LBB4_1664
.LBB4_3713:
	s_movk_i32 s4, 0x80
	v_cmp_eq_u16_sdwa s[12:13], v6, s4 src0_sel:BYTE_0 src1_sel:DWORD
	s_mov_b64 s[4:5], -1
                                        ; implicit-def: $sgpr10
	s_and_saveexec_b64 s[8:9], s[12:13]
; %bb.3714:
	s_mov_b32 s10, 0x7f800001
	s_xor_b64 s[4:5], exec, -1
; %bb.3715:
	s_or_b64 exec, exec, s[8:9]
	s_and_b64 s[4:5], s[4:5], exec
	s_or_saveexec_b64 s[6:7], s[6:7]
	v_mov_b32_e32 v12, s10
	s_xor_b64 exec, exec, s[6:7]
	s_cbranch_execz .LBB4_1666
.LBB4_3716:
	v_mov_b32_e32 v12, 0
	v_cmp_ne_u16_sdwa s[8:9], v6, v12 src0_sel:BYTE_0 src1_sel:DWORD
	s_andn2_b64 s[4:5], s[4:5], exec
	s_and_b64 s[8:9], s[8:9], exec
	s_or_b64 s[4:5], s[4:5], s[8:9]
	s_or_b64 exec, exec, s[6:7]
	s_and_saveexec_b64 s[6:7], s[4:5]
	s_cbranch_execnz .LBB4_1667
	s_branch .LBB4_1668
.LBB4_3717:
	s_movk_i32 s4, 0x80
	v_cmp_eq_u16_sdwa s[12:13], v2, s4 src0_sel:BYTE_0 src1_sel:DWORD
	s_mov_b64 s[4:5], -1
                                        ; implicit-def: $sgpr10
	s_and_saveexec_b64 s[8:9], s[12:13]
; %bb.3718:
	s_mov_b32 s10, 0x7f800001
	s_xor_b64 s[4:5], exec, -1
; %bb.3719:
	s_or_b64 exec, exec, s[8:9]
	s_and_b64 s[4:5], s[4:5], exec
	s_or_saveexec_b64 s[6:7], s[6:7]
	v_mov_b32_e32 v13, s10
	s_xor_b64 exec, exec, s[6:7]
	s_cbranch_execz .LBB4_1670
.LBB4_3720:
	v_mov_b32_e32 v13, 0
	v_cmp_ne_u16_sdwa s[8:9], v2, v13 src0_sel:BYTE_0 src1_sel:DWORD
	s_andn2_b64 s[4:5], s[4:5], exec
	s_and_b64 s[8:9], s[8:9], exec
	s_or_b64 s[4:5], s[4:5], s[8:9]
	s_or_b64 exec, exec, s[6:7]
	s_and_saveexec_b64 s[6:7], s[4:5]
	s_cbranch_execnz .LBB4_1671
	s_branch .LBB4_1672
.LBB4_3721:
	s_movk_i32 s4, 0x80
	v_cmp_eq_u16_sdwa s[12:13], v13, s4 src0_sel:BYTE_0 src1_sel:DWORD
	s_mov_b64 s[4:5], -1
                                        ; implicit-def: $sgpr10
	s_and_saveexec_b64 s[8:9], s[12:13]
; %bb.3722:
	s_mov_b32 s10, 0x7f800001
	s_xor_b64 s[4:5], exec, -1
; %bb.3723:
	s_or_b64 exec, exec, s[8:9]
	s_and_b64 s[4:5], s[4:5], exec
	s_or_saveexec_b64 s[6:7], s[6:7]
	v_mov_b32_e32 v12, s10
	s_xor_b64 exec, exec, s[6:7]
	s_cbranch_execz .LBB4_1674
.LBB4_3724:
	v_mov_b32_e32 v12, 0
	v_cmp_ne_u16_sdwa s[8:9], v13, v12 src0_sel:BYTE_0 src1_sel:DWORD
	s_andn2_b64 s[4:5], s[4:5], exec
	s_and_b64 s[8:9], s[8:9], exec
	s_or_b64 s[4:5], s[4:5], s[8:9]
	s_or_b64 exec, exec, s[6:7]
	s_and_saveexec_b64 s[6:7], s[4:5]
	s_cbranch_execnz .LBB4_1675
	s_branch .LBB4_1676
.LBB4_3725:
	s_movk_i32 s4, 0x80
	v_cmp_eq_u16_sdwa s[12:13], v13, s4 src0_sel:BYTE_0 src1_sel:DWORD
	s_mov_b64 s[4:5], -1
                                        ; implicit-def: $sgpr10
	s_and_saveexec_b64 s[8:9], s[12:13]
; %bb.3726:
	s_mov_b32 s10, 0x7f800001
	s_xor_b64 s[4:5], exec, -1
; %bb.3727:
	s_or_b64 exec, exec, s[8:9]
	s_and_b64 s[4:5], s[4:5], exec
	s_or_saveexec_b64 s[6:7], s[6:7]
	v_mov_b32_e32 v14, s10
	s_xor_b64 exec, exec, s[6:7]
	s_cbranch_execz .LBB4_1678
.LBB4_3728:
	v_mov_b32_e32 v14, 0
	v_cmp_ne_u16_sdwa s[8:9], v13, v14 src0_sel:BYTE_0 src1_sel:DWORD
	s_andn2_b64 s[4:5], s[4:5], exec
	s_and_b64 s[8:9], s[8:9], exec
	s_or_b64 s[4:5], s[4:5], s[8:9]
	s_or_b64 exec, exec, s[6:7]
	s_and_saveexec_b64 s[6:7], s[4:5]
	s_cbranch_execnz .LBB4_1679
	s_branch .LBB4_1680
.LBB4_3729:
	s_movk_i32 s4, 0x80
	v_cmp_eq_u16_e32 vcc, s4, v13
	s_mov_b64 s[4:5], -1
                                        ; implicit-def: $sgpr10
	s_and_saveexec_b64 s[8:9], vcc
; %bb.3730:
	s_mov_b32 s10, 0x7f800001
	s_xor_b64 s[4:5], exec, -1
; %bb.3731:
	s_or_b64 exec, exec, s[8:9]
	s_and_b64 s[4:5], s[4:5], exec
                                        ; implicit-def: $vgpr13
	s_or_saveexec_b64 s[6:7], s[6:7]
	v_mov_b32_e32 v12, s10
	s_xor_b64 exec, exec, s[6:7]
	s_cbranch_execz .LBB4_1682
.LBB4_3732:
	v_cmp_ne_u16_e32 vcc, 0, v13
	s_andn2_b64 s[4:5], s[4:5], exec
	s_and_b64 s[8:9], vcc, exec
	v_mov_b32_e32 v12, 0
	s_or_b64 s[4:5], s[4:5], s[8:9]
	s_or_b64 exec, exec, s[6:7]
	s_and_saveexec_b64 s[6:7], s[4:5]
	s_cbranch_execnz .LBB4_1683
	s_branch .LBB4_1684
.LBB4_3733:
	s_movk_i32 s4, 0x80
	v_cmp_eq_u16_e32 vcc, s4, v13
	s_mov_b64 s[4:5], -1
                                        ; implicit-def: $sgpr10
	s_and_saveexec_b64 s[8:9], vcc
; %bb.3734:
	s_mov_b32 s10, 0x7f800001
	s_xor_b64 s[4:5], exec, -1
; %bb.3735:
	s_or_b64 exec, exec, s[8:9]
	s_and_b64 s[4:5], s[4:5], exec
                                        ; implicit-def: $vgpr13
	s_or_saveexec_b64 s[6:7], s[6:7]
	v_mov_b32_e32 v14, s10
	s_xor_b64 exec, exec, s[6:7]
	s_cbranch_execz .LBB4_1686
.LBB4_3736:
	v_cmp_ne_u16_e32 vcc, 0, v13
	s_andn2_b64 s[4:5], s[4:5], exec
	s_and_b64 s[8:9], vcc, exec
	v_mov_b32_e32 v14, 0
	s_or_b64 s[4:5], s[4:5], s[8:9]
	s_or_b64 exec, exec, s[6:7]
	s_and_saveexec_b64 s[6:7], s[4:5]
	s_cbranch_execnz .LBB4_1687
	s_branch .LBB4_1688
.LBB4_3737:
	s_movk_i32 s4, 0x80
	v_cmp_eq_u16_sdwa s[12:13], v6, s4 src0_sel:BYTE_3 src1_sel:DWORD
	s_mov_b64 s[4:5], -1
                                        ; implicit-def: $sgpr10
	s_and_saveexec_b64 s[8:9], s[12:13]
; %bb.3738:
	s_mov_b32 s10, 0x7f800001
	s_xor_b64 s[4:5], exec, -1
; %bb.3739:
	s_or_b64 exec, exec, s[8:9]
	s_and_b64 s[4:5], s[4:5], exec
	s_or_saveexec_b64 s[6:7], s[6:7]
	v_mov_b32_e32 v12, s10
	s_xor_b64 exec, exec, s[6:7]
	s_cbranch_execz .LBB4_1690
.LBB4_3740:
	v_mov_b32_e32 v12, 0
	v_cmp_ne_u16_sdwa s[8:9], v6, v12 src0_sel:BYTE_3 src1_sel:DWORD
	s_andn2_b64 s[4:5], s[4:5], exec
	s_and_b64 s[8:9], s[8:9], exec
	s_or_b64 s[4:5], s[4:5], s[8:9]
	s_or_b64 exec, exec, s[6:7]
	s_and_saveexec_b64 s[6:7], s[4:5]
	s_cbranch_execnz .LBB4_1691
	s_branch .LBB4_1692
.LBB4_3741:
	s_movk_i32 s4, 0x80
	v_cmp_eq_u16_sdwa s[12:13], v2, s4 src0_sel:BYTE_3 src1_sel:DWORD
	s_mov_b64 s[4:5], -1
                                        ; implicit-def: $sgpr10
	s_and_saveexec_b64 s[8:9], s[12:13]
; %bb.3742:
	s_mov_b32 s10, 0x7f800001
	s_xor_b64 s[4:5], exec, -1
; %bb.3743:
	s_or_b64 exec, exec, s[8:9]
	s_and_b64 s[4:5], s[4:5], exec
	s_or_saveexec_b64 s[6:7], s[6:7]
	v_mov_b32_e32 v6, s10
	s_xor_b64 exec, exec, s[6:7]
	s_cbranch_execz .LBB4_1694
.LBB4_3744:
	v_mov_b32_e32 v6, 0
	v_cmp_ne_u16_sdwa s[8:9], v2, v6 src0_sel:BYTE_3 src1_sel:DWORD
	s_andn2_b64 s[4:5], s[4:5], exec
	s_and_b64 s[8:9], s[8:9], exec
	s_or_b64 s[4:5], s[4:5], s[8:9]
	s_or_b64 exec, exec, s[6:7]
	s_and_saveexec_b64 s[6:7], s[4:5]
	s_cbranch_execnz .LBB4_1695
	s_branch .LBB4_1696
.LBB4_3745:
	s_movk_i32 s4, 0x80
	v_cmp_eq_u16_sdwa s[12:13], v7, s4 src0_sel:BYTE_0 src1_sel:DWORD
	s_mov_b64 s[4:5], -1
                                        ; implicit-def: $sgpr10
	s_and_saveexec_b64 s[8:9], s[12:13]
; %bb.3746:
	s_mov_b32 s10, 0x7f800001
	s_xor_b64 s[4:5], exec, -1
; %bb.3747:
	s_or_b64 exec, exec, s[8:9]
	s_and_b64 s[4:5], s[4:5], exec
	s_or_saveexec_b64 s[6:7], s[6:7]
	v_mov_b32_e32 v2, s10
	s_xor_b64 exec, exec, s[6:7]
	s_cbranch_execz .LBB4_1698
.LBB4_3748:
	v_mov_b32_e32 v2, 0
	v_cmp_ne_u16_sdwa s[8:9], v7, v2 src0_sel:BYTE_0 src1_sel:DWORD
	s_andn2_b64 s[4:5], s[4:5], exec
	s_and_b64 s[8:9], s[8:9], exec
	s_or_b64 s[4:5], s[4:5], s[8:9]
	s_or_b64 exec, exec, s[6:7]
	s_and_saveexec_b64 s[6:7], s[4:5]
	s_cbranch_execnz .LBB4_1699
	s_branch .LBB4_1700
.LBB4_3749:
	s_movk_i32 s4, 0x80
	v_cmp_eq_u16_sdwa s[12:13], v3, s4 src0_sel:BYTE_0 src1_sel:DWORD
	s_mov_b64 s[4:5], -1
                                        ; implicit-def: $sgpr10
	s_and_saveexec_b64 s[8:9], s[12:13]
; %bb.3750:
	s_mov_b32 s10, 0x7f800001
	s_xor_b64 s[4:5], exec, -1
; %bb.3751:
	s_or_b64 exec, exec, s[8:9]
	s_and_b64 s[4:5], s[4:5], exec
	s_or_saveexec_b64 s[6:7], s[6:7]
	v_mov_b32_e32 v6, s10
	s_xor_b64 exec, exec, s[6:7]
	s_cbranch_execz .LBB4_1702
.LBB4_3752:
	v_mov_b32_e32 v6, 0
	v_cmp_ne_u16_sdwa s[8:9], v3, v6 src0_sel:BYTE_0 src1_sel:DWORD
	s_andn2_b64 s[4:5], s[4:5], exec
	s_and_b64 s[8:9], s[8:9], exec
	s_or_b64 s[4:5], s[4:5], s[8:9]
	s_or_b64 exec, exec, s[6:7]
	s_and_saveexec_b64 s[6:7], s[4:5]
	s_cbranch_execnz .LBB4_1703
	s_branch .LBB4_1704
.LBB4_3753:
	s_movk_i32 s4, 0x80
	v_cmp_eq_u16_sdwa s[12:13], v6, s4 src0_sel:BYTE_0 src1_sel:DWORD
	s_mov_b64 s[4:5], -1
                                        ; implicit-def: $sgpr10
	s_and_saveexec_b64 s[8:9], s[12:13]
; %bb.3754:
	s_mov_b32 s10, 0x7f800001
	s_xor_b64 s[4:5], exec, -1
; %bb.3755:
	s_or_b64 exec, exec, s[8:9]
	s_and_b64 s[4:5], s[4:5], exec
	s_or_saveexec_b64 s[6:7], s[6:7]
	v_mov_b32_e32 v2, s10
	s_xor_b64 exec, exec, s[6:7]
	s_cbranch_execz .LBB4_1706
.LBB4_3756:
	v_mov_b32_e32 v2, 0
	v_cmp_ne_u16_sdwa s[8:9], v6, v2 src0_sel:BYTE_0 src1_sel:DWORD
	s_andn2_b64 s[4:5], s[4:5], exec
	s_and_b64 s[8:9], s[8:9], exec
	s_or_b64 s[4:5], s[4:5], s[8:9]
	s_or_b64 exec, exec, s[6:7]
	s_and_saveexec_b64 s[6:7], s[4:5]
	s_cbranch_execnz .LBB4_1707
	s_branch .LBB4_1708
.LBB4_3757:
	s_movk_i32 s4, 0x80
	v_cmp_eq_u16_sdwa s[12:13], v6, s4 src0_sel:BYTE_0 src1_sel:DWORD
	s_mov_b64 s[4:5], -1
                                        ; implicit-def: $sgpr10
	s_and_saveexec_b64 s[8:9], s[12:13]
; %bb.3758:
	s_mov_b32 s10, 0x7f800001
	s_xor_b64 s[4:5], exec, -1
; %bb.3759:
	s_or_b64 exec, exec, s[8:9]
	s_and_b64 s[4:5], s[4:5], exec
	s_or_saveexec_b64 s[6:7], s[6:7]
	v_mov_b32_e32 v12, s10
	s_xor_b64 exec, exec, s[6:7]
	s_cbranch_execz .LBB4_1710
.LBB4_3760:
	v_mov_b32_e32 v12, 0
	v_cmp_ne_u16_sdwa s[8:9], v6, v12 src0_sel:BYTE_0 src1_sel:DWORD
	s_andn2_b64 s[4:5], s[4:5], exec
	s_and_b64 s[8:9], s[8:9], exec
	s_or_b64 s[4:5], s[4:5], s[8:9]
	s_or_b64 exec, exec, s[6:7]
	s_and_saveexec_b64 s[6:7], s[4:5]
	s_cbranch_execnz .LBB4_1711
	s_branch .LBB4_1712
.LBB4_3761:
	s_movk_i32 s4, 0x80
	v_cmp_eq_u16_e32 vcc, s4, v6
	s_mov_b64 s[4:5], -1
                                        ; implicit-def: $sgpr10
	s_and_saveexec_b64 s[8:9], vcc
; %bb.3762:
	s_mov_b32 s10, 0x7f800001
	s_xor_b64 s[4:5], exec, -1
; %bb.3763:
	s_or_b64 exec, exec, s[8:9]
	s_and_b64 s[4:5], s[4:5], exec
                                        ; implicit-def: $vgpr6
	s_or_saveexec_b64 s[6:7], s[6:7]
	v_mov_b32_e32 v2, s10
	s_xor_b64 exec, exec, s[6:7]
	s_cbranch_execz .LBB4_1714
.LBB4_3764:
	v_cmp_ne_u16_e32 vcc, 0, v6
	s_andn2_b64 s[4:5], s[4:5], exec
	s_and_b64 s[8:9], vcc, exec
	v_mov_b32_e32 v2, 0
	s_or_b64 s[4:5], s[4:5], s[8:9]
	s_or_b64 exec, exec, s[6:7]
	s_and_saveexec_b64 s[6:7], s[4:5]
	s_cbranch_execnz .LBB4_1715
	s_branch .LBB4_1716
.LBB4_3765:
	s_movk_i32 s4, 0x80
	v_cmp_eq_u16_e32 vcc, s4, v6
	s_mov_b64 s[4:5], -1
                                        ; implicit-def: $sgpr10
	s_and_saveexec_b64 s[8:9], vcc
; %bb.3766:
	s_mov_b32 s10, 0x7f800001
	s_xor_b64 s[4:5], exec, -1
; %bb.3767:
	s_or_b64 exec, exec, s[8:9]
	s_and_b64 s[4:5], s[4:5], exec
                                        ; implicit-def: $vgpr6
	s_or_saveexec_b64 s[6:7], s[6:7]
	v_mov_b32_e32 v12, s10
	s_xor_b64 exec, exec, s[6:7]
	s_cbranch_execz .LBB4_1718
.LBB4_3768:
	v_cmp_ne_u16_e32 vcc, 0, v6
	s_andn2_b64 s[4:5], s[4:5], exec
	s_and_b64 s[8:9], vcc, exec
	v_mov_b32_e32 v12, 0
	s_or_b64 s[4:5], s[4:5], s[8:9]
	s_or_b64 exec, exec, s[6:7]
	s_and_saveexec_b64 s[6:7], s[4:5]
	s_cbranch_execnz .LBB4_1719
	s_branch .LBB4_1720
.LBB4_3769:
	s_movk_i32 s4, 0x80
	v_cmp_eq_u16_sdwa s[12:13], v7, s4 src0_sel:BYTE_3 src1_sel:DWORD
	s_mov_b64 s[4:5], -1
                                        ; implicit-def: $sgpr10
	s_and_saveexec_b64 s[8:9], s[12:13]
; %bb.3770:
	s_mov_b32 s10, 0x7f800001
	s_xor_b64 s[4:5], exec, -1
; %bb.3771:
	s_or_b64 exec, exec, s[8:9]
	s_and_b64 s[4:5], s[4:5], exec
	s_or_saveexec_b64 s[6:7], s[6:7]
	v_mov_b32_e32 v2, s10
	s_xor_b64 exec, exec, s[6:7]
	s_cbranch_execz .LBB4_1722
.LBB4_3772:
	v_mov_b32_e32 v2, 0
	v_cmp_ne_u16_sdwa s[8:9], v7, v2 src0_sel:BYTE_3 src1_sel:DWORD
	s_andn2_b64 s[4:5], s[4:5], exec
	s_and_b64 s[8:9], s[8:9], exec
	s_or_b64 s[4:5], s[4:5], s[8:9]
	s_or_b64 exec, exec, s[6:7]
	s_and_saveexec_b64 s[6:7], s[4:5]
	s_cbranch_execnz .LBB4_1723
	s_branch .LBB4_1724
.LBB4_3773:
	s_movk_i32 s4, 0x80
	v_cmp_eq_u16_sdwa s[12:13], v3, s4 src0_sel:BYTE_3 src1_sel:DWORD
	s_mov_b64 s[4:5], -1
                                        ; implicit-def: $sgpr10
	s_and_saveexec_b64 s[8:9], s[12:13]
; %bb.3774:
	s_mov_b32 s10, 0x7f800001
	s_xor_b64 s[4:5], exec, -1
; %bb.3775:
	s_or_b64 exec, exec, s[8:9]
	s_and_b64 s[4:5], s[4:5], exec
	s_or_saveexec_b64 s[6:7], s[6:7]
	v_mov_b32_e32 v6, s10
	s_xor_b64 exec, exec, s[6:7]
	s_cbranch_execz .LBB4_1726
.LBB4_3776:
	v_mov_b32_e32 v6, 0
	v_cmp_ne_u16_sdwa s[8:9], v3, v6 src0_sel:BYTE_3 src1_sel:DWORD
	s_andn2_b64 s[4:5], s[4:5], exec
	s_and_b64 s[8:9], s[8:9], exec
	s_or_b64 s[4:5], s[4:5], s[8:9]
	s_or_b64 exec, exec, s[6:7]
	s_and_saveexec_b64 s[6:7], s[4:5]
	s_cbranch_execnz .LBB4_1727
	s_branch .LBB4_1728
.LBB4_3777:
	s_movk_i32 s4, 0x80
	v_cmp_eq_u16_sdwa s[12:13], v8, s4 src0_sel:BYTE_0 src1_sel:DWORD
	s_mov_b64 s[4:5], -1
                                        ; implicit-def: $sgpr10
	s_and_saveexec_b64 s[8:9], s[12:13]
; %bb.3778:
	s_mov_b32 s10, 0x7f800001
	s_xor_b64 s[4:5], exec, -1
; %bb.3779:
	s_or_b64 exec, exec, s[8:9]
	s_and_b64 s[4:5], s[4:5], exec
	s_or_saveexec_b64 s[6:7], s[6:7]
	v_mov_b32_e32 v2, s10
	s_xor_b64 exec, exec, s[6:7]
	s_cbranch_execz .LBB4_1730
.LBB4_3780:
	v_mov_b32_e32 v2, 0
	v_cmp_ne_u16_sdwa s[8:9], v8, v2 src0_sel:BYTE_0 src1_sel:DWORD
	s_andn2_b64 s[4:5], s[4:5], exec
	s_and_b64 s[8:9], s[8:9], exec
	s_or_b64 s[4:5], s[4:5], s[8:9]
	s_or_b64 exec, exec, s[6:7]
	s_and_saveexec_b64 s[6:7], s[4:5]
	s_cbranch_execnz .LBB4_1731
	s_branch .LBB4_1732
.LBB4_3781:
	s_movk_i32 s4, 0x80
	v_cmp_eq_u16_sdwa s[12:13], v4, s4 src0_sel:BYTE_0 src1_sel:DWORD
	s_mov_b64 s[4:5], -1
                                        ; implicit-def: $sgpr10
	s_and_saveexec_b64 s[8:9], s[12:13]
; %bb.3782:
	s_mov_b32 s10, 0x7f800001
	s_xor_b64 s[4:5], exec, -1
; %bb.3783:
	s_or_b64 exec, exec, s[8:9]
	s_and_b64 s[4:5], s[4:5], exec
	s_or_saveexec_b64 s[6:7], s[6:7]
	v_mov_b32_e32 v3, s10
	s_xor_b64 exec, exec, s[6:7]
	s_cbranch_execz .LBB4_1734
.LBB4_3784:
	v_mov_b32_e32 v3, 0
	v_cmp_ne_u16_sdwa s[8:9], v4, v3 src0_sel:BYTE_0 src1_sel:DWORD
	s_andn2_b64 s[4:5], s[4:5], exec
	s_and_b64 s[8:9], s[8:9], exec
	s_or_b64 s[4:5], s[4:5], s[8:9]
	s_or_b64 exec, exec, s[6:7]
	s_and_saveexec_b64 s[6:7], s[4:5]
	s_cbranch_execnz .LBB4_1735
	s_branch .LBB4_1736
.LBB4_3785:
	s_movk_i32 s4, 0x80
	v_cmp_eq_u16_sdwa s[12:13], v3, s4 src0_sel:BYTE_0 src1_sel:DWORD
	s_mov_b64 s[4:5], -1
                                        ; implicit-def: $sgpr10
	s_and_saveexec_b64 s[8:9], s[12:13]
; %bb.3786:
	s_mov_b32 s10, 0x7f800001
	s_xor_b64 s[4:5], exec, -1
; %bb.3787:
	s_or_b64 exec, exec, s[8:9]
	s_and_b64 s[4:5], s[4:5], exec
	s_or_saveexec_b64 s[6:7], s[6:7]
	v_mov_b32_e32 v2, s10
	s_xor_b64 exec, exec, s[6:7]
	s_cbranch_execz .LBB4_1738
.LBB4_3788:
	v_mov_b32_e32 v2, 0
	v_cmp_ne_u16_sdwa s[8:9], v3, v2 src0_sel:BYTE_0 src1_sel:DWORD
	s_andn2_b64 s[4:5], s[4:5], exec
	s_and_b64 s[8:9], s[8:9], exec
	s_or_b64 s[4:5], s[4:5], s[8:9]
	s_or_b64 exec, exec, s[6:7]
	s_and_saveexec_b64 s[6:7], s[4:5]
	s_cbranch_execnz .LBB4_1739
	s_branch .LBB4_1740
.LBB4_3789:
	s_movk_i32 s4, 0x80
	v_cmp_eq_u16_sdwa s[12:13], v3, s4 src0_sel:BYTE_0 src1_sel:DWORD
	s_mov_b64 s[4:5], -1
                                        ; implicit-def: $sgpr10
	s_and_saveexec_b64 s[8:9], s[12:13]
; %bb.3790:
	s_mov_b32 s10, 0x7f800001
	s_xor_b64 s[4:5], exec, -1
; %bb.3791:
	s_or_b64 exec, exec, s[8:9]
	s_and_b64 s[4:5], s[4:5], exec
	s_or_saveexec_b64 s[6:7], s[6:7]
	v_mov_b32_e32 v6, s10
	s_xor_b64 exec, exec, s[6:7]
	s_cbranch_execz .LBB4_1742
.LBB4_3792:
	v_mov_b32_e32 v6, 0
	v_cmp_ne_u16_sdwa s[8:9], v3, v6 src0_sel:BYTE_0 src1_sel:DWORD
	s_andn2_b64 s[4:5], s[4:5], exec
	s_and_b64 s[8:9], s[8:9], exec
	s_or_b64 s[4:5], s[4:5], s[8:9]
	s_or_b64 exec, exec, s[6:7]
	s_and_saveexec_b64 s[6:7], s[4:5]
	s_cbranch_execnz .LBB4_1743
	s_branch .LBB4_1744
.LBB4_3793:
	s_movk_i32 s4, 0x80
	v_cmp_eq_u16_e32 vcc, s4, v3
	s_mov_b64 s[4:5], -1
                                        ; implicit-def: $sgpr10
	s_and_saveexec_b64 s[8:9], vcc
; %bb.3794:
	s_mov_b32 s10, 0x7f800001
	s_xor_b64 s[4:5], exec, -1
; %bb.3795:
	s_or_b64 exec, exec, s[8:9]
	s_and_b64 s[4:5], s[4:5], exec
                                        ; implicit-def: $vgpr3
	s_or_saveexec_b64 s[6:7], s[6:7]
	v_mov_b32_e32 v2, s10
	s_xor_b64 exec, exec, s[6:7]
	s_cbranch_execz .LBB4_1746
.LBB4_3796:
	v_cmp_ne_u16_e32 vcc, 0, v3
	s_andn2_b64 s[4:5], s[4:5], exec
	s_and_b64 s[8:9], vcc, exec
	v_mov_b32_e32 v2, 0
	s_or_b64 s[4:5], s[4:5], s[8:9]
	s_or_b64 exec, exec, s[6:7]
	s_and_saveexec_b64 s[6:7], s[4:5]
	s_cbranch_execnz .LBB4_1747
	s_branch .LBB4_1748
.LBB4_3797:
	s_movk_i32 s4, 0x80
	v_cmp_eq_u16_e32 vcc, s4, v3
	s_mov_b64 s[4:5], -1
                                        ; implicit-def: $sgpr10
	s_and_saveexec_b64 s[8:9], vcc
; %bb.3798:
	s_mov_b32 s10, 0x7f800001
	s_xor_b64 s[4:5], exec, -1
; %bb.3799:
	s_or_b64 exec, exec, s[8:9]
	s_and_b64 s[4:5], s[4:5], exec
                                        ; implicit-def: $vgpr3
	s_or_saveexec_b64 s[6:7], s[6:7]
	v_mov_b32_e32 v6, s10
	s_xor_b64 exec, exec, s[6:7]
	s_cbranch_execz .LBB4_1750
.LBB4_3800:
	v_cmp_ne_u16_e32 vcc, 0, v3
	s_andn2_b64 s[4:5], s[4:5], exec
	s_and_b64 s[8:9], vcc, exec
	v_mov_b32_e32 v6, 0
	s_or_b64 s[4:5], s[4:5], s[8:9]
	s_or_b64 exec, exec, s[6:7]
	s_and_saveexec_b64 s[6:7], s[4:5]
	s_cbranch_execnz .LBB4_1751
	s_branch .LBB4_1752
.LBB4_3801:
	s_movk_i32 s4, 0x80
	v_cmp_eq_u16_sdwa s[12:13], v8, s4 src0_sel:BYTE_3 src1_sel:DWORD
	s_mov_b64 s[4:5], -1
                                        ; implicit-def: $sgpr10
	s_and_saveexec_b64 s[8:9], s[12:13]
; %bb.3802:
	s_mov_b32 s10, 0x7f800001
	s_xor_b64 s[4:5], exec, -1
; %bb.3803:
	s_or_b64 exec, exec, s[8:9]
	s_and_b64 s[4:5], s[4:5], exec
	s_or_saveexec_b64 s[6:7], s[6:7]
	v_mov_b32_e32 v2, s10
	s_xor_b64 exec, exec, s[6:7]
	s_cbranch_execz .LBB4_1754
.LBB4_3804:
	v_mov_b32_e32 v2, 0
	v_cmp_ne_u16_sdwa s[8:9], v8, v2 src0_sel:BYTE_3 src1_sel:DWORD
	s_andn2_b64 s[4:5], s[4:5], exec
	s_and_b64 s[8:9], s[8:9], exec
	s_or_b64 s[4:5], s[4:5], s[8:9]
	s_or_b64 exec, exec, s[6:7]
	s_and_saveexec_b64 s[6:7], s[4:5]
	s_cbranch_execnz .LBB4_1755
	s_branch .LBB4_1756
.LBB4_3805:
	s_movk_i32 s4, 0x80
	v_cmp_eq_u16_sdwa s[12:13], v4, s4 src0_sel:BYTE_3 src1_sel:DWORD
	s_mov_b64 s[4:5], -1
                                        ; implicit-def: $sgpr10
	s_and_saveexec_b64 s[8:9], s[12:13]
; %bb.3806:
	s_mov_b32 s10, 0x7f800001
	s_xor_b64 s[4:5], exec, -1
; %bb.3807:
	s_or_b64 exec, exec, s[8:9]
	s_and_b64 s[4:5], s[4:5], exec
	s_or_saveexec_b64 s[6:7], s[6:7]
	v_mov_b32_e32 v3, s10
	s_xor_b64 exec, exec, s[6:7]
	s_cbranch_execz .LBB4_1758
.LBB4_3808:
	v_mov_b32_e32 v3, 0
	v_cmp_ne_u16_sdwa s[8:9], v4, v3 src0_sel:BYTE_3 src1_sel:DWORD
	s_andn2_b64 s[4:5], s[4:5], exec
	s_and_b64 s[8:9], s[8:9], exec
	s_or_b64 s[4:5], s[4:5], s[8:9]
	s_or_b64 exec, exec, s[6:7]
	s_and_saveexec_b64 s[6:7], s[4:5]
	s_cbranch_execnz .LBB4_1759
	s_branch .LBB4_1760
.LBB4_3809:
	s_movk_i32 s4, 0x80
	v_cmp_eq_u16_sdwa s[12:13], v9, s4 src0_sel:BYTE_0 src1_sel:DWORD
	s_mov_b64 s[4:5], -1
                                        ; implicit-def: $sgpr10
	s_and_saveexec_b64 s[8:9], s[12:13]
; %bb.3810:
	s_mov_b32 s10, 0x7f800001
	s_xor_b64 s[4:5], exec, -1
; %bb.3811:
	s_or_b64 exec, exec, s[8:9]
	s_and_b64 s[4:5], s[4:5], exec
	s_or_saveexec_b64 s[6:7], s[6:7]
	v_mov_b32_e32 v2, s10
	s_xor_b64 exec, exec, s[6:7]
	s_cbranch_execz .LBB4_1762
.LBB4_3812:
	v_mov_b32_e32 v2, 0
	v_cmp_ne_u16_sdwa s[8:9], v9, v2 src0_sel:BYTE_0 src1_sel:DWORD
	s_andn2_b64 s[4:5], s[4:5], exec
	s_and_b64 s[8:9], s[8:9], exec
	s_or_b64 s[4:5], s[4:5], s[8:9]
	s_or_b64 exec, exec, s[6:7]
	s_and_saveexec_b64 s[6:7], s[4:5]
	s_cbranch_execnz .LBB4_1763
	s_branch .LBB4_1764
.LBB4_3813:
	s_movk_i32 s4, 0x80
	v_cmp_eq_u16_sdwa s[12:13], v5, s4 src0_sel:BYTE_0 src1_sel:DWORD
	s_mov_b64 s[4:5], -1
                                        ; implicit-def: $sgpr10
	s_and_saveexec_b64 s[8:9], s[12:13]
; %bb.3814:
	s_mov_b32 s10, 0x7f800001
	s_xor_b64 s[4:5], exec, -1
; %bb.3815:
	s_or_b64 exec, exec, s[8:9]
	s_and_b64 s[4:5], s[4:5], exec
	s_or_saveexec_b64 s[6:7], s[6:7]
	v_mov_b32_e32 v3, s10
	s_xor_b64 exec, exec, s[6:7]
	s_cbranch_execz .LBB4_1766
.LBB4_3816:
	v_mov_b32_e32 v3, 0
	v_cmp_ne_u16_sdwa s[8:9], v5, v3 src0_sel:BYTE_0 src1_sel:DWORD
	s_andn2_b64 s[4:5], s[4:5], exec
	s_and_b64 s[8:9], s[8:9], exec
	s_or_b64 s[4:5], s[4:5], s[8:9]
	s_or_b64 exec, exec, s[6:7]
	s_and_saveexec_b64 s[6:7], s[4:5]
	s_cbranch_execnz .LBB4_1767
	s_branch .LBB4_1768
.LBB4_3817:
	s_movk_i32 s4, 0x80
	v_cmp_eq_u16_sdwa s[12:13], v3, s4 src0_sel:BYTE_0 src1_sel:DWORD
	s_mov_b64 s[4:5], -1
                                        ; implicit-def: $sgpr10
	s_and_saveexec_b64 s[8:9], s[12:13]
; %bb.3818:
	s_mov_b32 s10, 0x7f800001
	s_xor_b64 s[4:5], exec, -1
; %bb.3819:
	s_or_b64 exec, exec, s[8:9]
	s_and_b64 s[4:5], s[4:5], exec
	s_or_saveexec_b64 s[6:7], s[6:7]
	v_mov_b32_e32 v2, s10
	s_xor_b64 exec, exec, s[6:7]
	s_cbranch_execz .LBB4_1770
.LBB4_3820:
	v_mov_b32_e32 v2, 0
	v_cmp_ne_u16_sdwa s[8:9], v3, v2 src0_sel:BYTE_0 src1_sel:DWORD
	s_andn2_b64 s[4:5], s[4:5], exec
	s_and_b64 s[8:9], s[8:9], exec
	s_or_b64 s[4:5], s[4:5], s[8:9]
	s_or_b64 exec, exec, s[6:7]
	s_and_saveexec_b64 s[6:7], s[4:5]
	s_cbranch_execnz .LBB4_1771
	s_branch .LBB4_1772
.LBB4_3821:
	s_movk_i32 s4, 0x80
	v_cmp_eq_u16_sdwa s[12:13], v3, s4 src0_sel:BYTE_0 src1_sel:DWORD
	s_mov_b64 s[4:5], -1
                                        ; implicit-def: $sgpr10
	s_and_saveexec_b64 s[8:9], s[12:13]
; %bb.3822:
	s_mov_b32 s10, 0x7f800001
	s_xor_b64 s[4:5], exec, -1
; %bb.3823:
	s_or_b64 exec, exec, s[8:9]
	s_and_b64 s[4:5], s[4:5], exec
	s_or_saveexec_b64 s[6:7], s[6:7]
	v_mov_b32_e32 v4, s10
	s_xor_b64 exec, exec, s[6:7]
	s_cbranch_execz .LBB4_1774
.LBB4_3824:
	v_mov_b32_e32 v4, 0
	v_cmp_ne_u16_sdwa s[8:9], v3, v4 src0_sel:BYTE_0 src1_sel:DWORD
	s_andn2_b64 s[4:5], s[4:5], exec
	s_and_b64 s[8:9], s[8:9], exec
	s_or_b64 s[4:5], s[4:5], s[8:9]
	s_or_b64 exec, exec, s[6:7]
	s_and_saveexec_b64 s[6:7], s[4:5]
	s_cbranch_execnz .LBB4_1775
	s_branch .LBB4_1776
.LBB4_3825:
	s_movk_i32 s4, 0x80
	v_cmp_eq_u16_e32 vcc, s4, v3
	s_mov_b64 s[4:5], -1
                                        ; implicit-def: $sgpr10
	s_and_saveexec_b64 s[8:9], vcc
; %bb.3826:
	s_mov_b32 s10, 0x7f800001
	s_xor_b64 s[4:5], exec, -1
; %bb.3827:
	s_or_b64 exec, exec, s[8:9]
	s_and_b64 s[4:5], s[4:5], exec
                                        ; implicit-def: $vgpr3
	s_or_saveexec_b64 s[6:7], s[6:7]
	v_mov_b32_e32 v2, s10
	s_xor_b64 exec, exec, s[6:7]
	s_cbranch_execz .LBB4_1778
.LBB4_3828:
	v_cmp_ne_u16_e32 vcc, 0, v3
	s_andn2_b64 s[4:5], s[4:5], exec
	s_and_b64 s[8:9], vcc, exec
	v_mov_b32_e32 v2, 0
	s_or_b64 s[4:5], s[4:5], s[8:9]
	s_or_b64 exec, exec, s[6:7]
	s_and_saveexec_b64 s[6:7], s[4:5]
	s_cbranch_execnz .LBB4_1779
	s_branch .LBB4_1780
.LBB4_3829:
	s_movk_i32 s4, 0x80
	v_cmp_eq_u16_e32 vcc, s4, v3
	s_mov_b64 s[4:5], -1
                                        ; implicit-def: $sgpr10
	s_and_saveexec_b64 s[8:9], vcc
; %bb.3830:
	s_mov_b32 s10, 0x7f800001
	s_xor_b64 s[4:5], exec, -1
; %bb.3831:
	s_or_b64 exec, exec, s[8:9]
	s_and_b64 s[4:5], s[4:5], exec
                                        ; implicit-def: $vgpr3
	s_or_saveexec_b64 s[6:7], s[6:7]
	v_mov_b32_e32 v4, s10
	s_xor_b64 exec, exec, s[6:7]
	s_cbranch_execz .LBB4_1782
.LBB4_3832:
	v_cmp_ne_u16_e32 vcc, 0, v3
	s_andn2_b64 s[4:5], s[4:5], exec
	s_and_b64 s[8:9], vcc, exec
	v_mov_b32_e32 v4, 0
	s_or_b64 s[4:5], s[4:5], s[8:9]
	s_or_b64 exec, exec, s[6:7]
	s_and_saveexec_b64 s[6:7], s[4:5]
	s_cbranch_execnz .LBB4_1783
	s_branch .LBB4_1784
.LBB4_3833:
	s_movk_i32 s4, 0x80
	v_cmp_eq_u16_sdwa s[12:13], v9, s4 src0_sel:BYTE_3 src1_sel:DWORD
	s_mov_b64 s[4:5], -1
                                        ; implicit-def: $sgpr10
	s_and_saveexec_b64 s[8:9], s[12:13]
; %bb.3834:
	s_mov_b32 s10, 0x7f800001
	s_xor_b64 s[4:5], exec, -1
; %bb.3835:
	s_or_b64 exec, exec, s[8:9]
	s_and_b64 s[4:5], s[4:5], exec
	s_or_saveexec_b64 s[6:7], s[6:7]
	v_mov_b32_e32 v2, s10
	s_xor_b64 exec, exec, s[6:7]
	s_cbranch_execz .LBB4_1786
.LBB4_3836:
	v_mov_b32_e32 v2, 0
	v_cmp_ne_u16_sdwa s[8:9], v9, v2 src0_sel:BYTE_3 src1_sel:DWORD
	s_andn2_b64 s[4:5], s[4:5], exec
	s_and_b64 s[8:9], s[8:9], exec
	s_or_b64 s[4:5], s[4:5], s[8:9]
	s_or_b64 exec, exec, s[6:7]
	s_and_saveexec_b64 s[6:7], s[4:5]
	s_cbranch_execnz .LBB4_1787
	s_branch .LBB4_1788
.LBB4_3837:
	s_movk_i32 s4, 0x80
	v_cmp_eq_u16_sdwa s[12:13], v5, s4 src0_sel:BYTE_3 src1_sel:DWORD
	s_mov_b64 s[4:5], -1
                                        ; implicit-def: $sgpr10
	s_and_saveexec_b64 s[8:9], s[12:13]
; %bb.3838:
	s_mov_b32 s10, 0x7f800001
	s_xor_b64 s[4:5], exec, -1
; %bb.3839:
	s_or_b64 exec, exec, s[8:9]
	s_and_b64 s[4:5], s[4:5], exec
	s_or_saveexec_b64 s[6:7], s[6:7]
	v_mov_b32_e32 v3, s10
	s_xor_b64 exec, exec, s[6:7]
	s_cbranch_execz .LBB4_1790
.LBB4_3840:
	v_mov_b32_e32 v3, 0
	v_cmp_ne_u16_sdwa s[8:9], v5, v3 src0_sel:BYTE_3 src1_sel:DWORD
	s_andn2_b64 s[4:5], s[4:5], exec
	s_and_b64 s[8:9], s[8:9], exec
	s_or_b64 s[4:5], s[4:5], s[8:9]
	s_or_b64 exec, exec, s[6:7]
	s_and_saveexec_b64 s[6:7], s[4:5]
	s_cbranch_execnz .LBB4_1791
	s_branch .LBB4_1792
.LBB4_3841:
	s_movk_i32 s4, 0x80
	v_cmp_eq_u16_sdwa s[12:13], v6, s4 src0_sel:BYTE_0 src1_sel:DWORD
	s_mov_b64 s[4:5], -1
                                        ; implicit-def: $sgpr10
	s_and_saveexec_b64 s[8:9], s[12:13]
; %bb.3842:
	s_mov_b32 s10, 0x7f800001
	s_xor_b64 s[4:5], exec, -1
; %bb.3843:
	s_or_b64 exec, exec, s[8:9]
	s_and_b64 s[4:5], s[4:5], exec
	s_or_saveexec_b64 s[6:7], s[6:7]
	v_mov_b32_e32 v12, s10
	s_xor_b64 exec, exec, s[6:7]
	s_cbranch_execz .LBB4_1794
.LBB4_3844:
	v_mov_b32_e32 v12, 0
	v_cmp_ne_u16_sdwa s[8:9], v6, v12 src0_sel:BYTE_0 src1_sel:DWORD
	s_andn2_b64 s[4:5], s[4:5], exec
	s_and_b64 s[8:9], s[8:9], exec
	s_or_b64 s[4:5], s[4:5], s[8:9]
	s_or_b64 exec, exec, s[6:7]
	s_and_saveexec_b64 s[6:7], s[4:5]
	s_cbranch_execnz .LBB4_1795
	s_branch .LBB4_1796
.LBB4_3845:
	s_movk_i32 s4, 0x80
	v_cmp_eq_u16_sdwa s[12:13], v2, s4 src0_sel:BYTE_0 src1_sel:DWORD
	s_mov_b64 s[4:5], -1
                                        ; implicit-def: $sgpr10
	s_and_saveexec_b64 s[8:9], s[12:13]
; %bb.3846:
	s_mov_b32 s10, 0x7f800001
	s_xor_b64 s[4:5], exec, -1
; %bb.3847:
	s_or_b64 exec, exec, s[8:9]
	s_and_b64 s[4:5], s[4:5], exec
	s_or_saveexec_b64 s[6:7], s[6:7]
	v_mov_b32_e32 v13, s10
	s_xor_b64 exec, exec, s[6:7]
	s_cbranch_execz .LBB4_1798
.LBB4_3848:
	v_mov_b32_e32 v13, 0
	v_cmp_ne_u16_sdwa s[8:9], v2, v13 src0_sel:BYTE_0 src1_sel:DWORD
	s_andn2_b64 s[4:5], s[4:5], exec
	s_and_b64 s[8:9], s[8:9], exec
	s_or_b64 s[4:5], s[4:5], s[8:9]
	s_or_b64 exec, exec, s[6:7]
	s_and_saveexec_b64 s[6:7], s[4:5]
	s_cbranch_execnz .LBB4_1799
	s_branch .LBB4_1800
.LBB4_3849:
	s_movk_i32 s4, 0x80
	v_cmp_eq_u16_sdwa s[12:13], v13, s4 src0_sel:BYTE_0 src1_sel:DWORD
	s_mov_b64 s[4:5], -1
                                        ; implicit-def: $sgpr10
	s_and_saveexec_b64 s[8:9], s[12:13]
; %bb.3850:
	s_mov_b32 s10, 0x7f800001
	s_xor_b64 s[4:5], exec, -1
; %bb.3851:
	s_or_b64 exec, exec, s[8:9]
	s_and_b64 s[4:5], s[4:5], exec
	s_or_saveexec_b64 s[6:7], s[6:7]
	v_mov_b32_e32 v12, s10
	s_xor_b64 exec, exec, s[6:7]
	s_cbranch_execz .LBB4_1802
.LBB4_3852:
	v_mov_b32_e32 v12, 0
	v_cmp_ne_u16_sdwa s[8:9], v13, v12 src0_sel:BYTE_0 src1_sel:DWORD
	s_andn2_b64 s[4:5], s[4:5], exec
	s_and_b64 s[8:9], s[8:9], exec
	s_or_b64 s[4:5], s[4:5], s[8:9]
	s_or_b64 exec, exec, s[6:7]
	s_and_saveexec_b64 s[6:7], s[4:5]
	s_cbranch_execnz .LBB4_1803
	s_branch .LBB4_1804
.LBB4_3853:
	s_movk_i32 s4, 0x80
	v_cmp_eq_u16_sdwa s[12:13], v13, s4 src0_sel:BYTE_0 src1_sel:DWORD
	s_mov_b64 s[4:5], -1
                                        ; implicit-def: $sgpr10
	s_and_saveexec_b64 s[8:9], s[12:13]
; %bb.3854:
	s_mov_b32 s10, 0x7f800001
	s_xor_b64 s[4:5], exec, -1
; %bb.3855:
	s_or_b64 exec, exec, s[8:9]
	s_and_b64 s[4:5], s[4:5], exec
	s_or_saveexec_b64 s[6:7], s[6:7]
	v_mov_b32_e32 v14, s10
	s_xor_b64 exec, exec, s[6:7]
	s_cbranch_execz .LBB4_1806
.LBB4_3856:
	v_mov_b32_e32 v14, 0
	v_cmp_ne_u16_sdwa s[8:9], v13, v14 src0_sel:BYTE_0 src1_sel:DWORD
	s_andn2_b64 s[4:5], s[4:5], exec
	s_and_b64 s[8:9], s[8:9], exec
	s_or_b64 s[4:5], s[4:5], s[8:9]
	s_or_b64 exec, exec, s[6:7]
	s_and_saveexec_b64 s[6:7], s[4:5]
	s_cbranch_execnz .LBB4_1807
	s_branch .LBB4_1808
.LBB4_3857:
	s_movk_i32 s4, 0x80
	v_cmp_eq_u16_e32 vcc, s4, v13
	s_mov_b64 s[4:5], -1
                                        ; implicit-def: $sgpr10
	s_and_saveexec_b64 s[8:9], vcc
; %bb.3858:
	s_mov_b32 s10, 0x7f800001
	s_xor_b64 s[4:5], exec, -1
; %bb.3859:
	s_or_b64 exec, exec, s[8:9]
	s_and_b64 s[4:5], s[4:5], exec
                                        ; implicit-def: $vgpr13
	s_or_saveexec_b64 s[6:7], s[6:7]
	v_mov_b32_e32 v12, s10
	s_xor_b64 exec, exec, s[6:7]
	s_cbranch_execz .LBB4_1810
.LBB4_3860:
	v_cmp_ne_u16_e32 vcc, 0, v13
	s_andn2_b64 s[4:5], s[4:5], exec
	s_and_b64 s[8:9], vcc, exec
	v_mov_b32_e32 v12, 0
	s_or_b64 s[4:5], s[4:5], s[8:9]
	s_or_b64 exec, exec, s[6:7]
	s_and_saveexec_b64 s[6:7], s[4:5]
	s_cbranch_execnz .LBB4_1811
	s_branch .LBB4_1812
.LBB4_3861:
	s_movk_i32 s4, 0x80
	v_cmp_eq_u16_e32 vcc, s4, v13
	s_mov_b64 s[4:5], -1
                                        ; implicit-def: $sgpr10
	s_and_saveexec_b64 s[8:9], vcc
; %bb.3862:
	s_mov_b32 s10, 0x7f800001
	s_xor_b64 s[4:5], exec, -1
; %bb.3863:
	s_or_b64 exec, exec, s[8:9]
	s_and_b64 s[4:5], s[4:5], exec
                                        ; implicit-def: $vgpr13
	s_or_saveexec_b64 s[6:7], s[6:7]
	v_mov_b32_e32 v14, s10
	s_xor_b64 exec, exec, s[6:7]
	s_cbranch_execz .LBB4_1814
.LBB4_3864:
	v_cmp_ne_u16_e32 vcc, 0, v13
	s_andn2_b64 s[4:5], s[4:5], exec
	s_and_b64 s[8:9], vcc, exec
	v_mov_b32_e32 v14, 0
	s_or_b64 s[4:5], s[4:5], s[8:9]
	s_or_b64 exec, exec, s[6:7]
	s_and_saveexec_b64 s[6:7], s[4:5]
	s_cbranch_execnz .LBB4_1815
	s_branch .LBB4_1816
.LBB4_3865:
	s_movk_i32 s4, 0x80
	v_cmp_eq_u16_sdwa s[12:13], v6, s4 src0_sel:BYTE_3 src1_sel:DWORD
	s_mov_b64 s[4:5], -1
                                        ; implicit-def: $sgpr10
	s_and_saveexec_b64 s[8:9], s[12:13]
; %bb.3866:
	s_mov_b32 s10, 0x7f800001
	s_xor_b64 s[4:5], exec, -1
; %bb.3867:
	s_or_b64 exec, exec, s[8:9]
	s_and_b64 s[4:5], s[4:5], exec
	s_or_saveexec_b64 s[6:7], s[6:7]
	v_mov_b32_e32 v12, s10
	s_xor_b64 exec, exec, s[6:7]
	s_cbranch_execz .LBB4_1818
.LBB4_3868:
	v_mov_b32_e32 v12, 0
	v_cmp_ne_u16_sdwa s[8:9], v6, v12 src0_sel:BYTE_3 src1_sel:DWORD
	s_andn2_b64 s[4:5], s[4:5], exec
	s_and_b64 s[8:9], s[8:9], exec
	s_or_b64 s[4:5], s[4:5], s[8:9]
	s_or_b64 exec, exec, s[6:7]
	s_and_saveexec_b64 s[6:7], s[4:5]
	s_cbranch_execnz .LBB4_1819
	s_branch .LBB4_1820
.LBB4_3869:
	s_movk_i32 s4, 0x80
	v_cmp_eq_u16_sdwa s[12:13], v2, s4 src0_sel:BYTE_3 src1_sel:DWORD
	s_mov_b64 s[4:5], -1
                                        ; implicit-def: $sgpr10
	s_and_saveexec_b64 s[8:9], s[12:13]
; %bb.3870:
	s_mov_b32 s10, 0x7f800001
	s_xor_b64 s[4:5], exec, -1
; %bb.3871:
	s_or_b64 exec, exec, s[8:9]
	s_and_b64 s[4:5], s[4:5], exec
	s_or_saveexec_b64 s[6:7], s[6:7]
	v_mov_b32_e32 v6, s10
	s_xor_b64 exec, exec, s[6:7]
	s_cbranch_execz .LBB4_1822
.LBB4_3872:
	v_mov_b32_e32 v6, 0
	v_cmp_ne_u16_sdwa s[8:9], v2, v6 src0_sel:BYTE_3 src1_sel:DWORD
	s_andn2_b64 s[4:5], s[4:5], exec
	s_and_b64 s[8:9], s[8:9], exec
	s_or_b64 s[4:5], s[4:5], s[8:9]
	s_or_b64 exec, exec, s[6:7]
	s_and_saveexec_b64 s[6:7], s[4:5]
	s_cbranch_execnz .LBB4_1823
	s_branch .LBB4_1824
.LBB4_3873:
	s_movk_i32 s4, 0x80
	v_cmp_eq_u16_sdwa s[12:13], v7, s4 src0_sel:BYTE_0 src1_sel:DWORD
	s_mov_b64 s[4:5], -1
                                        ; implicit-def: $sgpr10
	s_and_saveexec_b64 s[8:9], s[12:13]
; %bb.3874:
	s_mov_b32 s10, 0x7f800001
	s_xor_b64 s[4:5], exec, -1
; %bb.3875:
	s_or_b64 exec, exec, s[8:9]
	s_and_b64 s[4:5], s[4:5], exec
	s_or_saveexec_b64 s[6:7], s[6:7]
	v_mov_b32_e32 v2, s10
	s_xor_b64 exec, exec, s[6:7]
	s_cbranch_execz .LBB4_1826
.LBB4_3876:
	v_mov_b32_e32 v2, 0
	v_cmp_ne_u16_sdwa s[8:9], v7, v2 src0_sel:BYTE_0 src1_sel:DWORD
	s_andn2_b64 s[4:5], s[4:5], exec
	s_and_b64 s[8:9], s[8:9], exec
	s_or_b64 s[4:5], s[4:5], s[8:9]
	s_or_b64 exec, exec, s[6:7]
	s_and_saveexec_b64 s[6:7], s[4:5]
	s_cbranch_execnz .LBB4_1827
	s_branch .LBB4_1828
.LBB4_3877:
	s_movk_i32 s4, 0x80
	v_cmp_eq_u16_sdwa s[12:13], v3, s4 src0_sel:BYTE_0 src1_sel:DWORD
	s_mov_b64 s[4:5], -1
                                        ; implicit-def: $sgpr10
	s_and_saveexec_b64 s[8:9], s[12:13]
; %bb.3878:
	s_mov_b32 s10, 0x7f800001
	s_xor_b64 s[4:5], exec, -1
; %bb.3879:
	s_or_b64 exec, exec, s[8:9]
	s_and_b64 s[4:5], s[4:5], exec
	s_or_saveexec_b64 s[6:7], s[6:7]
	v_mov_b32_e32 v6, s10
	s_xor_b64 exec, exec, s[6:7]
	s_cbranch_execz .LBB4_1830
.LBB4_3880:
	v_mov_b32_e32 v6, 0
	v_cmp_ne_u16_sdwa s[8:9], v3, v6 src0_sel:BYTE_0 src1_sel:DWORD
	s_andn2_b64 s[4:5], s[4:5], exec
	s_and_b64 s[8:9], s[8:9], exec
	s_or_b64 s[4:5], s[4:5], s[8:9]
	s_or_b64 exec, exec, s[6:7]
	s_and_saveexec_b64 s[6:7], s[4:5]
	s_cbranch_execnz .LBB4_1831
	s_branch .LBB4_1832
.LBB4_3881:
	s_movk_i32 s4, 0x80
	v_cmp_eq_u16_sdwa s[12:13], v6, s4 src0_sel:BYTE_0 src1_sel:DWORD
	s_mov_b64 s[4:5], -1
                                        ; implicit-def: $sgpr10
	s_and_saveexec_b64 s[8:9], s[12:13]
; %bb.3882:
	s_mov_b32 s10, 0x7f800001
	s_xor_b64 s[4:5], exec, -1
; %bb.3883:
	s_or_b64 exec, exec, s[8:9]
	s_and_b64 s[4:5], s[4:5], exec
	s_or_saveexec_b64 s[6:7], s[6:7]
	v_mov_b32_e32 v2, s10
	s_xor_b64 exec, exec, s[6:7]
	s_cbranch_execz .LBB4_1834
.LBB4_3884:
	v_mov_b32_e32 v2, 0
	v_cmp_ne_u16_sdwa s[8:9], v6, v2 src0_sel:BYTE_0 src1_sel:DWORD
	s_andn2_b64 s[4:5], s[4:5], exec
	s_and_b64 s[8:9], s[8:9], exec
	s_or_b64 s[4:5], s[4:5], s[8:9]
	s_or_b64 exec, exec, s[6:7]
	s_and_saveexec_b64 s[6:7], s[4:5]
	s_cbranch_execnz .LBB4_1835
	s_branch .LBB4_1836
.LBB4_3885:
	s_movk_i32 s4, 0x80
	v_cmp_eq_u16_sdwa s[12:13], v6, s4 src0_sel:BYTE_0 src1_sel:DWORD
	s_mov_b64 s[4:5], -1
                                        ; implicit-def: $sgpr10
	s_and_saveexec_b64 s[8:9], s[12:13]
; %bb.3886:
	s_mov_b32 s10, 0x7f800001
	s_xor_b64 s[4:5], exec, -1
; %bb.3887:
	s_or_b64 exec, exec, s[8:9]
	s_and_b64 s[4:5], s[4:5], exec
	s_or_saveexec_b64 s[6:7], s[6:7]
	v_mov_b32_e32 v12, s10
	s_xor_b64 exec, exec, s[6:7]
	s_cbranch_execz .LBB4_1838
.LBB4_3888:
	v_mov_b32_e32 v12, 0
	v_cmp_ne_u16_sdwa s[8:9], v6, v12 src0_sel:BYTE_0 src1_sel:DWORD
	s_andn2_b64 s[4:5], s[4:5], exec
	s_and_b64 s[8:9], s[8:9], exec
	s_or_b64 s[4:5], s[4:5], s[8:9]
	s_or_b64 exec, exec, s[6:7]
	s_and_saveexec_b64 s[6:7], s[4:5]
	s_cbranch_execnz .LBB4_1839
	s_branch .LBB4_1840
.LBB4_3889:
	s_movk_i32 s4, 0x80
	v_cmp_eq_u16_e32 vcc, s4, v6
	s_mov_b64 s[4:5], -1
                                        ; implicit-def: $sgpr10
	s_and_saveexec_b64 s[8:9], vcc
; %bb.3890:
	s_mov_b32 s10, 0x7f800001
	s_xor_b64 s[4:5], exec, -1
; %bb.3891:
	s_or_b64 exec, exec, s[8:9]
	s_and_b64 s[4:5], s[4:5], exec
                                        ; implicit-def: $vgpr6
	s_or_saveexec_b64 s[6:7], s[6:7]
	v_mov_b32_e32 v2, s10
	s_xor_b64 exec, exec, s[6:7]
	s_cbranch_execz .LBB4_1842
.LBB4_3892:
	v_cmp_ne_u16_e32 vcc, 0, v6
	s_andn2_b64 s[4:5], s[4:5], exec
	s_and_b64 s[8:9], vcc, exec
	v_mov_b32_e32 v2, 0
	s_or_b64 s[4:5], s[4:5], s[8:9]
	s_or_b64 exec, exec, s[6:7]
	s_and_saveexec_b64 s[6:7], s[4:5]
	s_cbranch_execnz .LBB4_1843
	s_branch .LBB4_1844
.LBB4_3893:
	s_movk_i32 s4, 0x80
	v_cmp_eq_u16_e32 vcc, s4, v6
	s_mov_b64 s[4:5], -1
                                        ; implicit-def: $sgpr10
	s_and_saveexec_b64 s[8:9], vcc
; %bb.3894:
	s_mov_b32 s10, 0x7f800001
	s_xor_b64 s[4:5], exec, -1
; %bb.3895:
	s_or_b64 exec, exec, s[8:9]
	s_and_b64 s[4:5], s[4:5], exec
                                        ; implicit-def: $vgpr6
	s_or_saveexec_b64 s[6:7], s[6:7]
	v_mov_b32_e32 v12, s10
	s_xor_b64 exec, exec, s[6:7]
	s_cbranch_execz .LBB4_1846
.LBB4_3896:
	v_cmp_ne_u16_e32 vcc, 0, v6
	s_andn2_b64 s[4:5], s[4:5], exec
	s_and_b64 s[8:9], vcc, exec
	v_mov_b32_e32 v12, 0
	s_or_b64 s[4:5], s[4:5], s[8:9]
	s_or_b64 exec, exec, s[6:7]
	s_and_saveexec_b64 s[6:7], s[4:5]
	s_cbranch_execnz .LBB4_1847
	s_branch .LBB4_1848
.LBB4_3897:
	s_movk_i32 s4, 0x80
	v_cmp_eq_u16_sdwa s[12:13], v7, s4 src0_sel:BYTE_3 src1_sel:DWORD
	s_mov_b64 s[4:5], -1
                                        ; implicit-def: $sgpr10
	s_and_saveexec_b64 s[8:9], s[12:13]
; %bb.3898:
	s_mov_b32 s10, 0x7f800001
	s_xor_b64 s[4:5], exec, -1
; %bb.3899:
	s_or_b64 exec, exec, s[8:9]
	s_and_b64 s[4:5], s[4:5], exec
	s_or_saveexec_b64 s[6:7], s[6:7]
	v_mov_b32_e32 v2, s10
	s_xor_b64 exec, exec, s[6:7]
	s_cbranch_execz .LBB4_1850
.LBB4_3900:
	v_mov_b32_e32 v2, 0
	v_cmp_ne_u16_sdwa s[8:9], v7, v2 src0_sel:BYTE_3 src1_sel:DWORD
	s_andn2_b64 s[4:5], s[4:5], exec
	s_and_b64 s[8:9], s[8:9], exec
	s_or_b64 s[4:5], s[4:5], s[8:9]
	s_or_b64 exec, exec, s[6:7]
	s_and_saveexec_b64 s[6:7], s[4:5]
	s_cbranch_execnz .LBB4_1851
	s_branch .LBB4_1852
.LBB4_3901:
	s_movk_i32 s4, 0x80
	v_cmp_eq_u16_sdwa s[12:13], v3, s4 src0_sel:BYTE_3 src1_sel:DWORD
	s_mov_b64 s[4:5], -1
                                        ; implicit-def: $sgpr10
	s_and_saveexec_b64 s[8:9], s[12:13]
; %bb.3902:
	s_mov_b32 s10, 0x7f800001
	s_xor_b64 s[4:5], exec, -1
; %bb.3903:
	s_or_b64 exec, exec, s[8:9]
	s_and_b64 s[4:5], s[4:5], exec
	s_or_saveexec_b64 s[6:7], s[6:7]
	v_mov_b32_e32 v6, s10
	s_xor_b64 exec, exec, s[6:7]
	s_cbranch_execz .LBB4_1854
.LBB4_3904:
	v_mov_b32_e32 v6, 0
	v_cmp_ne_u16_sdwa s[8:9], v3, v6 src0_sel:BYTE_3 src1_sel:DWORD
	s_andn2_b64 s[4:5], s[4:5], exec
	s_and_b64 s[8:9], s[8:9], exec
	s_or_b64 s[4:5], s[4:5], s[8:9]
	s_or_b64 exec, exec, s[6:7]
	s_and_saveexec_b64 s[6:7], s[4:5]
	s_cbranch_execnz .LBB4_1855
	s_branch .LBB4_1856
.LBB4_3905:
	s_movk_i32 s4, 0x80
	v_cmp_eq_u16_sdwa s[12:13], v8, s4 src0_sel:BYTE_0 src1_sel:DWORD
	s_mov_b64 s[4:5], -1
                                        ; implicit-def: $sgpr10
	s_and_saveexec_b64 s[8:9], s[12:13]
; %bb.3906:
	s_mov_b32 s10, 0x7f800001
	s_xor_b64 s[4:5], exec, -1
; %bb.3907:
	s_or_b64 exec, exec, s[8:9]
	s_and_b64 s[4:5], s[4:5], exec
	s_or_saveexec_b64 s[6:7], s[6:7]
	v_mov_b32_e32 v2, s10
	s_xor_b64 exec, exec, s[6:7]
	s_cbranch_execz .LBB4_1858
.LBB4_3908:
	v_mov_b32_e32 v2, 0
	v_cmp_ne_u16_sdwa s[8:9], v8, v2 src0_sel:BYTE_0 src1_sel:DWORD
	s_andn2_b64 s[4:5], s[4:5], exec
	s_and_b64 s[8:9], s[8:9], exec
	s_or_b64 s[4:5], s[4:5], s[8:9]
	s_or_b64 exec, exec, s[6:7]
	s_and_saveexec_b64 s[6:7], s[4:5]
	s_cbranch_execnz .LBB4_1859
	s_branch .LBB4_1860
.LBB4_3909:
	s_movk_i32 s4, 0x80
	v_cmp_eq_u16_sdwa s[12:13], v4, s4 src0_sel:BYTE_0 src1_sel:DWORD
	s_mov_b64 s[4:5], -1
                                        ; implicit-def: $sgpr10
	s_and_saveexec_b64 s[8:9], s[12:13]
; %bb.3910:
	s_mov_b32 s10, 0x7f800001
	s_xor_b64 s[4:5], exec, -1
; %bb.3911:
	s_or_b64 exec, exec, s[8:9]
	s_and_b64 s[4:5], s[4:5], exec
	s_or_saveexec_b64 s[6:7], s[6:7]
	v_mov_b32_e32 v3, s10
	s_xor_b64 exec, exec, s[6:7]
	s_cbranch_execz .LBB4_1862
.LBB4_3912:
	v_mov_b32_e32 v3, 0
	v_cmp_ne_u16_sdwa s[8:9], v4, v3 src0_sel:BYTE_0 src1_sel:DWORD
	s_andn2_b64 s[4:5], s[4:5], exec
	s_and_b64 s[8:9], s[8:9], exec
	s_or_b64 s[4:5], s[4:5], s[8:9]
	s_or_b64 exec, exec, s[6:7]
	s_and_saveexec_b64 s[6:7], s[4:5]
	s_cbranch_execnz .LBB4_1863
	s_branch .LBB4_1864
.LBB4_3913:
	s_movk_i32 s4, 0x80
	v_cmp_eq_u16_sdwa s[12:13], v3, s4 src0_sel:BYTE_0 src1_sel:DWORD
	s_mov_b64 s[4:5], -1
                                        ; implicit-def: $sgpr10
	s_and_saveexec_b64 s[8:9], s[12:13]
; %bb.3914:
	s_mov_b32 s10, 0x7f800001
	s_xor_b64 s[4:5], exec, -1
; %bb.3915:
	s_or_b64 exec, exec, s[8:9]
	s_and_b64 s[4:5], s[4:5], exec
	s_or_saveexec_b64 s[6:7], s[6:7]
	v_mov_b32_e32 v2, s10
	s_xor_b64 exec, exec, s[6:7]
	s_cbranch_execz .LBB4_1866
.LBB4_3916:
	v_mov_b32_e32 v2, 0
	v_cmp_ne_u16_sdwa s[8:9], v3, v2 src0_sel:BYTE_0 src1_sel:DWORD
	s_andn2_b64 s[4:5], s[4:5], exec
	s_and_b64 s[8:9], s[8:9], exec
	s_or_b64 s[4:5], s[4:5], s[8:9]
	s_or_b64 exec, exec, s[6:7]
	s_and_saveexec_b64 s[6:7], s[4:5]
	s_cbranch_execnz .LBB4_1867
	s_branch .LBB4_1868
.LBB4_3917:
	s_movk_i32 s4, 0x80
	v_cmp_eq_u16_sdwa s[12:13], v3, s4 src0_sel:BYTE_0 src1_sel:DWORD
	s_mov_b64 s[4:5], -1
                                        ; implicit-def: $sgpr10
	s_and_saveexec_b64 s[8:9], s[12:13]
; %bb.3918:
	s_mov_b32 s10, 0x7f800001
	s_xor_b64 s[4:5], exec, -1
; %bb.3919:
	s_or_b64 exec, exec, s[8:9]
	s_and_b64 s[4:5], s[4:5], exec
	s_or_saveexec_b64 s[6:7], s[6:7]
	v_mov_b32_e32 v6, s10
	s_xor_b64 exec, exec, s[6:7]
	s_cbranch_execz .LBB4_1870
.LBB4_3920:
	v_mov_b32_e32 v6, 0
	v_cmp_ne_u16_sdwa s[8:9], v3, v6 src0_sel:BYTE_0 src1_sel:DWORD
	s_andn2_b64 s[4:5], s[4:5], exec
	s_and_b64 s[8:9], s[8:9], exec
	s_or_b64 s[4:5], s[4:5], s[8:9]
	s_or_b64 exec, exec, s[6:7]
	s_and_saveexec_b64 s[6:7], s[4:5]
	s_cbranch_execnz .LBB4_1871
	s_branch .LBB4_1872
.LBB4_3921:
	s_movk_i32 s4, 0x80
	v_cmp_eq_u16_e32 vcc, s4, v3
	s_mov_b64 s[4:5], -1
                                        ; implicit-def: $sgpr10
	s_and_saveexec_b64 s[8:9], vcc
; %bb.3922:
	s_mov_b32 s10, 0x7f800001
	s_xor_b64 s[4:5], exec, -1
; %bb.3923:
	s_or_b64 exec, exec, s[8:9]
	s_and_b64 s[4:5], s[4:5], exec
                                        ; implicit-def: $vgpr3
	s_or_saveexec_b64 s[6:7], s[6:7]
	v_mov_b32_e32 v2, s10
	s_xor_b64 exec, exec, s[6:7]
	s_cbranch_execz .LBB4_1874
.LBB4_3924:
	v_cmp_ne_u16_e32 vcc, 0, v3
	s_andn2_b64 s[4:5], s[4:5], exec
	s_and_b64 s[8:9], vcc, exec
	v_mov_b32_e32 v2, 0
	s_or_b64 s[4:5], s[4:5], s[8:9]
	s_or_b64 exec, exec, s[6:7]
	s_and_saveexec_b64 s[6:7], s[4:5]
	s_cbranch_execnz .LBB4_1875
	s_branch .LBB4_1876
.LBB4_3925:
	s_movk_i32 s4, 0x80
	v_cmp_eq_u16_e32 vcc, s4, v3
	s_mov_b64 s[4:5], -1
                                        ; implicit-def: $sgpr10
	s_and_saveexec_b64 s[8:9], vcc
; %bb.3926:
	s_mov_b32 s10, 0x7f800001
	s_xor_b64 s[4:5], exec, -1
; %bb.3927:
	s_or_b64 exec, exec, s[8:9]
	s_and_b64 s[4:5], s[4:5], exec
                                        ; implicit-def: $vgpr3
	s_or_saveexec_b64 s[6:7], s[6:7]
	v_mov_b32_e32 v6, s10
	s_xor_b64 exec, exec, s[6:7]
	s_cbranch_execz .LBB4_1878
.LBB4_3928:
	v_cmp_ne_u16_e32 vcc, 0, v3
	s_andn2_b64 s[4:5], s[4:5], exec
	s_and_b64 s[8:9], vcc, exec
	v_mov_b32_e32 v6, 0
	s_or_b64 s[4:5], s[4:5], s[8:9]
	s_or_b64 exec, exec, s[6:7]
	s_and_saveexec_b64 s[6:7], s[4:5]
	s_cbranch_execnz .LBB4_1879
	s_branch .LBB4_1880
.LBB4_3929:
	s_movk_i32 s4, 0x80
	v_cmp_eq_u16_sdwa s[12:13], v8, s4 src0_sel:BYTE_3 src1_sel:DWORD
	s_mov_b64 s[4:5], -1
                                        ; implicit-def: $sgpr10
	s_and_saveexec_b64 s[8:9], s[12:13]
; %bb.3930:
	s_mov_b32 s10, 0x7f800001
	s_xor_b64 s[4:5], exec, -1
; %bb.3931:
	s_or_b64 exec, exec, s[8:9]
	s_and_b64 s[4:5], s[4:5], exec
	s_or_saveexec_b64 s[6:7], s[6:7]
	v_mov_b32_e32 v2, s10
	s_xor_b64 exec, exec, s[6:7]
	s_cbranch_execz .LBB4_1882
.LBB4_3932:
	v_mov_b32_e32 v2, 0
	v_cmp_ne_u16_sdwa s[8:9], v8, v2 src0_sel:BYTE_3 src1_sel:DWORD
	s_andn2_b64 s[4:5], s[4:5], exec
	s_and_b64 s[8:9], s[8:9], exec
	s_or_b64 s[4:5], s[4:5], s[8:9]
	s_or_b64 exec, exec, s[6:7]
	s_and_saveexec_b64 s[6:7], s[4:5]
	s_cbranch_execnz .LBB4_1883
	s_branch .LBB4_1884
.LBB4_3933:
	s_movk_i32 s4, 0x80
	v_cmp_eq_u16_sdwa s[12:13], v4, s4 src0_sel:BYTE_3 src1_sel:DWORD
	s_mov_b64 s[4:5], -1
                                        ; implicit-def: $sgpr10
	s_and_saveexec_b64 s[8:9], s[12:13]
; %bb.3934:
	s_mov_b32 s10, 0x7f800001
	s_xor_b64 s[4:5], exec, -1
; %bb.3935:
	s_or_b64 exec, exec, s[8:9]
	s_and_b64 s[4:5], s[4:5], exec
	s_or_saveexec_b64 s[6:7], s[6:7]
	v_mov_b32_e32 v3, s10
	s_xor_b64 exec, exec, s[6:7]
	s_cbranch_execz .LBB4_1886
.LBB4_3936:
	v_mov_b32_e32 v3, 0
	v_cmp_ne_u16_sdwa s[8:9], v4, v3 src0_sel:BYTE_3 src1_sel:DWORD
	s_andn2_b64 s[4:5], s[4:5], exec
	s_and_b64 s[8:9], s[8:9], exec
	s_or_b64 s[4:5], s[4:5], s[8:9]
	s_or_b64 exec, exec, s[6:7]
	s_and_saveexec_b64 s[6:7], s[4:5]
	s_cbranch_execnz .LBB4_1887
	s_branch .LBB4_1888
.LBB4_3937:
	s_movk_i32 s4, 0x80
	v_cmp_eq_u16_sdwa s[12:13], v9, s4 src0_sel:BYTE_0 src1_sel:DWORD
	s_mov_b64 s[4:5], -1
                                        ; implicit-def: $sgpr10
	s_and_saveexec_b64 s[8:9], s[12:13]
; %bb.3938:
	s_mov_b32 s10, 0x7f800001
	s_xor_b64 s[4:5], exec, -1
; %bb.3939:
	s_or_b64 exec, exec, s[8:9]
	s_and_b64 s[4:5], s[4:5], exec
	s_or_saveexec_b64 s[6:7], s[6:7]
	v_mov_b32_e32 v2, s10
	s_xor_b64 exec, exec, s[6:7]
	s_cbranch_execz .LBB4_1890
.LBB4_3940:
	v_mov_b32_e32 v2, 0
	v_cmp_ne_u16_sdwa s[8:9], v9, v2 src0_sel:BYTE_0 src1_sel:DWORD
	s_andn2_b64 s[4:5], s[4:5], exec
	s_and_b64 s[8:9], s[8:9], exec
	s_or_b64 s[4:5], s[4:5], s[8:9]
	s_or_b64 exec, exec, s[6:7]
	s_and_saveexec_b64 s[6:7], s[4:5]
	s_cbranch_execnz .LBB4_1891
	s_branch .LBB4_1892
.LBB4_3941:
	s_movk_i32 s4, 0x80
	v_cmp_eq_u16_sdwa s[12:13], v5, s4 src0_sel:BYTE_0 src1_sel:DWORD
	s_mov_b64 s[4:5], -1
                                        ; implicit-def: $sgpr10
	s_and_saveexec_b64 s[8:9], s[12:13]
; %bb.3942:
	s_mov_b32 s10, 0x7f800001
	s_xor_b64 s[4:5], exec, -1
; %bb.3943:
	s_or_b64 exec, exec, s[8:9]
	s_and_b64 s[4:5], s[4:5], exec
	s_or_saveexec_b64 s[6:7], s[6:7]
	v_mov_b32_e32 v3, s10
	s_xor_b64 exec, exec, s[6:7]
	s_cbranch_execz .LBB4_1894
.LBB4_3944:
	v_mov_b32_e32 v3, 0
	v_cmp_ne_u16_sdwa s[8:9], v5, v3 src0_sel:BYTE_0 src1_sel:DWORD
	s_andn2_b64 s[4:5], s[4:5], exec
	s_and_b64 s[8:9], s[8:9], exec
	s_or_b64 s[4:5], s[4:5], s[8:9]
	s_or_b64 exec, exec, s[6:7]
	s_and_saveexec_b64 s[6:7], s[4:5]
	s_cbranch_execnz .LBB4_1895
	s_branch .LBB4_1896
.LBB4_3945:
	s_movk_i32 s4, 0x80
	v_cmp_eq_u16_sdwa s[12:13], v3, s4 src0_sel:BYTE_0 src1_sel:DWORD
	s_mov_b64 s[4:5], -1
                                        ; implicit-def: $sgpr10
	s_and_saveexec_b64 s[8:9], s[12:13]
; %bb.3946:
	s_mov_b32 s10, 0x7f800001
	s_xor_b64 s[4:5], exec, -1
; %bb.3947:
	s_or_b64 exec, exec, s[8:9]
	s_and_b64 s[4:5], s[4:5], exec
	s_or_saveexec_b64 s[6:7], s[6:7]
	v_mov_b32_e32 v2, s10
	s_xor_b64 exec, exec, s[6:7]
	s_cbranch_execz .LBB4_1898
.LBB4_3948:
	v_mov_b32_e32 v2, 0
	v_cmp_ne_u16_sdwa s[8:9], v3, v2 src0_sel:BYTE_0 src1_sel:DWORD
	s_andn2_b64 s[4:5], s[4:5], exec
	s_and_b64 s[8:9], s[8:9], exec
	s_or_b64 s[4:5], s[4:5], s[8:9]
	s_or_b64 exec, exec, s[6:7]
	s_and_saveexec_b64 s[6:7], s[4:5]
	s_cbranch_execnz .LBB4_1899
	s_branch .LBB4_1900
.LBB4_3949:
	s_movk_i32 s4, 0x80
	v_cmp_eq_u16_sdwa s[12:13], v3, s4 src0_sel:BYTE_0 src1_sel:DWORD
	s_mov_b64 s[4:5], -1
                                        ; implicit-def: $sgpr10
	s_and_saveexec_b64 s[8:9], s[12:13]
; %bb.3950:
	s_mov_b32 s10, 0x7f800001
	s_xor_b64 s[4:5], exec, -1
; %bb.3951:
	s_or_b64 exec, exec, s[8:9]
	s_and_b64 s[4:5], s[4:5], exec
	s_or_saveexec_b64 s[6:7], s[6:7]
	v_mov_b32_e32 v4, s10
	s_xor_b64 exec, exec, s[6:7]
	s_cbranch_execz .LBB4_1902
.LBB4_3952:
	v_mov_b32_e32 v4, 0
	v_cmp_ne_u16_sdwa s[8:9], v3, v4 src0_sel:BYTE_0 src1_sel:DWORD
	s_andn2_b64 s[4:5], s[4:5], exec
	s_and_b64 s[8:9], s[8:9], exec
	s_or_b64 s[4:5], s[4:5], s[8:9]
	s_or_b64 exec, exec, s[6:7]
	s_and_saveexec_b64 s[6:7], s[4:5]
	s_cbranch_execnz .LBB4_1903
	s_branch .LBB4_1904
.LBB4_3953:
	s_movk_i32 s4, 0x80
	v_cmp_eq_u16_e32 vcc, s4, v3
	s_mov_b64 s[4:5], -1
                                        ; implicit-def: $sgpr10
	s_and_saveexec_b64 s[8:9], vcc
; %bb.3954:
	s_mov_b32 s10, 0x7f800001
	s_xor_b64 s[4:5], exec, -1
; %bb.3955:
	s_or_b64 exec, exec, s[8:9]
	s_and_b64 s[4:5], s[4:5], exec
                                        ; implicit-def: $vgpr3
	s_or_saveexec_b64 s[6:7], s[6:7]
	v_mov_b32_e32 v2, s10
	s_xor_b64 exec, exec, s[6:7]
	s_cbranch_execz .LBB4_1906
.LBB4_3956:
	v_cmp_ne_u16_e32 vcc, 0, v3
	s_andn2_b64 s[4:5], s[4:5], exec
	s_and_b64 s[8:9], vcc, exec
	v_mov_b32_e32 v2, 0
	s_or_b64 s[4:5], s[4:5], s[8:9]
	s_or_b64 exec, exec, s[6:7]
	s_and_saveexec_b64 s[6:7], s[4:5]
	s_cbranch_execnz .LBB4_1907
	s_branch .LBB4_1908
.LBB4_3957:
	s_movk_i32 s4, 0x80
	v_cmp_eq_u16_e32 vcc, s4, v3
	s_mov_b64 s[4:5], -1
                                        ; implicit-def: $sgpr10
	s_and_saveexec_b64 s[8:9], vcc
; %bb.3958:
	s_mov_b32 s10, 0x7f800001
	s_xor_b64 s[4:5], exec, -1
; %bb.3959:
	s_or_b64 exec, exec, s[8:9]
	s_and_b64 s[4:5], s[4:5], exec
                                        ; implicit-def: $vgpr3
	s_or_saveexec_b64 s[6:7], s[6:7]
	v_mov_b32_e32 v4, s10
	s_xor_b64 exec, exec, s[6:7]
	s_cbranch_execz .LBB4_1910
.LBB4_3960:
	v_cmp_ne_u16_e32 vcc, 0, v3
	s_andn2_b64 s[4:5], s[4:5], exec
	s_and_b64 s[8:9], vcc, exec
	v_mov_b32_e32 v4, 0
	s_or_b64 s[4:5], s[4:5], s[8:9]
	s_or_b64 exec, exec, s[6:7]
	s_and_saveexec_b64 s[6:7], s[4:5]
	s_cbranch_execnz .LBB4_1911
	s_branch .LBB4_1912
.LBB4_3961:
	s_movk_i32 s4, 0x80
	v_cmp_eq_u16_sdwa s[12:13], v9, s4 src0_sel:BYTE_3 src1_sel:DWORD
	s_mov_b64 s[4:5], -1
                                        ; implicit-def: $sgpr10
	s_and_saveexec_b64 s[8:9], s[12:13]
; %bb.3962:
	s_mov_b32 s10, 0x7f800001
	s_xor_b64 s[4:5], exec, -1
; %bb.3963:
	s_or_b64 exec, exec, s[8:9]
	s_and_b64 s[4:5], s[4:5], exec
	s_or_saveexec_b64 s[6:7], s[6:7]
	v_mov_b32_e32 v2, s10
	s_xor_b64 exec, exec, s[6:7]
	s_cbranch_execz .LBB4_1914
.LBB4_3964:
	v_mov_b32_e32 v2, 0
	v_cmp_ne_u16_sdwa s[8:9], v9, v2 src0_sel:BYTE_3 src1_sel:DWORD
	s_andn2_b64 s[4:5], s[4:5], exec
	s_and_b64 s[8:9], s[8:9], exec
	s_or_b64 s[4:5], s[4:5], s[8:9]
	s_or_b64 exec, exec, s[6:7]
	s_and_saveexec_b64 s[6:7], s[4:5]
	s_cbranch_execnz .LBB4_1915
	s_branch .LBB4_1916
.LBB4_3965:
	s_movk_i32 s4, 0x80
	v_cmp_eq_u16_sdwa s[12:13], v5, s4 src0_sel:BYTE_3 src1_sel:DWORD
	s_mov_b64 s[4:5], -1
                                        ; implicit-def: $sgpr10
	s_and_saveexec_b64 s[8:9], s[12:13]
; %bb.3966:
	s_mov_b32 s10, 0x7f800001
	s_xor_b64 s[4:5], exec, -1
; %bb.3967:
	s_or_b64 exec, exec, s[8:9]
	s_and_b64 s[4:5], s[4:5], exec
	s_or_saveexec_b64 s[6:7], s[6:7]
	v_mov_b32_e32 v3, s10
	s_xor_b64 exec, exec, s[6:7]
	s_cbranch_execz .LBB4_1918
.LBB4_3968:
	v_mov_b32_e32 v3, 0
	v_cmp_ne_u16_sdwa s[8:9], v5, v3 src0_sel:BYTE_3 src1_sel:DWORD
	s_andn2_b64 s[4:5], s[4:5], exec
	s_and_b64 s[8:9], s[8:9], exec
	s_or_b64 s[4:5], s[4:5], s[8:9]
	s_or_b64 exec, exec, s[6:7]
	s_and_saveexec_b64 s[6:7], s[4:5]
	s_cbranch_execnz .LBB4_1919
	s_branch .LBB4_1920
.LBB4_3969:
	s_movk_i32 s4, 0x80
	v_cmp_eq_u16_sdwa s[12:13], v6, s4 src0_sel:BYTE_0 src1_sel:DWORD
	s_mov_b64 s[4:5], -1
                                        ; implicit-def: $sgpr10
	s_and_saveexec_b64 s[8:9], s[12:13]
; %bb.3970:
	s_mov_b32 s10, 0x7f800001
	s_xor_b64 s[4:5], exec, -1
; %bb.3971:
	s_or_b64 exec, exec, s[8:9]
	s_and_b64 s[4:5], s[4:5], exec
	s_or_saveexec_b64 s[6:7], s[6:7]
	v_mov_b32_e32 v10, s10
	s_xor_b64 exec, exec, s[6:7]
	s_cbranch_execz .LBB4_1922
.LBB4_3972:
	v_mov_b32_e32 v10, 0
	v_cmp_ne_u16_sdwa s[8:9], v6, v10 src0_sel:BYTE_0 src1_sel:DWORD
	s_andn2_b64 s[4:5], s[4:5], exec
	s_and_b64 s[8:9], s[8:9], exec
	s_or_b64 s[4:5], s[4:5], s[8:9]
	s_or_b64 exec, exec, s[6:7]
	s_and_saveexec_b64 s[6:7], s[4:5]
	s_cbranch_execnz .LBB4_1923
	s_branch .LBB4_1924
.LBB4_3973:
	s_movk_i32 s4, 0x80
	v_cmp_eq_u16_sdwa s[12:13], v2, s4 src0_sel:BYTE_0 src1_sel:DWORD
	s_mov_b64 s[4:5], -1
                                        ; implicit-def: $sgpr10
	s_and_saveexec_b64 s[8:9], s[12:13]
; %bb.3974:
	s_mov_b32 s10, 0x7f800001
	s_xor_b64 s[4:5], exec, -1
; %bb.3975:
	s_or_b64 exec, exec, s[8:9]
	s_and_b64 s[4:5], s[4:5], exec
	s_or_saveexec_b64 s[6:7], s[6:7]
	v_mov_b32_e32 v11, s10
	s_xor_b64 exec, exec, s[6:7]
	s_cbranch_execz .LBB4_1926
.LBB4_3976:
	v_mov_b32_e32 v11, 0
	v_cmp_ne_u16_sdwa s[8:9], v2, v11 src0_sel:BYTE_0 src1_sel:DWORD
	s_andn2_b64 s[4:5], s[4:5], exec
	s_and_b64 s[8:9], s[8:9], exec
	s_or_b64 s[4:5], s[4:5], s[8:9]
	s_or_b64 exec, exec, s[6:7]
	s_and_saveexec_b64 s[6:7], s[4:5]
	s_cbranch_execnz .LBB4_1927
	s_branch .LBB4_1928
.LBB4_3977:
	s_movk_i32 s4, 0x80
	v_cmp_eq_u16_sdwa s[12:13], v11, s4 src0_sel:BYTE_0 src1_sel:DWORD
	s_mov_b64 s[4:5], -1
                                        ; implicit-def: $sgpr10
	s_and_saveexec_b64 s[8:9], s[12:13]
; %bb.3978:
	s_mov_b32 s10, 0x7f800001
	s_xor_b64 s[4:5], exec, -1
; %bb.3979:
	s_or_b64 exec, exec, s[8:9]
	s_and_b64 s[4:5], s[4:5], exec
	s_or_saveexec_b64 s[6:7], s[6:7]
	v_mov_b32_e32 v10, s10
	s_xor_b64 exec, exec, s[6:7]
	s_cbranch_execz .LBB4_1930
.LBB4_3980:
	v_mov_b32_e32 v10, 0
	v_cmp_ne_u16_sdwa s[8:9], v11, v10 src0_sel:BYTE_0 src1_sel:DWORD
	s_andn2_b64 s[4:5], s[4:5], exec
	s_and_b64 s[8:9], s[8:9], exec
	s_or_b64 s[4:5], s[4:5], s[8:9]
	s_or_b64 exec, exec, s[6:7]
	s_and_saveexec_b64 s[6:7], s[4:5]
	s_cbranch_execnz .LBB4_1931
	s_branch .LBB4_1932
.LBB4_3981:
	s_movk_i32 s4, 0x80
	v_cmp_eq_u16_sdwa s[12:13], v11, s4 src0_sel:BYTE_0 src1_sel:DWORD
	s_mov_b64 s[4:5], -1
                                        ; implicit-def: $sgpr10
	s_and_saveexec_b64 s[8:9], s[12:13]
; %bb.3982:
	s_mov_b32 s10, 0x7f800001
	s_xor_b64 s[4:5], exec, -1
; %bb.3983:
	s_or_b64 exec, exec, s[8:9]
	s_and_b64 s[4:5], s[4:5], exec
	s_or_saveexec_b64 s[6:7], s[6:7]
	v_mov_b32_e32 v12, s10
	s_xor_b64 exec, exec, s[6:7]
	s_cbranch_execz .LBB4_1934
.LBB4_3984:
	v_mov_b32_e32 v12, 0
	v_cmp_ne_u16_sdwa s[8:9], v11, v12 src0_sel:BYTE_0 src1_sel:DWORD
	s_andn2_b64 s[4:5], s[4:5], exec
	s_and_b64 s[8:9], s[8:9], exec
	s_or_b64 s[4:5], s[4:5], s[8:9]
	s_or_b64 exec, exec, s[6:7]
	s_and_saveexec_b64 s[6:7], s[4:5]
	s_cbranch_execnz .LBB4_1935
	s_branch .LBB4_1936
.LBB4_3985:
	s_movk_i32 s4, 0x80
	v_cmp_eq_u16_e32 vcc, s4, v11
	s_mov_b64 s[4:5], -1
                                        ; implicit-def: $sgpr10
	s_and_saveexec_b64 s[8:9], vcc
; %bb.3986:
	s_mov_b32 s10, 0x7f800001
	s_xor_b64 s[4:5], exec, -1
; %bb.3987:
	s_or_b64 exec, exec, s[8:9]
	s_and_b64 s[4:5], s[4:5], exec
                                        ; implicit-def: $vgpr11
	s_or_saveexec_b64 s[6:7], s[6:7]
	v_mov_b32_e32 v10, s10
	s_xor_b64 exec, exec, s[6:7]
	s_cbranch_execz .LBB4_1938
.LBB4_3988:
	v_cmp_ne_u16_e32 vcc, 0, v11
	s_andn2_b64 s[4:5], s[4:5], exec
	s_and_b64 s[8:9], vcc, exec
	v_mov_b32_e32 v10, 0
	s_or_b64 s[4:5], s[4:5], s[8:9]
	s_or_b64 exec, exec, s[6:7]
	s_and_saveexec_b64 s[6:7], s[4:5]
	s_cbranch_execnz .LBB4_1939
	s_branch .LBB4_1940
.LBB4_3989:
	s_movk_i32 s4, 0x80
	v_cmp_eq_u16_e32 vcc, s4, v11
	s_mov_b64 s[4:5], -1
                                        ; implicit-def: $sgpr10
	s_and_saveexec_b64 s[8:9], vcc
; %bb.3990:
	s_mov_b32 s10, 0x7f800001
	s_xor_b64 s[4:5], exec, -1
; %bb.3991:
	s_or_b64 exec, exec, s[8:9]
	s_and_b64 s[4:5], s[4:5], exec
                                        ; implicit-def: $vgpr11
	s_or_saveexec_b64 s[6:7], s[6:7]
	v_mov_b32_e32 v12, s10
	s_xor_b64 exec, exec, s[6:7]
	s_cbranch_execz .LBB4_1942
.LBB4_3992:
	v_cmp_ne_u16_e32 vcc, 0, v11
	s_andn2_b64 s[4:5], s[4:5], exec
	s_and_b64 s[8:9], vcc, exec
	v_mov_b32_e32 v12, 0
	s_or_b64 s[4:5], s[4:5], s[8:9]
	s_or_b64 exec, exec, s[6:7]
	s_and_saveexec_b64 s[6:7], s[4:5]
	s_cbranch_execnz .LBB4_1943
	s_branch .LBB4_1944
.LBB4_3993:
	s_movk_i32 s4, 0x80
	v_cmp_eq_u16_sdwa s[12:13], v6, s4 src0_sel:BYTE_3 src1_sel:DWORD
	s_mov_b64 s[4:5], -1
                                        ; implicit-def: $sgpr10
	s_and_saveexec_b64 s[8:9], s[12:13]
; %bb.3994:
	s_mov_b32 s10, 0x7f800001
	s_xor_b64 s[4:5], exec, -1
; %bb.3995:
	s_or_b64 exec, exec, s[8:9]
	s_and_b64 s[4:5], s[4:5], exec
	s_or_saveexec_b64 s[6:7], s[6:7]
	v_mov_b32_e32 v10, s10
	s_xor_b64 exec, exec, s[6:7]
	s_cbranch_execz .LBB4_1946
.LBB4_3996:
	v_mov_b32_e32 v10, 0
	v_cmp_ne_u16_sdwa s[8:9], v6, v10 src0_sel:BYTE_3 src1_sel:DWORD
	s_andn2_b64 s[4:5], s[4:5], exec
	s_and_b64 s[8:9], s[8:9], exec
	s_or_b64 s[4:5], s[4:5], s[8:9]
	s_or_b64 exec, exec, s[6:7]
	s_and_saveexec_b64 s[6:7], s[4:5]
	s_cbranch_execnz .LBB4_1947
	s_branch .LBB4_1948
.LBB4_3997:
	s_movk_i32 s4, 0x80
	v_cmp_eq_u16_sdwa s[12:13], v2, s4 src0_sel:BYTE_3 src1_sel:DWORD
	s_mov_b64 s[4:5], -1
                                        ; implicit-def: $sgpr10
	s_and_saveexec_b64 s[8:9], s[12:13]
; %bb.3998:
	s_mov_b32 s10, 0x7f800001
	s_xor_b64 s[4:5], exec, -1
; %bb.3999:
	s_or_b64 exec, exec, s[8:9]
	s_and_b64 s[4:5], s[4:5], exec
	s_or_saveexec_b64 s[6:7], s[6:7]
	v_mov_b32_e32 v6, s10
	s_xor_b64 exec, exec, s[6:7]
	s_cbranch_execz .LBB4_1950
.LBB4_4000:
	v_mov_b32_e32 v6, 0
	v_cmp_ne_u16_sdwa s[8:9], v2, v6 src0_sel:BYTE_3 src1_sel:DWORD
	s_andn2_b64 s[4:5], s[4:5], exec
	s_and_b64 s[8:9], s[8:9], exec
	s_or_b64 s[4:5], s[4:5], s[8:9]
	s_or_b64 exec, exec, s[6:7]
	s_and_saveexec_b64 s[6:7], s[4:5]
	s_cbranch_execnz .LBB4_1951
	s_branch .LBB4_1952
.LBB4_4001:
	s_movk_i32 s4, 0x80
	v_cmp_eq_u16_sdwa s[12:13], v7, s4 src0_sel:BYTE_0 src1_sel:DWORD
	s_mov_b64 s[4:5], -1
                                        ; implicit-def: $sgpr10
	s_and_saveexec_b64 s[8:9], s[12:13]
; %bb.4002:
	s_mov_b32 s10, 0x7f800001
	s_xor_b64 s[4:5], exec, -1
; %bb.4003:
	s_or_b64 exec, exec, s[8:9]
	s_and_b64 s[4:5], s[4:5], exec
	s_or_saveexec_b64 s[6:7], s[6:7]
	v_mov_b32_e32 v2, s10
	s_xor_b64 exec, exec, s[6:7]
	s_cbranch_execz .LBB4_1954
.LBB4_4004:
	v_mov_b32_e32 v2, 0
	v_cmp_ne_u16_sdwa s[8:9], v7, v2 src0_sel:BYTE_0 src1_sel:DWORD
	s_andn2_b64 s[4:5], s[4:5], exec
	s_and_b64 s[8:9], s[8:9], exec
	s_or_b64 s[4:5], s[4:5], s[8:9]
	s_or_b64 exec, exec, s[6:7]
	s_and_saveexec_b64 s[6:7], s[4:5]
	s_cbranch_execnz .LBB4_1955
	s_branch .LBB4_1956
.LBB4_4005:
	s_movk_i32 s4, 0x80
	v_cmp_eq_u16_sdwa s[12:13], v3, s4 src0_sel:BYTE_0 src1_sel:DWORD
	s_mov_b64 s[4:5], -1
                                        ; implicit-def: $sgpr10
	s_and_saveexec_b64 s[8:9], s[12:13]
; %bb.4006:
	s_mov_b32 s10, 0x7f800001
	s_xor_b64 s[4:5], exec, -1
; %bb.4007:
	s_or_b64 exec, exec, s[8:9]
	s_and_b64 s[4:5], s[4:5], exec
	s_or_saveexec_b64 s[6:7], s[6:7]
	v_mov_b32_e32 v6, s10
	s_xor_b64 exec, exec, s[6:7]
	s_cbranch_execz .LBB4_1958
.LBB4_4008:
	v_mov_b32_e32 v6, 0
	v_cmp_ne_u16_sdwa s[8:9], v3, v6 src0_sel:BYTE_0 src1_sel:DWORD
	s_andn2_b64 s[4:5], s[4:5], exec
	s_and_b64 s[8:9], s[8:9], exec
	s_or_b64 s[4:5], s[4:5], s[8:9]
	s_or_b64 exec, exec, s[6:7]
	s_and_saveexec_b64 s[6:7], s[4:5]
	s_cbranch_execnz .LBB4_1959
	s_branch .LBB4_1960
.LBB4_4009:
	s_movk_i32 s4, 0x80
	v_cmp_eq_u16_sdwa s[12:13], v6, s4 src0_sel:BYTE_0 src1_sel:DWORD
	s_mov_b64 s[4:5], -1
                                        ; implicit-def: $sgpr10
	s_and_saveexec_b64 s[8:9], s[12:13]
; %bb.4010:
	s_mov_b32 s10, 0x7f800001
	s_xor_b64 s[4:5], exec, -1
; %bb.4011:
	s_or_b64 exec, exec, s[8:9]
	s_and_b64 s[4:5], s[4:5], exec
	s_or_saveexec_b64 s[6:7], s[6:7]
	v_mov_b32_e32 v2, s10
	s_xor_b64 exec, exec, s[6:7]
	s_cbranch_execz .LBB4_1962
.LBB4_4012:
	v_mov_b32_e32 v2, 0
	v_cmp_ne_u16_sdwa s[8:9], v6, v2 src0_sel:BYTE_0 src1_sel:DWORD
	s_andn2_b64 s[4:5], s[4:5], exec
	s_and_b64 s[8:9], s[8:9], exec
	s_or_b64 s[4:5], s[4:5], s[8:9]
	s_or_b64 exec, exec, s[6:7]
	s_and_saveexec_b64 s[6:7], s[4:5]
	s_cbranch_execnz .LBB4_1963
	s_branch .LBB4_1964
.LBB4_4013:
	s_movk_i32 s4, 0x80
	v_cmp_eq_u16_sdwa s[12:13], v6, s4 src0_sel:BYTE_0 src1_sel:DWORD
	s_mov_b64 s[4:5], -1
                                        ; implicit-def: $sgpr10
	s_and_saveexec_b64 s[8:9], s[12:13]
; %bb.4014:
	s_mov_b32 s10, 0x7f800001
	s_xor_b64 s[4:5], exec, -1
; %bb.4015:
	s_or_b64 exec, exec, s[8:9]
	s_and_b64 s[4:5], s[4:5], exec
	s_or_saveexec_b64 s[6:7], s[6:7]
	v_mov_b32_e32 v10, s10
	s_xor_b64 exec, exec, s[6:7]
	s_cbranch_execz .LBB4_1966
.LBB4_4016:
	v_mov_b32_e32 v10, 0
	v_cmp_ne_u16_sdwa s[8:9], v6, v10 src0_sel:BYTE_0 src1_sel:DWORD
	s_andn2_b64 s[4:5], s[4:5], exec
	s_and_b64 s[8:9], s[8:9], exec
	s_or_b64 s[4:5], s[4:5], s[8:9]
	s_or_b64 exec, exec, s[6:7]
	s_and_saveexec_b64 s[6:7], s[4:5]
	s_cbranch_execnz .LBB4_1967
	s_branch .LBB4_1968
.LBB4_4017:
	s_movk_i32 s4, 0x80
	v_cmp_eq_u16_e32 vcc, s4, v6
	s_mov_b64 s[4:5], -1
                                        ; implicit-def: $sgpr10
	s_and_saveexec_b64 s[8:9], vcc
; %bb.4018:
	s_mov_b32 s10, 0x7f800001
	s_xor_b64 s[4:5], exec, -1
; %bb.4019:
	s_or_b64 exec, exec, s[8:9]
	s_and_b64 s[4:5], s[4:5], exec
                                        ; implicit-def: $vgpr6
	s_or_saveexec_b64 s[6:7], s[6:7]
	v_mov_b32_e32 v2, s10
	s_xor_b64 exec, exec, s[6:7]
	s_cbranch_execz .LBB4_1970
.LBB4_4020:
	v_cmp_ne_u16_e32 vcc, 0, v6
	s_andn2_b64 s[4:5], s[4:5], exec
	s_and_b64 s[8:9], vcc, exec
	v_mov_b32_e32 v2, 0
	s_or_b64 s[4:5], s[4:5], s[8:9]
	s_or_b64 exec, exec, s[6:7]
	s_and_saveexec_b64 s[6:7], s[4:5]
	s_cbranch_execnz .LBB4_1971
	s_branch .LBB4_1972
.LBB4_4021:
	s_movk_i32 s4, 0x80
	v_cmp_eq_u16_e32 vcc, s4, v6
	s_mov_b64 s[4:5], -1
                                        ; implicit-def: $sgpr10
	s_and_saveexec_b64 s[8:9], vcc
; %bb.4022:
	s_mov_b32 s10, 0x7f800001
	s_xor_b64 s[4:5], exec, -1
; %bb.4023:
	s_or_b64 exec, exec, s[8:9]
	s_and_b64 s[4:5], s[4:5], exec
                                        ; implicit-def: $vgpr6
	s_or_saveexec_b64 s[6:7], s[6:7]
	v_mov_b32_e32 v10, s10
	s_xor_b64 exec, exec, s[6:7]
	s_cbranch_execz .LBB4_1974
.LBB4_4024:
	v_cmp_ne_u16_e32 vcc, 0, v6
	s_andn2_b64 s[4:5], s[4:5], exec
	s_and_b64 s[8:9], vcc, exec
	v_mov_b32_e32 v10, 0
	s_or_b64 s[4:5], s[4:5], s[8:9]
	s_or_b64 exec, exec, s[6:7]
	s_and_saveexec_b64 s[6:7], s[4:5]
	s_cbranch_execnz .LBB4_1975
	s_branch .LBB4_1976
.LBB4_4025:
	s_movk_i32 s4, 0x80
	v_cmp_eq_u16_sdwa s[12:13], v7, s4 src0_sel:BYTE_3 src1_sel:DWORD
	s_mov_b64 s[4:5], -1
                                        ; implicit-def: $sgpr10
	s_and_saveexec_b64 s[8:9], s[12:13]
; %bb.4026:
	s_mov_b32 s10, 0x7f800001
	s_xor_b64 s[4:5], exec, -1
; %bb.4027:
	s_or_b64 exec, exec, s[8:9]
	s_and_b64 s[4:5], s[4:5], exec
	s_or_saveexec_b64 s[6:7], s[6:7]
	v_mov_b32_e32 v2, s10
	s_xor_b64 exec, exec, s[6:7]
	s_cbranch_execz .LBB4_1978
.LBB4_4028:
	v_mov_b32_e32 v2, 0
	v_cmp_ne_u16_sdwa s[8:9], v7, v2 src0_sel:BYTE_3 src1_sel:DWORD
	s_andn2_b64 s[4:5], s[4:5], exec
	s_and_b64 s[8:9], s[8:9], exec
	s_or_b64 s[4:5], s[4:5], s[8:9]
	s_or_b64 exec, exec, s[6:7]
	s_and_saveexec_b64 s[6:7], s[4:5]
	s_cbranch_execnz .LBB4_1979
	s_branch .LBB4_1980
.LBB4_4029:
	s_movk_i32 s4, 0x80
	v_cmp_eq_u16_sdwa s[12:13], v3, s4 src0_sel:BYTE_3 src1_sel:DWORD
	s_mov_b64 s[4:5], -1
                                        ; implicit-def: $sgpr10
	s_and_saveexec_b64 s[8:9], s[12:13]
; %bb.4030:
	s_mov_b32 s10, 0x7f800001
	s_xor_b64 s[4:5], exec, -1
; %bb.4031:
	s_or_b64 exec, exec, s[8:9]
	s_and_b64 s[4:5], s[4:5], exec
	s_or_saveexec_b64 s[6:7], s[6:7]
	v_mov_b32_e32 v6, s10
	s_xor_b64 exec, exec, s[6:7]
	s_cbranch_execz .LBB4_1982
.LBB4_4032:
	v_mov_b32_e32 v6, 0
	v_cmp_ne_u16_sdwa s[8:9], v3, v6 src0_sel:BYTE_3 src1_sel:DWORD
	s_andn2_b64 s[4:5], s[4:5], exec
	s_and_b64 s[8:9], s[8:9], exec
	s_or_b64 s[4:5], s[4:5], s[8:9]
	s_or_b64 exec, exec, s[6:7]
	s_and_saveexec_b64 s[6:7], s[4:5]
	s_cbranch_execnz .LBB4_1983
	s_branch .LBB4_1984
.LBB4_4033:
	s_movk_i32 s4, 0x80
	v_cmp_eq_u16_sdwa s[12:13], v8, s4 src0_sel:BYTE_0 src1_sel:DWORD
	s_mov_b64 s[4:5], -1
                                        ; implicit-def: $sgpr10
	s_and_saveexec_b64 s[8:9], s[12:13]
; %bb.4034:
	s_mov_b32 s10, 0x7f800001
	s_xor_b64 s[4:5], exec, -1
; %bb.4035:
	s_or_b64 exec, exec, s[8:9]
	s_and_b64 s[4:5], s[4:5], exec
	s_or_saveexec_b64 s[6:7], s[6:7]
	v_mov_b32_e32 v2, s10
	s_xor_b64 exec, exec, s[6:7]
	s_cbranch_execz .LBB4_1986
.LBB4_4036:
	v_mov_b32_e32 v2, 0
	v_cmp_ne_u16_sdwa s[8:9], v8, v2 src0_sel:BYTE_0 src1_sel:DWORD
	s_andn2_b64 s[4:5], s[4:5], exec
	s_and_b64 s[8:9], s[8:9], exec
	s_or_b64 s[4:5], s[4:5], s[8:9]
	s_or_b64 exec, exec, s[6:7]
	s_and_saveexec_b64 s[6:7], s[4:5]
	s_cbranch_execnz .LBB4_1987
	s_branch .LBB4_1988
.LBB4_4037:
	s_movk_i32 s4, 0x80
	v_cmp_eq_u16_sdwa s[12:13], v4, s4 src0_sel:BYTE_0 src1_sel:DWORD
	s_mov_b64 s[4:5], -1
                                        ; implicit-def: $sgpr10
	s_and_saveexec_b64 s[8:9], s[12:13]
; %bb.4038:
	s_mov_b32 s10, 0x7f800001
	s_xor_b64 s[4:5], exec, -1
; %bb.4039:
	s_or_b64 exec, exec, s[8:9]
	s_and_b64 s[4:5], s[4:5], exec
	s_or_saveexec_b64 s[6:7], s[6:7]
	v_mov_b32_e32 v3, s10
	s_xor_b64 exec, exec, s[6:7]
	s_cbranch_execz .LBB4_1990
.LBB4_4040:
	v_mov_b32_e32 v3, 0
	v_cmp_ne_u16_sdwa s[8:9], v4, v3 src0_sel:BYTE_0 src1_sel:DWORD
	s_andn2_b64 s[4:5], s[4:5], exec
	s_and_b64 s[8:9], s[8:9], exec
	s_or_b64 s[4:5], s[4:5], s[8:9]
	s_or_b64 exec, exec, s[6:7]
	s_and_saveexec_b64 s[6:7], s[4:5]
	s_cbranch_execnz .LBB4_1991
	s_branch .LBB4_1992
.LBB4_4041:
	s_movk_i32 s4, 0x80
	v_cmp_eq_u16_sdwa s[12:13], v3, s4 src0_sel:BYTE_0 src1_sel:DWORD
	s_mov_b64 s[4:5], -1
                                        ; implicit-def: $sgpr10
	s_and_saveexec_b64 s[8:9], s[12:13]
; %bb.4042:
	s_mov_b32 s10, 0x7f800001
	s_xor_b64 s[4:5], exec, -1
; %bb.4043:
	s_or_b64 exec, exec, s[8:9]
	s_and_b64 s[4:5], s[4:5], exec
	s_or_saveexec_b64 s[6:7], s[6:7]
	v_mov_b32_e32 v2, s10
	s_xor_b64 exec, exec, s[6:7]
	s_cbranch_execz .LBB4_1994
.LBB4_4044:
	v_mov_b32_e32 v2, 0
	v_cmp_ne_u16_sdwa s[8:9], v3, v2 src0_sel:BYTE_0 src1_sel:DWORD
	s_andn2_b64 s[4:5], s[4:5], exec
	s_and_b64 s[8:9], s[8:9], exec
	s_or_b64 s[4:5], s[4:5], s[8:9]
	s_or_b64 exec, exec, s[6:7]
	s_and_saveexec_b64 s[6:7], s[4:5]
	s_cbranch_execnz .LBB4_1995
	s_branch .LBB4_1996
.LBB4_4045:
	s_movk_i32 s4, 0x80
	v_cmp_eq_u16_sdwa s[12:13], v3, s4 src0_sel:BYTE_0 src1_sel:DWORD
	s_mov_b64 s[4:5], -1
                                        ; implicit-def: $sgpr10
	s_and_saveexec_b64 s[8:9], s[12:13]
; %bb.4046:
	s_mov_b32 s10, 0x7f800001
	s_xor_b64 s[4:5], exec, -1
; %bb.4047:
	s_or_b64 exec, exec, s[8:9]
	s_and_b64 s[4:5], s[4:5], exec
	s_or_saveexec_b64 s[6:7], s[6:7]
	v_mov_b32_e32 v6, s10
	s_xor_b64 exec, exec, s[6:7]
	s_cbranch_execz .LBB4_1998
.LBB4_4048:
	v_mov_b32_e32 v6, 0
	v_cmp_ne_u16_sdwa s[8:9], v3, v6 src0_sel:BYTE_0 src1_sel:DWORD
	s_andn2_b64 s[4:5], s[4:5], exec
	s_and_b64 s[8:9], s[8:9], exec
	s_or_b64 s[4:5], s[4:5], s[8:9]
	s_or_b64 exec, exec, s[6:7]
	s_and_saveexec_b64 s[6:7], s[4:5]
	s_cbranch_execnz .LBB4_1999
	s_branch .LBB4_2000
.LBB4_4049:
	s_movk_i32 s4, 0x80
	v_cmp_eq_u16_e32 vcc, s4, v3
	s_mov_b64 s[4:5], -1
                                        ; implicit-def: $sgpr10
	s_and_saveexec_b64 s[8:9], vcc
; %bb.4050:
	s_mov_b32 s10, 0x7f800001
	s_xor_b64 s[4:5], exec, -1
; %bb.4051:
	s_or_b64 exec, exec, s[8:9]
	s_and_b64 s[4:5], s[4:5], exec
                                        ; implicit-def: $vgpr3
	s_or_saveexec_b64 s[6:7], s[6:7]
	v_mov_b32_e32 v2, s10
	s_xor_b64 exec, exec, s[6:7]
	s_cbranch_execz .LBB4_2002
.LBB4_4052:
	v_cmp_ne_u16_e32 vcc, 0, v3
	s_andn2_b64 s[4:5], s[4:5], exec
	s_and_b64 s[8:9], vcc, exec
	v_mov_b32_e32 v2, 0
	s_or_b64 s[4:5], s[4:5], s[8:9]
	s_or_b64 exec, exec, s[6:7]
	s_and_saveexec_b64 s[6:7], s[4:5]
	s_cbranch_execnz .LBB4_2003
	s_branch .LBB4_2004
.LBB4_4053:
	s_movk_i32 s4, 0x80
	v_cmp_eq_u16_e32 vcc, s4, v3
	s_mov_b64 s[4:5], -1
                                        ; implicit-def: $sgpr10
	s_and_saveexec_b64 s[8:9], vcc
; %bb.4054:
	s_mov_b32 s10, 0x7f800001
	s_xor_b64 s[4:5], exec, -1
; %bb.4055:
	s_or_b64 exec, exec, s[8:9]
	s_and_b64 s[4:5], s[4:5], exec
                                        ; implicit-def: $vgpr3
	s_or_saveexec_b64 s[6:7], s[6:7]
	v_mov_b32_e32 v6, s10
	s_xor_b64 exec, exec, s[6:7]
	s_cbranch_execz .LBB4_2006
.LBB4_4056:
	v_cmp_ne_u16_e32 vcc, 0, v3
	s_andn2_b64 s[4:5], s[4:5], exec
	s_and_b64 s[8:9], vcc, exec
	v_mov_b32_e32 v6, 0
	s_or_b64 s[4:5], s[4:5], s[8:9]
	s_or_b64 exec, exec, s[6:7]
	s_and_saveexec_b64 s[6:7], s[4:5]
	s_cbranch_execnz .LBB4_2007
	s_branch .LBB4_2008
.LBB4_4057:
	s_movk_i32 s4, 0x80
	v_cmp_eq_u16_sdwa s[12:13], v8, s4 src0_sel:BYTE_3 src1_sel:DWORD
	s_mov_b64 s[4:5], -1
                                        ; implicit-def: $sgpr10
	s_and_saveexec_b64 s[8:9], s[12:13]
; %bb.4058:
	s_mov_b32 s10, 0x7f800001
	s_xor_b64 s[4:5], exec, -1
; %bb.4059:
	s_or_b64 exec, exec, s[8:9]
	s_and_b64 s[4:5], s[4:5], exec
	s_or_saveexec_b64 s[6:7], s[6:7]
	v_mov_b32_e32 v2, s10
	s_xor_b64 exec, exec, s[6:7]
	s_cbranch_execz .LBB4_2010
.LBB4_4060:
	v_mov_b32_e32 v2, 0
	v_cmp_ne_u16_sdwa s[8:9], v8, v2 src0_sel:BYTE_3 src1_sel:DWORD
	s_andn2_b64 s[4:5], s[4:5], exec
	s_and_b64 s[8:9], s[8:9], exec
	s_or_b64 s[4:5], s[4:5], s[8:9]
	s_or_b64 exec, exec, s[6:7]
	s_and_saveexec_b64 s[6:7], s[4:5]
	s_cbranch_execnz .LBB4_2011
	s_branch .LBB4_2012
.LBB4_4061:
	s_movk_i32 s4, 0x80
	v_cmp_eq_u16_sdwa s[12:13], v4, s4 src0_sel:BYTE_3 src1_sel:DWORD
	s_mov_b64 s[4:5], -1
                                        ; implicit-def: $sgpr10
	s_and_saveexec_b64 s[8:9], s[12:13]
; %bb.4062:
	s_mov_b32 s10, 0x7f800001
	s_xor_b64 s[4:5], exec, -1
; %bb.4063:
	s_or_b64 exec, exec, s[8:9]
	s_and_b64 s[4:5], s[4:5], exec
	s_or_saveexec_b64 s[6:7], s[6:7]
	v_mov_b32_e32 v3, s10
	s_xor_b64 exec, exec, s[6:7]
	s_cbranch_execz .LBB4_2014
.LBB4_4064:
	v_mov_b32_e32 v3, 0
	v_cmp_ne_u16_sdwa s[8:9], v4, v3 src0_sel:BYTE_3 src1_sel:DWORD
	s_andn2_b64 s[4:5], s[4:5], exec
	s_and_b64 s[8:9], s[8:9], exec
	s_or_b64 s[4:5], s[4:5], s[8:9]
	s_or_b64 exec, exec, s[6:7]
	s_and_saveexec_b64 s[6:7], s[4:5]
	s_cbranch_execnz .LBB4_2015
	s_branch .LBB4_2016
.LBB4_4065:
	s_movk_i32 s4, 0x80
	v_cmp_eq_u16_sdwa s[12:13], v9, s4 src0_sel:BYTE_0 src1_sel:DWORD
	s_mov_b64 s[4:5], -1
                                        ; implicit-def: $sgpr10
	s_and_saveexec_b64 s[8:9], s[12:13]
; %bb.4066:
	s_mov_b32 s10, 0x7f800001
	s_xor_b64 s[4:5], exec, -1
; %bb.4067:
	s_or_b64 exec, exec, s[8:9]
	s_and_b64 s[4:5], s[4:5], exec
	s_or_saveexec_b64 s[6:7], s[6:7]
	v_mov_b32_e32 v2, s10
	s_xor_b64 exec, exec, s[6:7]
	s_cbranch_execz .LBB4_2018
.LBB4_4068:
	v_mov_b32_e32 v2, 0
	v_cmp_ne_u16_sdwa s[8:9], v9, v2 src0_sel:BYTE_0 src1_sel:DWORD
	s_andn2_b64 s[4:5], s[4:5], exec
	s_and_b64 s[8:9], s[8:9], exec
	s_or_b64 s[4:5], s[4:5], s[8:9]
	s_or_b64 exec, exec, s[6:7]
	s_and_saveexec_b64 s[6:7], s[4:5]
	s_cbranch_execnz .LBB4_2019
	s_branch .LBB4_2020
.LBB4_4069:
	s_movk_i32 s4, 0x80
	v_cmp_eq_u16_sdwa s[12:13], v5, s4 src0_sel:BYTE_0 src1_sel:DWORD
	s_mov_b64 s[4:5], -1
                                        ; implicit-def: $sgpr10
	s_and_saveexec_b64 s[8:9], s[12:13]
; %bb.4070:
	s_mov_b32 s10, 0x7f800001
	s_xor_b64 s[4:5], exec, -1
; %bb.4071:
	s_or_b64 exec, exec, s[8:9]
	s_and_b64 s[4:5], s[4:5], exec
	s_or_saveexec_b64 s[6:7], s[6:7]
	v_mov_b32_e32 v3, s10
	s_xor_b64 exec, exec, s[6:7]
	s_cbranch_execz .LBB4_2022
.LBB4_4072:
	v_mov_b32_e32 v3, 0
	v_cmp_ne_u16_sdwa s[8:9], v5, v3 src0_sel:BYTE_0 src1_sel:DWORD
	s_andn2_b64 s[4:5], s[4:5], exec
	s_and_b64 s[8:9], s[8:9], exec
	s_or_b64 s[4:5], s[4:5], s[8:9]
	s_or_b64 exec, exec, s[6:7]
	s_and_saveexec_b64 s[6:7], s[4:5]
	s_cbranch_execnz .LBB4_2023
	s_branch .LBB4_2024
.LBB4_4073:
	s_movk_i32 s4, 0x80
	v_cmp_eq_u16_sdwa s[12:13], v3, s4 src0_sel:BYTE_0 src1_sel:DWORD
	s_mov_b64 s[4:5], -1
                                        ; implicit-def: $sgpr10
	s_and_saveexec_b64 s[8:9], s[12:13]
; %bb.4074:
	s_mov_b32 s10, 0x7f800001
	s_xor_b64 s[4:5], exec, -1
; %bb.4075:
	s_or_b64 exec, exec, s[8:9]
	s_and_b64 s[4:5], s[4:5], exec
	s_or_saveexec_b64 s[6:7], s[6:7]
	v_mov_b32_e32 v2, s10
	s_xor_b64 exec, exec, s[6:7]
	s_cbranch_execz .LBB4_2026
.LBB4_4076:
	v_mov_b32_e32 v2, 0
	v_cmp_ne_u16_sdwa s[8:9], v3, v2 src0_sel:BYTE_0 src1_sel:DWORD
	s_andn2_b64 s[4:5], s[4:5], exec
	s_and_b64 s[8:9], s[8:9], exec
	s_or_b64 s[4:5], s[4:5], s[8:9]
	s_or_b64 exec, exec, s[6:7]
	s_and_saveexec_b64 s[6:7], s[4:5]
	s_cbranch_execnz .LBB4_2027
	s_branch .LBB4_2028
.LBB4_4077:
	s_movk_i32 s4, 0x80
	v_cmp_eq_u16_sdwa s[12:13], v3, s4 src0_sel:BYTE_0 src1_sel:DWORD
	s_mov_b64 s[4:5], -1
                                        ; implicit-def: $sgpr10
	s_and_saveexec_b64 s[8:9], s[12:13]
; %bb.4078:
	s_mov_b32 s10, 0x7f800001
	s_xor_b64 s[4:5], exec, -1
; %bb.4079:
	s_or_b64 exec, exec, s[8:9]
	s_and_b64 s[4:5], s[4:5], exec
	s_or_saveexec_b64 s[6:7], s[6:7]
	v_mov_b32_e32 v4, s10
	s_xor_b64 exec, exec, s[6:7]
	s_cbranch_execz .LBB4_2030
.LBB4_4080:
	v_mov_b32_e32 v4, 0
	v_cmp_ne_u16_sdwa s[8:9], v3, v4 src0_sel:BYTE_0 src1_sel:DWORD
	s_andn2_b64 s[4:5], s[4:5], exec
	s_and_b64 s[8:9], s[8:9], exec
	s_or_b64 s[4:5], s[4:5], s[8:9]
	s_or_b64 exec, exec, s[6:7]
	s_and_saveexec_b64 s[6:7], s[4:5]
	s_cbranch_execnz .LBB4_2031
	s_branch .LBB4_2032
.LBB4_4081:
	s_movk_i32 s4, 0x80
	v_cmp_eq_u16_e32 vcc, s4, v3
	s_mov_b64 s[4:5], -1
                                        ; implicit-def: $sgpr10
	s_and_saveexec_b64 s[8:9], vcc
; %bb.4082:
	s_mov_b32 s10, 0x7f800001
	s_xor_b64 s[4:5], exec, -1
; %bb.4083:
	s_or_b64 exec, exec, s[8:9]
	s_and_b64 s[4:5], s[4:5], exec
                                        ; implicit-def: $vgpr3
	s_or_saveexec_b64 s[6:7], s[6:7]
	v_mov_b32_e32 v2, s10
	s_xor_b64 exec, exec, s[6:7]
	s_cbranch_execz .LBB4_2034
.LBB4_4084:
	v_cmp_ne_u16_e32 vcc, 0, v3
	s_andn2_b64 s[4:5], s[4:5], exec
	s_and_b64 s[8:9], vcc, exec
	v_mov_b32_e32 v2, 0
	s_or_b64 s[4:5], s[4:5], s[8:9]
	s_or_b64 exec, exec, s[6:7]
	s_and_saveexec_b64 s[6:7], s[4:5]
	s_cbranch_execnz .LBB4_2035
	s_branch .LBB4_2036
.LBB4_4085:
	s_movk_i32 s4, 0x80
	v_cmp_eq_u16_e32 vcc, s4, v3
	s_mov_b64 s[4:5], -1
                                        ; implicit-def: $sgpr10
	s_and_saveexec_b64 s[8:9], vcc
; %bb.4086:
	s_mov_b32 s10, 0x7f800001
	s_xor_b64 s[4:5], exec, -1
; %bb.4087:
	s_or_b64 exec, exec, s[8:9]
	s_and_b64 s[4:5], s[4:5], exec
                                        ; implicit-def: $vgpr3
	s_or_saveexec_b64 s[6:7], s[6:7]
	v_mov_b32_e32 v4, s10
	s_xor_b64 exec, exec, s[6:7]
	s_cbranch_execz .LBB4_2038
.LBB4_4088:
	v_cmp_ne_u16_e32 vcc, 0, v3
	s_andn2_b64 s[4:5], s[4:5], exec
	s_and_b64 s[8:9], vcc, exec
	v_mov_b32_e32 v4, 0
	s_or_b64 s[4:5], s[4:5], s[8:9]
	s_or_b64 exec, exec, s[6:7]
	s_and_saveexec_b64 s[6:7], s[4:5]
	s_cbranch_execnz .LBB4_2039
	s_branch .LBB4_2040
.LBB4_4089:
	s_movk_i32 s4, 0x80
	v_cmp_eq_u16_sdwa s[12:13], v9, s4 src0_sel:BYTE_3 src1_sel:DWORD
	s_mov_b64 s[4:5], -1
                                        ; implicit-def: $sgpr10
	s_and_saveexec_b64 s[8:9], s[12:13]
; %bb.4090:
	s_mov_b32 s10, 0x7f800001
	s_xor_b64 s[4:5], exec, -1
; %bb.4091:
	s_or_b64 exec, exec, s[8:9]
	s_and_b64 s[4:5], s[4:5], exec
	s_or_saveexec_b64 s[6:7], s[6:7]
	v_mov_b32_e32 v2, s10
	s_xor_b64 exec, exec, s[6:7]
	s_cbranch_execz .LBB4_2042
.LBB4_4092:
	v_mov_b32_e32 v2, 0
	v_cmp_ne_u16_sdwa s[8:9], v9, v2 src0_sel:BYTE_3 src1_sel:DWORD
	s_andn2_b64 s[4:5], s[4:5], exec
	s_and_b64 s[8:9], s[8:9], exec
	s_or_b64 s[4:5], s[4:5], s[8:9]
	s_or_b64 exec, exec, s[6:7]
	s_and_saveexec_b64 s[6:7], s[4:5]
	s_cbranch_execnz .LBB4_2043
	s_branch .LBB4_2044
.LBB4_4093:
	s_movk_i32 s4, 0x80
	v_cmp_eq_u16_sdwa s[12:13], v5, s4 src0_sel:BYTE_3 src1_sel:DWORD
	s_mov_b64 s[4:5], -1
                                        ; implicit-def: $sgpr10
	s_and_saveexec_b64 s[8:9], s[12:13]
; %bb.4094:
	s_mov_b32 s10, 0x7f800001
	s_xor_b64 s[4:5], exec, -1
; %bb.4095:
	s_or_b64 exec, exec, s[8:9]
	s_and_b64 s[4:5], s[4:5], exec
	s_or_saveexec_b64 s[6:7], s[6:7]
	v_mov_b32_e32 v3, s10
	s_xor_b64 exec, exec, s[6:7]
	s_cbranch_execz .LBB4_2046
.LBB4_4096:
	v_mov_b32_e32 v3, 0
	v_cmp_ne_u16_sdwa s[8:9], v5, v3 src0_sel:BYTE_3 src1_sel:DWORD
	s_andn2_b64 s[4:5], s[4:5], exec
	s_and_b64 s[8:9], s[8:9], exec
	s_or_b64 s[4:5], s[4:5], s[8:9]
	s_or_b64 exec, exec, s[6:7]
	s_and_saveexec_b64 s[6:7], s[4:5]
	s_cbranch_execnz .LBB4_2047
	s_branch .LBB4_2048
.Lfunc_end4:
	.size	_ZNK2ck6detail7applierIiJLi0ELi1ELi2ELi3ELi4ELi5ELi6ELi7ELi8ELi9ELi10ELi11ELi12ELi13ELi14ELi15EEEclIZNKS_11static_fordINS_8SequenceIJLi4ELi4EEEENS5_IJLi0ELi1EEEEEclIZZZZNKS_31BlockwiseGemmXdlops_pipeline_v2ILNS_26BlockGemmPipelineSchedulerE1ELi256ENS_9f8_fnuz_tENS_7pk_i4_tESC_fNS_16TensorDescriptorINS_5TupleIJNS_5EmbedINSF_IJNS_17integral_constantIiLi8EEENSH_IiLi128EEENSH_IiLi16EEEEEENSF_IJSK_SJ_NSH_IiLi1EEEEEELb0EEENS_3XorINSF_IJSJ_SI_EEELb1EEENS_11PassThroughISK_EENS_7UnMergeINSF_IJSI_SM_EEELb0EEENSS_ISJ_EEST_NSS_ISI_EENS_21Merge_v3_division_modINSF_IJSJ_SM_EEEEEST_EEENSF_IJNS5_IJLi0EEEENS5_IJLi2ELi1EEEENS5_IJLi3EEEENS5_IJLi5EEEENS5_IJLi4EEEENS5_IJLi6EEEENS5_IJLi7EEEENS5_IJLi9ELi8EEEENS5_IJLi10EEEEEEENSF_IJNS5_IJLi1ELi2ELi3EEEENS5_IJLi4ELi5EEEES18_NS5_IJLi7ELi8EEEENS5_IJLi9EEEES1B_NS5_IJLi11EEEENS5_IJLi12EEEENS5_IJLi13EEEEEEENS5_IJLi11ELi12ELi13EEEENSH_IlLl16384EEEEENSE_INSF_IJNSG_INSF_IJSK_NSH_IiLi64EEESK_EEENSF_IJSK_NSH_IiLi256EEESM_EEELb0EEENSP_INSF_IJS1O_SK_EEELb1EEEST_NSU_INSF_IJSI_NSH_IiLi2EEEEEELb0EEENSS_IS1O_EEST_SY_NSZ_INSF_IJS1O_S1V_EEEEEST_EEES1C_S1K_S1L_S1M_EENSE_INSF_IJSO_SR_ST_SW_SX_ST_SY_S11_ST_NSZ_INSF_IJSI_SK_EEEEENSU_INSF_IJNSH_IiLi4EEES1V_SK_EEELb0EEEEEENSF_IJS13_S14_S15_S16_S17_S18_S19_S1A_S1B_NS5_IJLi11ELi13EEEES1I_EEENSF_IJS1D_S1E_S18_S1F_S1G_S1B_S1H_S1I_S1J_NS5_IJLi14EEEENS5_IJLi15ELi16ELi17EEEEEEENS5_IJLi15ELi16ELi17ELi14EEEES1M_EENSE_INSF_IJS1S_S1U_ST_S1X_S1Y_ST_SY_S20_ST_S24_S27_EEES2A_S2D_S2E_S1M_EELi16ELi16ELi128ELi128ELi128ELi16ELi16ELi4ELi4ELi16ELb0EE3RunILb1ELNS_10TailNumberE2ENSE_INSF_IJNSG_INSF_IJiiEEENSF_IJiSM_EEELb0EEENSU_IS2L_Lb0EEENSS_IiEEEEENSF_IJS13_NS5_IJLi2EEEENS5_IJLi1EEEEEEENSF_IJNS5_IJLi1ELi2EEEENS5_IJLi3ELi4EEEES16_EEENS5_IJLi3ELi5ELi4EEEElEES1N_NS_35ThreadGroupTensorSliceTransfer_v4r1INS_15ThisThreadBlockILi256EEENS_16tensor_operation12element_wise11PassThroughES34_LNS_25InMemoryDataOperationEnumE0ENS5_IJLi8ELi128ELi16EEEENS5_IJLi8ELi32ELi1EEEENS5_IJLi1ELi0ELi2EEEESC_SC_RKS2Y_KS1N_S38_NS5_IJLi0ELi1ELi2EEEELi2ELi2ELi16ELi16ELi1ELi1ELb0ELb1ELi2EiEENS_13DynamicBufferILNS_16AddressSpaceEnumE1EKSC_lLb1ELNS_22AmdBufferCoherenceEnumE0EiEENS3E_ILS3F_2ESC_S1M_Lb1ELS3H_0EiEENSF_IJiiiEEENSE_INSF_IJNSU_INSF_IJiiiiEEELb0EEENS_23Merge_v2_magic_divisionIS2L_EENSS_INSF_IJiEEEEES2P_EEENSF_IJS13_NS5_IJLi1ELi3EEEES2R_S17_EEENSF_IJNS5_IJLi1ELi2ELi3ELi4EEEES16_S18_S19_EEENS5_IJLi5ELi6ELi7EEEElEES22_NS2Z_IS31_S34_S34_LS35_0ES36_NS5_IJLi4ELi64ELi1EEEES38_SD_SD_RKS3X_KS22_S38_S3C_Li2ELi2ELi16ELi16ELi1ELi1ELb0ELb1ELi2EiEENS3E_ILS3F_1EKSD_lLb1ELS3H_0EiEENS3E_ILS3F_2ESD_S1M_Lb1ELS3H_0EiEES3K_NS_25StaticBufferTupleOfVectorILS3F_4EfLi16ELi4ELb1ELb0EEEEEvRKT1_RKT2_RT3_RKT4_RT5_RKT6_RKT7_RKT8_RT9_RKT10_RT11_RKT12_RT13_iENKUlT_E0_clISM_EEDaS56_ENKUlS56_E_clINSH_IiLi0EEEEEDaS56_ENKUlS56_E1_clISK_EEDaS56_EUlS56_E_EEvS56_EUlS56_E_EEvS56_, .Lfunc_end4-_ZNK2ck6detail7applierIiJLi0ELi1ELi2ELi3ELi4ELi5ELi6ELi7ELi8ELi9ELi10ELi11ELi12ELi13ELi14ELi15EEEclIZNKS_11static_fordINS_8SequenceIJLi4ELi4EEEENS5_IJLi0ELi1EEEEEclIZZZZNKS_31BlockwiseGemmXdlops_pipeline_v2ILNS_26BlockGemmPipelineSchedulerE1ELi256ENS_9f8_fnuz_tENS_7pk_i4_tESC_fNS_16TensorDescriptorINS_5TupleIJNS_5EmbedINSF_IJNS_17integral_constantIiLi8EEENSH_IiLi128EEENSH_IiLi16EEEEEENSF_IJSK_SJ_NSH_IiLi1EEEEEELb0EEENS_3XorINSF_IJSJ_SI_EEELb1EEENS_11PassThroughISK_EENS_7UnMergeINSF_IJSI_SM_EEELb0EEENSS_ISJ_EEST_NSS_ISI_EENS_21Merge_v3_division_modINSF_IJSJ_SM_EEEEEST_EEENSF_IJNS5_IJLi0EEEENS5_IJLi2ELi1EEEENS5_IJLi3EEEENS5_IJLi5EEEENS5_IJLi4EEEENS5_IJLi6EEEENS5_IJLi7EEEENS5_IJLi9ELi8EEEENS5_IJLi10EEEEEEENSF_IJNS5_IJLi1ELi2ELi3EEEENS5_IJLi4ELi5EEEES18_NS5_IJLi7ELi8EEEENS5_IJLi9EEEES1B_NS5_IJLi11EEEENS5_IJLi12EEEENS5_IJLi13EEEEEEENS5_IJLi11ELi12ELi13EEEENSH_IlLl16384EEEEENSE_INSF_IJNSG_INSF_IJSK_NSH_IiLi64EEESK_EEENSF_IJSK_NSH_IiLi256EEESM_EEELb0EEENSP_INSF_IJS1O_SK_EEELb1EEEST_NSU_INSF_IJSI_NSH_IiLi2EEEEEELb0EEENSS_IS1O_EEST_SY_NSZ_INSF_IJS1O_S1V_EEEEEST_EEES1C_S1K_S1L_S1M_EENSE_INSF_IJSO_SR_ST_SW_SX_ST_SY_S11_ST_NSZ_INSF_IJSI_SK_EEEEENSU_INSF_IJNSH_IiLi4EEES1V_SK_EEELb0EEEEEENSF_IJS13_S14_S15_S16_S17_S18_S19_S1A_S1B_NS5_IJLi11ELi13EEEES1I_EEENSF_IJS1D_S1E_S18_S1F_S1G_S1B_S1H_S1I_S1J_NS5_IJLi14EEEENS5_IJLi15ELi16ELi17EEEEEEENS5_IJLi15ELi16ELi17ELi14EEEES1M_EENSE_INSF_IJS1S_S1U_ST_S1X_S1Y_ST_SY_S20_ST_S24_S27_EEES2A_S2D_S2E_S1M_EELi16ELi16ELi128ELi128ELi128ELi16ELi16ELi4ELi4ELi16ELb0EE3RunILb1ELNS_10TailNumberE2ENSE_INSF_IJNSG_INSF_IJiiEEENSF_IJiSM_EEELb0EEENSU_IS2L_Lb0EEENSS_IiEEEEENSF_IJS13_NS5_IJLi2EEEENS5_IJLi1EEEEEEENSF_IJNS5_IJLi1ELi2EEEENS5_IJLi3ELi4EEEES16_EEENS5_IJLi3ELi5ELi4EEEElEES1N_NS_35ThreadGroupTensorSliceTransfer_v4r1INS_15ThisThreadBlockILi256EEENS_16tensor_operation12element_wise11PassThroughES34_LNS_25InMemoryDataOperationEnumE0ENS5_IJLi8ELi128ELi16EEEENS5_IJLi8ELi32ELi1EEEENS5_IJLi1ELi0ELi2EEEESC_SC_RKS2Y_KS1N_S38_NS5_IJLi0ELi1ELi2EEEELi2ELi2ELi16ELi16ELi1ELi1ELb0ELb1ELi2EiEENS_13DynamicBufferILNS_16AddressSpaceEnumE1EKSC_lLb1ELNS_22AmdBufferCoherenceEnumE0EiEENS3E_ILS3F_2ESC_S1M_Lb1ELS3H_0EiEENSF_IJiiiEEENSE_INSF_IJNSU_INSF_IJiiiiEEELb0EEENS_23Merge_v2_magic_divisionIS2L_EENSS_INSF_IJiEEEEES2P_EEENSF_IJS13_NS5_IJLi1ELi3EEEES2R_S17_EEENSF_IJNS5_IJLi1ELi2ELi3ELi4EEEES16_S18_S19_EEENS5_IJLi5ELi6ELi7EEEElEES22_NS2Z_IS31_S34_S34_LS35_0ES36_NS5_IJLi4ELi64ELi1EEEES38_SD_SD_RKS3X_KS22_S38_S3C_Li2ELi2ELi16ELi16ELi1ELi1ELb0ELb1ELi2EiEENS3E_ILS3F_1EKSD_lLb1ELS3H_0EiEENS3E_ILS3F_2ESD_S1M_Lb1ELS3H_0EiEES3K_NS_25StaticBufferTupleOfVectorILS3F_4EfLi16ELi4ELb1ELb0EEEEEvRKT1_RKT2_RT3_RKT4_RT5_RKT6_RKT7_RKT8_RT9_RKT10_RT11_RKT12_RT13_iENKUlT_E0_clISM_EEDaS56_ENKUlS56_E_clINSH_IiLi0EEEEEDaS56_ENKUlS56_E1_clISK_EEDaS56_EUlS56_E_EEvS56_EUlS56_E_EEvS56_
                                        ; -- End function
	.section	.AMDGPU.csdata,"",@progbits
; Function info:
; codeLenInByte = 134352
; NumSgprs: 36
; NumVgprs: 18
; NumAgprs: 4
; TotalNumVgprs: 24
; ScratchSize: 0
; MemoryBound: 1
	.text
	.p2align	2                               ; -- Begin function _ZNK2ck6detail7applierIiJLi0ELi1ELi2ELi3ELi4ELi5ELi6ELi7ELi8ELi9ELi10ELi11ELi12ELi13ELi14ELi15EEEclIZNKS_11static_fordINS_8SequenceIJLi4ELi4EEEENS5_IJLi0ELi1EEEEEclIZZZNKS_31BlockwiseGemmXdlops_pipeline_v2ILNS_26BlockGemmPipelineSchedulerE1ELi256ENS_9f8_fnuz_tENS_7pk_i4_tESC_fNS_16TensorDescriptorINS_5TupleIJNS_5EmbedINSF_IJNS_17integral_constantIiLi8EEENSH_IiLi128EEENSH_IiLi16EEEEEENSF_IJSK_SJ_NSH_IiLi1EEEEEELb0EEENS_3XorINSF_IJSJ_SI_EEELb1EEENS_11PassThroughISK_EENS_7UnMergeINSF_IJSI_SM_EEELb0EEENSS_ISJ_EEST_NSS_ISI_EENS_21Merge_v3_division_modINSF_IJSJ_SM_EEEEEST_EEENSF_IJNS5_IJLi0EEEENS5_IJLi2ELi1EEEENS5_IJLi3EEEENS5_IJLi5EEEENS5_IJLi4EEEENS5_IJLi6EEEENS5_IJLi7EEEENS5_IJLi9ELi8EEEENS5_IJLi10EEEEEEENSF_IJNS5_IJLi1ELi2ELi3EEEENS5_IJLi4ELi5EEEES18_NS5_IJLi7ELi8EEEENS5_IJLi9EEEES1B_NS5_IJLi11EEEENS5_IJLi12EEEENS5_IJLi13EEEEEEENS5_IJLi11ELi12ELi13EEEENSH_IlLl16384EEEEENSE_INSF_IJNSG_INSF_IJSK_NSH_IiLi64EEESK_EEENSF_IJSK_NSH_IiLi256EEESM_EEELb0EEENSP_INSF_IJS1O_SK_EEELb1EEEST_NSU_INSF_IJSI_NSH_IiLi2EEEEEELb0EEENSS_IS1O_EEST_SY_NSZ_INSF_IJS1O_S1V_EEEEEST_EEES1C_S1K_S1L_S1M_EENSE_INSF_IJSO_SR_ST_SW_SX_ST_SY_S11_ST_NSZ_INSF_IJSI_SK_EEEEENSU_INSF_IJNSH_IiLi4EEES1V_SK_EEELb0EEEEEENSF_IJS13_S14_S15_S16_S17_S18_S19_S1A_S1B_NS5_IJLi11ELi13EEEES1I_EEENSF_IJS1D_S1E_S18_S1F_S1G_S1B_S1H_S1I_S1J_NS5_IJLi14EEEENS5_IJLi15ELi16ELi17EEEEEEENS5_IJLi15ELi16ELi17ELi14EEEES1M_EENSE_INSF_IJS1S_S1U_ST_S1X_S1Y_ST_SY_S20_ST_S24_S27_EEES2A_S2D_S2E_S1M_EELi16ELi16ELi128ELi128ELi128ELi16ELi16ELi4ELi4ELi16ELb0EE3RunILb1ELNS_10TailNumberE2ENSE_INSF_IJNSG_INSF_IJiiEEENSF_IJiSM_EEELb0EEENSU_IS2L_Lb0EEENSS_IiEEEEENSF_IJS13_NS5_IJLi2EEEENS5_IJLi1EEEEEEENSF_IJNS5_IJLi1ELi2EEEENS5_IJLi3ELi4EEEES16_EEENS5_IJLi3ELi5ELi4EEEElEES1N_NS_35ThreadGroupTensorSliceTransfer_v4r1INS_15ThisThreadBlockILi256EEENS_16tensor_operation12element_wise11PassThroughES34_LNS_25InMemoryDataOperationEnumE0ENS5_IJLi8ELi128ELi16EEEENS5_IJLi8ELi32ELi1EEEENS5_IJLi1ELi0ELi2EEEESC_SC_RKS2Y_KS1N_S38_NS5_IJLi0ELi1ELi2EEEELi2ELi2ELi16ELi16ELi1ELi1ELb0ELb1ELi2EiEENS_13DynamicBufferILNS_16AddressSpaceEnumE1EKSC_lLb1ELNS_22AmdBufferCoherenceEnumE0EiEENS3E_ILS3F_2ESC_S1M_Lb1ELS3H_0EiEENSF_IJiiiEEENSE_INSF_IJNSU_INSF_IJiiiiEEELb0EEENS_23Merge_v2_magic_divisionIS2L_EENSS_INSF_IJiEEEEES2P_EEENSF_IJS13_NS5_IJLi1ELi3EEEES2R_S17_EEENSF_IJNS5_IJLi1ELi2ELi3ELi4EEEES16_S18_S19_EEENS5_IJLi5ELi6ELi7EEEElEES22_NS2Z_IS31_S34_S34_LS35_0ES36_NS5_IJLi4ELi64ELi1EEEES38_SD_SD_RKS3X_KS22_S38_S3C_Li2ELi2ELi16ELi16ELi1ELi1ELb0ELb1ELi2EiEENS3E_ILS3F_1EKSD_lLb1ELS3H_0EiEENS3E_ILS3F_2ESD_S1M_Lb1ELS3H_0EiEES3K_NS_25StaticBufferTupleOfVectorILS3F_4EfLi16ELi4ELb1ELb0EEEEEvRKT1_RKT2_RT3_RKT4_RT5_RKT6_RKT7_RKT8_RT9_RKT10_RT11_RKT12_RT13_iENKUlT_E2_clINSH_IiLi0EEEEEDaS56_ENKUlS56_E1_clIS59_EEDaS56_EUlS56_E_EEvS56_EUlS56_E_EEvS56_
	.type	_ZNK2ck6detail7applierIiJLi0ELi1ELi2ELi3ELi4ELi5ELi6ELi7ELi8ELi9ELi10ELi11ELi12ELi13ELi14ELi15EEEclIZNKS_11static_fordINS_8SequenceIJLi4ELi4EEEENS5_IJLi0ELi1EEEEEclIZZZNKS_31BlockwiseGemmXdlops_pipeline_v2ILNS_26BlockGemmPipelineSchedulerE1ELi256ENS_9f8_fnuz_tENS_7pk_i4_tESC_fNS_16TensorDescriptorINS_5TupleIJNS_5EmbedINSF_IJNS_17integral_constantIiLi8EEENSH_IiLi128EEENSH_IiLi16EEEEEENSF_IJSK_SJ_NSH_IiLi1EEEEEELb0EEENS_3XorINSF_IJSJ_SI_EEELb1EEENS_11PassThroughISK_EENS_7UnMergeINSF_IJSI_SM_EEELb0EEENSS_ISJ_EEST_NSS_ISI_EENS_21Merge_v3_division_modINSF_IJSJ_SM_EEEEEST_EEENSF_IJNS5_IJLi0EEEENS5_IJLi2ELi1EEEENS5_IJLi3EEEENS5_IJLi5EEEENS5_IJLi4EEEENS5_IJLi6EEEENS5_IJLi7EEEENS5_IJLi9ELi8EEEENS5_IJLi10EEEEEEENSF_IJNS5_IJLi1ELi2ELi3EEEENS5_IJLi4ELi5EEEES18_NS5_IJLi7ELi8EEEENS5_IJLi9EEEES1B_NS5_IJLi11EEEENS5_IJLi12EEEENS5_IJLi13EEEEEEENS5_IJLi11ELi12ELi13EEEENSH_IlLl16384EEEEENSE_INSF_IJNSG_INSF_IJSK_NSH_IiLi64EEESK_EEENSF_IJSK_NSH_IiLi256EEESM_EEELb0EEENSP_INSF_IJS1O_SK_EEELb1EEEST_NSU_INSF_IJSI_NSH_IiLi2EEEEEELb0EEENSS_IS1O_EEST_SY_NSZ_INSF_IJS1O_S1V_EEEEEST_EEES1C_S1K_S1L_S1M_EENSE_INSF_IJSO_SR_ST_SW_SX_ST_SY_S11_ST_NSZ_INSF_IJSI_SK_EEEEENSU_INSF_IJNSH_IiLi4EEES1V_SK_EEELb0EEEEEENSF_IJS13_S14_S15_S16_S17_S18_S19_S1A_S1B_NS5_IJLi11ELi13EEEES1I_EEENSF_IJS1D_S1E_S18_S1F_S1G_S1B_S1H_S1I_S1J_NS5_IJLi14EEEENS5_IJLi15ELi16ELi17EEEEEEENS5_IJLi15ELi16ELi17ELi14EEEES1M_EENSE_INSF_IJS1S_S1U_ST_S1X_S1Y_ST_SY_S20_ST_S24_S27_EEES2A_S2D_S2E_S1M_EELi16ELi16ELi128ELi128ELi128ELi16ELi16ELi4ELi4ELi16ELb0EE3RunILb1ELNS_10TailNumberE2ENSE_INSF_IJNSG_INSF_IJiiEEENSF_IJiSM_EEELb0EEENSU_IS2L_Lb0EEENSS_IiEEEEENSF_IJS13_NS5_IJLi2EEEENS5_IJLi1EEEEEEENSF_IJNS5_IJLi1ELi2EEEENS5_IJLi3ELi4EEEES16_EEENS5_IJLi3ELi5ELi4EEEElEES1N_NS_35ThreadGroupTensorSliceTransfer_v4r1INS_15ThisThreadBlockILi256EEENS_16tensor_operation12element_wise11PassThroughES34_LNS_25InMemoryDataOperationEnumE0ENS5_IJLi8ELi128ELi16EEEENS5_IJLi8ELi32ELi1EEEENS5_IJLi1ELi0ELi2EEEESC_SC_RKS2Y_KS1N_S38_NS5_IJLi0ELi1ELi2EEEELi2ELi2ELi16ELi16ELi1ELi1ELb0ELb1ELi2EiEENS_13DynamicBufferILNS_16AddressSpaceEnumE1EKSC_lLb1ELNS_22AmdBufferCoherenceEnumE0EiEENS3E_ILS3F_2ESC_S1M_Lb1ELS3H_0EiEENSF_IJiiiEEENSE_INSF_IJNSU_INSF_IJiiiiEEELb0EEENS_23Merge_v2_magic_divisionIS2L_EENSS_INSF_IJiEEEEES2P_EEENSF_IJS13_NS5_IJLi1ELi3EEEES2R_S17_EEENSF_IJNS5_IJLi1ELi2ELi3ELi4EEEES16_S18_S19_EEENS5_IJLi5ELi6ELi7EEEElEES22_NS2Z_IS31_S34_S34_LS35_0ES36_NS5_IJLi4ELi64ELi1EEEES38_SD_SD_RKS3X_KS22_S38_S3C_Li2ELi2ELi16ELi16ELi1ELi1ELb0ELb1ELi2EiEENS3E_ILS3F_1EKSD_lLb1ELS3H_0EiEENS3E_ILS3F_2ESD_S1M_Lb1ELS3H_0EiEES3K_NS_25StaticBufferTupleOfVectorILS3F_4EfLi16ELi4ELb1ELb0EEEEEvRKT1_RKT2_RT3_RKT4_RT5_RKT6_RKT7_RKT8_RT9_RKT10_RT11_RKT12_RT13_iENKUlT_E2_clINSH_IiLi0EEEEEDaS56_ENKUlS56_E1_clIS59_EEDaS56_EUlS56_E_EEvS56_EUlS56_E_EEvS56_,@function
_ZNK2ck6detail7applierIiJLi0ELi1ELi2ELi3ELi4ELi5ELi6ELi7ELi8ELi9ELi10ELi11ELi12ELi13ELi14ELi15EEEclIZNKS_11static_fordINS_8SequenceIJLi4ELi4EEEENS5_IJLi0ELi1EEEEEclIZZZNKS_31BlockwiseGemmXdlops_pipeline_v2ILNS_26BlockGemmPipelineSchedulerE1ELi256ENS_9f8_fnuz_tENS_7pk_i4_tESC_fNS_16TensorDescriptorINS_5TupleIJNS_5EmbedINSF_IJNS_17integral_constantIiLi8EEENSH_IiLi128EEENSH_IiLi16EEEEEENSF_IJSK_SJ_NSH_IiLi1EEEEEELb0EEENS_3XorINSF_IJSJ_SI_EEELb1EEENS_11PassThroughISK_EENS_7UnMergeINSF_IJSI_SM_EEELb0EEENSS_ISJ_EEST_NSS_ISI_EENS_21Merge_v3_division_modINSF_IJSJ_SM_EEEEEST_EEENSF_IJNS5_IJLi0EEEENS5_IJLi2ELi1EEEENS5_IJLi3EEEENS5_IJLi5EEEENS5_IJLi4EEEENS5_IJLi6EEEENS5_IJLi7EEEENS5_IJLi9ELi8EEEENS5_IJLi10EEEEEEENSF_IJNS5_IJLi1ELi2ELi3EEEENS5_IJLi4ELi5EEEES18_NS5_IJLi7ELi8EEEENS5_IJLi9EEEES1B_NS5_IJLi11EEEENS5_IJLi12EEEENS5_IJLi13EEEEEEENS5_IJLi11ELi12ELi13EEEENSH_IlLl16384EEEEENSE_INSF_IJNSG_INSF_IJSK_NSH_IiLi64EEESK_EEENSF_IJSK_NSH_IiLi256EEESM_EEELb0EEENSP_INSF_IJS1O_SK_EEELb1EEEST_NSU_INSF_IJSI_NSH_IiLi2EEEEEELb0EEENSS_IS1O_EEST_SY_NSZ_INSF_IJS1O_S1V_EEEEEST_EEES1C_S1K_S1L_S1M_EENSE_INSF_IJSO_SR_ST_SW_SX_ST_SY_S11_ST_NSZ_INSF_IJSI_SK_EEEEENSU_INSF_IJNSH_IiLi4EEES1V_SK_EEELb0EEEEEENSF_IJS13_S14_S15_S16_S17_S18_S19_S1A_S1B_NS5_IJLi11ELi13EEEES1I_EEENSF_IJS1D_S1E_S18_S1F_S1G_S1B_S1H_S1I_S1J_NS5_IJLi14EEEENS5_IJLi15ELi16ELi17EEEEEEENS5_IJLi15ELi16ELi17ELi14EEEES1M_EENSE_INSF_IJS1S_S1U_ST_S1X_S1Y_ST_SY_S20_ST_S24_S27_EEES2A_S2D_S2E_S1M_EELi16ELi16ELi128ELi128ELi128ELi16ELi16ELi4ELi4ELi16ELb0EE3RunILb1ELNS_10TailNumberE2ENSE_INSF_IJNSG_INSF_IJiiEEENSF_IJiSM_EEELb0EEENSU_IS2L_Lb0EEENSS_IiEEEEENSF_IJS13_NS5_IJLi2EEEENS5_IJLi1EEEEEEENSF_IJNS5_IJLi1ELi2EEEENS5_IJLi3ELi4EEEES16_EEENS5_IJLi3ELi5ELi4EEEElEES1N_NS_35ThreadGroupTensorSliceTransfer_v4r1INS_15ThisThreadBlockILi256EEENS_16tensor_operation12element_wise11PassThroughES34_LNS_25InMemoryDataOperationEnumE0ENS5_IJLi8ELi128ELi16EEEENS5_IJLi8ELi32ELi1EEEENS5_IJLi1ELi0ELi2EEEESC_SC_RKS2Y_KS1N_S38_NS5_IJLi0ELi1ELi2EEEELi2ELi2ELi16ELi16ELi1ELi1ELb0ELb1ELi2EiEENS_13DynamicBufferILNS_16AddressSpaceEnumE1EKSC_lLb1ELNS_22AmdBufferCoherenceEnumE0EiEENS3E_ILS3F_2ESC_S1M_Lb1ELS3H_0EiEENSF_IJiiiEEENSE_INSF_IJNSU_INSF_IJiiiiEEELb0EEENS_23Merge_v2_magic_divisionIS2L_EENSS_INSF_IJiEEEEES2P_EEENSF_IJS13_NS5_IJLi1ELi3EEEES2R_S17_EEENSF_IJNS5_IJLi1ELi2ELi3ELi4EEEES16_S18_S19_EEENS5_IJLi5ELi6ELi7EEEElEES22_NS2Z_IS31_S34_S34_LS35_0ES36_NS5_IJLi4ELi64ELi1EEEES38_SD_SD_RKS3X_KS22_S38_S3C_Li2ELi2ELi16ELi16ELi1ELi1ELb0ELb1ELi2EiEENS3E_ILS3F_1EKSD_lLb1ELS3H_0EiEENS3E_ILS3F_2ESD_S1M_Lb1ELS3H_0EiEES3K_NS_25StaticBufferTupleOfVectorILS3F_4EfLi16ELi4ELb1ELb0EEEEEvRKT1_RKT2_RT3_RKT4_RT5_RKT6_RKT7_RKT8_RT9_RKT10_RT11_RKT12_RT13_iENKUlT_E2_clINSH_IiLi0EEEEEDaS56_ENKUlS56_E1_clIS59_EEDaS56_EUlS56_E_EEvS56_EUlS56_E_EEvS56_: ; @_ZNK2ck6detail7applierIiJLi0ELi1ELi2ELi3ELi4ELi5ELi6ELi7ELi8ELi9ELi10ELi11ELi12ELi13ELi14ELi15EEEclIZNKS_11static_fordINS_8SequenceIJLi4ELi4EEEENS5_IJLi0ELi1EEEEEclIZZZNKS_31BlockwiseGemmXdlops_pipeline_v2ILNS_26BlockGemmPipelineSchedulerE1ELi256ENS_9f8_fnuz_tENS_7pk_i4_tESC_fNS_16TensorDescriptorINS_5TupleIJNS_5EmbedINSF_IJNS_17integral_constantIiLi8EEENSH_IiLi128EEENSH_IiLi16EEEEEENSF_IJSK_SJ_NSH_IiLi1EEEEEELb0EEENS_3XorINSF_IJSJ_SI_EEELb1EEENS_11PassThroughISK_EENS_7UnMergeINSF_IJSI_SM_EEELb0EEENSS_ISJ_EEST_NSS_ISI_EENS_21Merge_v3_division_modINSF_IJSJ_SM_EEEEEST_EEENSF_IJNS5_IJLi0EEEENS5_IJLi2ELi1EEEENS5_IJLi3EEEENS5_IJLi5EEEENS5_IJLi4EEEENS5_IJLi6EEEENS5_IJLi7EEEENS5_IJLi9ELi8EEEENS5_IJLi10EEEEEEENSF_IJNS5_IJLi1ELi2ELi3EEEENS5_IJLi4ELi5EEEES18_NS5_IJLi7ELi8EEEENS5_IJLi9EEEES1B_NS5_IJLi11EEEENS5_IJLi12EEEENS5_IJLi13EEEEEEENS5_IJLi11ELi12ELi13EEEENSH_IlLl16384EEEEENSE_INSF_IJNSG_INSF_IJSK_NSH_IiLi64EEESK_EEENSF_IJSK_NSH_IiLi256EEESM_EEELb0EEENSP_INSF_IJS1O_SK_EEELb1EEEST_NSU_INSF_IJSI_NSH_IiLi2EEEEEELb0EEENSS_IS1O_EEST_SY_NSZ_INSF_IJS1O_S1V_EEEEEST_EEES1C_S1K_S1L_S1M_EENSE_INSF_IJSO_SR_ST_SW_SX_ST_SY_S11_ST_NSZ_INSF_IJSI_SK_EEEEENSU_INSF_IJNSH_IiLi4EEES1V_SK_EEELb0EEEEEENSF_IJS13_S14_S15_S16_S17_S18_S19_S1A_S1B_NS5_IJLi11ELi13EEEES1I_EEENSF_IJS1D_S1E_S18_S1F_S1G_S1B_S1H_S1I_S1J_NS5_IJLi14EEEENS5_IJLi15ELi16ELi17EEEEEEENS5_IJLi15ELi16ELi17ELi14EEEES1M_EENSE_INSF_IJS1S_S1U_ST_S1X_S1Y_ST_SY_S20_ST_S24_S27_EEES2A_S2D_S2E_S1M_EELi16ELi16ELi128ELi128ELi128ELi16ELi16ELi4ELi4ELi16ELb0EE3RunILb1ELNS_10TailNumberE2ENSE_INSF_IJNSG_INSF_IJiiEEENSF_IJiSM_EEELb0EEENSU_IS2L_Lb0EEENSS_IiEEEEENSF_IJS13_NS5_IJLi2EEEENS5_IJLi1EEEEEEENSF_IJNS5_IJLi1ELi2EEEENS5_IJLi3ELi4EEEES16_EEENS5_IJLi3ELi5ELi4EEEElEES1N_NS_35ThreadGroupTensorSliceTransfer_v4r1INS_15ThisThreadBlockILi256EEENS_16tensor_operation12element_wise11PassThroughES34_LNS_25InMemoryDataOperationEnumE0ENS5_IJLi8ELi128ELi16EEEENS5_IJLi8ELi32ELi1EEEENS5_IJLi1ELi0ELi2EEEESC_SC_RKS2Y_KS1N_S38_NS5_IJLi0ELi1ELi2EEEELi2ELi2ELi16ELi16ELi1ELi1ELb0ELb1ELi2EiEENS_13DynamicBufferILNS_16AddressSpaceEnumE1EKSC_lLb1ELNS_22AmdBufferCoherenceEnumE0EiEENS3E_ILS3F_2ESC_S1M_Lb1ELS3H_0EiEENSF_IJiiiEEENSE_INSF_IJNSU_INSF_IJiiiiEEELb0EEENS_23Merge_v2_magic_divisionIS2L_EENSS_INSF_IJiEEEEES2P_EEENSF_IJS13_NS5_IJLi1ELi3EEEES2R_S17_EEENSF_IJNS5_IJLi1ELi2ELi3ELi4EEEES16_S18_S19_EEENS5_IJLi5ELi6ELi7EEEElEES22_NS2Z_IS31_S34_S34_LS35_0ES36_NS5_IJLi4ELi64ELi1EEEES38_SD_SD_RKS3X_KS22_S38_S3C_Li2ELi2ELi16ELi16ELi1ELi1ELb0ELb1ELi2EiEENS3E_ILS3F_1EKSD_lLb1ELS3H_0EiEENS3E_ILS3F_2ESD_S1M_Lb1ELS3H_0EiEES3K_NS_25StaticBufferTupleOfVectorILS3F_4EfLi16ELi4ELb1ELb0EEEEEvRKT1_RKT2_RT3_RKT4_RT5_RKT6_RKT7_RKT8_RT9_RKT10_RT11_RKT12_RT13_iENKUlT_E2_clINSH_IiLi0EEEEEDaS56_ENKUlS56_E1_clIS59_EEDaS56_EUlS56_E_EEvS56_EUlS56_E_EEvS56_
; %bb.0:
	s_waitcnt vmcnt(0) expcnt(0) lgkmcnt(0)
	flat_load_dwordx4 v[12:15], v[0:1] offset:8
	flat_load_dwordx2 v[10:11], v[0:1] offset:32
	s_movk_i32 s4, 0x7f
                                        ; implicit-def: $sgpr10
	s_waitcnt vmcnt(0) lgkmcnt(0)
	flat_load_dwordx4 v[6:9], v[12:13]
	flat_load_dwordx4 v[2:5], v[14:15]
	s_waitcnt vmcnt(0) lgkmcnt(0)
	v_cmp_gt_i16_sdwa s[6:7], v6, s4 src0_sel:BYTE_0 src1_sel:DWORD
	s_mov_b64 s[4:5], 0
	s_and_saveexec_b64 s[8:9], s[6:7]
	s_xor_b64 s[6:7], exec, s[8:9]
	s_cbranch_execnz .LBB5_2049
; %bb.1:
	s_or_saveexec_b64 s[6:7], s[6:7]
	v_mov_b32_e32 v12, s10
	s_xor_b64 exec, exec, s[6:7]
	s_cbranch_execnz .LBB5_2052
.LBB5_2:
	s_or_b64 exec, exec, s[6:7]
	s_and_saveexec_b64 s[6:7], s[4:5]
	s_cbranch_execz .LBB5_4
.LBB5_3:
	v_and_b32_e32 v12, 7, v6
	v_ffbh_u32_e32 v14, v12
	v_min_u32_e32 v14, 32, v14
	v_lshrrev_b16_e32 v13, 3, v6
	v_subrev_u32_e32 v15, 28, v14
	v_and_b32_e32 v13, 15, v13
	v_lshlrev_b32_e32 v15, v15, v6
	v_sub_u32_e32 v14, 29, v14
	v_and_b32_e32 v15, 7, v15
	v_cmp_eq_u16_e32 vcc, 0, v13
	v_cndmask_b32_e32 v12, v12, v15, vcc
	v_cndmask_b32_e32 v13, v13, v14, vcc
	v_lshlrev_b32_e32 v14, 24, v6
	v_mov_b32_e32 v15, 0x3b800000
	v_lshlrev_b32_e32 v12, 20, v12
	v_and_b32_e32 v14, 0x80000000, v14
	v_lshl_add_u32 v13, v13, 23, v15
	v_or3_b32 v12, v14, v13, v12
.LBB5_4:
	s_or_b64 exec, exec, s[6:7]
	s_movk_i32 s4, 0x7f
	v_cmp_gt_i16_sdwa s[6:7], v2, s4 src0_sel:BYTE_0 src1_sel:DWORD
	s_mov_b64 s[4:5], 0
                                        ; implicit-def: $sgpr10
	s_and_saveexec_b64 s[8:9], s[6:7]
	s_xor_b64 s[6:7], exec, s[8:9]
	s_cbranch_execnz .LBB5_2053
; %bb.5:
	s_or_saveexec_b64 s[6:7], s[6:7]
	v_mov_b32_e32 v13, s10
	s_xor_b64 exec, exec, s[6:7]
	s_cbranch_execnz .LBB5_2056
.LBB5_6:
	s_or_b64 exec, exec, s[6:7]
	s_and_saveexec_b64 s[6:7], s[4:5]
	s_cbranch_execz .LBB5_8
.LBB5_7:
	v_and_b32_e32 v13, 7, v2
	v_ffbh_u32_e32 v15, v13
	v_min_u32_e32 v15, 32, v15
	v_lshrrev_b16_e32 v14, 3, v2
	v_subrev_u32_e32 v16, 28, v15
	v_and_b32_e32 v14, 15, v14
	v_lshlrev_b32_e32 v16, v16, v2
	v_sub_u32_e32 v15, 29, v15
	v_and_b32_e32 v16, 7, v16
	v_cmp_eq_u16_e32 vcc, 0, v14
	v_cndmask_b32_e32 v13, v13, v16, vcc
	v_cndmask_b32_e32 v14, v14, v15, vcc
	v_lshlrev_b32_e32 v15, 24, v2
	v_mov_b32_e32 v16, 0x3b800000
	v_lshlrev_b32_e32 v13, 20, v13
	v_and_b32_e32 v15, 0x80000000, v15
	v_lshl_add_u32 v14, v14, 23, v16
	v_or3_b32 v13, v15, v14, v13
.LBB5_8:
	s_or_b64 exec, exec, s[6:7]
	flat_load_dwordx4 a[0:3], v[10:11]
	s_movk_i32 s4, 0x7f
                                        ; implicit-def: $sgpr10
	s_waitcnt vmcnt(0) lgkmcnt(0)
	v_mfma_f32_16x16x4f32 a[0:3], v12, v13, a[0:3]
	v_lshrrev_b32_e32 v13, 8, v6
	v_cmp_gt_i16_sdwa s[6:7], v13, s4 src0_sel:BYTE_0 src1_sel:DWORD
	s_mov_b64 s[4:5], 0
	s_and_saveexec_b64 s[8:9], s[6:7]
	s_xor_b64 s[6:7], exec, s[8:9]
	s_cbranch_execnz .LBB5_2057
; %bb.9:
	s_or_saveexec_b64 s[6:7], s[6:7]
	v_mov_b32_e32 v12, s10
	s_xor_b64 exec, exec, s[6:7]
	s_cbranch_execnz .LBB5_2060
.LBB5_10:
	s_or_b64 exec, exec, s[6:7]
	s_and_saveexec_b64 s[6:7], s[4:5]
	s_cbranch_execz .LBB5_12
.LBB5_11:
	v_bfe_u32 v12, v6, 8, 3
	v_ffbh_u32_e32 v15, v12
	v_min_u32_e32 v15, 32, v15
	v_lshrrev_b16_e32 v14, 3, v13
	v_subrev_u32_e32 v16, 28, v15
	v_and_b32_e32 v14, 15, v14
	v_lshlrev_b32_e32 v13, v16, v13
	v_sub_u32_e32 v15, 29, v15
	v_and_b32_e32 v13, 7, v13
	v_cmp_eq_u16_e32 vcc, 0, v14
	v_cndmask_b32_e32 v12, v12, v13, vcc
	v_cndmask_b32_e32 v13, v14, v15, vcc
	v_lshlrev_b32_e32 v14, 16, v6
	v_mov_b32_e32 v15, 0x3b800000
	v_lshlrev_b32_e32 v12, 20, v12
	v_and_b32_e32 v14, 0x80000000, v14
	v_lshl_add_u32 v13, v13, 23, v15
	v_or3_b32 v12, v14, v13, v12
.LBB5_12:
	s_or_b64 exec, exec, s[6:7]
	v_lshrrev_b32_e32 v13, 8, v2
	s_movk_i32 s4, 0x7f
	v_cmp_gt_i16_sdwa s[6:7], v13, s4 src0_sel:BYTE_0 src1_sel:DWORD
	s_mov_b64 s[4:5], 0
                                        ; implicit-def: $sgpr10
	s_and_saveexec_b64 s[8:9], s[6:7]
	s_xor_b64 s[6:7], exec, s[8:9]
	s_cbranch_execnz .LBB5_2061
; %bb.13:
	s_or_saveexec_b64 s[6:7], s[6:7]
	v_mov_b32_e32 v14, s10
	s_xor_b64 exec, exec, s[6:7]
	s_cbranch_execnz .LBB5_2064
.LBB5_14:
	s_or_b64 exec, exec, s[6:7]
	s_and_saveexec_b64 s[6:7], s[4:5]
	s_cbranch_execz .LBB5_16
.LBB5_15:
	v_bfe_u32 v14, v2, 8, 3
	v_ffbh_u32_e32 v16, v14
	v_min_u32_e32 v16, 32, v16
	v_lshrrev_b16_e32 v15, 3, v13
	v_subrev_u32_e32 v17, 28, v16
	v_and_b32_e32 v15, 15, v15
	v_lshlrev_b32_e32 v13, v17, v13
	v_sub_u32_e32 v16, 29, v16
	v_and_b32_e32 v13, 7, v13
	v_cmp_eq_u16_e32 vcc, 0, v15
	v_cndmask_b32_e32 v13, v14, v13, vcc
	v_cndmask_b32_e32 v14, v15, v16, vcc
	v_lshlrev_b32_e32 v15, 16, v2
	v_mov_b32_e32 v16, 0x3b800000
	v_lshlrev_b32_e32 v13, 20, v13
	v_and_b32_e32 v15, 0x80000000, v15
	v_lshl_add_u32 v14, v14, 23, v16
	v_or3_b32 v14, v15, v14, v13
.LBB5_16:
	s_or_b64 exec, exec, s[6:7]
	s_nop 0
	v_mfma_f32_16x16x4f32 a[0:3], v12, v14, a[0:3]
	s_movk_i32 s4, 0xff
	v_and_b32_sdwa v13, v6, s4 dst_sel:DWORD dst_unused:UNUSED_PAD src0_sel:WORD_1 src1_sel:DWORD
	s_movk_i32 s4, 0x7f
	v_cmp_lt_i16_e32 vcc, s4, v13
	s_mov_b64 s[4:5], 0
                                        ; implicit-def: $sgpr10
	s_and_saveexec_b64 s[6:7], vcc
	s_xor_b64 s[6:7], exec, s[6:7]
	s_cbranch_execnz .LBB5_2065
; %bb.17:
	s_or_saveexec_b64 s[6:7], s[6:7]
	v_mov_b32_e32 v12, s10
	s_xor_b64 exec, exec, s[6:7]
	s_cbranch_execnz .LBB5_2068
.LBB5_18:
	s_or_b64 exec, exec, s[6:7]
	s_and_saveexec_b64 s[6:7], s[4:5]
	s_cbranch_execz .LBB5_20
.LBB5_19:
	v_bfe_u32 v12, v6, 16, 3
	v_ffbh_u32_e32 v15, v12
	v_min_u32_e32 v15, 32, v15
	v_lshrrev_b32_e32 v13, 19, v6
	v_subrev_u32_e32 v16, 28, v15
	v_and_b32_e32 v13, 15, v13
	v_lshlrev_b32_sdwa v16, v16, v6 dst_sel:DWORD dst_unused:UNUSED_PAD src0_sel:DWORD src1_sel:WORD_1
	v_bfe_u32 v14, v6, 19, 4
	v_sub_u32_e32 v15, 29, v15
	v_and_b32_e32 v16, 7, v16
	v_cmp_eq_u16_e32 vcc, 0, v13
	v_cndmask_b32_e32 v12, v12, v16, vcc
	v_cndmask_b32_e32 v13, v14, v15, vcc
	v_lshlrev_b32_e32 v14, 8, v6
	v_mov_b32_e32 v15, 0x3b800000
	v_lshlrev_b32_e32 v12, 20, v12
	v_and_b32_e32 v14, 0x80000000, v14
	v_lshl_add_u32 v13, v13, 23, v15
	v_or3_b32 v12, v14, v13, v12
.LBB5_20:
	s_or_b64 exec, exec, s[6:7]
	s_movk_i32 s4, 0xff
	v_and_b32_sdwa v13, v2, s4 dst_sel:DWORD dst_unused:UNUSED_PAD src0_sel:WORD_1 src1_sel:DWORD
	s_movk_i32 s4, 0x7f
	v_cmp_lt_i16_e32 vcc, s4, v13
	s_mov_b64 s[4:5], 0
                                        ; implicit-def: $sgpr10
	s_and_saveexec_b64 s[6:7], vcc
	s_xor_b64 s[6:7], exec, s[6:7]
	s_cbranch_execnz .LBB5_2069
; %bb.21:
	s_or_saveexec_b64 s[6:7], s[6:7]
	v_mov_b32_e32 v14, s10
	s_xor_b64 exec, exec, s[6:7]
	s_cbranch_execnz .LBB5_2072
.LBB5_22:
	s_or_b64 exec, exec, s[6:7]
	s_and_saveexec_b64 s[6:7], s[4:5]
	s_cbranch_execz .LBB5_24
.LBB5_23:
	v_bfe_u32 v13, v2, 16, 3
	v_ffbh_u32_e32 v16, v13
	v_min_u32_e32 v16, 32, v16
	v_lshrrev_b32_e32 v14, 19, v2
	v_subrev_u32_e32 v17, 28, v16
	v_and_b32_e32 v14, 15, v14
	v_lshlrev_b32_sdwa v17, v17, v2 dst_sel:DWORD dst_unused:UNUSED_PAD src0_sel:DWORD src1_sel:WORD_1
	v_bfe_u32 v15, v2, 19, 4
	v_sub_u32_e32 v16, 29, v16
	v_and_b32_e32 v17, 7, v17
	v_cmp_eq_u16_e32 vcc, 0, v14
	v_cndmask_b32_e32 v13, v13, v17, vcc
	v_cndmask_b32_e32 v14, v15, v16, vcc
	v_lshlrev_b32_e32 v15, 8, v2
	v_mov_b32_e32 v16, 0x3b800000
	v_lshlrev_b32_e32 v13, 20, v13
	v_and_b32_e32 v15, 0x80000000, v15
	v_lshl_add_u32 v14, v14, 23, v16
	v_or3_b32 v14, v15, v14, v13
.LBB5_24:
	s_or_b64 exec, exec, s[6:7]
	s_nop 0
	v_mfma_f32_16x16x4f32 a[0:3], v12, v14, a[0:3]
	s_movk_i32 s4, 0x7f
	v_cmp_gt_i16_sdwa s[6:7], v6, s4 src0_sel:BYTE_3 src1_sel:DWORD
	s_mov_b64 s[4:5], 0
                                        ; implicit-def: $sgpr10
	s_and_saveexec_b64 s[8:9], s[6:7]
	s_xor_b64 s[6:7], exec, s[8:9]
	s_cbranch_execnz .LBB5_2073
; %bb.25:
	s_or_saveexec_b64 s[6:7], s[6:7]
	v_mov_b32_e32 v12, s10
	s_xor_b64 exec, exec, s[6:7]
	s_cbranch_execnz .LBB5_2076
.LBB5_26:
	s_or_b64 exec, exec, s[6:7]
	s_and_saveexec_b64 s[6:7], s[4:5]
	s_cbranch_execz .LBB5_28
.LBB5_27:
	v_bfe_u32 v12, v6, 24, 3
	v_ffbh_u32_e32 v16, v12
	v_min_u32_e32 v16, 32, v16
	v_lshrrev_b32_e32 v14, 27, v6
	v_subrev_u32_e32 v17, 28, v16
	v_and_b32_e32 v13, 0x80000000, v6
	v_and_b32_e32 v14, 15, v14
	v_bfe_u32 v15, v6, 27, 4
	v_lshlrev_b32_sdwa v6, v17, v6 dst_sel:DWORD dst_unused:UNUSED_PAD src0_sel:DWORD src1_sel:BYTE_3
	v_sub_u32_e32 v16, 29, v16
	v_and_b32_e32 v6, 7, v6
	v_cmp_eq_u16_e32 vcc, 0, v14
	v_cndmask_b32_e32 v6, v12, v6, vcc
	v_cndmask_b32_e32 v12, v15, v16, vcc
	v_mov_b32_e32 v14, 0x3b800000
	v_lshlrev_b32_e32 v6, 20, v6
	v_lshl_add_u32 v12, v12, 23, v14
	v_or3_b32 v12, v13, v12, v6
.LBB5_28:
	s_or_b64 exec, exec, s[6:7]
	s_movk_i32 s4, 0x7f
	v_cmp_gt_i16_sdwa s[6:7], v2, s4 src0_sel:BYTE_3 src1_sel:DWORD
	s_mov_b64 s[4:5], 0
                                        ; implicit-def: $sgpr10
	s_and_saveexec_b64 s[8:9], s[6:7]
	s_xor_b64 s[6:7], exec, s[8:9]
	s_cbranch_execnz .LBB5_2077
; %bb.29:
	s_or_saveexec_b64 s[6:7], s[6:7]
	v_mov_b32_e32 v6, s10
	s_xor_b64 exec, exec, s[6:7]
	s_cbranch_execnz .LBB5_2080
.LBB5_30:
	s_or_b64 exec, exec, s[6:7]
	s_and_saveexec_b64 s[6:7], s[4:5]
	s_cbranch_execz .LBB5_32
.LBB5_31:
	v_bfe_u32 v6, v2, 24, 3
	v_ffbh_u32_e32 v16, v6
	v_min_u32_e32 v16, 32, v16
	v_lshrrev_b32_e32 v14, 27, v2
	v_subrev_u32_e32 v17, 28, v16
	v_and_b32_e32 v13, 0x80000000, v2
	v_and_b32_e32 v14, 15, v14
	v_bfe_u32 v15, v2, 27, 4
	v_lshlrev_b32_sdwa v2, v17, v2 dst_sel:DWORD dst_unused:UNUSED_PAD src0_sel:DWORD src1_sel:BYTE_3
	v_sub_u32_e32 v16, 29, v16
	v_and_b32_e32 v2, 7, v2
	v_cmp_eq_u16_e32 vcc, 0, v14
	v_cndmask_b32_e32 v2, v6, v2, vcc
	v_cndmask_b32_e32 v6, v15, v16, vcc
	v_mov_b32_e32 v14, 0x3b800000
	v_lshlrev_b32_e32 v2, 20, v2
	v_lshl_add_u32 v6, v6, 23, v14
	v_or3_b32 v6, v13, v6, v2
.LBB5_32:
	s_or_b64 exec, exec, s[6:7]
	s_nop 0
	v_mfma_f32_16x16x4f32 a[0:3], v12, v6, a[0:3]
	s_movk_i32 s4, 0x7f
	v_cmp_gt_i16_sdwa s[6:7], v7, s4 src0_sel:BYTE_0 src1_sel:DWORD
	s_mov_b64 s[4:5], 0
                                        ; implicit-def: $sgpr10
	s_and_saveexec_b64 s[8:9], s[6:7]
	s_xor_b64 s[6:7], exec, s[8:9]
	s_cbranch_execnz .LBB5_2081
; %bb.33:
	s_or_saveexec_b64 s[6:7], s[6:7]
	v_mov_b32_e32 v2, s10
	s_xor_b64 exec, exec, s[6:7]
	s_cbranch_execnz .LBB5_2084
.LBB5_34:
	s_or_b64 exec, exec, s[6:7]
	s_and_saveexec_b64 s[6:7], s[4:5]
	s_cbranch_execz .LBB5_36
.LBB5_35:
	v_and_b32_e32 v2, 7, v7
	v_ffbh_u32_e32 v12, v2
	v_min_u32_e32 v12, 32, v12
	v_lshrrev_b16_e32 v6, 3, v7
	v_subrev_u32_e32 v13, 28, v12
	v_and_b32_e32 v6, 15, v6
	v_lshlrev_b32_e32 v13, v13, v7
	v_sub_u32_e32 v12, 29, v12
	v_and_b32_e32 v13, 7, v13
	v_cmp_eq_u16_e32 vcc, 0, v6
	v_cndmask_b32_e32 v2, v2, v13, vcc
	v_cndmask_b32_e32 v6, v6, v12, vcc
	v_lshlrev_b32_e32 v12, 24, v7
	v_mov_b32_e32 v13, 0x3b800000
	v_lshlrev_b32_e32 v2, 20, v2
	v_and_b32_e32 v12, 0x80000000, v12
	v_lshl_add_u32 v6, v6, 23, v13
	v_or3_b32 v2, v12, v6, v2
.LBB5_36:
	s_or_b64 exec, exec, s[6:7]
	s_movk_i32 s4, 0x7f
	v_cmp_gt_i16_sdwa s[6:7], v3, s4 src0_sel:BYTE_0 src1_sel:DWORD
	s_mov_b64 s[4:5], 0
                                        ; implicit-def: $sgpr10
	s_and_saveexec_b64 s[8:9], s[6:7]
	s_xor_b64 s[6:7], exec, s[8:9]
	s_cbranch_execnz .LBB5_2085
; %bb.37:
	s_or_saveexec_b64 s[6:7], s[6:7]
	v_mov_b32_e32 v6, s10
	s_xor_b64 exec, exec, s[6:7]
	s_cbranch_execnz .LBB5_2088
.LBB5_38:
	s_or_b64 exec, exec, s[6:7]
	s_and_saveexec_b64 s[6:7], s[4:5]
	s_cbranch_execz .LBB5_40
.LBB5_39:
	v_and_b32_e32 v6, 7, v3
	v_ffbh_u32_e32 v13, v6
	v_min_u32_e32 v13, 32, v13
	v_lshrrev_b16_e32 v12, 3, v3
	v_subrev_u32_e32 v14, 28, v13
	v_and_b32_e32 v12, 15, v12
	v_lshlrev_b32_e32 v14, v14, v3
	v_sub_u32_e32 v13, 29, v13
	v_and_b32_e32 v14, 7, v14
	v_cmp_eq_u16_e32 vcc, 0, v12
	v_cndmask_b32_e32 v6, v6, v14, vcc
	v_cndmask_b32_e32 v12, v12, v13, vcc
	v_lshlrev_b32_e32 v13, 24, v3
	v_mov_b32_e32 v14, 0x3b800000
	v_lshlrev_b32_e32 v6, 20, v6
	v_and_b32_e32 v13, 0x80000000, v13
	v_lshl_add_u32 v12, v12, 23, v14
	v_or3_b32 v6, v13, v12, v6
.LBB5_40:
	s_or_b64 exec, exec, s[6:7]
	s_nop 0
	v_mfma_f32_16x16x4f32 a[0:3], v2, v6, a[0:3]
	v_lshrrev_b32_e32 v6, 8, v7
	s_movk_i32 s4, 0x7f
	v_cmp_gt_i16_sdwa s[6:7], v6, s4 src0_sel:BYTE_0 src1_sel:DWORD
	s_mov_b64 s[4:5], 0
                                        ; implicit-def: $sgpr10
	s_and_saveexec_b64 s[8:9], s[6:7]
	s_xor_b64 s[6:7], exec, s[8:9]
	s_cbranch_execnz .LBB5_2089
; %bb.41:
	s_or_saveexec_b64 s[6:7], s[6:7]
	v_mov_b32_e32 v2, s10
	s_xor_b64 exec, exec, s[6:7]
	s_cbranch_execnz .LBB5_2092
.LBB5_42:
	s_or_b64 exec, exec, s[6:7]
	s_and_saveexec_b64 s[6:7], s[4:5]
	s_cbranch_execz .LBB5_44
.LBB5_43:
	v_bfe_u32 v2, v7, 8, 3
	v_ffbh_u32_e32 v13, v2
	v_min_u32_e32 v13, 32, v13
	v_lshrrev_b16_e32 v12, 3, v6
	v_subrev_u32_e32 v14, 28, v13
	v_and_b32_e32 v12, 15, v12
	v_lshlrev_b32_e32 v6, v14, v6
	v_sub_u32_e32 v13, 29, v13
	v_and_b32_e32 v6, 7, v6
	v_cmp_eq_u16_e32 vcc, 0, v12
	v_cndmask_b32_e32 v2, v2, v6, vcc
	v_cndmask_b32_e32 v6, v12, v13, vcc
	v_lshlrev_b32_e32 v12, 16, v7
	v_mov_b32_e32 v13, 0x3b800000
	v_lshlrev_b32_e32 v2, 20, v2
	v_and_b32_e32 v12, 0x80000000, v12
	v_lshl_add_u32 v6, v6, 23, v13
	v_or3_b32 v2, v12, v6, v2
.LBB5_44:
	s_or_b64 exec, exec, s[6:7]
	v_lshrrev_b32_e32 v6, 8, v3
	s_movk_i32 s4, 0x7f
	v_cmp_gt_i16_sdwa s[6:7], v6, s4 src0_sel:BYTE_0 src1_sel:DWORD
	s_mov_b64 s[4:5], 0
                                        ; implicit-def: $sgpr10
	s_and_saveexec_b64 s[8:9], s[6:7]
	s_xor_b64 s[6:7], exec, s[8:9]
	s_cbranch_execnz .LBB5_2093
; %bb.45:
	s_or_saveexec_b64 s[6:7], s[6:7]
	v_mov_b32_e32 v12, s10
	s_xor_b64 exec, exec, s[6:7]
	s_cbranch_execnz .LBB5_2096
.LBB5_46:
	s_or_b64 exec, exec, s[6:7]
	s_and_saveexec_b64 s[6:7], s[4:5]
	s_cbranch_execz .LBB5_48
.LBB5_47:
	v_bfe_u32 v12, v3, 8, 3
	v_ffbh_u32_e32 v14, v12
	v_min_u32_e32 v14, 32, v14
	v_lshrrev_b16_e32 v13, 3, v6
	v_subrev_u32_e32 v15, 28, v14
	v_and_b32_e32 v13, 15, v13
	v_lshlrev_b32_e32 v6, v15, v6
	v_sub_u32_e32 v14, 29, v14
	v_and_b32_e32 v6, 7, v6
	v_cmp_eq_u16_e32 vcc, 0, v13
	v_cndmask_b32_e32 v6, v12, v6, vcc
	v_cndmask_b32_e32 v12, v13, v14, vcc
	v_lshlrev_b32_e32 v13, 16, v3
	v_mov_b32_e32 v14, 0x3b800000
	v_lshlrev_b32_e32 v6, 20, v6
	v_and_b32_e32 v13, 0x80000000, v13
	v_lshl_add_u32 v12, v12, 23, v14
	v_or3_b32 v12, v13, v12, v6
.LBB5_48:
	s_or_b64 exec, exec, s[6:7]
	s_nop 0
	v_mfma_f32_16x16x4f32 a[0:3], v2, v12, a[0:3]
	s_movk_i32 s4, 0xff
	v_and_b32_sdwa v6, v7, s4 dst_sel:DWORD dst_unused:UNUSED_PAD src0_sel:WORD_1 src1_sel:DWORD
	s_movk_i32 s4, 0x7f
	v_cmp_lt_i16_e32 vcc, s4, v6
	s_mov_b64 s[4:5], 0
                                        ; implicit-def: $sgpr10
	s_and_saveexec_b64 s[6:7], vcc
	s_xor_b64 s[6:7], exec, s[6:7]
	s_cbranch_execnz .LBB5_2097
; %bb.49:
	s_or_saveexec_b64 s[6:7], s[6:7]
	v_mov_b32_e32 v2, s10
	s_xor_b64 exec, exec, s[6:7]
	s_cbranch_execnz .LBB5_2100
.LBB5_50:
	s_or_b64 exec, exec, s[6:7]
	s_and_saveexec_b64 s[6:7], s[4:5]
	s_cbranch_execz .LBB5_52
.LBB5_51:
	v_bfe_u32 v2, v7, 16, 3
	v_ffbh_u32_e32 v13, v2
	v_min_u32_e32 v13, 32, v13
	v_lshrrev_b32_e32 v6, 19, v7
	v_subrev_u32_e32 v14, 28, v13
	v_and_b32_e32 v6, 15, v6
	v_lshlrev_b32_sdwa v14, v14, v7 dst_sel:DWORD dst_unused:UNUSED_PAD src0_sel:DWORD src1_sel:WORD_1
	v_bfe_u32 v12, v7, 19, 4
	v_sub_u32_e32 v13, 29, v13
	v_and_b32_e32 v14, 7, v14
	v_cmp_eq_u16_e32 vcc, 0, v6
	v_cndmask_b32_e32 v2, v2, v14, vcc
	v_cndmask_b32_e32 v6, v12, v13, vcc
	v_lshlrev_b32_e32 v12, 8, v7
	v_mov_b32_e32 v13, 0x3b800000
	v_lshlrev_b32_e32 v2, 20, v2
	v_and_b32_e32 v12, 0x80000000, v12
	v_lshl_add_u32 v6, v6, 23, v13
	v_or3_b32 v2, v12, v6, v2
.LBB5_52:
	s_or_b64 exec, exec, s[6:7]
	s_movk_i32 s4, 0xff
	v_and_b32_sdwa v6, v3, s4 dst_sel:DWORD dst_unused:UNUSED_PAD src0_sel:WORD_1 src1_sel:DWORD
	s_movk_i32 s4, 0x7f
	v_cmp_lt_i16_e32 vcc, s4, v6
	s_mov_b64 s[4:5], 0
                                        ; implicit-def: $sgpr10
	s_and_saveexec_b64 s[6:7], vcc
	s_xor_b64 s[6:7], exec, s[6:7]
	s_cbranch_execnz .LBB5_2101
; %bb.53:
	s_or_saveexec_b64 s[6:7], s[6:7]
	v_mov_b32_e32 v12, s10
	s_xor_b64 exec, exec, s[6:7]
	s_cbranch_execnz .LBB5_2104
.LBB5_54:
	s_or_b64 exec, exec, s[6:7]
	s_and_saveexec_b64 s[6:7], s[4:5]
	s_cbranch_execz .LBB5_56
.LBB5_55:
	v_bfe_u32 v6, v3, 16, 3
	v_ffbh_u32_e32 v14, v6
	v_min_u32_e32 v14, 32, v14
	v_lshrrev_b32_e32 v12, 19, v3
	v_subrev_u32_e32 v15, 28, v14
	v_and_b32_e32 v12, 15, v12
	v_lshlrev_b32_sdwa v15, v15, v3 dst_sel:DWORD dst_unused:UNUSED_PAD src0_sel:DWORD src1_sel:WORD_1
	v_bfe_u32 v13, v3, 19, 4
	v_sub_u32_e32 v14, 29, v14
	v_and_b32_e32 v15, 7, v15
	v_cmp_eq_u16_e32 vcc, 0, v12
	v_cndmask_b32_e32 v6, v6, v15, vcc
	v_cndmask_b32_e32 v12, v13, v14, vcc
	v_lshlrev_b32_e32 v13, 8, v3
	v_mov_b32_e32 v14, 0x3b800000
	v_lshlrev_b32_e32 v6, 20, v6
	v_and_b32_e32 v13, 0x80000000, v13
	v_lshl_add_u32 v12, v12, 23, v14
	v_or3_b32 v12, v13, v12, v6
.LBB5_56:
	s_or_b64 exec, exec, s[6:7]
	s_nop 0
	v_mfma_f32_16x16x4f32 a[0:3], v2, v12, a[0:3]
	s_movk_i32 s4, 0x7f
	v_cmp_gt_i16_sdwa s[6:7], v7, s4 src0_sel:BYTE_3 src1_sel:DWORD
	s_mov_b64 s[4:5], 0
                                        ; implicit-def: $sgpr10
	s_and_saveexec_b64 s[8:9], s[6:7]
	s_xor_b64 s[6:7], exec, s[8:9]
	s_cbranch_execnz .LBB5_2105
; %bb.57:
	s_or_saveexec_b64 s[6:7], s[6:7]
	v_mov_b32_e32 v2, s10
	s_xor_b64 exec, exec, s[6:7]
	s_cbranch_execnz .LBB5_2108
.LBB5_58:
	s_or_b64 exec, exec, s[6:7]
	s_and_saveexec_b64 s[6:7], s[4:5]
	s_cbranch_execz .LBB5_60
.LBB5_59:
	v_bfe_u32 v2, v7, 24, 3
	v_ffbh_u32_e32 v14, v2
	v_min_u32_e32 v14, 32, v14
	v_lshrrev_b32_e32 v12, 27, v7
	v_subrev_u32_e32 v15, 28, v14
	v_and_b32_e32 v6, 0x80000000, v7
	v_and_b32_e32 v12, 15, v12
	v_bfe_u32 v13, v7, 27, 4
	v_lshlrev_b32_sdwa v7, v15, v7 dst_sel:DWORD dst_unused:UNUSED_PAD src0_sel:DWORD src1_sel:BYTE_3
	v_sub_u32_e32 v14, 29, v14
	v_and_b32_e32 v7, 7, v7
	v_cmp_eq_u16_e32 vcc, 0, v12
	v_cndmask_b32_e32 v2, v2, v7, vcc
	v_cndmask_b32_e32 v7, v13, v14, vcc
	v_mov_b32_e32 v12, 0x3b800000
	v_lshlrev_b32_e32 v2, 20, v2
	v_lshl_add_u32 v7, v7, 23, v12
	v_or3_b32 v2, v6, v7, v2
.LBB5_60:
	s_or_b64 exec, exec, s[6:7]
	s_movk_i32 s4, 0x7f
	v_cmp_gt_i16_sdwa s[6:7], v3, s4 src0_sel:BYTE_3 src1_sel:DWORD
	s_mov_b64 s[4:5], 0
                                        ; implicit-def: $sgpr10
	s_and_saveexec_b64 s[8:9], s[6:7]
	s_xor_b64 s[6:7], exec, s[8:9]
	s_cbranch_execnz .LBB5_2109
; %bb.61:
	s_or_saveexec_b64 s[6:7], s[6:7]
	v_mov_b32_e32 v6, s10
	s_xor_b64 exec, exec, s[6:7]
	s_cbranch_execnz .LBB5_2112
.LBB5_62:
	s_or_b64 exec, exec, s[6:7]
	s_and_saveexec_b64 s[6:7], s[4:5]
	s_cbranch_execz .LBB5_64
.LBB5_63:
	v_bfe_u32 v6, v3, 24, 3
	v_ffbh_u32_e32 v14, v6
	v_min_u32_e32 v14, 32, v14
	v_lshrrev_b32_e32 v12, 27, v3
	v_subrev_u32_e32 v15, 28, v14
	v_and_b32_e32 v7, 0x80000000, v3
	v_and_b32_e32 v12, 15, v12
	v_bfe_u32 v13, v3, 27, 4
	v_lshlrev_b32_sdwa v3, v15, v3 dst_sel:DWORD dst_unused:UNUSED_PAD src0_sel:DWORD src1_sel:BYTE_3
	v_sub_u32_e32 v14, 29, v14
	v_and_b32_e32 v3, 7, v3
	v_cmp_eq_u16_e32 vcc, 0, v12
	v_cndmask_b32_e32 v3, v6, v3, vcc
	v_cndmask_b32_e32 v6, v13, v14, vcc
	v_mov_b32_e32 v12, 0x3b800000
	v_lshlrev_b32_e32 v3, 20, v3
	v_lshl_add_u32 v6, v6, 23, v12
	v_or3_b32 v6, v7, v6, v3
.LBB5_64:
	s_or_b64 exec, exec, s[6:7]
	s_nop 0
	v_mfma_f32_16x16x4f32 a[0:3], v2, v6, a[0:3]
	s_movk_i32 s4, 0x7f
	v_cmp_gt_i16_sdwa s[6:7], v8, s4 src0_sel:BYTE_0 src1_sel:DWORD
	s_mov_b64 s[4:5], 0
                                        ; implicit-def: $sgpr10
	s_and_saveexec_b64 s[8:9], s[6:7]
	s_xor_b64 s[6:7], exec, s[8:9]
	s_cbranch_execnz .LBB5_2113
; %bb.65:
	s_or_saveexec_b64 s[6:7], s[6:7]
	v_mov_b32_e32 v2, s10
	s_xor_b64 exec, exec, s[6:7]
	s_cbranch_execnz .LBB5_2116
.LBB5_66:
	s_or_b64 exec, exec, s[6:7]
	s_and_saveexec_b64 s[6:7], s[4:5]
	s_cbranch_execz .LBB5_68
.LBB5_67:
	v_and_b32_e32 v2, 7, v8
	v_ffbh_u32_e32 v6, v2
	v_min_u32_e32 v6, 32, v6
	v_lshrrev_b16_e32 v3, 3, v8
	v_subrev_u32_e32 v7, 28, v6
	v_and_b32_e32 v3, 15, v3
	v_lshlrev_b32_e32 v7, v7, v8
	v_sub_u32_e32 v6, 29, v6
	v_and_b32_e32 v7, 7, v7
	v_cmp_eq_u16_e32 vcc, 0, v3
	v_cndmask_b32_e32 v2, v2, v7, vcc
	v_cndmask_b32_e32 v3, v3, v6, vcc
	v_lshlrev_b32_e32 v6, 24, v8
	v_mov_b32_e32 v7, 0x3b800000
	v_lshlrev_b32_e32 v2, 20, v2
	v_and_b32_e32 v6, 0x80000000, v6
	v_lshl_add_u32 v3, v3, 23, v7
	v_or3_b32 v2, v6, v3, v2
.LBB5_68:
	s_or_b64 exec, exec, s[6:7]
	s_movk_i32 s4, 0x7f
	v_cmp_gt_i16_sdwa s[6:7], v4, s4 src0_sel:BYTE_0 src1_sel:DWORD
	s_mov_b64 s[4:5], 0
                                        ; implicit-def: $sgpr10
	s_and_saveexec_b64 s[8:9], s[6:7]
	s_xor_b64 s[6:7], exec, s[8:9]
	s_cbranch_execnz .LBB5_2117
; %bb.69:
	s_or_saveexec_b64 s[6:7], s[6:7]
	v_mov_b32_e32 v3, s10
	s_xor_b64 exec, exec, s[6:7]
	s_cbranch_execnz .LBB5_2120
.LBB5_70:
	s_or_b64 exec, exec, s[6:7]
	s_and_saveexec_b64 s[6:7], s[4:5]
	s_cbranch_execz .LBB5_72
.LBB5_71:
	v_and_b32_e32 v3, 7, v4
	v_ffbh_u32_e32 v7, v3
	v_min_u32_e32 v7, 32, v7
	v_lshrrev_b16_e32 v6, 3, v4
	v_subrev_u32_e32 v12, 28, v7
	v_and_b32_e32 v6, 15, v6
	v_lshlrev_b32_e32 v12, v12, v4
	v_sub_u32_e32 v7, 29, v7
	v_and_b32_e32 v12, 7, v12
	v_cmp_eq_u16_e32 vcc, 0, v6
	v_cndmask_b32_e32 v3, v3, v12, vcc
	v_cndmask_b32_e32 v6, v6, v7, vcc
	v_lshlrev_b32_e32 v7, 24, v4
	v_mov_b32_e32 v12, 0x3b800000
	v_lshlrev_b32_e32 v3, 20, v3
	v_and_b32_e32 v7, 0x80000000, v7
	v_lshl_add_u32 v6, v6, 23, v12
	v_or3_b32 v3, v7, v6, v3
.LBB5_72:
	s_or_b64 exec, exec, s[6:7]
	s_nop 0
	v_mfma_f32_16x16x4f32 a[0:3], v2, v3, a[0:3]
	v_lshrrev_b32_e32 v3, 8, v8
	s_movk_i32 s4, 0x7f
	v_cmp_gt_i16_sdwa s[6:7], v3, s4 src0_sel:BYTE_0 src1_sel:DWORD
	s_mov_b64 s[4:5], 0
                                        ; implicit-def: $sgpr10
	s_and_saveexec_b64 s[8:9], s[6:7]
	s_xor_b64 s[6:7], exec, s[8:9]
	s_cbranch_execnz .LBB5_2121
; %bb.73:
	s_or_saveexec_b64 s[6:7], s[6:7]
	v_mov_b32_e32 v2, s10
	s_xor_b64 exec, exec, s[6:7]
	s_cbranch_execnz .LBB5_2124
.LBB5_74:
	s_or_b64 exec, exec, s[6:7]
	s_and_saveexec_b64 s[6:7], s[4:5]
	s_cbranch_execz .LBB5_76
.LBB5_75:
	v_bfe_u32 v2, v8, 8, 3
	v_ffbh_u32_e32 v7, v2
	v_min_u32_e32 v7, 32, v7
	v_lshrrev_b16_e32 v6, 3, v3
	v_subrev_u32_e32 v12, 28, v7
	v_and_b32_e32 v6, 15, v6
	v_lshlrev_b32_e32 v3, v12, v3
	v_sub_u32_e32 v7, 29, v7
	v_and_b32_e32 v3, 7, v3
	v_cmp_eq_u16_e32 vcc, 0, v6
	v_cndmask_b32_e32 v2, v2, v3, vcc
	v_cndmask_b32_e32 v3, v6, v7, vcc
	v_lshlrev_b32_e32 v6, 16, v8
	v_mov_b32_e32 v7, 0x3b800000
	v_lshlrev_b32_e32 v2, 20, v2
	v_and_b32_e32 v6, 0x80000000, v6
	v_lshl_add_u32 v3, v3, 23, v7
	v_or3_b32 v2, v6, v3, v2
.LBB5_76:
	s_or_b64 exec, exec, s[6:7]
	v_lshrrev_b32_e32 v3, 8, v4
	s_movk_i32 s4, 0x7f
	v_cmp_gt_i16_sdwa s[6:7], v3, s4 src0_sel:BYTE_0 src1_sel:DWORD
	s_mov_b64 s[4:5], 0
                                        ; implicit-def: $sgpr10
	s_and_saveexec_b64 s[8:9], s[6:7]
	s_xor_b64 s[6:7], exec, s[8:9]
	s_cbranch_execnz .LBB5_2125
; %bb.77:
	s_or_saveexec_b64 s[6:7], s[6:7]
	v_mov_b32_e32 v6, s10
	s_xor_b64 exec, exec, s[6:7]
	s_cbranch_execnz .LBB5_2128
.LBB5_78:
	s_or_b64 exec, exec, s[6:7]
	s_and_saveexec_b64 s[6:7], s[4:5]
	s_cbranch_execz .LBB5_80
.LBB5_79:
	v_bfe_u32 v6, v4, 8, 3
	v_ffbh_u32_e32 v12, v6
	v_min_u32_e32 v12, 32, v12
	v_lshrrev_b16_e32 v7, 3, v3
	v_subrev_u32_e32 v13, 28, v12
	v_and_b32_e32 v7, 15, v7
	v_lshlrev_b32_e32 v3, v13, v3
	v_sub_u32_e32 v12, 29, v12
	v_and_b32_e32 v3, 7, v3
	v_cmp_eq_u16_e32 vcc, 0, v7
	v_cndmask_b32_e32 v3, v6, v3, vcc
	v_cndmask_b32_e32 v6, v7, v12, vcc
	v_lshlrev_b32_e32 v7, 16, v4
	v_mov_b32_e32 v12, 0x3b800000
	v_lshlrev_b32_e32 v3, 20, v3
	v_and_b32_e32 v7, 0x80000000, v7
	v_lshl_add_u32 v6, v6, 23, v12
	v_or3_b32 v6, v7, v6, v3
.LBB5_80:
	s_or_b64 exec, exec, s[6:7]
	s_nop 0
	v_mfma_f32_16x16x4f32 a[0:3], v2, v6, a[0:3]
	s_movk_i32 s4, 0xff
	v_and_b32_sdwa v3, v8, s4 dst_sel:DWORD dst_unused:UNUSED_PAD src0_sel:WORD_1 src1_sel:DWORD
	s_movk_i32 s4, 0x7f
	v_cmp_lt_i16_e32 vcc, s4, v3
	s_mov_b64 s[4:5], 0
                                        ; implicit-def: $sgpr10
	s_and_saveexec_b64 s[6:7], vcc
	s_xor_b64 s[6:7], exec, s[6:7]
	s_cbranch_execnz .LBB5_2129
; %bb.81:
	s_or_saveexec_b64 s[6:7], s[6:7]
	v_mov_b32_e32 v2, s10
	s_xor_b64 exec, exec, s[6:7]
	s_cbranch_execnz .LBB5_2132
.LBB5_82:
	s_or_b64 exec, exec, s[6:7]
	s_and_saveexec_b64 s[6:7], s[4:5]
	s_cbranch_execz .LBB5_84
.LBB5_83:
	v_bfe_u32 v2, v8, 16, 3
	v_ffbh_u32_e32 v7, v2
	v_min_u32_e32 v7, 32, v7
	v_lshrrev_b32_e32 v3, 19, v8
	v_subrev_u32_e32 v12, 28, v7
	v_and_b32_e32 v3, 15, v3
	v_lshlrev_b32_sdwa v12, v12, v8 dst_sel:DWORD dst_unused:UNUSED_PAD src0_sel:DWORD src1_sel:WORD_1
	v_bfe_u32 v6, v8, 19, 4
	v_sub_u32_e32 v7, 29, v7
	v_and_b32_e32 v12, 7, v12
	v_cmp_eq_u16_e32 vcc, 0, v3
	v_cndmask_b32_e32 v2, v2, v12, vcc
	v_cndmask_b32_e32 v3, v6, v7, vcc
	v_lshlrev_b32_e32 v6, 8, v8
	v_mov_b32_e32 v7, 0x3b800000
	v_lshlrev_b32_e32 v2, 20, v2
	v_and_b32_e32 v6, 0x80000000, v6
	v_lshl_add_u32 v3, v3, 23, v7
	v_or3_b32 v2, v6, v3, v2
.LBB5_84:
	s_or_b64 exec, exec, s[6:7]
	s_movk_i32 s4, 0xff
	v_and_b32_sdwa v3, v4, s4 dst_sel:DWORD dst_unused:UNUSED_PAD src0_sel:WORD_1 src1_sel:DWORD
	s_movk_i32 s4, 0x7f
	v_cmp_lt_i16_e32 vcc, s4, v3
	s_mov_b64 s[4:5], 0
                                        ; implicit-def: $sgpr10
	s_and_saveexec_b64 s[6:7], vcc
	s_xor_b64 s[6:7], exec, s[6:7]
	s_cbranch_execnz .LBB5_2133
; %bb.85:
	s_or_saveexec_b64 s[6:7], s[6:7]
	v_mov_b32_e32 v6, s10
	s_xor_b64 exec, exec, s[6:7]
	s_cbranch_execnz .LBB5_2136
.LBB5_86:
	s_or_b64 exec, exec, s[6:7]
	s_and_saveexec_b64 s[6:7], s[4:5]
	s_cbranch_execz .LBB5_88
.LBB5_87:
	v_bfe_u32 v3, v4, 16, 3
	v_ffbh_u32_e32 v12, v3
	v_min_u32_e32 v12, 32, v12
	v_lshrrev_b32_e32 v6, 19, v4
	v_subrev_u32_e32 v13, 28, v12
	v_and_b32_e32 v6, 15, v6
	v_lshlrev_b32_sdwa v13, v13, v4 dst_sel:DWORD dst_unused:UNUSED_PAD src0_sel:DWORD src1_sel:WORD_1
	v_bfe_u32 v7, v4, 19, 4
	v_sub_u32_e32 v12, 29, v12
	v_and_b32_e32 v13, 7, v13
	v_cmp_eq_u16_e32 vcc, 0, v6
	v_cndmask_b32_e32 v3, v3, v13, vcc
	v_cndmask_b32_e32 v6, v7, v12, vcc
	v_lshlrev_b32_e32 v7, 8, v4
	v_mov_b32_e32 v12, 0x3b800000
	v_lshlrev_b32_e32 v3, 20, v3
	v_and_b32_e32 v7, 0x80000000, v7
	v_lshl_add_u32 v6, v6, 23, v12
	v_or3_b32 v6, v7, v6, v3
.LBB5_88:
	s_or_b64 exec, exec, s[6:7]
	s_nop 0
	v_mfma_f32_16x16x4f32 a[0:3], v2, v6, a[0:3]
	s_movk_i32 s4, 0x7f
	v_cmp_gt_i16_sdwa s[6:7], v8, s4 src0_sel:BYTE_3 src1_sel:DWORD
	s_mov_b64 s[4:5], 0
                                        ; implicit-def: $sgpr10
	s_and_saveexec_b64 s[8:9], s[6:7]
	s_xor_b64 s[6:7], exec, s[8:9]
	s_cbranch_execnz .LBB5_2137
; %bb.89:
	s_or_saveexec_b64 s[6:7], s[6:7]
	v_mov_b32_e32 v2, s10
	s_xor_b64 exec, exec, s[6:7]
	s_cbranch_execnz .LBB5_2140
.LBB5_90:
	s_or_b64 exec, exec, s[6:7]
	s_and_saveexec_b64 s[6:7], s[4:5]
	s_cbranch_execz .LBB5_92
.LBB5_91:
	v_bfe_u32 v2, v8, 24, 3
	v_ffbh_u32_e32 v12, v2
	v_min_u32_e32 v12, 32, v12
	v_lshrrev_b32_e32 v6, 27, v8
	v_subrev_u32_e32 v13, 28, v12
	v_and_b32_e32 v3, 0x80000000, v8
	v_and_b32_e32 v6, 15, v6
	v_bfe_u32 v7, v8, 27, 4
	v_lshlrev_b32_sdwa v8, v13, v8 dst_sel:DWORD dst_unused:UNUSED_PAD src0_sel:DWORD src1_sel:BYTE_3
	v_sub_u32_e32 v12, 29, v12
	v_and_b32_e32 v8, 7, v8
	v_cmp_eq_u16_e32 vcc, 0, v6
	v_cndmask_b32_e32 v2, v2, v8, vcc
	v_cndmask_b32_e32 v6, v7, v12, vcc
	v_mov_b32_e32 v7, 0x3b800000
	v_lshlrev_b32_e32 v2, 20, v2
	v_lshl_add_u32 v6, v6, 23, v7
	v_or3_b32 v2, v3, v6, v2
.LBB5_92:
	s_or_b64 exec, exec, s[6:7]
	s_movk_i32 s4, 0x7f
	v_cmp_gt_i16_sdwa s[6:7], v4, s4 src0_sel:BYTE_3 src1_sel:DWORD
	s_mov_b64 s[4:5], 0
                                        ; implicit-def: $sgpr10
	s_and_saveexec_b64 s[8:9], s[6:7]
	s_xor_b64 s[6:7], exec, s[8:9]
	s_cbranch_execnz .LBB5_2141
; %bb.93:
	s_or_saveexec_b64 s[6:7], s[6:7]
	v_mov_b32_e32 v3, s10
	s_xor_b64 exec, exec, s[6:7]
	s_cbranch_execnz .LBB5_2144
.LBB5_94:
	s_or_b64 exec, exec, s[6:7]
	s_and_saveexec_b64 s[6:7], s[4:5]
	s_cbranch_execz .LBB5_96
.LBB5_95:
	v_bfe_u32 v3, v4, 24, 3
	v_ffbh_u32_e32 v12, v3
	v_min_u32_e32 v12, 32, v12
	v_lshrrev_b32_e32 v7, 27, v4
	v_subrev_u32_e32 v13, 28, v12
	v_and_b32_e32 v6, 0x80000000, v4
	v_and_b32_e32 v7, 15, v7
	v_bfe_u32 v8, v4, 27, 4
	v_lshlrev_b32_sdwa v4, v13, v4 dst_sel:DWORD dst_unused:UNUSED_PAD src0_sel:DWORD src1_sel:BYTE_3
	v_sub_u32_e32 v12, 29, v12
	v_and_b32_e32 v4, 7, v4
	v_cmp_eq_u16_e32 vcc, 0, v7
	v_cndmask_b32_e32 v3, v3, v4, vcc
	v_cndmask_b32_e32 v4, v8, v12, vcc
	v_mov_b32_e32 v7, 0x3b800000
	v_lshlrev_b32_e32 v3, 20, v3
	v_lshl_add_u32 v4, v4, 23, v7
	v_or3_b32 v3, v6, v4, v3
.LBB5_96:
	s_or_b64 exec, exec, s[6:7]
	s_nop 0
	v_mfma_f32_16x16x4f32 a[0:3], v2, v3, a[0:3]
	s_movk_i32 s4, 0x7f
	v_cmp_gt_i16_sdwa s[6:7], v9, s4 src0_sel:BYTE_0 src1_sel:DWORD
	s_mov_b64 s[4:5], 0
                                        ; implicit-def: $sgpr10
	s_and_saveexec_b64 s[8:9], s[6:7]
	s_xor_b64 s[6:7], exec, s[8:9]
	s_cbranch_execnz .LBB5_2145
; %bb.97:
	s_or_saveexec_b64 s[6:7], s[6:7]
	v_mov_b32_e32 v2, s10
	s_xor_b64 exec, exec, s[6:7]
	s_cbranch_execnz .LBB5_2148
.LBB5_98:
	s_or_b64 exec, exec, s[6:7]
	s_and_saveexec_b64 s[6:7], s[4:5]
	s_cbranch_execz .LBB5_100
.LBB5_99:
	v_mov_b32_e32 v2, 8
	v_and_b32_e32 v3, 7, v9
	v_lshrrev_b32_sdwa v2, v2, v9 dst_sel:BYTE_1 dst_unused:UNUSED_PAD src0_sel:DWORD src1_sel:DWORD
	v_ffbh_u32_e32 v4, v3
	v_or_b32_sdwa v2, v9, v2 dst_sel:DWORD dst_unused:UNUSED_PAD src0_sel:BYTE_0 src1_sel:DWORD
	v_min_u32_e32 v4, 32, v4
	v_lshrrev_b16_e32 v2, 3, v2
	v_subrev_u32_e32 v6, 28, v4
	v_and_b32_e32 v2, 15, v2
	v_lshlrev_b32_e32 v6, v6, v9
	v_sub_u32_e32 v4, 29, v4
	v_and_b32_e32 v6, 7, v6
	v_cmp_eq_u16_e32 vcc, 0, v2
	v_cndmask_b32_e32 v3, v3, v6, vcc
	v_cndmask_b32_e32 v2, v2, v4, vcc
	v_lshlrev_b32_e32 v4, 24, v9
	v_mov_b32_e32 v6, 0x3b800000
	v_lshlrev_b32_e32 v3, 20, v3
	v_and_b32_e32 v4, 0x80000000, v4
	v_lshl_add_u32 v2, v2, 23, v6
	v_or3_b32 v2, v4, v2, v3
.LBB5_100:
	s_or_b64 exec, exec, s[6:7]
	s_movk_i32 s4, 0x7f
	v_cmp_gt_i16_sdwa s[6:7], v5, s4 src0_sel:BYTE_0 src1_sel:DWORD
	s_mov_b64 s[4:5], 0
                                        ; implicit-def: $sgpr10
	s_and_saveexec_b64 s[8:9], s[6:7]
	s_xor_b64 s[6:7], exec, s[8:9]
	s_cbranch_execnz .LBB5_2149
; %bb.101:
	s_or_saveexec_b64 s[6:7], s[6:7]
	v_mov_b32_e32 v3, s10
	s_xor_b64 exec, exec, s[6:7]
	s_cbranch_execnz .LBB5_2152
.LBB5_102:
	s_or_b64 exec, exec, s[6:7]
	s_and_saveexec_b64 s[6:7], s[4:5]
	s_cbranch_execz .LBB5_104
.LBB5_103:
	v_mov_b32_e32 v3, 8
	v_and_b32_e32 v4, 7, v5
	v_lshrrev_b32_sdwa v3, v3, v5 dst_sel:BYTE_1 dst_unused:UNUSED_PAD src0_sel:DWORD src1_sel:DWORD
	v_ffbh_u32_e32 v6, v4
	v_or_b32_sdwa v3, v5, v3 dst_sel:DWORD dst_unused:UNUSED_PAD src0_sel:BYTE_0 src1_sel:DWORD
	v_min_u32_e32 v6, 32, v6
	v_lshrrev_b16_e32 v3, 3, v3
	v_subrev_u32_e32 v7, 28, v6
	v_and_b32_e32 v3, 15, v3
	v_lshlrev_b32_e32 v7, v7, v5
	v_sub_u32_e32 v6, 29, v6
	v_and_b32_e32 v7, 7, v7
	v_cmp_eq_u16_e32 vcc, 0, v3
	v_cndmask_b32_e32 v4, v4, v7, vcc
	v_cndmask_b32_e32 v3, v3, v6, vcc
	v_lshlrev_b32_e32 v6, 24, v5
	v_mov_b32_e32 v7, 0x3b800000
	v_lshlrev_b32_e32 v4, 20, v4
	v_and_b32_e32 v6, 0x80000000, v6
	v_lshl_add_u32 v3, v3, 23, v7
	v_or3_b32 v3, v6, v3, v4
.LBB5_104:
	s_or_b64 exec, exec, s[6:7]
	s_nop 0
	v_mfma_f32_16x16x4f32 a[0:3], v2, v3, a[0:3]
	v_lshrrev_b32_e32 v3, 8, v9
	s_movk_i32 s4, 0x7f
	v_cmp_gt_i16_sdwa s[6:7], v3, s4 src0_sel:BYTE_0 src1_sel:DWORD
	s_mov_b64 s[4:5], 0
                                        ; implicit-def: $sgpr10
	s_and_saveexec_b64 s[8:9], s[6:7]
	s_xor_b64 s[6:7], exec, s[8:9]
	s_cbranch_execnz .LBB5_2153
; %bb.105:
	s_or_saveexec_b64 s[6:7], s[6:7]
	v_mov_b32_e32 v2, s10
	s_xor_b64 exec, exec, s[6:7]
	s_cbranch_execnz .LBB5_2156
.LBB5_106:
	s_or_b64 exec, exec, s[6:7]
	s_and_saveexec_b64 s[6:7], s[4:5]
	s_cbranch_execz .LBB5_108
.LBB5_107:
	v_bfe_u32 v2, v9, 8, 3
	v_ffbh_u32_e32 v6, v2
	v_min_u32_e32 v6, 32, v6
	v_lshrrev_b16_e32 v4, 3, v3
	v_subrev_u32_e32 v7, 28, v6
	v_and_b32_e32 v4, 15, v4
	v_lshlrev_b32_e32 v3, v7, v3
	v_sub_u32_e32 v6, 29, v6
	v_and_b32_e32 v3, 7, v3
	v_cmp_eq_u16_e32 vcc, 0, v4
	v_cndmask_b32_e32 v2, v2, v3, vcc
	v_cndmask_b32_e32 v3, v4, v6, vcc
	v_lshlrev_b32_e32 v4, 16, v9
	v_mov_b32_e32 v6, 0x3b800000
	v_lshlrev_b32_e32 v2, 20, v2
	v_and_b32_e32 v4, 0x80000000, v4
	v_lshl_add_u32 v3, v3, 23, v6
	v_or3_b32 v2, v4, v3, v2
.LBB5_108:
	s_or_b64 exec, exec, s[6:7]
	v_lshrrev_b32_e32 v3, 8, v5
	s_movk_i32 s4, 0x7f
	v_cmp_gt_i16_sdwa s[6:7], v3, s4 src0_sel:BYTE_0 src1_sel:DWORD
	s_mov_b64 s[4:5], 0
                                        ; implicit-def: $sgpr10
	s_and_saveexec_b64 s[8:9], s[6:7]
	s_xor_b64 s[6:7], exec, s[8:9]
	s_cbranch_execnz .LBB5_2157
; %bb.109:
	s_or_saveexec_b64 s[6:7], s[6:7]
	v_mov_b32_e32 v4, s10
	s_xor_b64 exec, exec, s[6:7]
	s_cbranch_execnz .LBB5_2160
.LBB5_110:
	s_or_b64 exec, exec, s[6:7]
	s_and_saveexec_b64 s[6:7], s[4:5]
	s_cbranch_execz .LBB5_112
.LBB5_111:
	v_bfe_u32 v4, v5, 8, 3
	v_ffbh_u32_e32 v7, v4
	v_min_u32_e32 v7, 32, v7
	v_lshrrev_b16_e32 v6, 3, v3
	v_subrev_u32_e32 v8, 28, v7
	v_and_b32_e32 v6, 15, v6
	v_lshlrev_b32_e32 v3, v8, v3
	v_sub_u32_e32 v7, 29, v7
	v_and_b32_e32 v3, 7, v3
	v_cmp_eq_u16_e32 vcc, 0, v6
	v_cndmask_b32_e32 v3, v4, v3, vcc
	v_cndmask_b32_e32 v4, v6, v7, vcc
	v_lshlrev_b32_e32 v6, 16, v5
	v_mov_b32_e32 v7, 0x3b800000
	v_lshlrev_b32_e32 v3, 20, v3
	v_and_b32_e32 v6, 0x80000000, v6
	v_lshl_add_u32 v4, v4, 23, v7
	v_or3_b32 v4, v6, v4, v3
.LBB5_112:
	s_or_b64 exec, exec, s[6:7]
	s_nop 0
	v_mfma_f32_16x16x4f32 a[0:3], v2, v4, a[0:3]
	s_movk_i32 s4, 0xff
	v_and_b32_sdwa v3, v9, s4 dst_sel:DWORD dst_unused:UNUSED_PAD src0_sel:WORD_1 src1_sel:DWORD
	s_movk_i32 s4, 0x7f
	v_cmp_lt_i16_e32 vcc, s4, v3
	s_mov_b64 s[4:5], 0
                                        ; implicit-def: $sgpr10
	s_and_saveexec_b64 s[6:7], vcc
	s_xor_b64 s[6:7], exec, s[6:7]
	s_cbranch_execnz .LBB5_2161
; %bb.113:
	s_or_saveexec_b64 s[6:7], s[6:7]
	v_mov_b32_e32 v2, s10
	s_xor_b64 exec, exec, s[6:7]
	s_cbranch_execnz .LBB5_2164
.LBB5_114:
	s_or_b64 exec, exec, s[6:7]
	s_and_saveexec_b64 s[6:7], s[4:5]
	s_cbranch_execz .LBB5_116
.LBB5_115:
	v_bfe_u32 v2, v9, 16, 3
	v_ffbh_u32_e32 v6, v2
	v_min_u32_e32 v6, 32, v6
	v_lshrrev_b32_e32 v3, 19, v9
	v_subrev_u32_e32 v7, 28, v6
	v_and_b32_e32 v3, 15, v3
	v_lshlrev_b32_sdwa v7, v7, v9 dst_sel:DWORD dst_unused:UNUSED_PAD src0_sel:DWORD src1_sel:WORD_1
	v_bfe_u32 v4, v9, 19, 4
	v_sub_u32_e32 v6, 29, v6
	v_and_b32_e32 v7, 7, v7
	v_cmp_eq_u16_e32 vcc, 0, v3
	v_cndmask_b32_e32 v2, v2, v7, vcc
	v_cndmask_b32_e32 v3, v4, v6, vcc
	v_lshlrev_b32_e32 v4, 8, v9
	v_mov_b32_e32 v6, 0x3b800000
	v_lshlrev_b32_e32 v2, 20, v2
	v_and_b32_e32 v4, 0x80000000, v4
	v_lshl_add_u32 v3, v3, 23, v6
	v_or3_b32 v2, v4, v3, v2
.LBB5_116:
	s_or_b64 exec, exec, s[6:7]
	s_movk_i32 s4, 0xff
	v_and_b32_sdwa v3, v5, s4 dst_sel:DWORD dst_unused:UNUSED_PAD src0_sel:WORD_1 src1_sel:DWORD
	s_movk_i32 s4, 0x7f
	v_cmp_lt_i16_e32 vcc, s4, v3
	s_mov_b64 s[4:5], 0
                                        ; implicit-def: $sgpr10
	s_and_saveexec_b64 s[6:7], vcc
	s_xor_b64 s[6:7], exec, s[6:7]
	s_cbranch_execnz .LBB5_2165
; %bb.117:
	s_or_saveexec_b64 s[6:7], s[6:7]
	v_mov_b32_e32 v4, s10
	s_xor_b64 exec, exec, s[6:7]
	s_cbranch_execnz .LBB5_2168
.LBB5_118:
	s_or_b64 exec, exec, s[6:7]
	s_and_saveexec_b64 s[6:7], s[4:5]
	s_cbranch_execz .LBB5_120
.LBB5_119:
	v_bfe_u32 v3, v5, 16, 3
	v_ffbh_u32_e32 v7, v3
	v_min_u32_e32 v7, 32, v7
	v_lshrrev_b32_e32 v4, 19, v5
	v_subrev_u32_e32 v8, 28, v7
	v_and_b32_e32 v4, 15, v4
	v_lshlrev_b32_sdwa v8, v8, v5 dst_sel:DWORD dst_unused:UNUSED_PAD src0_sel:DWORD src1_sel:WORD_1
	v_bfe_u32 v6, v5, 19, 4
	v_sub_u32_e32 v7, 29, v7
	v_and_b32_e32 v8, 7, v8
	v_cmp_eq_u16_e32 vcc, 0, v4
	v_cndmask_b32_e32 v3, v3, v8, vcc
	v_cndmask_b32_e32 v4, v6, v7, vcc
	v_lshlrev_b32_e32 v6, 8, v5
	v_mov_b32_e32 v7, 0x3b800000
	v_lshlrev_b32_e32 v3, 20, v3
	v_and_b32_e32 v6, 0x80000000, v6
	v_lshl_add_u32 v4, v4, 23, v7
	v_or3_b32 v4, v6, v4, v3
.LBB5_120:
	s_or_b64 exec, exec, s[6:7]
	s_nop 0
	v_mfma_f32_16x16x4f32 a[0:3], v2, v4, a[0:3]
	s_movk_i32 s4, 0x7f
	v_cmp_gt_i16_sdwa s[6:7], v9, s4 src0_sel:BYTE_3 src1_sel:DWORD
	s_mov_b64 s[4:5], 0
                                        ; implicit-def: $sgpr10
	s_and_saveexec_b64 s[8:9], s[6:7]
	s_xor_b64 s[6:7], exec, s[8:9]
	s_cbranch_execnz .LBB5_2169
; %bb.121:
	s_or_saveexec_b64 s[6:7], s[6:7]
	v_mov_b32_e32 v2, s10
	s_xor_b64 exec, exec, s[6:7]
	s_cbranch_execnz .LBB5_2172
.LBB5_122:
	s_or_b64 exec, exec, s[6:7]
	s_and_saveexec_b64 s[6:7], s[4:5]
	s_cbranch_execz .LBB5_124
.LBB5_123:
	v_bfe_u32 v2, v9, 24, 3
	v_ffbh_u32_e32 v7, v2
	v_min_u32_e32 v7, 32, v7
	v_lshrrev_b32_e32 v4, 27, v9
	v_subrev_u32_e32 v8, 28, v7
	v_and_b32_e32 v4, 15, v4
	v_lshlrev_b32_sdwa v8, v8, v9 dst_sel:DWORD dst_unused:UNUSED_PAD src0_sel:DWORD src1_sel:BYTE_3
	v_bfe_u32 v6, v9, 27, 4
	v_sub_u32_e32 v7, 29, v7
	v_and_b32_e32 v8, 7, v8
	v_cmp_eq_u16_e32 vcc, 0, v4
	v_cndmask_b32_e32 v2, v2, v8, vcc
	v_cndmask_b32_e32 v4, v6, v7, vcc
	v_mov_b32_e32 v6, 0x3b800000
	v_and_b32_e32 v3, 0x80000000, v9
	v_lshlrev_b32_e32 v2, 20, v2
	v_lshl_add_u32 v4, v4, 23, v6
	v_or3_b32 v2, v3, v4, v2
.LBB5_124:
	s_or_b64 exec, exec, s[6:7]
	s_movk_i32 s4, 0x7f
	v_cmp_gt_i16_sdwa s[6:7], v5, s4 src0_sel:BYTE_3 src1_sel:DWORD
	s_mov_b64 s[4:5], 0
                                        ; implicit-def: $sgpr10
	s_and_saveexec_b64 s[8:9], s[6:7]
	s_xor_b64 s[6:7], exec, s[8:9]
	s_cbranch_execnz .LBB5_2173
; %bb.125:
	s_or_saveexec_b64 s[6:7], s[6:7]
	v_mov_b32_e32 v3, s10
	s_xor_b64 exec, exec, s[6:7]
	s_cbranch_execnz .LBB5_2176
.LBB5_126:
	s_or_b64 exec, exec, s[6:7]
	s_and_saveexec_b64 s[6:7], s[4:5]
	s_cbranch_execz .LBB5_128
.LBB5_127:
	v_bfe_u32 v3, v5, 24, 3
	v_ffbh_u32_e32 v8, v3
	v_min_u32_e32 v8, 32, v8
	v_lshrrev_b32_e32 v6, 27, v5
	v_subrev_u32_e32 v9, 28, v8
	v_and_b32_e32 v4, 0x80000000, v5
	v_and_b32_e32 v6, 15, v6
	v_bfe_u32 v7, v5, 27, 4
	v_lshlrev_b32_sdwa v5, v9, v5 dst_sel:DWORD dst_unused:UNUSED_PAD src0_sel:DWORD src1_sel:BYTE_3
	v_sub_u32_e32 v8, 29, v8
	v_and_b32_e32 v5, 7, v5
	v_cmp_eq_u16_e32 vcc, 0, v6
	v_cndmask_b32_e32 v3, v3, v5, vcc
	v_cndmask_b32_e32 v5, v7, v8, vcc
	v_mov_b32_e32 v6, 0x3b800000
	v_lshlrev_b32_e32 v3, 20, v3
	v_lshl_add_u32 v5, v5, 23, v6
	v_or3_b32 v3, v4, v5, v3
.LBB5_128:
	s_or_b64 exec, exec, s[6:7]
	s_nop 0
	v_mfma_f32_16x16x4f32 a[0:3], v2, v3, a[0:3]
	s_nop 7
	s_nop 2
	flat_store_dwordx4 v[10:11], a[0:3]
	; sched_barrier mask(0x00000000)
	s_setprio 1
	; sched_barrier mask(0x00000000)
	flat_load_dwordx4 v[12:15], v[0:1] offset:8
	flat_load_dwordx2 v[10:11], v[0:1] offset:32
	s_movk_i32 s4, 0x7f
                                        ; implicit-def: $sgpr10
	s_waitcnt vmcnt(0) lgkmcnt(0)
	flat_load_dwordx4 v[6:9], v[12:13]
	flat_load_dwordx4 v[2:5], v[14:15] offset:32
	s_waitcnt vmcnt(0) lgkmcnt(0)
	v_cmp_gt_i16_sdwa s[6:7], v6, s4 src0_sel:BYTE_0 src1_sel:DWORD
	s_mov_b64 s[4:5], 0
	s_and_saveexec_b64 s[8:9], s[6:7]
	s_xor_b64 s[6:7], exec, s[8:9]
	s_cbranch_execnz .LBB5_2177
; %bb.129:
	s_or_saveexec_b64 s[6:7], s[6:7]
	v_mov_b32_e32 v12, s10
	s_xor_b64 exec, exec, s[6:7]
	s_cbranch_execnz .LBB5_2180
.LBB5_130:
	s_or_b64 exec, exec, s[6:7]
	s_and_saveexec_b64 s[6:7], s[4:5]
	s_cbranch_execz .LBB5_132
.LBB5_131:
	v_and_b32_e32 v12, 7, v6
	v_ffbh_u32_e32 v14, v12
	v_min_u32_e32 v14, 32, v14
	v_lshrrev_b16_e32 v13, 3, v6
	v_subrev_u32_e32 v15, 28, v14
	v_and_b32_e32 v13, 15, v13
	v_lshlrev_b32_e32 v15, v15, v6
	v_sub_u32_e32 v14, 29, v14
	v_and_b32_e32 v15, 7, v15
	v_cmp_eq_u16_e32 vcc, 0, v13
	v_cndmask_b32_e32 v12, v12, v15, vcc
	v_cndmask_b32_e32 v13, v13, v14, vcc
	v_lshlrev_b32_e32 v14, 24, v6
	v_mov_b32_e32 v15, 0x3b800000
	v_lshlrev_b32_e32 v12, 20, v12
	v_and_b32_e32 v14, 0x80000000, v14
	v_lshl_add_u32 v13, v13, 23, v15
	v_or3_b32 v12, v14, v13, v12
.LBB5_132:
	s_or_b64 exec, exec, s[6:7]
	s_movk_i32 s4, 0x7f
	v_cmp_gt_i16_sdwa s[6:7], v2, s4 src0_sel:BYTE_0 src1_sel:DWORD
	s_mov_b64 s[4:5], 0
                                        ; implicit-def: $sgpr10
	s_and_saveexec_b64 s[8:9], s[6:7]
	s_xor_b64 s[6:7], exec, s[8:9]
	s_cbranch_execnz .LBB5_2181
; %bb.133:
	s_or_saveexec_b64 s[6:7], s[6:7]
	v_mov_b32_e32 v13, s10
	s_xor_b64 exec, exec, s[6:7]
	s_cbranch_execnz .LBB5_2184
.LBB5_134:
	s_or_b64 exec, exec, s[6:7]
	s_and_saveexec_b64 s[6:7], s[4:5]
	s_cbranch_execz .LBB5_136
.LBB5_135:
	v_and_b32_e32 v13, 7, v2
	v_ffbh_u32_e32 v15, v13
	v_min_u32_e32 v15, 32, v15
	v_lshrrev_b16_e32 v14, 3, v2
	v_subrev_u32_e32 v16, 28, v15
	v_and_b32_e32 v14, 15, v14
	v_lshlrev_b32_e32 v16, v16, v2
	v_sub_u32_e32 v15, 29, v15
	v_and_b32_e32 v16, 7, v16
	v_cmp_eq_u16_e32 vcc, 0, v14
	v_cndmask_b32_e32 v13, v13, v16, vcc
	v_cndmask_b32_e32 v14, v14, v15, vcc
	v_lshlrev_b32_e32 v15, 24, v2
	v_mov_b32_e32 v16, 0x3b800000
	v_lshlrev_b32_e32 v13, 20, v13
	v_and_b32_e32 v15, 0x80000000, v15
	v_lshl_add_u32 v14, v14, 23, v16
	v_or3_b32 v13, v15, v14, v13
.LBB5_136:
	s_or_b64 exec, exec, s[6:7]
	flat_load_dwordx4 a[0:3], v[10:11] offset:16
	s_movk_i32 s4, 0x7f
                                        ; implicit-def: $sgpr10
	s_waitcnt vmcnt(0) lgkmcnt(0)
	v_mfma_f32_16x16x4f32 a[0:3], v12, v13, a[0:3]
	v_lshrrev_b32_e32 v13, 8, v6
	v_cmp_gt_i16_sdwa s[6:7], v13, s4 src0_sel:BYTE_0 src1_sel:DWORD
	s_mov_b64 s[4:5], 0
	s_and_saveexec_b64 s[8:9], s[6:7]
	s_xor_b64 s[6:7], exec, s[8:9]
	s_cbranch_execnz .LBB5_2185
; %bb.137:
	s_or_saveexec_b64 s[6:7], s[6:7]
	v_mov_b32_e32 v12, s10
	s_xor_b64 exec, exec, s[6:7]
	s_cbranch_execnz .LBB5_2188
.LBB5_138:
	s_or_b64 exec, exec, s[6:7]
	s_and_saveexec_b64 s[6:7], s[4:5]
	s_cbranch_execz .LBB5_140
.LBB5_139:
	v_bfe_u32 v12, v6, 8, 3
	v_ffbh_u32_e32 v15, v12
	v_min_u32_e32 v15, 32, v15
	v_lshrrev_b16_e32 v14, 3, v13
	v_subrev_u32_e32 v16, 28, v15
	v_and_b32_e32 v14, 15, v14
	v_lshlrev_b32_e32 v13, v16, v13
	v_sub_u32_e32 v15, 29, v15
	v_and_b32_e32 v13, 7, v13
	v_cmp_eq_u16_e32 vcc, 0, v14
	v_cndmask_b32_e32 v12, v12, v13, vcc
	v_cndmask_b32_e32 v13, v14, v15, vcc
	v_lshlrev_b32_e32 v14, 16, v6
	v_mov_b32_e32 v15, 0x3b800000
	v_lshlrev_b32_e32 v12, 20, v12
	v_and_b32_e32 v14, 0x80000000, v14
	v_lshl_add_u32 v13, v13, 23, v15
	v_or3_b32 v12, v14, v13, v12
.LBB5_140:
	s_or_b64 exec, exec, s[6:7]
	v_lshrrev_b32_e32 v13, 8, v2
	s_movk_i32 s4, 0x7f
	v_cmp_gt_i16_sdwa s[6:7], v13, s4 src0_sel:BYTE_0 src1_sel:DWORD
	s_mov_b64 s[4:5], 0
                                        ; implicit-def: $sgpr10
	s_and_saveexec_b64 s[8:9], s[6:7]
	s_xor_b64 s[6:7], exec, s[8:9]
	s_cbranch_execnz .LBB5_2189
; %bb.141:
	s_or_saveexec_b64 s[6:7], s[6:7]
	v_mov_b32_e32 v14, s10
	s_xor_b64 exec, exec, s[6:7]
	s_cbranch_execnz .LBB5_2192
.LBB5_142:
	s_or_b64 exec, exec, s[6:7]
	s_and_saveexec_b64 s[6:7], s[4:5]
	s_cbranch_execz .LBB5_144
.LBB5_143:
	v_bfe_u32 v14, v2, 8, 3
	v_ffbh_u32_e32 v16, v14
	v_min_u32_e32 v16, 32, v16
	v_lshrrev_b16_e32 v15, 3, v13
	v_subrev_u32_e32 v17, 28, v16
	v_and_b32_e32 v15, 15, v15
	v_lshlrev_b32_e32 v13, v17, v13
	v_sub_u32_e32 v16, 29, v16
	v_and_b32_e32 v13, 7, v13
	v_cmp_eq_u16_e32 vcc, 0, v15
	v_cndmask_b32_e32 v13, v14, v13, vcc
	v_cndmask_b32_e32 v14, v15, v16, vcc
	v_lshlrev_b32_e32 v15, 16, v2
	v_mov_b32_e32 v16, 0x3b800000
	v_lshlrev_b32_e32 v13, 20, v13
	v_and_b32_e32 v15, 0x80000000, v15
	v_lshl_add_u32 v14, v14, 23, v16
	v_or3_b32 v14, v15, v14, v13
.LBB5_144:
	s_or_b64 exec, exec, s[6:7]
	s_nop 0
	v_mfma_f32_16x16x4f32 a[0:3], v12, v14, a[0:3]
	s_movk_i32 s4, 0xff
	v_and_b32_sdwa v13, v6, s4 dst_sel:DWORD dst_unused:UNUSED_PAD src0_sel:WORD_1 src1_sel:DWORD
	s_movk_i32 s4, 0x7f
	v_cmp_lt_i16_e32 vcc, s4, v13
	s_mov_b64 s[4:5], 0
                                        ; implicit-def: $sgpr10
	s_and_saveexec_b64 s[6:7], vcc
	s_xor_b64 s[6:7], exec, s[6:7]
	s_cbranch_execnz .LBB5_2193
; %bb.145:
	s_or_saveexec_b64 s[6:7], s[6:7]
	v_mov_b32_e32 v12, s10
	s_xor_b64 exec, exec, s[6:7]
	s_cbranch_execnz .LBB5_2196
.LBB5_146:
	s_or_b64 exec, exec, s[6:7]
	s_and_saveexec_b64 s[6:7], s[4:5]
	s_cbranch_execz .LBB5_148
.LBB5_147:
	v_bfe_u32 v12, v6, 16, 3
	v_ffbh_u32_e32 v15, v12
	v_min_u32_e32 v15, 32, v15
	v_lshrrev_b32_e32 v13, 19, v6
	v_subrev_u32_e32 v16, 28, v15
	v_and_b32_e32 v13, 15, v13
	v_lshlrev_b32_sdwa v16, v16, v6 dst_sel:DWORD dst_unused:UNUSED_PAD src0_sel:DWORD src1_sel:WORD_1
	v_bfe_u32 v14, v6, 19, 4
	v_sub_u32_e32 v15, 29, v15
	v_and_b32_e32 v16, 7, v16
	v_cmp_eq_u16_e32 vcc, 0, v13
	v_cndmask_b32_e32 v12, v12, v16, vcc
	v_cndmask_b32_e32 v13, v14, v15, vcc
	v_lshlrev_b32_e32 v14, 8, v6
	v_mov_b32_e32 v15, 0x3b800000
	v_lshlrev_b32_e32 v12, 20, v12
	v_and_b32_e32 v14, 0x80000000, v14
	v_lshl_add_u32 v13, v13, 23, v15
	v_or3_b32 v12, v14, v13, v12
.LBB5_148:
	s_or_b64 exec, exec, s[6:7]
	s_movk_i32 s4, 0xff
	v_and_b32_sdwa v13, v2, s4 dst_sel:DWORD dst_unused:UNUSED_PAD src0_sel:WORD_1 src1_sel:DWORD
	s_movk_i32 s4, 0x7f
	v_cmp_lt_i16_e32 vcc, s4, v13
	s_mov_b64 s[4:5], 0
                                        ; implicit-def: $sgpr10
	s_and_saveexec_b64 s[6:7], vcc
	s_xor_b64 s[6:7], exec, s[6:7]
	s_cbranch_execnz .LBB5_2197
; %bb.149:
	s_or_saveexec_b64 s[6:7], s[6:7]
	v_mov_b32_e32 v14, s10
	s_xor_b64 exec, exec, s[6:7]
	s_cbranch_execnz .LBB5_2200
.LBB5_150:
	s_or_b64 exec, exec, s[6:7]
	s_and_saveexec_b64 s[6:7], s[4:5]
	s_cbranch_execz .LBB5_152
.LBB5_151:
	v_bfe_u32 v13, v2, 16, 3
	v_ffbh_u32_e32 v16, v13
	v_min_u32_e32 v16, 32, v16
	v_lshrrev_b32_e32 v14, 19, v2
	v_subrev_u32_e32 v17, 28, v16
	v_and_b32_e32 v14, 15, v14
	v_lshlrev_b32_sdwa v17, v17, v2 dst_sel:DWORD dst_unused:UNUSED_PAD src0_sel:DWORD src1_sel:WORD_1
	v_bfe_u32 v15, v2, 19, 4
	v_sub_u32_e32 v16, 29, v16
	v_and_b32_e32 v17, 7, v17
	v_cmp_eq_u16_e32 vcc, 0, v14
	v_cndmask_b32_e32 v13, v13, v17, vcc
	v_cndmask_b32_e32 v14, v15, v16, vcc
	v_lshlrev_b32_e32 v15, 8, v2
	v_mov_b32_e32 v16, 0x3b800000
	v_lshlrev_b32_e32 v13, 20, v13
	v_and_b32_e32 v15, 0x80000000, v15
	v_lshl_add_u32 v14, v14, 23, v16
	v_or3_b32 v14, v15, v14, v13
.LBB5_152:
	s_or_b64 exec, exec, s[6:7]
	s_nop 0
	v_mfma_f32_16x16x4f32 a[0:3], v12, v14, a[0:3]
	s_movk_i32 s4, 0x7f
	v_cmp_gt_i16_sdwa s[6:7], v6, s4 src0_sel:BYTE_3 src1_sel:DWORD
	s_mov_b64 s[4:5], 0
                                        ; implicit-def: $sgpr10
	s_and_saveexec_b64 s[8:9], s[6:7]
	s_xor_b64 s[6:7], exec, s[8:9]
	s_cbranch_execnz .LBB5_2201
; %bb.153:
	s_or_saveexec_b64 s[6:7], s[6:7]
	v_mov_b32_e32 v12, s10
	s_xor_b64 exec, exec, s[6:7]
	s_cbranch_execnz .LBB5_2204
.LBB5_154:
	s_or_b64 exec, exec, s[6:7]
	s_and_saveexec_b64 s[6:7], s[4:5]
	s_cbranch_execz .LBB5_156
.LBB5_155:
	v_bfe_u32 v12, v6, 24, 3
	v_ffbh_u32_e32 v16, v12
	v_min_u32_e32 v16, 32, v16
	v_lshrrev_b32_e32 v14, 27, v6
	v_subrev_u32_e32 v17, 28, v16
	v_and_b32_e32 v13, 0x80000000, v6
	v_and_b32_e32 v14, 15, v14
	v_bfe_u32 v15, v6, 27, 4
	v_lshlrev_b32_sdwa v6, v17, v6 dst_sel:DWORD dst_unused:UNUSED_PAD src0_sel:DWORD src1_sel:BYTE_3
	v_sub_u32_e32 v16, 29, v16
	v_and_b32_e32 v6, 7, v6
	v_cmp_eq_u16_e32 vcc, 0, v14
	v_cndmask_b32_e32 v6, v12, v6, vcc
	v_cndmask_b32_e32 v12, v15, v16, vcc
	v_mov_b32_e32 v14, 0x3b800000
	v_lshlrev_b32_e32 v6, 20, v6
	v_lshl_add_u32 v12, v12, 23, v14
	v_or3_b32 v12, v13, v12, v6
.LBB5_156:
	s_or_b64 exec, exec, s[6:7]
	s_movk_i32 s4, 0x7f
	v_cmp_gt_i16_sdwa s[6:7], v2, s4 src0_sel:BYTE_3 src1_sel:DWORD
	s_mov_b64 s[4:5], 0
                                        ; implicit-def: $sgpr10
	s_and_saveexec_b64 s[8:9], s[6:7]
	s_xor_b64 s[6:7], exec, s[8:9]
	s_cbranch_execnz .LBB5_2205
; %bb.157:
	s_or_saveexec_b64 s[6:7], s[6:7]
	v_mov_b32_e32 v6, s10
	s_xor_b64 exec, exec, s[6:7]
	s_cbranch_execnz .LBB5_2208
.LBB5_158:
	s_or_b64 exec, exec, s[6:7]
	s_and_saveexec_b64 s[6:7], s[4:5]
	s_cbranch_execz .LBB5_160
.LBB5_159:
	v_bfe_u32 v6, v2, 24, 3
	v_ffbh_u32_e32 v16, v6
	v_min_u32_e32 v16, 32, v16
	v_lshrrev_b32_e32 v14, 27, v2
	v_subrev_u32_e32 v17, 28, v16
	v_and_b32_e32 v13, 0x80000000, v2
	v_and_b32_e32 v14, 15, v14
	v_bfe_u32 v15, v2, 27, 4
	v_lshlrev_b32_sdwa v2, v17, v2 dst_sel:DWORD dst_unused:UNUSED_PAD src0_sel:DWORD src1_sel:BYTE_3
	v_sub_u32_e32 v16, 29, v16
	v_and_b32_e32 v2, 7, v2
	v_cmp_eq_u16_e32 vcc, 0, v14
	v_cndmask_b32_e32 v2, v6, v2, vcc
	v_cndmask_b32_e32 v6, v15, v16, vcc
	v_mov_b32_e32 v14, 0x3b800000
	v_lshlrev_b32_e32 v2, 20, v2
	v_lshl_add_u32 v6, v6, 23, v14
	v_or3_b32 v6, v13, v6, v2
.LBB5_160:
	s_or_b64 exec, exec, s[6:7]
	s_nop 0
	v_mfma_f32_16x16x4f32 a[0:3], v12, v6, a[0:3]
	s_movk_i32 s4, 0x7f
	v_cmp_gt_i16_sdwa s[6:7], v7, s4 src0_sel:BYTE_0 src1_sel:DWORD
	s_mov_b64 s[4:5], 0
                                        ; implicit-def: $sgpr10
	s_and_saveexec_b64 s[8:9], s[6:7]
	s_xor_b64 s[6:7], exec, s[8:9]
	s_cbranch_execnz .LBB5_2209
; %bb.161:
	s_or_saveexec_b64 s[6:7], s[6:7]
	v_mov_b32_e32 v2, s10
	s_xor_b64 exec, exec, s[6:7]
	s_cbranch_execnz .LBB5_2212
.LBB5_162:
	s_or_b64 exec, exec, s[6:7]
	s_and_saveexec_b64 s[6:7], s[4:5]
	s_cbranch_execz .LBB5_164
.LBB5_163:
	v_and_b32_e32 v2, 7, v7
	v_ffbh_u32_e32 v12, v2
	v_min_u32_e32 v12, 32, v12
	v_lshrrev_b16_e32 v6, 3, v7
	v_subrev_u32_e32 v13, 28, v12
	v_and_b32_e32 v6, 15, v6
	v_lshlrev_b32_e32 v13, v13, v7
	v_sub_u32_e32 v12, 29, v12
	v_and_b32_e32 v13, 7, v13
	v_cmp_eq_u16_e32 vcc, 0, v6
	v_cndmask_b32_e32 v2, v2, v13, vcc
	v_cndmask_b32_e32 v6, v6, v12, vcc
	v_lshlrev_b32_e32 v12, 24, v7
	v_mov_b32_e32 v13, 0x3b800000
	v_lshlrev_b32_e32 v2, 20, v2
	v_and_b32_e32 v12, 0x80000000, v12
	v_lshl_add_u32 v6, v6, 23, v13
	v_or3_b32 v2, v12, v6, v2
.LBB5_164:
	s_or_b64 exec, exec, s[6:7]
	s_movk_i32 s4, 0x7f
	v_cmp_gt_i16_sdwa s[6:7], v3, s4 src0_sel:BYTE_0 src1_sel:DWORD
	s_mov_b64 s[4:5], 0
                                        ; implicit-def: $sgpr10
	s_and_saveexec_b64 s[8:9], s[6:7]
	s_xor_b64 s[6:7], exec, s[8:9]
	s_cbranch_execnz .LBB5_2213
; %bb.165:
	s_or_saveexec_b64 s[6:7], s[6:7]
	v_mov_b32_e32 v6, s10
	s_xor_b64 exec, exec, s[6:7]
	s_cbranch_execnz .LBB5_2216
.LBB5_166:
	s_or_b64 exec, exec, s[6:7]
	s_and_saveexec_b64 s[6:7], s[4:5]
	s_cbranch_execz .LBB5_168
.LBB5_167:
	v_and_b32_e32 v6, 7, v3
	v_ffbh_u32_e32 v13, v6
	v_min_u32_e32 v13, 32, v13
	v_lshrrev_b16_e32 v12, 3, v3
	v_subrev_u32_e32 v14, 28, v13
	v_and_b32_e32 v12, 15, v12
	v_lshlrev_b32_e32 v14, v14, v3
	v_sub_u32_e32 v13, 29, v13
	v_and_b32_e32 v14, 7, v14
	v_cmp_eq_u16_e32 vcc, 0, v12
	v_cndmask_b32_e32 v6, v6, v14, vcc
	v_cndmask_b32_e32 v12, v12, v13, vcc
	v_lshlrev_b32_e32 v13, 24, v3
	v_mov_b32_e32 v14, 0x3b800000
	v_lshlrev_b32_e32 v6, 20, v6
	v_and_b32_e32 v13, 0x80000000, v13
	v_lshl_add_u32 v12, v12, 23, v14
	v_or3_b32 v6, v13, v12, v6
.LBB5_168:
	s_or_b64 exec, exec, s[6:7]
	s_nop 0
	v_mfma_f32_16x16x4f32 a[0:3], v2, v6, a[0:3]
	v_lshrrev_b32_e32 v6, 8, v7
	s_movk_i32 s4, 0x7f
	v_cmp_gt_i16_sdwa s[6:7], v6, s4 src0_sel:BYTE_0 src1_sel:DWORD
	s_mov_b64 s[4:5], 0
                                        ; implicit-def: $sgpr10
	s_and_saveexec_b64 s[8:9], s[6:7]
	s_xor_b64 s[6:7], exec, s[8:9]
	s_cbranch_execnz .LBB5_2217
; %bb.169:
	s_or_saveexec_b64 s[6:7], s[6:7]
	v_mov_b32_e32 v2, s10
	s_xor_b64 exec, exec, s[6:7]
	s_cbranch_execnz .LBB5_2220
.LBB5_170:
	s_or_b64 exec, exec, s[6:7]
	s_and_saveexec_b64 s[6:7], s[4:5]
	s_cbranch_execz .LBB5_172
.LBB5_171:
	v_bfe_u32 v2, v7, 8, 3
	v_ffbh_u32_e32 v13, v2
	v_min_u32_e32 v13, 32, v13
	v_lshrrev_b16_e32 v12, 3, v6
	v_subrev_u32_e32 v14, 28, v13
	v_and_b32_e32 v12, 15, v12
	v_lshlrev_b32_e32 v6, v14, v6
	v_sub_u32_e32 v13, 29, v13
	v_and_b32_e32 v6, 7, v6
	v_cmp_eq_u16_e32 vcc, 0, v12
	v_cndmask_b32_e32 v2, v2, v6, vcc
	v_cndmask_b32_e32 v6, v12, v13, vcc
	v_lshlrev_b32_e32 v12, 16, v7
	v_mov_b32_e32 v13, 0x3b800000
	v_lshlrev_b32_e32 v2, 20, v2
	v_and_b32_e32 v12, 0x80000000, v12
	v_lshl_add_u32 v6, v6, 23, v13
	v_or3_b32 v2, v12, v6, v2
.LBB5_172:
	s_or_b64 exec, exec, s[6:7]
	v_lshrrev_b32_e32 v6, 8, v3
	s_movk_i32 s4, 0x7f
	v_cmp_gt_i16_sdwa s[6:7], v6, s4 src0_sel:BYTE_0 src1_sel:DWORD
	s_mov_b64 s[4:5], 0
                                        ; implicit-def: $sgpr10
	s_and_saveexec_b64 s[8:9], s[6:7]
	s_xor_b64 s[6:7], exec, s[8:9]
	s_cbranch_execnz .LBB5_2221
; %bb.173:
	s_or_saveexec_b64 s[6:7], s[6:7]
	v_mov_b32_e32 v12, s10
	s_xor_b64 exec, exec, s[6:7]
	s_cbranch_execnz .LBB5_2224
.LBB5_174:
	s_or_b64 exec, exec, s[6:7]
	s_and_saveexec_b64 s[6:7], s[4:5]
	s_cbranch_execz .LBB5_176
.LBB5_175:
	v_bfe_u32 v12, v3, 8, 3
	v_ffbh_u32_e32 v14, v12
	v_min_u32_e32 v14, 32, v14
	v_lshrrev_b16_e32 v13, 3, v6
	v_subrev_u32_e32 v15, 28, v14
	v_and_b32_e32 v13, 15, v13
	v_lshlrev_b32_e32 v6, v15, v6
	v_sub_u32_e32 v14, 29, v14
	v_and_b32_e32 v6, 7, v6
	v_cmp_eq_u16_e32 vcc, 0, v13
	v_cndmask_b32_e32 v6, v12, v6, vcc
	v_cndmask_b32_e32 v12, v13, v14, vcc
	v_lshlrev_b32_e32 v13, 16, v3
	v_mov_b32_e32 v14, 0x3b800000
	v_lshlrev_b32_e32 v6, 20, v6
	v_and_b32_e32 v13, 0x80000000, v13
	v_lshl_add_u32 v12, v12, 23, v14
	v_or3_b32 v12, v13, v12, v6
.LBB5_176:
	s_or_b64 exec, exec, s[6:7]
	s_nop 0
	v_mfma_f32_16x16x4f32 a[0:3], v2, v12, a[0:3]
	s_movk_i32 s4, 0xff
	v_and_b32_sdwa v6, v7, s4 dst_sel:DWORD dst_unused:UNUSED_PAD src0_sel:WORD_1 src1_sel:DWORD
	s_movk_i32 s4, 0x7f
	v_cmp_lt_i16_e32 vcc, s4, v6
	s_mov_b64 s[4:5], 0
                                        ; implicit-def: $sgpr10
	s_and_saveexec_b64 s[6:7], vcc
	s_xor_b64 s[6:7], exec, s[6:7]
	s_cbranch_execnz .LBB5_2225
; %bb.177:
	s_or_saveexec_b64 s[6:7], s[6:7]
	v_mov_b32_e32 v2, s10
	s_xor_b64 exec, exec, s[6:7]
	s_cbranch_execnz .LBB5_2228
.LBB5_178:
	s_or_b64 exec, exec, s[6:7]
	s_and_saveexec_b64 s[6:7], s[4:5]
	s_cbranch_execz .LBB5_180
.LBB5_179:
	v_bfe_u32 v2, v7, 16, 3
	v_ffbh_u32_e32 v13, v2
	v_min_u32_e32 v13, 32, v13
	v_lshrrev_b32_e32 v6, 19, v7
	v_subrev_u32_e32 v14, 28, v13
	v_and_b32_e32 v6, 15, v6
	v_lshlrev_b32_sdwa v14, v14, v7 dst_sel:DWORD dst_unused:UNUSED_PAD src0_sel:DWORD src1_sel:WORD_1
	v_bfe_u32 v12, v7, 19, 4
	v_sub_u32_e32 v13, 29, v13
	v_and_b32_e32 v14, 7, v14
	v_cmp_eq_u16_e32 vcc, 0, v6
	v_cndmask_b32_e32 v2, v2, v14, vcc
	v_cndmask_b32_e32 v6, v12, v13, vcc
	v_lshlrev_b32_e32 v12, 8, v7
	v_mov_b32_e32 v13, 0x3b800000
	v_lshlrev_b32_e32 v2, 20, v2
	v_and_b32_e32 v12, 0x80000000, v12
	v_lshl_add_u32 v6, v6, 23, v13
	v_or3_b32 v2, v12, v6, v2
.LBB5_180:
	s_or_b64 exec, exec, s[6:7]
	s_movk_i32 s4, 0xff
	v_and_b32_sdwa v6, v3, s4 dst_sel:DWORD dst_unused:UNUSED_PAD src0_sel:WORD_1 src1_sel:DWORD
	s_movk_i32 s4, 0x7f
	v_cmp_lt_i16_e32 vcc, s4, v6
	s_mov_b64 s[4:5], 0
                                        ; implicit-def: $sgpr10
	s_and_saveexec_b64 s[6:7], vcc
	s_xor_b64 s[6:7], exec, s[6:7]
	s_cbranch_execnz .LBB5_2229
; %bb.181:
	s_or_saveexec_b64 s[6:7], s[6:7]
	v_mov_b32_e32 v12, s10
	s_xor_b64 exec, exec, s[6:7]
	s_cbranch_execnz .LBB5_2232
.LBB5_182:
	s_or_b64 exec, exec, s[6:7]
	s_and_saveexec_b64 s[6:7], s[4:5]
	s_cbranch_execz .LBB5_184
.LBB5_183:
	v_bfe_u32 v6, v3, 16, 3
	v_ffbh_u32_e32 v14, v6
	v_min_u32_e32 v14, 32, v14
	v_lshrrev_b32_e32 v12, 19, v3
	v_subrev_u32_e32 v15, 28, v14
	v_and_b32_e32 v12, 15, v12
	v_lshlrev_b32_sdwa v15, v15, v3 dst_sel:DWORD dst_unused:UNUSED_PAD src0_sel:DWORD src1_sel:WORD_1
	v_bfe_u32 v13, v3, 19, 4
	v_sub_u32_e32 v14, 29, v14
	v_and_b32_e32 v15, 7, v15
	v_cmp_eq_u16_e32 vcc, 0, v12
	v_cndmask_b32_e32 v6, v6, v15, vcc
	v_cndmask_b32_e32 v12, v13, v14, vcc
	v_lshlrev_b32_e32 v13, 8, v3
	v_mov_b32_e32 v14, 0x3b800000
	v_lshlrev_b32_e32 v6, 20, v6
	v_and_b32_e32 v13, 0x80000000, v13
	v_lshl_add_u32 v12, v12, 23, v14
	v_or3_b32 v12, v13, v12, v6
.LBB5_184:
	s_or_b64 exec, exec, s[6:7]
	s_nop 0
	v_mfma_f32_16x16x4f32 a[0:3], v2, v12, a[0:3]
	s_movk_i32 s4, 0x7f
	v_cmp_gt_i16_sdwa s[6:7], v7, s4 src0_sel:BYTE_3 src1_sel:DWORD
	s_mov_b64 s[4:5], 0
                                        ; implicit-def: $sgpr10
	s_and_saveexec_b64 s[8:9], s[6:7]
	s_xor_b64 s[6:7], exec, s[8:9]
	s_cbranch_execnz .LBB5_2233
; %bb.185:
	s_or_saveexec_b64 s[6:7], s[6:7]
	v_mov_b32_e32 v2, s10
	s_xor_b64 exec, exec, s[6:7]
	s_cbranch_execnz .LBB5_2236
.LBB5_186:
	s_or_b64 exec, exec, s[6:7]
	s_and_saveexec_b64 s[6:7], s[4:5]
	s_cbranch_execz .LBB5_188
.LBB5_187:
	v_bfe_u32 v2, v7, 24, 3
	v_ffbh_u32_e32 v14, v2
	v_min_u32_e32 v14, 32, v14
	v_lshrrev_b32_e32 v12, 27, v7
	v_subrev_u32_e32 v15, 28, v14
	v_and_b32_e32 v6, 0x80000000, v7
	v_and_b32_e32 v12, 15, v12
	v_bfe_u32 v13, v7, 27, 4
	v_lshlrev_b32_sdwa v7, v15, v7 dst_sel:DWORD dst_unused:UNUSED_PAD src0_sel:DWORD src1_sel:BYTE_3
	v_sub_u32_e32 v14, 29, v14
	v_and_b32_e32 v7, 7, v7
	v_cmp_eq_u16_e32 vcc, 0, v12
	v_cndmask_b32_e32 v2, v2, v7, vcc
	v_cndmask_b32_e32 v7, v13, v14, vcc
	v_mov_b32_e32 v12, 0x3b800000
	v_lshlrev_b32_e32 v2, 20, v2
	v_lshl_add_u32 v7, v7, 23, v12
	v_or3_b32 v2, v6, v7, v2
.LBB5_188:
	s_or_b64 exec, exec, s[6:7]
	s_movk_i32 s4, 0x7f
	v_cmp_gt_i16_sdwa s[6:7], v3, s4 src0_sel:BYTE_3 src1_sel:DWORD
	s_mov_b64 s[4:5], 0
                                        ; implicit-def: $sgpr10
	s_and_saveexec_b64 s[8:9], s[6:7]
	s_xor_b64 s[6:7], exec, s[8:9]
	s_cbranch_execnz .LBB5_2237
; %bb.189:
	s_or_saveexec_b64 s[6:7], s[6:7]
	v_mov_b32_e32 v6, s10
	s_xor_b64 exec, exec, s[6:7]
	s_cbranch_execnz .LBB5_2240
.LBB5_190:
	s_or_b64 exec, exec, s[6:7]
	s_and_saveexec_b64 s[6:7], s[4:5]
	s_cbranch_execz .LBB5_192
.LBB5_191:
	v_bfe_u32 v6, v3, 24, 3
	v_ffbh_u32_e32 v14, v6
	v_min_u32_e32 v14, 32, v14
	v_lshrrev_b32_e32 v12, 27, v3
	v_subrev_u32_e32 v15, 28, v14
	v_and_b32_e32 v7, 0x80000000, v3
	v_and_b32_e32 v12, 15, v12
	v_bfe_u32 v13, v3, 27, 4
	v_lshlrev_b32_sdwa v3, v15, v3 dst_sel:DWORD dst_unused:UNUSED_PAD src0_sel:DWORD src1_sel:BYTE_3
	v_sub_u32_e32 v14, 29, v14
	v_and_b32_e32 v3, 7, v3
	v_cmp_eq_u16_e32 vcc, 0, v12
	v_cndmask_b32_e32 v3, v6, v3, vcc
	v_cndmask_b32_e32 v6, v13, v14, vcc
	v_mov_b32_e32 v12, 0x3b800000
	v_lshlrev_b32_e32 v3, 20, v3
	v_lshl_add_u32 v6, v6, 23, v12
	v_or3_b32 v6, v7, v6, v3
.LBB5_192:
	s_or_b64 exec, exec, s[6:7]
	s_nop 0
	v_mfma_f32_16x16x4f32 a[0:3], v2, v6, a[0:3]
	s_movk_i32 s4, 0x7f
	v_cmp_gt_i16_sdwa s[6:7], v8, s4 src0_sel:BYTE_0 src1_sel:DWORD
	s_mov_b64 s[4:5], 0
                                        ; implicit-def: $sgpr10
	s_and_saveexec_b64 s[8:9], s[6:7]
	s_xor_b64 s[6:7], exec, s[8:9]
	s_cbranch_execnz .LBB5_2241
; %bb.193:
	s_or_saveexec_b64 s[6:7], s[6:7]
	v_mov_b32_e32 v2, s10
	s_xor_b64 exec, exec, s[6:7]
	s_cbranch_execnz .LBB5_2244
.LBB5_194:
	s_or_b64 exec, exec, s[6:7]
	s_and_saveexec_b64 s[6:7], s[4:5]
	s_cbranch_execz .LBB5_196
.LBB5_195:
	v_and_b32_e32 v2, 7, v8
	v_ffbh_u32_e32 v6, v2
	v_min_u32_e32 v6, 32, v6
	v_lshrrev_b16_e32 v3, 3, v8
	v_subrev_u32_e32 v7, 28, v6
	v_and_b32_e32 v3, 15, v3
	v_lshlrev_b32_e32 v7, v7, v8
	v_sub_u32_e32 v6, 29, v6
	v_and_b32_e32 v7, 7, v7
	v_cmp_eq_u16_e32 vcc, 0, v3
	v_cndmask_b32_e32 v2, v2, v7, vcc
	v_cndmask_b32_e32 v3, v3, v6, vcc
	v_lshlrev_b32_e32 v6, 24, v8
	v_mov_b32_e32 v7, 0x3b800000
	v_lshlrev_b32_e32 v2, 20, v2
	v_and_b32_e32 v6, 0x80000000, v6
	v_lshl_add_u32 v3, v3, 23, v7
	v_or3_b32 v2, v6, v3, v2
.LBB5_196:
	s_or_b64 exec, exec, s[6:7]
	s_movk_i32 s4, 0x7f
	v_cmp_gt_i16_sdwa s[6:7], v4, s4 src0_sel:BYTE_0 src1_sel:DWORD
	s_mov_b64 s[4:5], 0
                                        ; implicit-def: $sgpr10
	s_and_saveexec_b64 s[8:9], s[6:7]
	s_xor_b64 s[6:7], exec, s[8:9]
	s_cbranch_execnz .LBB5_2245
; %bb.197:
	s_or_saveexec_b64 s[6:7], s[6:7]
	v_mov_b32_e32 v3, s10
	s_xor_b64 exec, exec, s[6:7]
	s_cbranch_execnz .LBB5_2248
.LBB5_198:
	s_or_b64 exec, exec, s[6:7]
	s_and_saveexec_b64 s[6:7], s[4:5]
	s_cbranch_execz .LBB5_200
.LBB5_199:
	v_and_b32_e32 v3, 7, v4
	v_ffbh_u32_e32 v7, v3
	v_min_u32_e32 v7, 32, v7
	v_lshrrev_b16_e32 v6, 3, v4
	v_subrev_u32_e32 v12, 28, v7
	v_and_b32_e32 v6, 15, v6
	v_lshlrev_b32_e32 v12, v12, v4
	v_sub_u32_e32 v7, 29, v7
	v_and_b32_e32 v12, 7, v12
	v_cmp_eq_u16_e32 vcc, 0, v6
	v_cndmask_b32_e32 v3, v3, v12, vcc
	v_cndmask_b32_e32 v6, v6, v7, vcc
	v_lshlrev_b32_e32 v7, 24, v4
	v_mov_b32_e32 v12, 0x3b800000
	v_lshlrev_b32_e32 v3, 20, v3
	v_and_b32_e32 v7, 0x80000000, v7
	v_lshl_add_u32 v6, v6, 23, v12
	v_or3_b32 v3, v7, v6, v3
.LBB5_200:
	s_or_b64 exec, exec, s[6:7]
	s_nop 0
	v_mfma_f32_16x16x4f32 a[0:3], v2, v3, a[0:3]
	v_lshrrev_b32_e32 v3, 8, v8
	s_movk_i32 s4, 0x7f
	v_cmp_gt_i16_sdwa s[6:7], v3, s4 src0_sel:BYTE_0 src1_sel:DWORD
	s_mov_b64 s[4:5], 0
                                        ; implicit-def: $sgpr10
	s_and_saveexec_b64 s[8:9], s[6:7]
	s_xor_b64 s[6:7], exec, s[8:9]
	s_cbranch_execnz .LBB5_2249
; %bb.201:
	s_or_saveexec_b64 s[6:7], s[6:7]
	v_mov_b32_e32 v2, s10
	s_xor_b64 exec, exec, s[6:7]
	s_cbranch_execnz .LBB5_2252
.LBB5_202:
	s_or_b64 exec, exec, s[6:7]
	s_and_saveexec_b64 s[6:7], s[4:5]
	s_cbranch_execz .LBB5_204
.LBB5_203:
	v_bfe_u32 v2, v8, 8, 3
	v_ffbh_u32_e32 v7, v2
	v_min_u32_e32 v7, 32, v7
	v_lshrrev_b16_e32 v6, 3, v3
	v_subrev_u32_e32 v12, 28, v7
	v_and_b32_e32 v6, 15, v6
	v_lshlrev_b32_e32 v3, v12, v3
	v_sub_u32_e32 v7, 29, v7
	v_and_b32_e32 v3, 7, v3
	v_cmp_eq_u16_e32 vcc, 0, v6
	v_cndmask_b32_e32 v2, v2, v3, vcc
	v_cndmask_b32_e32 v3, v6, v7, vcc
	v_lshlrev_b32_e32 v6, 16, v8
	v_mov_b32_e32 v7, 0x3b800000
	v_lshlrev_b32_e32 v2, 20, v2
	v_and_b32_e32 v6, 0x80000000, v6
	v_lshl_add_u32 v3, v3, 23, v7
	v_or3_b32 v2, v6, v3, v2
.LBB5_204:
	s_or_b64 exec, exec, s[6:7]
	v_lshrrev_b32_e32 v3, 8, v4
	s_movk_i32 s4, 0x7f
	v_cmp_gt_i16_sdwa s[6:7], v3, s4 src0_sel:BYTE_0 src1_sel:DWORD
	s_mov_b64 s[4:5], 0
                                        ; implicit-def: $sgpr10
	s_and_saveexec_b64 s[8:9], s[6:7]
	s_xor_b64 s[6:7], exec, s[8:9]
	s_cbranch_execnz .LBB5_2253
; %bb.205:
	s_or_saveexec_b64 s[6:7], s[6:7]
	v_mov_b32_e32 v6, s10
	s_xor_b64 exec, exec, s[6:7]
	s_cbranch_execnz .LBB5_2256
.LBB5_206:
	s_or_b64 exec, exec, s[6:7]
	s_and_saveexec_b64 s[6:7], s[4:5]
	s_cbranch_execz .LBB5_208
.LBB5_207:
	v_bfe_u32 v6, v4, 8, 3
	v_ffbh_u32_e32 v12, v6
	v_min_u32_e32 v12, 32, v12
	v_lshrrev_b16_e32 v7, 3, v3
	v_subrev_u32_e32 v13, 28, v12
	v_and_b32_e32 v7, 15, v7
	v_lshlrev_b32_e32 v3, v13, v3
	v_sub_u32_e32 v12, 29, v12
	v_and_b32_e32 v3, 7, v3
	v_cmp_eq_u16_e32 vcc, 0, v7
	v_cndmask_b32_e32 v3, v6, v3, vcc
	v_cndmask_b32_e32 v6, v7, v12, vcc
	v_lshlrev_b32_e32 v7, 16, v4
	v_mov_b32_e32 v12, 0x3b800000
	v_lshlrev_b32_e32 v3, 20, v3
	v_and_b32_e32 v7, 0x80000000, v7
	v_lshl_add_u32 v6, v6, 23, v12
	v_or3_b32 v6, v7, v6, v3
.LBB5_208:
	s_or_b64 exec, exec, s[6:7]
	s_nop 0
	v_mfma_f32_16x16x4f32 a[0:3], v2, v6, a[0:3]
	s_movk_i32 s4, 0xff
	v_and_b32_sdwa v3, v8, s4 dst_sel:DWORD dst_unused:UNUSED_PAD src0_sel:WORD_1 src1_sel:DWORD
	s_movk_i32 s4, 0x7f
	v_cmp_lt_i16_e32 vcc, s4, v3
	s_mov_b64 s[4:5], 0
                                        ; implicit-def: $sgpr10
	s_and_saveexec_b64 s[6:7], vcc
	s_xor_b64 s[6:7], exec, s[6:7]
	s_cbranch_execnz .LBB5_2257
; %bb.209:
	s_or_saveexec_b64 s[6:7], s[6:7]
	v_mov_b32_e32 v2, s10
	s_xor_b64 exec, exec, s[6:7]
	s_cbranch_execnz .LBB5_2260
.LBB5_210:
	s_or_b64 exec, exec, s[6:7]
	s_and_saveexec_b64 s[6:7], s[4:5]
	s_cbranch_execz .LBB5_212
.LBB5_211:
	v_bfe_u32 v2, v8, 16, 3
	v_ffbh_u32_e32 v7, v2
	v_min_u32_e32 v7, 32, v7
	v_lshrrev_b32_e32 v3, 19, v8
	v_subrev_u32_e32 v12, 28, v7
	v_and_b32_e32 v3, 15, v3
	v_lshlrev_b32_sdwa v12, v12, v8 dst_sel:DWORD dst_unused:UNUSED_PAD src0_sel:DWORD src1_sel:WORD_1
	v_bfe_u32 v6, v8, 19, 4
	v_sub_u32_e32 v7, 29, v7
	v_and_b32_e32 v12, 7, v12
	v_cmp_eq_u16_e32 vcc, 0, v3
	v_cndmask_b32_e32 v2, v2, v12, vcc
	v_cndmask_b32_e32 v3, v6, v7, vcc
	v_lshlrev_b32_e32 v6, 8, v8
	v_mov_b32_e32 v7, 0x3b800000
	v_lshlrev_b32_e32 v2, 20, v2
	v_and_b32_e32 v6, 0x80000000, v6
	v_lshl_add_u32 v3, v3, 23, v7
	v_or3_b32 v2, v6, v3, v2
.LBB5_212:
	s_or_b64 exec, exec, s[6:7]
	s_movk_i32 s4, 0xff
	v_and_b32_sdwa v3, v4, s4 dst_sel:DWORD dst_unused:UNUSED_PAD src0_sel:WORD_1 src1_sel:DWORD
	s_movk_i32 s4, 0x7f
	v_cmp_lt_i16_e32 vcc, s4, v3
	s_mov_b64 s[4:5], 0
                                        ; implicit-def: $sgpr10
	s_and_saveexec_b64 s[6:7], vcc
	s_xor_b64 s[6:7], exec, s[6:7]
	s_cbranch_execnz .LBB5_2261
; %bb.213:
	s_or_saveexec_b64 s[6:7], s[6:7]
	v_mov_b32_e32 v6, s10
	s_xor_b64 exec, exec, s[6:7]
	s_cbranch_execnz .LBB5_2264
.LBB5_214:
	s_or_b64 exec, exec, s[6:7]
	s_and_saveexec_b64 s[6:7], s[4:5]
	s_cbranch_execz .LBB5_216
.LBB5_215:
	v_bfe_u32 v3, v4, 16, 3
	v_ffbh_u32_e32 v12, v3
	v_min_u32_e32 v12, 32, v12
	v_lshrrev_b32_e32 v6, 19, v4
	v_subrev_u32_e32 v13, 28, v12
	v_and_b32_e32 v6, 15, v6
	v_lshlrev_b32_sdwa v13, v13, v4 dst_sel:DWORD dst_unused:UNUSED_PAD src0_sel:DWORD src1_sel:WORD_1
	v_bfe_u32 v7, v4, 19, 4
	v_sub_u32_e32 v12, 29, v12
	v_and_b32_e32 v13, 7, v13
	v_cmp_eq_u16_e32 vcc, 0, v6
	v_cndmask_b32_e32 v3, v3, v13, vcc
	v_cndmask_b32_e32 v6, v7, v12, vcc
	v_lshlrev_b32_e32 v7, 8, v4
	v_mov_b32_e32 v12, 0x3b800000
	v_lshlrev_b32_e32 v3, 20, v3
	v_and_b32_e32 v7, 0x80000000, v7
	v_lshl_add_u32 v6, v6, 23, v12
	v_or3_b32 v6, v7, v6, v3
.LBB5_216:
	s_or_b64 exec, exec, s[6:7]
	s_nop 0
	v_mfma_f32_16x16x4f32 a[0:3], v2, v6, a[0:3]
	s_movk_i32 s4, 0x7f
	v_cmp_gt_i16_sdwa s[6:7], v8, s4 src0_sel:BYTE_3 src1_sel:DWORD
	s_mov_b64 s[4:5], 0
                                        ; implicit-def: $sgpr10
	s_and_saveexec_b64 s[8:9], s[6:7]
	s_xor_b64 s[6:7], exec, s[8:9]
	s_cbranch_execnz .LBB5_2265
; %bb.217:
	s_or_saveexec_b64 s[6:7], s[6:7]
	v_mov_b32_e32 v2, s10
	s_xor_b64 exec, exec, s[6:7]
	s_cbranch_execnz .LBB5_2268
.LBB5_218:
	s_or_b64 exec, exec, s[6:7]
	s_and_saveexec_b64 s[6:7], s[4:5]
	s_cbranch_execz .LBB5_220
.LBB5_219:
	v_bfe_u32 v2, v8, 24, 3
	v_ffbh_u32_e32 v12, v2
	v_min_u32_e32 v12, 32, v12
	v_lshrrev_b32_e32 v6, 27, v8
	v_subrev_u32_e32 v13, 28, v12
	v_and_b32_e32 v3, 0x80000000, v8
	v_and_b32_e32 v6, 15, v6
	v_bfe_u32 v7, v8, 27, 4
	v_lshlrev_b32_sdwa v8, v13, v8 dst_sel:DWORD dst_unused:UNUSED_PAD src0_sel:DWORD src1_sel:BYTE_3
	v_sub_u32_e32 v12, 29, v12
	v_and_b32_e32 v8, 7, v8
	v_cmp_eq_u16_e32 vcc, 0, v6
	v_cndmask_b32_e32 v2, v2, v8, vcc
	v_cndmask_b32_e32 v6, v7, v12, vcc
	v_mov_b32_e32 v7, 0x3b800000
	v_lshlrev_b32_e32 v2, 20, v2
	v_lshl_add_u32 v6, v6, 23, v7
	v_or3_b32 v2, v3, v6, v2
.LBB5_220:
	s_or_b64 exec, exec, s[6:7]
	s_movk_i32 s4, 0x7f
	v_cmp_gt_i16_sdwa s[6:7], v4, s4 src0_sel:BYTE_3 src1_sel:DWORD
	s_mov_b64 s[4:5], 0
                                        ; implicit-def: $sgpr10
	s_and_saveexec_b64 s[8:9], s[6:7]
	s_xor_b64 s[6:7], exec, s[8:9]
	s_cbranch_execnz .LBB5_2269
; %bb.221:
	s_or_saveexec_b64 s[6:7], s[6:7]
	v_mov_b32_e32 v3, s10
	s_xor_b64 exec, exec, s[6:7]
	s_cbranch_execnz .LBB5_2272
.LBB5_222:
	s_or_b64 exec, exec, s[6:7]
	s_and_saveexec_b64 s[6:7], s[4:5]
	s_cbranch_execz .LBB5_224
.LBB5_223:
	v_bfe_u32 v3, v4, 24, 3
	v_ffbh_u32_e32 v12, v3
	v_min_u32_e32 v12, 32, v12
	v_lshrrev_b32_e32 v7, 27, v4
	v_subrev_u32_e32 v13, 28, v12
	v_and_b32_e32 v6, 0x80000000, v4
	v_and_b32_e32 v7, 15, v7
	v_bfe_u32 v8, v4, 27, 4
	v_lshlrev_b32_sdwa v4, v13, v4 dst_sel:DWORD dst_unused:UNUSED_PAD src0_sel:DWORD src1_sel:BYTE_3
	v_sub_u32_e32 v12, 29, v12
	v_and_b32_e32 v4, 7, v4
	v_cmp_eq_u16_e32 vcc, 0, v7
	v_cndmask_b32_e32 v3, v3, v4, vcc
	v_cndmask_b32_e32 v4, v8, v12, vcc
	v_mov_b32_e32 v7, 0x3b800000
	v_lshlrev_b32_e32 v3, 20, v3
	v_lshl_add_u32 v4, v4, 23, v7
	v_or3_b32 v3, v6, v4, v3
.LBB5_224:
	s_or_b64 exec, exec, s[6:7]
	s_nop 0
	v_mfma_f32_16x16x4f32 a[0:3], v2, v3, a[0:3]
	s_movk_i32 s4, 0x7f
	v_cmp_gt_i16_sdwa s[6:7], v9, s4 src0_sel:BYTE_0 src1_sel:DWORD
	s_mov_b64 s[4:5], 0
                                        ; implicit-def: $sgpr10
	s_and_saveexec_b64 s[8:9], s[6:7]
	s_xor_b64 s[6:7], exec, s[8:9]
	s_cbranch_execnz .LBB5_2273
; %bb.225:
	s_or_saveexec_b64 s[6:7], s[6:7]
	v_mov_b32_e32 v2, s10
	s_xor_b64 exec, exec, s[6:7]
	s_cbranch_execnz .LBB5_2276
.LBB5_226:
	s_or_b64 exec, exec, s[6:7]
	s_and_saveexec_b64 s[6:7], s[4:5]
	s_cbranch_execz .LBB5_228
.LBB5_227:
	v_mov_b32_e32 v2, 8
	v_and_b32_e32 v3, 7, v9
	v_lshrrev_b32_sdwa v2, v2, v9 dst_sel:BYTE_1 dst_unused:UNUSED_PAD src0_sel:DWORD src1_sel:DWORD
	v_ffbh_u32_e32 v4, v3
	v_or_b32_sdwa v2, v9, v2 dst_sel:DWORD dst_unused:UNUSED_PAD src0_sel:BYTE_0 src1_sel:DWORD
	v_min_u32_e32 v4, 32, v4
	v_lshrrev_b16_e32 v2, 3, v2
	v_subrev_u32_e32 v6, 28, v4
	v_and_b32_e32 v2, 15, v2
	v_lshlrev_b32_e32 v6, v6, v9
	v_sub_u32_e32 v4, 29, v4
	v_and_b32_e32 v6, 7, v6
	v_cmp_eq_u16_e32 vcc, 0, v2
	v_cndmask_b32_e32 v3, v3, v6, vcc
	v_cndmask_b32_e32 v2, v2, v4, vcc
	v_lshlrev_b32_e32 v4, 24, v9
	v_mov_b32_e32 v6, 0x3b800000
	v_lshlrev_b32_e32 v3, 20, v3
	v_and_b32_e32 v4, 0x80000000, v4
	v_lshl_add_u32 v2, v2, 23, v6
	v_or3_b32 v2, v4, v2, v3
.LBB5_228:
	s_or_b64 exec, exec, s[6:7]
	s_movk_i32 s4, 0x7f
	v_cmp_gt_i16_sdwa s[6:7], v5, s4 src0_sel:BYTE_0 src1_sel:DWORD
	s_mov_b64 s[4:5], 0
                                        ; implicit-def: $sgpr10
	s_and_saveexec_b64 s[8:9], s[6:7]
	s_xor_b64 s[6:7], exec, s[8:9]
	s_cbranch_execnz .LBB5_2277
; %bb.229:
	s_or_saveexec_b64 s[6:7], s[6:7]
	v_mov_b32_e32 v3, s10
	s_xor_b64 exec, exec, s[6:7]
	s_cbranch_execnz .LBB5_2280
.LBB5_230:
	s_or_b64 exec, exec, s[6:7]
	s_and_saveexec_b64 s[6:7], s[4:5]
	s_cbranch_execz .LBB5_232
.LBB5_231:
	v_mov_b32_e32 v3, 8
	v_and_b32_e32 v4, 7, v5
	v_lshrrev_b32_sdwa v3, v3, v5 dst_sel:BYTE_1 dst_unused:UNUSED_PAD src0_sel:DWORD src1_sel:DWORD
	v_ffbh_u32_e32 v6, v4
	v_or_b32_sdwa v3, v5, v3 dst_sel:DWORD dst_unused:UNUSED_PAD src0_sel:BYTE_0 src1_sel:DWORD
	v_min_u32_e32 v6, 32, v6
	v_lshrrev_b16_e32 v3, 3, v3
	v_subrev_u32_e32 v7, 28, v6
	v_and_b32_e32 v3, 15, v3
	v_lshlrev_b32_e32 v7, v7, v5
	v_sub_u32_e32 v6, 29, v6
	v_and_b32_e32 v7, 7, v7
	v_cmp_eq_u16_e32 vcc, 0, v3
	v_cndmask_b32_e32 v4, v4, v7, vcc
	v_cndmask_b32_e32 v3, v3, v6, vcc
	v_lshlrev_b32_e32 v6, 24, v5
	v_mov_b32_e32 v7, 0x3b800000
	v_lshlrev_b32_e32 v4, 20, v4
	v_and_b32_e32 v6, 0x80000000, v6
	v_lshl_add_u32 v3, v3, 23, v7
	v_or3_b32 v3, v6, v3, v4
.LBB5_232:
	s_or_b64 exec, exec, s[6:7]
	s_nop 0
	v_mfma_f32_16x16x4f32 a[0:3], v2, v3, a[0:3]
	v_lshrrev_b32_e32 v3, 8, v9
	s_movk_i32 s4, 0x7f
	v_cmp_gt_i16_sdwa s[6:7], v3, s4 src0_sel:BYTE_0 src1_sel:DWORD
	s_mov_b64 s[4:5], 0
                                        ; implicit-def: $sgpr10
	s_and_saveexec_b64 s[8:9], s[6:7]
	s_xor_b64 s[6:7], exec, s[8:9]
	s_cbranch_execnz .LBB5_2281
; %bb.233:
	s_or_saveexec_b64 s[6:7], s[6:7]
	v_mov_b32_e32 v2, s10
	s_xor_b64 exec, exec, s[6:7]
	s_cbranch_execnz .LBB5_2284
.LBB5_234:
	s_or_b64 exec, exec, s[6:7]
	s_and_saveexec_b64 s[6:7], s[4:5]
	s_cbranch_execz .LBB5_236
.LBB5_235:
	v_bfe_u32 v2, v9, 8, 3
	v_ffbh_u32_e32 v6, v2
	v_min_u32_e32 v6, 32, v6
	v_lshrrev_b16_e32 v4, 3, v3
	v_subrev_u32_e32 v7, 28, v6
	v_and_b32_e32 v4, 15, v4
	v_lshlrev_b32_e32 v3, v7, v3
	v_sub_u32_e32 v6, 29, v6
	v_and_b32_e32 v3, 7, v3
	v_cmp_eq_u16_e32 vcc, 0, v4
	v_cndmask_b32_e32 v2, v2, v3, vcc
	v_cndmask_b32_e32 v3, v4, v6, vcc
	v_lshlrev_b32_e32 v4, 16, v9
	v_mov_b32_e32 v6, 0x3b800000
	v_lshlrev_b32_e32 v2, 20, v2
	v_and_b32_e32 v4, 0x80000000, v4
	v_lshl_add_u32 v3, v3, 23, v6
	v_or3_b32 v2, v4, v3, v2
.LBB5_236:
	s_or_b64 exec, exec, s[6:7]
	v_lshrrev_b32_e32 v3, 8, v5
	s_movk_i32 s4, 0x7f
	v_cmp_gt_i16_sdwa s[6:7], v3, s4 src0_sel:BYTE_0 src1_sel:DWORD
	s_mov_b64 s[4:5], 0
                                        ; implicit-def: $sgpr10
	s_and_saveexec_b64 s[8:9], s[6:7]
	s_xor_b64 s[6:7], exec, s[8:9]
	s_cbranch_execnz .LBB5_2285
; %bb.237:
	s_or_saveexec_b64 s[6:7], s[6:7]
	v_mov_b32_e32 v4, s10
	s_xor_b64 exec, exec, s[6:7]
	s_cbranch_execnz .LBB5_2288
.LBB5_238:
	s_or_b64 exec, exec, s[6:7]
	s_and_saveexec_b64 s[6:7], s[4:5]
	s_cbranch_execz .LBB5_240
.LBB5_239:
	v_bfe_u32 v4, v5, 8, 3
	v_ffbh_u32_e32 v7, v4
	v_min_u32_e32 v7, 32, v7
	v_lshrrev_b16_e32 v6, 3, v3
	v_subrev_u32_e32 v8, 28, v7
	v_and_b32_e32 v6, 15, v6
	v_lshlrev_b32_e32 v3, v8, v3
	v_sub_u32_e32 v7, 29, v7
	v_and_b32_e32 v3, 7, v3
	v_cmp_eq_u16_e32 vcc, 0, v6
	v_cndmask_b32_e32 v3, v4, v3, vcc
	v_cndmask_b32_e32 v4, v6, v7, vcc
	v_lshlrev_b32_e32 v6, 16, v5
	v_mov_b32_e32 v7, 0x3b800000
	v_lshlrev_b32_e32 v3, 20, v3
	v_and_b32_e32 v6, 0x80000000, v6
	v_lshl_add_u32 v4, v4, 23, v7
	v_or3_b32 v4, v6, v4, v3
.LBB5_240:
	s_or_b64 exec, exec, s[6:7]
	s_nop 0
	v_mfma_f32_16x16x4f32 a[0:3], v2, v4, a[0:3]
	s_movk_i32 s4, 0xff
	v_and_b32_sdwa v3, v9, s4 dst_sel:DWORD dst_unused:UNUSED_PAD src0_sel:WORD_1 src1_sel:DWORD
	s_movk_i32 s4, 0x7f
	v_cmp_lt_i16_e32 vcc, s4, v3
	s_mov_b64 s[4:5], 0
                                        ; implicit-def: $sgpr10
	s_and_saveexec_b64 s[6:7], vcc
	s_xor_b64 s[6:7], exec, s[6:7]
	s_cbranch_execnz .LBB5_2289
; %bb.241:
	s_or_saveexec_b64 s[6:7], s[6:7]
	v_mov_b32_e32 v2, s10
	s_xor_b64 exec, exec, s[6:7]
	s_cbranch_execnz .LBB5_2292
.LBB5_242:
	s_or_b64 exec, exec, s[6:7]
	s_and_saveexec_b64 s[6:7], s[4:5]
	s_cbranch_execz .LBB5_244
.LBB5_243:
	v_bfe_u32 v2, v9, 16, 3
	v_ffbh_u32_e32 v6, v2
	v_min_u32_e32 v6, 32, v6
	v_lshrrev_b32_e32 v3, 19, v9
	v_subrev_u32_e32 v7, 28, v6
	v_and_b32_e32 v3, 15, v3
	v_lshlrev_b32_sdwa v7, v7, v9 dst_sel:DWORD dst_unused:UNUSED_PAD src0_sel:DWORD src1_sel:WORD_1
	v_bfe_u32 v4, v9, 19, 4
	v_sub_u32_e32 v6, 29, v6
	v_and_b32_e32 v7, 7, v7
	v_cmp_eq_u16_e32 vcc, 0, v3
	v_cndmask_b32_e32 v2, v2, v7, vcc
	v_cndmask_b32_e32 v3, v4, v6, vcc
	v_lshlrev_b32_e32 v4, 8, v9
	v_mov_b32_e32 v6, 0x3b800000
	v_lshlrev_b32_e32 v2, 20, v2
	v_and_b32_e32 v4, 0x80000000, v4
	v_lshl_add_u32 v3, v3, 23, v6
	v_or3_b32 v2, v4, v3, v2
.LBB5_244:
	s_or_b64 exec, exec, s[6:7]
	s_movk_i32 s4, 0xff
	v_and_b32_sdwa v3, v5, s4 dst_sel:DWORD dst_unused:UNUSED_PAD src0_sel:WORD_1 src1_sel:DWORD
	s_movk_i32 s4, 0x7f
	v_cmp_lt_i16_e32 vcc, s4, v3
	s_mov_b64 s[4:5], 0
                                        ; implicit-def: $sgpr10
	s_and_saveexec_b64 s[6:7], vcc
	s_xor_b64 s[6:7], exec, s[6:7]
	s_cbranch_execnz .LBB5_2293
; %bb.245:
	s_or_saveexec_b64 s[6:7], s[6:7]
	v_mov_b32_e32 v4, s10
	s_xor_b64 exec, exec, s[6:7]
	s_cbranch_execnz .LBB5_2296
.LBB5_246:
	s_or_b64 exec, exec, s[6:7]
	s_and_saveexec_b64 s[6:7], s[4:5]
	s_cbranch_execz .LBB5_248
.LBB5_247:
	v_bfe_u32 v3, v5, 16, 3
	v_ffbh_u32_e32 v7, v3
	v_min_u32_e32 v7, 32, v7
	v_lshrrev_b32_e32 v4, 19, v5
	v_subrev_u32_e32 v8, 28, v7
	v_and_b32_e32 v4, 15, v4
	v_lshlrev_b32_sdwa v8, v8, v5 dst_sel:DWORD dst_unused:UNUSED_PAD src0_sel:DWORD src1_sel:WORD_1
	v_bfe_u32 v6, v5, 19, 4
	v_sub_u32_e32 v7, 29, v7
	v_and_b32_e32 v8, 7, v8
	v_cmp_eq_u16_e32 vcc, 0, v4
	v_cndmask_b32_e32 v3, v3, v8, vcc
	v_cndmask_b32_e32 v4, v6, v7, vcc
	v_lshlrev_b32_e32 v6, 8, v5
	v_mov_b32_e32 v7, 0x3b800000
	v_lshlrev_b32_e32 v3, 20, v3
	v_and_b32_e32 v6, 0x80000000, v6
	v_lshl_add_u32 v4, v4, 23, v7
	v_or3_b32 v4, v6, v4, v3
.LBB5_248:
	s_or_b64 exec, exec, s[6:7]
	s_nop 0
	v_mfma_f32_16x16x4f32 a[0:3], v2, v4, a[0:3]
	s_movk_i32 s4, 0x7f
	v_cmp_gt_i16_sdwa s[6:7], v9, s4 src0_sel:BYTE_3 src1_sel:DWORD
	s_mov_b64 s[4:5], 0
                                        ; implicit-def: $sgpr10
	s_and_saveexec_b64 s[8:9], s[6:7]
	s_xor_b64 s[6:7], exec, s[8:9]
	s_cbranch_execnz .LBB5_2297
; %bb.249:
	s_or_saveexec_b64 s[6:7], s[6:7]
	v_mov_b32_e32 v2, s10
	s_xor_b64 exec, exec, s[6:7]
	s_cbranch_execnz .LBB5_2300
.LBB5_250:
	s_or_b64 exec, exec, s[6:7]
	s_and_saveexec_b64 s[6:7], s[4:5]
	s_cbranch_execz .LBB5_252
.LBB5_251:
	v_bfe_u32 v2, v9, 24, 3
	v_ffbh_u32_e32 v7, v2
	v_min_u32_e32 v7, 32, v7
	v_lshrrev_b32_e32 v4, 27, v9
	v_subrev_u32_e32 v8, 28, v7
	v_and_b32_e32 v4, 15, v4
	v_lshlrev_b32_sdwa v8, v8, v9 dst_sel:DWORD dst_unused:UNUSED_PAD src0_sel:DWORD src1_sel:BYTE_3
	v_bfe_u32 v6, v9, 27, 4
	v_sub_u32_e32 v7, 29, v7
	v_and_b32_e32 v8, 7, v8
	v_cmp_eq_u16_e32 vcc, 0, v4
	v_cndmask_b32_e32 v2, v2, v8, vcc
	v_cndmask_b32_e32 v4, v6, v7, vcc
	v_mov_b32_e32 v6, 0x3b800000
	v_and_b32_e32 v3, 0x80000000, v9
	v_lshlrev_b32_e32 v2, 20, v2
	v_lshl_add_u32 v4, v4, 23, v6
	v_or3_b32 v2, v3, v4, v2
.LBB5_252:
	s_or_b64 exec, exec, s[6:7]
	s_movk_i32 s4, 0x7f
	v_cmp_gt_i16_sdwa s[6:7], v5, s4 src0_sel:BYTE_3 src1_sel:DWORD
	s_mov_b64 s[4:5], 0
                                        ; implicit-def: $sgpr10
	s_and_saveexec_b64 s[8:9], s[6:7]
	s_xor_b64 s[6:7], exec, s[8:9]
	s_cbranch_execnz .LBB5_2301
; %bb.253:
	s_or_saveexec_b64 s[6:7], s[6:7]
	v_mov_b32_e32 v3, s10
	s_xor_b64 exec, exec, s[6:7]
	s_cbranch_execnz .LBB5_2304
.LBB5_254:
	s_or_b64 exec, exec, s[6:7]
	s_and_saveexec_b64 s[6:7], s[4:5]
	s_cbranch_execz .LBB5_256
.LBB5_255:
	v_bfe_u32 v3, v5, 24, 3
	v_ffbh_u32_e32 v8, v3
	v_min_u32_e32 v8, 32, v8
	v_lshrrev_b32_e32 v6, 27, v5
	v_subrev_u32_e32 v9, 28, v8
	v_and_b32_e32 v4, 0x80000000, v5
	v_and_b32_e32 v6, 15, v6
	v_bfe_u32 v7, v5, 27, 4
	v_lshlrev_b32_sdwa v5, v9, v5 dst_sel:DWORD dst_unused:UNUSED_PAD src0_sel:DWORD src1_sel:BYTE_3
	v_sub_u32_e32 v8, 29, v8
	v_and_b32_e32 v5, 7, v5
	v_cmp_eq_u16_e32 vcc, 0, v6
	v_cndmask_b32_e32 v3, v3, v5, vcc
	v_cndmask_b32_e32 v5, v7, v8, vcc
	v_mov_b32_e32 v6, 0x3b800000
	v_lshlrev_b32_e32 v3, 20, v3
	v_lshl_add_u32 v5, v5, 23, v6
	v_or3_b32 v3, v4, v5, v3
.LBB5_256:
	s_or_b64 exec, exec, s[6:7]
	s_nop 0
	v_mfma_f32_16x16x4f32 a[0:3], v2, v3, a[0:3]
	s_movk_i32 s4, 0x7f
                                        ; implicit-def: $sgpr10
	s_nop 7
	s_nop 1
	flat_store_dwordx4 v[10:11], a[0:3] offset:16
	flat_load_dwordx4 v[12:15], v[0:1] offset:8
	s_nop 0
	flat_load_dwordx2 v[10:11], v[0:1] offset:32
	s_waitcnt vmcnt(0) lgkmcnt(0)
	flat_load_dwordx4 v[6:9], v[12:13]
	flat_load_dwordx4 v[2:5], v[14:15] offset:64
	s_waitcnt vmcnt(0) lgkmcnt(0)
	v_cmp_gt_i16_sdwa s[6:7], v6, s4 src0_sel:BYTE_0 src1_sel:DWORD
	s_mov_b64 s[4:5], 0
	s_and_saveexec_b64 s[8:9], s[6:7]
	s_xor_b64 s[6:7], exec, s[8:9]
	s_cbranch_execnz .LBB5_2305
; %bb.257:
	s_or_saveexec_b64 s[6:7], s[6:7]
	v_mov_b32_e32 v12, s10
	s_xor_b64 exec, exec, s[6:7]
	s_cbranch_execnz .LBB5_2308
.LBB5_258:
	s_or_b64 exec, exec, s[6:7]
	s_and_saveexec_b64 s[6:7], s[4:5]
	s_cbranch_execz .LBB5_260
.LBB5_259:
	v_and_b32_e32 v12, 7, v6
	v_ffbh_u32_e32 v14, v12
	v_min_u32_e32 v14, 32, v14
	v_lshrrev_b16_e32 v13, 3, v6
	v_subrev_u32_e32 v15, 28, v14
	v_and_b32_e32 v13, 15, v13
	v_lshlrev_b32_e32 v15, v15, v6
	v_sub_u32_e32 v14, 29, v14
	v_and_b32_e32 v15, 7, v15
	v_cmp_eq_u16_e32 vcc, 0, v13
	v_cndmask_b32_e32 v12, v12, v15, vcc
	v_cndmask_b32_e32 v13, v13, v14, vcc
	v_lshlrev_b32_e32 v14, 24, v6
	v_mov_b32_e32 v15, 0x3b800000
	v_lshlrev_b32_e32 v12, 20, v12
	v_and_b32_e32 v14, 0x80000000, v14
	v_lshl_add_u32 v13, v13, 23, v15
	v_or3_b32 v12, v14, v13, v12
.LBB5_260:
	s_or_b64 exec, exec, s[6:7]
	s_movk_i32 s4, 0x7f
	v_cmp_gt_i16_sdwa s[6:7], v2, s4 src0_sel:BYTE_0 src1_sel:DWORD
	s_mov_b64 s[4:5], 0
                                        ; implicit-def: $sgpr10
	s_and_saveexec_b64 s[8:9], s[6:7]
	s_xor_b64 s[6:7], exec, s[8:9]
	s_cbranch_execnz .LBB5_2309
; %bb.261:
	s_or_saveexec_b64 s[6:7], s[6:7]
	v_mov_b32_e32 v13, s10
	s_xor_b64 exec, exec, s[6:7]
	s_cbranch_execnz .LBB5_2312
.LBB5_262:
	s_or_b64 exec, exec, s[6:7]
	s_and_saveexec_b64 s[6:7], s[4:5]
	s_cbranch_execz .LBB5_264
.LBB5_263:
	v_and_b32_e32 v13, 7, v2
	v_ffbh_u32_e32 v15, v13
	v_min_u32_e32 v15, 32, v15
	v_lshrrev_b16_e32 v14, 3, v2
	v_subrev_u32_e32 v16, 28, v15
	v_and_b32_e32 v14, 15, v14
	v_lshlrev_b32_e32 v16, v16, v2
	v_sub_u32_e32 v15, 29, v15
	v_and_b32_e32 v16, 7, v16
	v_cmp_eq_u16_e32 vcc, 0, v14
	v_cndmask_b32_e32 v13, v13, v16, vcc
	v_cndmask_b32_e32 v14, v14, v15, vcc
	v_lshlrev_b32_e32 v15, 24, v2
	v_mov_b32_e32 v16, 0x3b800000
	v_lshlrev_b32_e32 v13, 20, v13
	v_and_b32_e32 v15, 0x80000000, v15
	v_lshl_add_u32 v14, v14, 23, v16
	v_or3_b32 v13, v15, v14, v13
.LBB5_264:
	s_or_b64 exec, exec, s[6:7]
	flat_load_dwordx4 a[0:3], v[10:11] offset:32
	s_movk_i32 s4, 0x7f
                                        ; implicit-def: $sgpr10
	s_waitcnt vmcnt(0) lgkmcnt(0)
	v_mfma_f32_16x16x4f32 a[0:3], v12, v13, a[0:3]
	v_lshrrev_b32_e32 v13, 8, v6
	v_cmp_gt_i16_sdwa s[6:7], v13, s4 src0_sel:BYTE_0 src1_sel:DWORD
	s_mov_b64 s[4:5], 0
	s_and_saveexec_b64 s[8:9], s[6:7]
	s_xor_b64 s[6:7], exec, s[8:9]
	s_cbranch_execnz .LBB5_2313
; %bb.265:
	s_or_saveexec_b64 s[6:7], s[6:7]
	v_mov_b32_e32 v12, s10
	s_xor_b64 exec, exec, s[6:7]
	s_cbranch_execnz .LBB5_2316
.LBB5_266:
	s_or_b64 exec, exec, s[6:7]
	s_and_saveexec_b64 s[6:7], s[4:5]
	s_cbranch_execz .LBB5_268
.LBB5_267:
	v_bfe_u32 v12, v6, 8, 3
	v_ffbh_u32_e32 v15, v12
	v_min_u32_e32 v15, 32, v15
	v_lshrrev_b16_e32 v14, 3, v13
	v_subrev_u32_e32 v16, 28, v15
	v_and_b32_e32 v14, 15, v14
	v_lshlrev_b32_e32 v13, v16, v13
	v_sub_u32_e32 v15, 29, v15
	v_and_b32_e32 v13, 7, v13
	v_cmp_eq_u16_e32 vcc, 0, v14
	v_cndmask_b32_e32 v12, v12, v13, vcc
	v_cndmask_b32_e32 v13, v14, v15, vcc
	v_lshlrev_b32_e32 v14, 16, v6
	v_mov_b32_e32 v15, 0x3b800000
	v_lshlrev_b32_e32 v12, 20, v12
	v_and_b32_e32 v14, 0x80000000, v14
	v_lshl_add_u32 v13, v13, 23, v15
	v_or3_b32 v12, v14, v13, v12
.LBB5_268:
	s_or_b64 exec, exec, s[6:7]
	v_lshrrev_b32_e32 v13, 8, v2
	s_movk_i32 s4, 0x7f
	v_cmp_gt_i16_sdwa s[6:7], v13, s4 src0_sel:BYTE_0 src1_sel:DWORD
	s_mov_b64 s[4:5], 0
                                        ; implicit-def: $sgpr10
	s_and_saveexec_b64 s[8:9], s[6:7]
	s_xor_b64 s[6:7], exec, s[8:9]
	s_cbranch_execnz .LBB5_2317
; %bb.269:
	s_or_saveexec_b64 s[6:7], s[6:7]
	v_mov_b32_e32 v14, s10
	s_xor_b64 exec, exec, s[6:7]
	s_cbranch_execnz .LBB5_2320
.LBB5_270:
	s_or_b64 exec, exec, s[6:7]
	s_and_saveexec_b64 s[6:7], s[4:5]
	s_cbranch_execz .LBB5_272
.LBB5_271:
	v_bfe_u32 v14, v2, 8, 3
	v_ffbh_u32_e32 v16, v14
	v_min_u32_e32 v16, 32, v16
	v_lshrrev_b16_e32 v15, 3, v13
	v_subrev_u32_e32 v17, 28, v16
	v_and_b32_e32 v15, 15, v15
	v_lshlrev_b32_e32 v13, v17, v13
	v_sub_u32_e32 v16, 29, v16
	v_and_b32_e32 v13, 7, v13
	v_cmp_eq_u16_e32 vcc, 0, v15
	v_cndmask_b32_e32 v13, v14, v13, vcc
	v_cndmask_b32_e32 v14, v15, v16, vcc
	v_lshlrev_b32_e32 v15, 16, v2
	v_mov_b32_e32 v16, 0x3b800000
	v_lshlrev_b32_e32 v13, 20, v13
	v_and_b32_e32 v15, 0x80000000, v15
	v_lshl_add_u32 v14, v14, 23, v16
	v_or3_b32 v14, v15, v14, v13
.LBB5_272:
	s_or_b64 exec, exec, s[6:7]
	s_nop 0
	v_mfma_f32_16x16x4f32 a[0:3], v12, v14, a[0:3]
	s_movk_i32 s4, 0xff
	v_and_b32_sdwa v13, v6, s4 dst_sel:DWORD dst_unused:UNUSED_PAD src0_sel:WORD_1 src1_sel:DWORD
	s_movk_i32 s4, 0x7f
	v_cmp_lt_i16_e32 vcc, s4, v13
	s_mov_b64 s[4:5], 0
                                        ; implicit-def: $sgpr10
	s_and_saveexec_b64 s[6:7], vcc
	s_xor_b64 s[6:7], exec, s[6:7]
	s_cbranch_execnz .LBB5_2321
; %bb.273:
	s_or_saveexec_b64 s[6:7], s[6:7]
	v_mov_b32_e32 v12, s10
	s_xor_b64 exec, exec, s[6:7]
	s_cbranch_execnz .LBB5_2324
.LBB5_274:
	s_or_b64 exec, exec, s[6:7]
	s_and_saveexec_b64 s[6:7], s[4:5]
	s_cbranch_execz .LBB5_276
.LBB5_275:
	v_bfe_u32 v12, v6, 16, 3
	v_ffbh_u32_e32 v15, v12
	v_min_u32_e32 v15, 32, v15
	v_lshrrev_b32_e32 v13, 19, v6
	v_subrev_u32_e32 v16, 28, v15
	v_and_b32_e32 v13, 15, v13
	v_lshlrev_b32_sdwa v16, v16, v6 dst_sel:DWORD dst_unused:UNUSED_PAD src0_sel:DWORD src1_sel:WORD_1
	v_bfe_u32 v14, v6, 19, 4
	v_sub_u32_e32 v15, 29, v15
	v_and_b32_e32 v16, 7, v16
	v_cmp_eq_u16_e32 vcc, 0, v13
	v_cndmask_b32_e32 v12, v12, v16, vcc
	v_cndmask_b32_e32 v13, v14, v15, vcc
	v_lshlrev_b32_e32 v14, 8, v6
	v_mov_b32_e32 v15, 0x3b800000
	v_lshlrev_b32_e32 v12, 20, v12
	v_and_b32_e32 v14, 0x80000000, v14
	v_lshl_add_u32 v13, v13, 23, v15
	v_or3_b32 v12, v14, v13, v12
.LBB5_276:
	s_or_b64 exec, exec, s[6:7]
	s_movk_i32 s4, 0xff
	v_and_b32_sdwa v13, v2, s4 dst_sel:DWORD dst_unused:UNUSED_PAD src0_sel:WORD_1 src1_sel:DWORD
	s_movk_i32 s4, 0x7f
	v_cmp_lt_i16_e32 vcc, s4, v13
	s_mov_b64 s[4:5], 0
                                        ; implicit-def: $sgpr10
	s_and_saveexec_b64 s[6:7], vcc
	s_xor_b64 s[6:7], exec, s[6:7]
	s_cbranch_execnz .LBB5_2325
; %bb.277:
	s_or_saveexec_b64 s[6:7], s[6:7]
	v_mov_b32_e32 v14, s10
	s_xor_b64 exec, exec, s[6:7]
	s_cbranch_execnz .LBB5_2328
.LBB5_278:
	s_or_b64 exec, exec, s[6:7]
	s_and_saveexec_b64 s[6:7], s[4:5]
	s_cbranch_execz .LBB5_280
.LBB5_279:
	v_bfe_u32 v13, v2, 16, 3
	v_ffbh_u32_e32 v16, v13
	v_min_u32_e32 v16, 32, v16
	v_lshrrev_b32_e32 v14, 19, v2
	v_subrev_u32_e32 v17, 28, v16
	v_and_b32_e32 v14, 15, v14
	v_lshlrev_b32_sdwa v17, v17, v2 dst_sel:DWORD dst_unused:UNUSED_PAD src0_sel:DWORD src1_sel:WORD_1
	v_bfe_u32 v15, v2, 19, 4
	v_sub_u32_e32 v16, 29, v16
	v_and_b32_e32 v17, 7, v17
	v_cmp_eq_u16_e32 vcc, 0, v14
	v_cndmask_b32_e32 v13, v13, v17, vcc
	v_cndmask_b32_e32 v14, v15, v16, vcc
	v_lshlrev_b32_e32 v15, 8, v2
	v_mov_b32_e32 v16, 0x3b800000
	v_lshlrev_b32_e32 v13, 20, v13
	v_and_b32_e32 v15, 0x80000000, v15
	v_lshl_add_u32 v14, v14, 23, v16
	v_or3_b32 v14, v15, v14, v13
.LBB5_280:
	s_or_b64 exec, exec, s[6:7]
	s_nop 0
	v_mfma_f32_16x16x4f32 a[0:3], v12, v14, a[0:3]
	s_movk_i32 s4, 0x7f
	v_cmp_gt_i16_sdwa s[6:7], v6, s4 src0_sel:BYTE_3 src1_sel:DWORD
	s_mov_b64 s[4:5], 0
                                        ; implicit-def: $sgpr10
	s_and_saveexec_b64 s[8:9], s[6:7]
	s_xor_b64 s[6:7], exec, s[8:9]
	s_cbranch_execnz .LBB5_2329
; %bb.281:
	s_or_saveexec_b64 s[6:7], s[6:7]
	v_mov_b32_e32 v12, s10
	s_xor_b64 exec, exec, s[6:7]
	s_cbranch_execnz .LBB5_2332
.LBB5_282:
	s_or_b64 exec, exec, s[6:7]
	s_and_saveexec_b64 s[6:7], s[4:5]
	s_cbranch_execz .LBB5_284
.LBB5_283:
	v_bfe_u32 v12, v6, 24, 3
	v_ffbh_u32_e32 v16, v12
	v_min_u32_e32 v16, 32, v16
	v_lshrrev_b32_e32 v14, 27, v6
	v_subrev_u32_e32 v17, 28, v16
	v_and_b32_e32 v13, 0x80000000, v6
	v_and_b32_e32 v14, 15, v14
	v_bfe_u32 v15, v6, 27, 4
	v_lshlrev_b32_sdwa v6, v17, v6 dst_sel:DWORD dst_unused:UNUSED_PAD src0_sel:DWORD src1_sel:BYTE_3
	v_sub_u32_e32 v16, 29, v16
	v_and_b32_e32 v6, 7, v6
	v_cmp_eq_u16_e32 vcc, 0, v14
	v_cndmask_b32_e32 v6, v12, v6, vcc
	v_cndmask_b32_e32 v12, v15, v16, vcc
	v_mov_b32_e32 v14, 0x3b800000
	v_lshlrev_b32_e32 v6, 20, v6
	v_lshl_add_u32 v12, v12, 23, v14
	v_or3_b32 v12, v13, v12, v6
.LBB5_284:
	s_or_b64 exec, exec, s[6:7]
	s_movk_i32 s4, 0x7f
	v_cmp_gt_i16_sdwa s[6:7], v2, s4 src0_sel:BYTE_3 src1_sel:DWORD
	s_mov_b64 s[4:5], 0
                                        ; implicit-def: $sgpr10
	s_and_saveexec_b64 s[8:9], s[6:7]
	s_xor_b64 s[6:7], exec, s[8:9]
	s_cbranch_execnz .LBB5_2333
; %bb.285:
	s_or_saveexec_b64 s[6:7], s[6:7]
	v_mov_b32_e32 v6, s10
	s_xor_b64 exec, exec, s[6:7]
	s_cbranch_execnz .LBB5_2336
.LBB5_286:
	s_or_b64 exec, exec, s[6:7]
	s_and_saveexec_b64 s[6:7], s[4:5]
	s_cbranch_execz .LBB5_288
.LBB5_287:
	v_bfe_u32 v6, v2, 24, 3
	v_ffbh_u32_e32 v16, v6
	v_min_u32_e32 v16, 32, v16
	v_lshrrev_b32_e32 v14, 27, v2
	v_subrev_u32_e32 v17, 28, v16
	v_and_b32_e32 v13, 0x80000000, v2
	v_and_b32_e32 v14, 15, v14
	v_bfe_u32 v15, v2, 27, 4
	v_lshlrev_b32_sdwa v2, v17, v2 dst_sel:DWORD dst_unused:UNUSED_PAD src0_sel:DWORD src1_sel:BYTE_3
	v_sub_u32_e32 v16, 29, v16
	v_and_b32_e32 v2, 7, v2
	v_cmp_eq_u16_e32 vcc, 0, v14
	v_cndmask_b32_e32 v2, v6, v2, vcc
	v_cndmask_b32_e32 v6, v15, v16, vcc
	v_mov_b32_e32 v14, 0x3b800000
	v_lshlrev_b32_e32 v2, 20, v2
	v_lshl_add_u32 v6, v6, 23, v14
	v_or3_b32 v6, v13, v6, v2
.LBB5_288:
	s_or_b64 exec, exec, s[6:7]
	s_nop 0
	v_mfma_f32_16x16x4f32 a[0:3], v12, v6, a[0:3]
	s_movk_i32 s4, 0x7f
	v_cmp_gt_i16_sdwa s[6:7], v7, s4 src0_sel:BYTE_0 src1_sel:DWORD
	s_mov_b64 s[4:5], 0
                                        ; implicit-def: $sgpr10
	s_and_saveexec_b64 s[8:9], s[6:7]
	s_xor_b64 s[6:7], exec, s[8:9]
	s_cbranch_execnz .LBB5_2337
; %bb.289:
	s_or_saveexec_b64 s[6:7], s[6:7]
	v_mov_b32_e32 v2, s10
	s_xor_b64 exec, exec, s[6:7]
	s_cbranch_execnz .LBB5_2340
.LBB5_290:
	s_or_b64 exec, exec, s[6:7]
	s_and_saveexec_b64 s[6:7], s[4:5]
	s_cbranch_execz .LBB5_292
.LBB5_291:
	v_and_b32_e32 v2, 7, v7
	v_ffbh_u32_e32 v12, v2
	v_min_u32_e32 v12, 32, v12
	v_lshrrev_b16_e32 v6, 3, v7
	v_subrev_u32_e32 v13, 28, v12
	v_and_b32_e32 v6, 15, v6
	v_lshlrev_b32_e32 v13, v13, v7
	v_sub_u32_e32 v12, 29, v12
	v_and_b32_e32 v13, 7, v13
	v_cmp_eq_u16_e32 vcc, 0, v6
	v_cndmask_b32_e32 v2, v2, v13, vcc
	v_cndmask_b32_e32 v6, v6, v12, vcc
	v_lshlrev_b32_e32 v12, 24, v7
	v_mov_b32_e32 v13, 0x3b800000
	v_lshlrev_b32_e32 v2, 20, v2
	v_and_b32_e32 v12, 0x80000000, v12
	v_lshl_add_u32 v6, v6, 23, v13
	v_or3_b32 v2, v12, v6, v2
.LBB5_292:
	s_or_b64 exec, exec, s[6:7]
	s_movk_i32 s4, 0x7f
	v_cmp_gt_i16_sdwa s[6:7], v3, s4 src0_sel:BYTE_0 src1_sel:DWORD
	s_mov_b64 s[4:5], 0
                                        ; implicit-def: $sgpr10
	s_and_saveexec_b64 s[8:9], s[6:7]
	s_xor_b64 s[6:7], exec, s[8:9]
	s_cbranch_execnz .LBB5_2341
; %bb.293:
	s_or_saveexec_b64 s[6:7], s[6:7]
	v_mov_b32_e32 v6, s10
	s_xor_b64 exec, exec, s[6:7]
	s_cbranch_execnz .LBB5_2344
.LBB5_294:
	s_or_b64 exec, exec, s[6:7]
	s_and_saveexec_b64 s[6:7], s[4:5]
	s_cbranch_execz .LBB5_296
.LBB5_295:
	v_and_b32_e32 v6, 7, v3
	v_ffbh_u32_e32 v13, v6
	v_min_u32_e32 v13, 32, v13
	v_lshrrev_b16_e32 v12, 3, v3
	v_subrev_u32_e32 v14, 28, v13
	v_and_b32_e32 v12, 15, v12
	v_lshlrev_b32_e32 v14, v14, v3
	v_sub_u32_e32 v13, 29, v13
	v_and_b32_e32 v14, 7, v14
	v_cmp_eq_u16_e32 vcc, 0, v12
	v_cndmask_b32_e32 v6, v6, v14, vcc
	v_cndmask_b32_e32 v12, v12, v13, vcc
	v_lshlrev_b32_e32 v13, 24, v3
	v_mov_b32_e32 v14, 0x3b800000
	v_lshlrev_b32_e32 v6, 20, v6
	v_and_b32_e32 v13, 0x80000000, v13
	v_lshl_add_u32 v12, v12, 23, v14
	v_or3_b32 v6, v13, v12, v6
.LBB5_296:
	s_or_b64 exec, exec, s[6:7]
	s_nop 0
	v_mfma_f32_16x16x4f32 a[0:3], v2, v6, a[0:3]
	v_lshrrev_b32_e32 v6, 8, v7
	s_movk_i32 s4, 0x7f
	v_cmp_gt_i16_sdwa s[6:7], v6, s4 src0_sel:BYTE_0 src1_sel:DWORD
	s_mov_b64 s[4:5], 0
                                        ; implicit-def: $sgpr10
	s_and_saveexec_b64 s[8:9], s[6:7]
	s_xor_b64 s[6:7], exec, s[8:9]
	s_cbranch_execnz .LBB5_2345
; %bb.297:
	s_or_saveexec_b64 s[6:7], s[6:7]
	v_mov_b32_e32 v2, s10
	s_xor_b64 exec, exec, s[6:7]
	s_cbranch_execnz .LBB5_2348
.LBB5_298:
	s_or_b64 exec, exec, s[6:7]
	s_and_saveexec_b64 s[6:7], s[4:5]
	s_cbranch_execz .LBB5_300
.LBB5_299:
	v_bfe_u32 v2, v7, 8, 3
	v_ffbh_u32_e32 v13, v2
	v_min_u32_e32 v13, 32, v13
	v_lshrrev_b16_e32 v12, 3, v6
	v_subrev_u32_e32 v14, 28, v13
	v_and_b32_e32 v12, 15, v12
	v_lshlrev_b32_e32 v6, v14, v6
	v_sub_u32_e32 v13, 29, v13
	v_and_b32_e32 v6, 7, v6
	v_cmp_eq_u16_e32 vcc, 0, v12
	v_cndmask_b32_e32 v2, v2, v6, vcc
	v_cndmask_b32_e32 v6, v12, v13, vcc
	v_lshlrev_b32_e32 v12, 16, v7
	v_mov_b32_e32 v13, 0x3b800000
	v_lshlrev_b32_e32 v2, 20, v2
	v_and_b32_e32 v12, 0x80000000, v12
	v_lshl_add_u32 v6, v6, 23, v13
	v_or3_b32 v2, v12, v6, v2
.LBB5_300:
	s_or_b64 exec, exec, s[6:7]
	v_lshrrev_b32_e32 v6, 8, v3
	s_movk_i32 s4, 0x7f
	v_cmp_gt_i16_sdwa s[6:7], v6, s4 src0_sel:BYTE_0 src1_sel:DWORD
	s_mov_b64 s[4:5], 0
                                        ; implicit-def: $sgpr10
	s_and_saveexec_b64 s[8:9], s[6:7]
	s_xor_b64 s[6:7], exec, s[8:9]
	s_cbranch_execnz .LBB5_2349
; %bb.301:
	s_or_saveexec_b64 s[6:7], s[6:7]
	v_mov_b32_e32 v12, s10
	s_xor_b64 exec, exec, s[6:7]
	s_cbranch_execnz .LBB5_2352
.LBB5_302:
	s_or_b64 exec, exec, s[6:7]
	s_and_saveexec_b64 s[6:7], s[4:5]
	s_cbranch_execz .LBB5_304
.LBB5_303:
	v_bfe_u32 v12, v3, 8, 3
	v_ffbh_u32_e32 v14, v12
	v_min_u32_e32 v14, 32, v14
	v_lshrrev_b16_e32 v13, 3, v6
	v_subrev_u32_e32 v15, 28, v14
	v_and_b32_e32 v13, 15, v13
	v_lshlrev_b32_e32 v6, v15, v6
	v_sub_u32_e32 v14, 29, v14
	v_and_b32_e32 v6, 7, v6
	v_cmp_eq_u16_e32 vcc, 0, v13
	v_cndmask_b32_e32 v6, v12, v6, vcc
	v_cndmask_b32_e32 v12, v13, v14, vcc
	v_lshlrev_b32_e32 v13, 16, v3
	v_mov_b32_e32 v14, 0x3b800000
	v_lshlrev_b32_e32 v6, 20, v6
	v_and_b32_e32 v13, 0x80000000, v13
	v_lshl_add_u32 v12, v12, 23, v14
	v_or3_b32 v12, v13, v12, v6
.LBB5_304:
	s_or_b64 exec, exec, s[6:7]
	s_nop 0
	v_mfma_f32_16x16x4f32 a[0:3], v2, v12, a[0:3]
	s_movk_i32 s4, 0xff
	v_and_b32_sdwa v6, v7, s4 dst_sel:DWORD dst_unused:UNUSED_PAD src0_sel:WORD_1 src1_sel:DWORD
	s_movk_i32 s4, 0x7f
	v_cmp_lt_i16_e32 vcc, s4, v6
	s_mov_b64 s[4:5], 0
                                        ; implicit-def: $sgpr10
	s_and_saveexec_b64 s[6:7], vcc
	s_xor_b64 s[6:7], exec, s[6:7]
	s_cbranch_execnz .LBB5_2353
; %bb.305:
	s_or_saveexec_b64 s[6:7], s[6:7]
	v_mov_b32_e32 v2, s10
	s_xor_b64 exec, exec, s[6:7]
	s_cbranch_execnz .LBB5_2356
.LBB5_306:
	s_or_b64 exec, exec, s[6:7]
	s_and_saveexec_b64 s[6:7], s[4:5]
	s_cbranch_execz .LBB5_308
.LBB5_307:
	v_bfe_u32 v2, v7, 16, 3
	v_ffbh_u32_e32 v13, v2
	v_min_u32_e32 v13, 32, v13
	v_lshrrev_b32_e32 v6, 19, v7
	v_subrev_u32_e32 v14, 28, v13
	v_and_b32_e32 v6, 15, v6
	v_lshlrev_b32_sdwa v14, v14, v7 dst_sel:DWORD dst_unused:UNUSED_PAD src0_sel:DWORD src1_sel:WORD_1
	v_bfe_u32 v12, v7, 19, 4
	v_sub_u32_e32 v13, 29, v13
	v_and_b32_e32 v14, 7, v14
	v_cmp_eq_u16_e32 vcc, 0, v6
	v_cndmask_b32_e32 v2, v2, v14, vcc
	v_cndmask_b32_e32 v6, v12, v13, vcc
	v_lshlrev_b32_e32 v12, 8, v7
	v_mov_b32_e32 v13, 0x3b800000
	v_lshlrev_b32_e32 v2, 20, v2
	v_and_b32_e32 v12, 0x80000000, v12
	v_lshl_add_u32 v6, v6, 23, v13
	v_or3_b32 v2, v12, v6, v2
.LBB5_308:
	s_or_b64 exec, exec, s[6:7]
	s_movk_i32 s4, 0xff
	v_and_b32_sdwa v6, v3, s4 dst_sel:DWORD dst_unused:UNUSED_PAD src0_sel:WORD_1 src1_sel:DWORD
	s_movk_i32 s4, 0x7f
	v_cmp_lt_i16_e32 vcc, s4, v6
	s_mov_b64 s[4:5], 0
                                        ; implicit-def: $sgpr10
	s_and_saveexec_b64 s[6:7], vcc
	s_xor_b64 s[6:7], exec, s[6:7]
	s_cbranch_execnz .LBB5_2357
; %bb.309:
	s_or_saveexec_b64 s[6:7], s[6:7]
	v_mov_b32_e32 v12, s10
	s_xor_b64 exec, exec, s[6:7]
	s_cbranch_execnz .LBB5_2360
.LBB5_310:
	s_or_b64 exec, exec, s[6:7]
	s_and_saveexec_b64 s[6:7], s[4:5]
	s_cbranch_execz .LBB5_312
.LBB5_311:
	v_bfe_u32 v6, v3, 16, 3
	v_ffbh_u32_e32 v14, v6
	v_min_u32_e32 v14, 32, v14
	v_lshrrev_b32_e32 v12, 19, v3
	v_subrev_u32_e32 v15, 28, v14
	v_and_b32_e32 v12, 15, v12
	v_lshlrev_b32_sdwa v15, v15, v3 dst_sel:DWORD dst_unused:UNUSED_PAD src0_sel:DWORD src1_sel:WORD_1
	v_bfe_u32 v13, v3, 19, 4
	v_sub_u32_e32 v14, 29, v14
	v_and_b32_e32 v15, 7, v15
	v_cmp_eq_u16_e32 vcc, 0, v12
	v_cndmask_b32_e32 v6, v6, v15, vcc
	v_cndmask_b32_e32 v12, v13, v14, vcc
	v_lshlrev_b32_e32 v13, 8, v3
	v_mov_b32_e32 v14, 0x3b800000
	v_lshlrev_b32_e32 v6, 20, v6
	v_and_b32_e32 v13, 0x80000000, v13
	v_lshl_add_u32 v12, v12, 23, v14
	v_or3_b32 v12, v13, v12, v6
.LBB5_312:
	s_or_b64 exec, exec, s[6:7]
	s_nop 0
	v_mfma_f32_16x16x4f32 a[0:3], v2, v12, a[0:3]
	s_movk_i32 s4, 0x7f
	v_cmp_gt_i16_sdwa s[6:7], v7, s4 src0_sel:BYTE_3 src1_sel:DWORD
	s_mov_b64 s[4:5], 0
                                        ; implicit-def: $sgpr10
	s_and_saveexec_b64 s[8:9], s[6:7]
	s_xor_b64 s[6:7], exec, s[8:9]
	s_cbranch_execnz .LBB5_2361
; %bb.313:
	s_or_saveexec_b64 s[6:7], s[6:7]
	v_mov_b32_e32 v2, s10
	s_xor_b64 exec, exec, s[6:7]
	s_cbranch_execnz .LBB5_2364
.LBB5_314:
	s_or_b64 exec, exec, s[6:7]
	s_and_saveexec_b64 s[6:7], s[4:5]
	s_cbranch_execz .LBB5_316
.LBB5_315:
	v_bfe_u32 v2, v7, 24, 3
	v_ffbh_u32_e32 v14, v2
	v_min_u32_e32 v14, 32, v14
	v_lshrrev_b32_e32 v12, 27, v7
	v_subrev_u32_e32 v15, 28, v14
	v_and_b32_e32 v6, 0x80000000, v7
	v_and_b32_e32 v12, 15, v12
	v_bfe_u32 v13, v7, 27, 4
	v_lshlrev_b32_sdwa v7, v15, v7 dst_sel:DWORD dst_unused:UNUSED_PAD src0_sel:DWORD src1_sel:BYTE_3
	v_sub_u32_e32 v14, 29, v14
	v_and_b32_e32 v7, 7, v7
	v_cmp_eq_u16_e32 vcc, 0, v12
	v_cndmask_b32_e32 v2, v2, v7, vcc
	v_cndmask_b32_e32 v7, v13, v14, vcc
	v_mov_b32_e32 v12, 0x3b800000
	v_lshlrev_b32_e32 v2, 20, v2
	v_lshl_add_u32 v7, v7, 23, v12
	v_or3_b32 v2, v6, v7, v2
.LBB5_316:
	s_or_b64 exec, exec, s[6:7]
	s_movk_i32 s4, 0x7f
	v_cmp_gt_i16_sdwa s[6:7], v3, s4 src0_sel:BYTE_3 src1_sel:DWORD
	s_mov_b64 s[4:5], 0
                                        ; implicit-def: $sgpr10
	s_and_saveexec_b64 s[8:9], s[6:7]
	s_xor_b64 s[6:7], exec, s[8:9]
	s_cbranch_execnz .LBB5_2365
; %bb.317:
	s_or_saveexec_b64 s[6:7], s[6:7]
	v_mov_b32_e32 v6, s10
	s_xor_b64 exec, exec, s[6:7]
	s_cbranch_execnz .LBB5_2368
.LBB5_318:
	s_or_b64 exec, exec, s[6:7]
	s_and_saveexec_b64 s[6:7], s[4:5]
	s_cbranch_execz .LBB5_320
.LBB5_319:
	v_bfe_u32 v6, v3, 24, 3
	v_ffbh_u32_e32 v14, v6
	v_min_u32_e32 v14, 32, v14
	v_lshrrev_b32_e32 v12, 27, v3
	v_subrev_u32_e32 v15, 28, v14
	v_and_b32_e32 v7, 0x80000000, v3
	v_and_b32_e32 v12, 15, v12
	v_bfe_u32 v13, v3, 27, 4
	v_lshlrev_b32_sdwa v3, v15, v3 dst_sel:DWORD dst_unused:UNUSED_PAD src0_sel:DWORD src1_sel:BYTE_3
	v_sub_u32_e32 v14, 29, v14
	v_and_b32_e32 v3, 7, v3
	v_cmp_eq_u16_e32 vcc, 0, v12
	v_cndmask_b32_e32 v3, v6, v3, vcc
	v_cndmask_b32_e32 v6, v13, v14, vcc
	v_mov_b32_e32 v12, 0x3b800000
	v_lshlrev_b32_e32 v3, 20, v3
	v_lshl_add_u32 v6, v6, 23, v12
	v_or3_b32 v6, v7, v6, v3
.LBB5_320:
	s_or_b64 exec, exec, s[6:7]
	s_nop 0
	v_mfma_f32_16x16x4f32 a[0:3], v2, v6, a[0:3]
	s_movk_i32 s4, 0x7f
	v_cmp_gt_i16_sdwa s[6:7], v8, s4 src0_sel:BYTE_0 src1_sel:DWORD
	s_mov_b64 s[4:5], 0
                                        ; implicit-def: $sgpr10
	s_and_saveexec_b64 s[8:9], s[6:7]
	s_xor_b64 s[6:7], exec, s[8:9]
	s_cbranch_execnz .LBB5_2369
; %bb.321:
	s_or_saveexec_b64 s[6:7], s[6:7]
	v_mov_b32_e32 v2, s10
	s_xor_b64 exec, exec, s[6:7]
	s_cbranch_execnz .LBB5_2372
.LBB5_322:
	s_or_b64 exec, exec, s[6:7]
	s_and_saveexec_b64 s[6:7], s[4:5]
	s_cbranch_execz .LBB5_324
.LBB5_323:
	v_and_b32_e32 v2, 7, v8
	v_ffbh_u32_e32 v6, v2
	v_min_u32_e32 v6, 32, v6
	v_lshrrev_b16_e32 v3, 3, v8
	v_subrev_u32_e32 v7, 28, v6
	v_and_b32_e32 v3, 15, v3
	v_lshlrev_b32_e32 v7, v7, v8
	v_sub_u32_e32 v6, 29, v6
	v_and_b32_e32 v7, 7, v7
	v_cmp_eq_u16_e32 vcc, 0, v3
	v_cndmask_b32_e32 v2, v2, v7, vcc
	v_cndmask_b32_e32 v3, v3, v6, vcc
	v_lshlrev_b32_e32 v6, 24, v8
	v_mov_b32_e32 v7, 0x3b800000
	v_lshlrev_b32_e32 v2, 20, v2
	v_and_b32_e32 v6, 0x80000000, v6
	v_lshl_add_u32 v3, v3, 23, v7
	v_or3_b32 v2, v6, v3, v2
.LBB5_324:
	s_or_b64 exec, exec, s[6:7]
	s_movk_i32 s4, 0x7f
	v_cmp_gt_i16_sdwa s[6:7], v4, s4 src0_sel:BYTE_0 src1_sel:DWORD
	s_mov_b64 s[4:5], 0
                                        ; implicit-def: $sgpr10
	s_and_saveexec_b64 s[8:9], s[6:7]
	s_xor_b64 s[6:7], exec, s[8:9]
	s_cbranch_execnz .LBB5_2373
; %bb.325:
	s_or_saveexec_b64 s[6:7], s[6:7]
	v_mov_b32_e32 v3, s10
	s_xor_b64 exec, exec, s[6:7]
	s_cbranch_execnz .LBB5_2376
.LBB5_326:
	s_or_b64 exec, exec, s[6:7]
	s_and_saveexec_b64 s[6:7], s[4:5]
	s_cbranch_execz .LBB5_328
.LBB5_327:
	v_and_b32_e32 v3, 7, v4
	v_ffbh_u32_e32 v7, v3
	v_min_u32_e32 v7, 32, v7
	v_lshrrev_b16_e32 v6, 3, v4
	v_subrev_u32_e32 v12, 28, v7
	v_and_b32_e32 v6, 15, v6
	v_lshlrev_b32_e32 v12, v12, v4
	v_sub_u32_e32 v7, 29, v7
	v_and_b32_e32 v12, 7, v12
	v_cmp_eq_u16_e32 vcc, 0, v6
	v_cndmask_b32_e32 v3, v3, v12, vcc
	v_cndmask_b32_e32 v6, v6, v7, vcc
	v_lshlrev_b32_e32 v7, 24, v4
	v_mov_b32_e32 v12, 0x3b800000
	v_lshlrev_b32_e32 v3, 20, v3
	v_and_b32_e32 v7, 0x80000000, v7
	v_lshl_add_u32 v6, v6, 23, v12
	v_or3_b32 v3, v7, v6, v3
.LBB5_328:
	s_or_b64 exec, exec, s[6:7]
	s_nop 0
	v_mfma_f32_16x16x4f32 a[0:3], v2, v3, a[0:3]
	v_lshrrev_b32_e32 v3, 8, v8
	s_movk_i32 s4, 0x7f
	v_cmp_gt_i16_sdwa s[6:7], v3, s4 src0_sel:BYTE_0 src1_sel:DWORD
	s_mov_b64 s[4:5], 0
                                        ; implicit-def: $sgpr10
	s_and_saveexec_b64 s[8:9], s[6:7]
	s_xor_b64 s[6:7], exec, s[8:9]
	s_cbranch_execnz .LBB5_2377
; %bb.329:
	s_or_saveexec_b64 s[6:7], s[6:7]
	v_mov_b32_e32 v2, s10
	s_xor_b64 exec, exec, s[6:7]
	s_cbranch_execnz .LBB5_2380
.LBB5_330:
	s_or_b64 exec, exec, s[6:7]
	s_and_saveexec_b64 s[6:7], s[4:5]
	s_cbranch_execz .LBB5_332
.LBB5_331:
	v_bfe_u32 v2, v8, 8, 3
	v_ffbh_u32_e32 v7, v2
	v_min_u32_e32 v7, 32, v7
	v_lshrrev_b16_e32 v6, 3, v3
	v_subrev_u32_e32 v12, 28, v7
	v_and_b32_e32 v6, 15, v6
	v_lshlrev_b32_e32 v3, v12, v3
	v_sub_u32_e32 v7, 29, v7
	v_and_b32_e32 v3, 7, v3
	v_cmp_eq_u16_e32 vcc, 0, v6
	v_cndmask_b32_e32 v2, v2, v3, vcc
	v_cndmask_b32_e32 v3, v6, v7, vcc
	v_lshlrev_b32_e32 v6, 16, v8
	v_mov_b32_e32 v7, 0x3b800000
	v_lshlrev_b32_e32 v2, 20, v2
	v_and_b32_e32 v6, 0x80000000, v6
	v_lshl_add_u32 v3, v3, 23, v7
	v_or3_b32 v2, v6, v3, v2
.LBB5_332:
	s_or_b64 exec, exec, s[6:7]
	v_lshrrev_b32_e32 v3, 8, v4
	s_movk_i32 s4, 0x7f
	v_cmp_gt_i16_sdwa s[6:7], v3, s4 src0_sel:BYTE_0 src1_sel:DWORD
	s_mov_b64 s[4:5], 0
                                        ; implicit-def: $sgpr10
	s_and_saveexec_b64 s[8:9], s[6:7]
	s_xor_b64 s[6:7], exec, s[8:9]
	s_cbranch_execnz .LBB5_2381
; %bb.333:
	s_or_saveexec_b64 s[6:7], s[6:7]
	v_mov_b32_e32 v6, s10
	s_xor_b64 exec, exec, s[6:7]
	s_cbranch_execnz .LBB5_2384
.LBB5_334:
	s_or_b64 exec, exec, s[6:7]
	s_and_saveexec_b64 s[6:7], s[4:5]
	s_cbranch_execz .LBB5_336
.LBB5_335:
	v_bfe_u32 v6, v4, 8, 3
	v_ffbh_u32_e32 v12, v6
	v_min_u32_e32 v12, 32, v12
	v_lshrrev_b16_e32 v7, 3, v3
	v_subrev_u32_e32 v13, 28, v12
	v_and_b32_e32 v7, 15, v7
	v_lshlrev_b32_e32 v3, v13, v3
	v_sub_u32_e32 v12, 29, v12
	v_and_b32_e32 v3, 7, v3
	v_cmp_eq_u16_e32 vcc, 0, v7
	v_cndmask_b32_e32 v3, v6, v3, vcc
	v_cndmask_b32_e32 v6, v7, v12, vcc
	v_lshlrev_b32_e32 v7, 16, v4
	v_mov_b32_e32 v12, 0x3b800000
	v_lshlrev_b32_e32 v3, 20, v3
	v_and_b32_e32 v7, 0x80000000, v7
	v_lshl_add_u32 v6, v6, 23, v12
	v_or3_b32 v6, v7, v6, v3
.LBB5_336:
	s_or_b64 exec, exec, s[6:7]
	s_nop 0
	v_mfma_f32_16x16x4f32 a[0:3], v2, v6, a[0:3]
	s_movk_i32 s4, 0xff
	v_and_b32_sdwa v3, v8, s4 dst_sel:DWORD dst_unused:UNUSED_PAD src0_sel:WORD_1 src1_sel:DWORD
	s_movk_i32 s4, 0x7f
	v_cmp_lt_i16_e32 vcc, s4, v3
	s_mov_b64 s[4:5], 0
                                        ; implicit-def: $sgpr10
	s_and_saveexec_b64 s[6:7], vcc
	s_xor_b64 s[6:7], exec, s[6:7]
	s_cbranch_execnz .LBB5_2385
; %bb.337:
	s_or_saveexec_b64 s[6:7], s[6:7]
	v_mov_b32_e32 v2, s10
	s_xor_b64 exec, exec, s[6:7]
	s_cbranch_execnz .LBB5_2388
.LBB5_338:
	s_or_b64 exec, exec, s[6:7]
	s_and_saveexec_b64 s[6:7], s[4:5]
	s_cbranch_execz .LBB5_340
.LBB5_339:
	v_bfe_u32 v2, v8, 16, 3
	v_ffbh_u32_e32 v7, v2
	v_min_u32_e32 v7, 32, v7
	v_lshrrev_b32_e32 v3, 19, v8
	v_subrev_u32_e32 v12, 28, v7
	v_and_b32_e32 v3, 15, v3
	v_lshlrev_b32_sdwa v12, v12, v8 dst_sel:DWORD dst_unused:UNUSED_PAD src0_sel:DWORD src1_sel:WORD_1
	v_bfe_u32 v6, v8, 19, 4
	v_sub_u32_e32 v7, 29, v7
	v_and_b32_e32 v12, 7, v12
	v_cmp_eq_u16_e32 vcc, 0, v3
	v_cndmask_b32_e32 v2, v2, v12, vcc
	v_cndmask_b32_e32 v3, v6, v7, vcc
	v_lshlrev_b32_e32 v6, 8, v8
	v_mov_b32_e32 v7, 0x3b800000
	v_lshlrev_b32_e32 v2, 20, v2
	v_and_b32_e32 v6, 0x80000000, v6
	v_lshl_add_u32 v3, v3, 23, v7
	v_or3_b32 v2, v6, v3, v2
.LBB5_340:
	s_or_b64 exec, exec, s[6:7]
	s_movk_i32 s4, 0xff
	v_and_b32_sdwa v3, v4, s4 dst_sel:DWORD dst_unused:UNUSED_PAD src0_sel:WORD_1 src1_sel:DWORD
	s_movk_i32 s4, 0x7f
	v_cmp_lt_i16_e32 vcc, s4, v3
	s_mov_b64 s[4:5], 0
                                        ; implicit-def: $sgpr10
	s_and_saveexec_b64 s[6:7], vcc
	s_xor_b64 s[6:7], exec, s[6:7]
	s_cbranch_execnz .LBB5_2389
; %bb.341:
	s_or_saveexec_b64 s[6:7], s[6:7]
	v_mov_b32_e32 v6, s10
	s_xor_b64 exec, exec, s[6:7]
	s_cbranch_execnz .LBB5_2392
.LBB5_342:
	s_or_b64 exec, exec, s[6:7]
	s_and_saveexec_b64 s[6:7], s[4:5]
	s_cbranch_execz .LBB5_344
.LBB5_343:
	v_bfe_u32 v3, v4, 16, 3
	v_ffbh_u32_e32 v12, v3
	v_min_u32_e32 v12, 32, v12
	v_lshrrev_b32_e32 v6, 19, v4
	v_subrev_u32_e32 v13, 28, v12
	v_and_b32_e32 v6, 15, v6
	v_lshlrev_b32_sdwa v13, v13, v4 dst_sel:DWORD dst_unused:UNUSED_PAD src0_sel:DWORD src1_sel:WORD_1
	v_bfe_u32 v7, v4, 19, 4
	v_sub_u32_e32 v12, 29, v12
	v_and_b32_e32 v13, 7, v13
	v_cmp_eq_u16_e32 vcc, 0, v6
	v_cndmask_b32_e32 v3, v3, v13, vcc
	v_cndmask_b32_e32 v6, v7, v12, vcc
	v_lshlrev_b32_e32 v7, 8, v4
	v_mov_b32_e32 v12, 0x3b800000
	v_lshlrev_b32_e32 v3, 20, v3
	v_and_b32_e32 v7, 0x80000000, v7
	v_lshl_add_u32 v6, v6, 23, v12
	v_or3_b32 v6, v7, v6, v3
.LBB5_344:
	s_or_b64 exec, exec, s[6:7]
	s_nop 0
	v_mfma_f32_16x16x4f32 a[0:3], v2, v6, a[0:3]
	s_movk_i32 s4, 0x7f
	v_cmp_gt_i16_sdwa s[6:7], v8, s4 src0_sel:BYTE_3 src1_sel:DWORD
	s_mov_b64 s[4:5], 0
                                        ; implicit-def: $sgpr10
	s_and_saveexec_b64 s[8:9], s[6:7]
	s_xor_b64 s[6:7], exec, s[8:9]
	s_cbranch_execnz .LBB5_2393
; %bb.345:
	s_or_saveexec_b64 s[6:7], s[6:7]
	v_mov_b32_e32 v2, s10
	s_xor_b64 exec, exec, s[6:7]
	s_cbranch_execnz .LBB5_2396
.LBB5_346:
	s_or_b64 exec, exec, s[6:7]
	s_and_saveexec_b64 s[6:7], s[4:5]
	s_cbranch_execz .LBB5_348
.LBB5_347:
	v_bfe_u32 v2, v8, 24, 3
	v_ffbh_u32_e32 v12, v2
	v_min_u32_e32 v12, 32, v12
	v_lshrrev_b32_e32 v6, 27, v8
	v_subrev_u32_e32 v13, 28, v12
	v_and_b32_e32 v3, 0x80000000, v8
	v_and_b32_e32 v6, 15, v6
	v_bfe_u32 v7, v8, 27, 4
	v_lshlrev_b32_sdwa v8, v13, v8 dst_sel:DWORD dst_unused:UNUSED_PAD src0_sel:DWORD src1_sel:BYTE_3
	v_sub_u32_e32 v12, 29, v12
	v_and_b32_e32 v8, 7, v8
	v_cmp_eq_u16_e32 vcc, 0, v6
	v_cndmask_b32_e32 v2, v2, v8, vcc
	v_cndmask_b32_e32 v6, v7, v12, vcc
	v_mov_b32_e32 v7, 0x3b800000
	v_lshlrev_b32_e32 v2, 20, v2
	v_lshl_add_u32 v6, v6, 23, v7
	v_or3_b32 v2, v3, v6, v2
.LBB5_348:
	s_or_b64 exec, exec, s[6:7]
	s_movk_i32 s4, 0x7f
	v_cmp_gt_i16_sdwa s[6:7], v4, s4 src0_sel:BYTE_3 src1_sel:DWORD
	s_mov_b64 s[4:5], 0
                                        ; implicit-def: $sgpr10
	s_and_saveexec_b64 s[8:9], s[6:7]
	s_xor_b64 s[6:7], exec, s[8:9]
	s_cbranch_execnz .LBB5_2397
; %bb.349:
	s_or_saveexec_b64 s[6:7], s[6:7]
	v_mov_b32_e32 v3, s10
	s_xor_b64 exec, exec, s[6:7]
	s_cbranch_execnz .LBB5_2400
.LBB5_350:
	s_or_b64 exec, exec, s[6:7]
	s_and_saveexec_b64 s[6:7], s[4:5]
	s_cbranch_execz .LBB5_352
.LBB5_351:
	v_bfe_u32 v3, v4, 24, 3
	v_ffbh_u32_e32 v12, v3
	v_min_u32_e32 v12, 32, v12
	v_lshrrev_b32_e32 v7, 27, v4
	v_subrev_u32_e32 v13, 28, v12
	v_and_b32_e32 v6, 0x80000000, v4
	v_and_b32_e32 v7, 15, v7
	v_bfe_u32 v8, v4, 27, 4
	v_lshlrev_b32_sdwa v4, v13, v4 dst_sel:DWORD dst_unused:UNUSED_PAD src0_sel:DWORD src1_sel:BYTE_3
	v_sub_u32_e32 v12, 29, v12
	v_and_b32_e32 v4, 7, v4
	v_cmp_eq_u16_e32 vcc, 0, v7
	v_cndmask_b32_e32 v3, v3, v4, vcc
	v_cndmask_b32_e32 v4, v8, v12, vcc
	v_mov_b32_e32 v7, 0x3b800000
	v_lshlrev_b32_e32 v3, 20, v3
	v_lshl_add_u32 v4, v4, 23, v7
	v_or3_b32 v3, v6, v4, v3
.LBB5_352:
	s_or_b64 exec, exec, s[6:7]
	s_nop 0
	v_mfma_f32_16x16x4f32 a[0:3], v2, v3, a[0:3]
	s_movk_i32 s4, 0x7f
	v_cmp_gt_i16_sdwa s[6:7], v9, s4 src0_sel:BYTE_0 src1_sel:DWORD
	s_mov_b64 s[4:5], 0
                                        ; implicit-def: $sgpr10
	s_and_saveexec_b64 s[8:9], s[6:7]
	s_xor_b64 s[6:7], exec, s[8:9]
	s_cbranch_execnz .LBB5_2401
; %bb.353:
	s_or_saveexec_b64 s[6:7], s[6:7]
	v_mov_b32_e32 v2, s10
	s_xor_b64 exec, exec, s[6:7]
	s_cbranch_execnz .LBB5_2404
.LBB5_354:
	s_or_b64 exec, exec, s[6:7]
	s_and_saveexec_b64 s[6:7], s[4:5]
	s_cbranch_execz .LBB5_356
.LBB5_355:
	v_mov_b32_e32 v2, 8
	v_and_b32_e32 v3, 7, v9
	v_lshrrev_b32_sdwa v2, v2, v9 dst_sel:BYTE_1 dst_unused:UNUSED_PAD src0_sel:DWORD src1_sel:DWORD
	v_ffbh_u32_e32 v4, v3
	v_or_b32_sdwa v2, v9, v2 dst_sel:DWORD dst_unused:UNUSED_PAD src0_sel:BYTE_0 src1_sel:DWORD
	v_min_u32_e32 v4, 32, v4
	v_lshrrev_b16_e32 v2, 3, v2
	v_subrev_u32_e32 v6, 28, v4
	v_and_b32_e32 v2, 15, v2
	v_lshlrev_b32_e32 v6, v6, v9
	v_sub_u32_e32 v4, 29, v4
	v_and_b32_e32 v6, 7, v6
	v_cmp_eq_u16_e32 vcc, 0, v2
	v_cndmask_b32_e32 v3, v3, v6, vcc
	v_cndmask_b32_e32 v2, v2, v4, vcc
	v_lshlrev_b32_e32 v4, 24, v9
	v_mov_b32_e32 v6, 0x3b800000
	v_lshlrev_b32_e32 v3, 20, v3
	v_and_b32_e32 v4, 0x80000000, v4
	v_lshl_add_u32 v2, v2, 23, v6
	v_or3_b32 v2, v4, v2, v3
.LBB5_356:
	s_or_b64 exec, exec, s[6:7]
	s_movk_i32 s4, 0x7f
	v_cmp_gt_i16_sdwa s[6:7], v5, s4 src0_sel:BYTE_0 src1_sel:DWORD
	s_mov_b64 s[4:5], 0
                                        ; implicit-def: $sgpr10
	s_and_saveexec_b64 s[8:9], s[6:7]
	s_xor_b64 s[6:7], exec, s[8:9]
	s_cbranch_execnz .LBB5_2405
; %bb.357:
	s_or_saveexec_b64 s[6:7], s[6:7]
	v_mov_b32_e32 v3, s10
	s_xor_b64 exec, exec, s[6:7]
	s_cbranch_execnz .LBB5_2408
.LBB5_358:
	s_or_b64 exec, exec, s[6:7]
	s_and_saveexec_b64 s[6:7], s[4:5]
	s_cbranch_execz .LBB5_360
.LBB5_359:
	v_mov_b32_e32 v3, 8
	v_and_b32_e32 v4, 7, v5
	v_lshrrev_b32_sdwa v3, v3, v5 dst_sel:BYTE_1 dst_unused:UNUSED_PAD src0_sel:DWORD src1_sel:DWORD
	v_ffbh_u32_e32 v6, v4
	v_or_b32_sdwa v3, v5, v3 dst_sel:DWORD dst_unused:UNUSED_PAD src0_sel:BYTE_0 src1_sel:DWORD
	v_min_u32_e32 v6, 32, v6
	v_lshrrev_b16_e32 v3, 3, v3
	v_subrev_u32_e32 v7, 28, v6
	v_and_b32_e32 v3, 15, v3
	v_lshlrev_b32_e32 v7, v7, v5
	v_sub_u32_e32 v6, 29, v6
	v_and_b32_e32 v7, 7, v7
	v_cmp_eq_u16_e32 vcc, 0, v3
	v_cndmask_b32_e32 v4, v4, v7, vcc
	v_cndmask_b32_e32 v3, v3, v6, vcc
	v_lshlrev_b32_e32 v6, 24, v5
	v_mov_b32_e32 v7, 0x3b800000
	v_lshlrev_b32_e32 v4, 20, v4
	v_and_b32_e32 v6, 0x80000000, v6
	v_lshl_add_u32 v3, v3, 23, v7
	v_or3_b32 v3, v6, v3, v4
.LBB5_360:
	s_or_b64 exec, exec, s[6:7]
	s_nop 0
	v_mfma_f32_16x16x4f32 a[0:3], v2, v3, a[0:3]
	v_lshrrev_b32_e32 v3, 8, v9
	s_movk_i32 s4, 0x7f
	v_cmp_gt_i16_sdwa s[6:7], v3, s4 src0_sel:BYTE_0 src1_sel:DWORD
	s_mov_b64 s[4:5], 0
                                        ; implicit-def: $sgpr10
	s_and_saveexec_b64 s[8:9], s[6:7]
	s_xor_b64 s[6:7], exec, s[8:9]
	s_cbranch_execnz .LBB5_2409
; %bb.361:
	s_or_saveexec_b64 s[6:7], s[6:7]
	v_mov_b32_e32 v2, s10
	s_xor_b64 exec, exec, s[6:7]
	s_cbranch_execnz .LBB5_2412
.LBB5_362:
	s_or_b64 exec, exec, s[6:7]
	s_and_saveexec_b64 s[6:7], s[4:5]
	s_cbranch_execz .LBB5_364
.LBB5_363:
	v_bfe_u32 v2, v9, 8, 3
	v_ffbh_u32_e32 v6, v2
	v_min_u32_e32 v6, 32, v6
	v_lshrrev_b16_e32 v4, 3, v3
	v_subrev_u32_e32 v7, 28, v6
	v_and_b32_e32 v4, 15, v4
	v_lshlrev_b32_e32 v3, v7, v3
	v_sub_u32_e32 v6, 29, v6
	v_and_b32_e32 v3, 7, v3
	v_cmp_eq_u16_e32 vcc, 0, v4
	v_cndmask_b32_e32 v2, v2, v3, vcc
	v_cndmask_b32_e32 v3, v4, v6, vcc
	v_lshlrev_b32_e32 v4, 16, v9
	v_mov_b32_e32 v6, 0x3b800000
	v_lshlrev_b32_e32 v2, 20, v2
	v_and_b32_e32 v4, 0x80000000, v4
	v_lshl_add_u32 v3, v3, 23, v6
	v_or3_b32 v2, v4, v3, v2
.LBB5_364:
	s_or_b64 exec, exec, s[6:7]
	v_lshrrev_b32_e32 v3, 8, v5
	s_movk_i32 s4, 0x7f
	v_cmp_gt_i16_sdwa s[6:7], v3, s4 src0_sel:BYTE_0 src1_sel:DWORD
	s_mov_b64 s[4:5], 0
                                        ; implicit-def: $sgpr10
	s_and_saveexec_b64 s[8:9], s[6:7]
	s_xor_b64 s[6:7], exec, s[8:9]
	s_cbranch_execnz .LBB5_2413
; %bb.365:
	s_or_saveexec_b64 s[6:7], s[6:7]
	v_mov_b32_e32 v4, s10
	s_xor_b64 exec, exec, s[6:7]
	s_cbranch_execnz .LBB5_2416
.LBB5_366:
	s_or_b64 exec, exec, s[6:7]
	s_and_saveexec_b64 s[6:7], s[4:5]
	s_cbranch_execz .LBB5_368
.LBB5_367:
	v_bfe_u32 v4, v5, 8, 3
	v_ffbh_u32_e32 v7, v4
	v_min_u32_e32 v7, 32, v7
	v_lshrrev_b16_e32 v6, 3, v3
	v_subrev_u32_e32 v8, 28, v7
	v_and_b32_e32 v6, 15, v6
	v_lshlrev_b32_e32 v3, v8, v3
	v_sub_u32_e32 v7, 29, v7
	v_and_b32_e32 v3, 7, v3
	v_cmp_eq_u16_e32 vcc, 0, v6
	v_cndmask_b32_e32 v3, v4, v3, vcc
	v_cndmask_b32_e32 v4, v6, v7, vcc
	v_lshlrev_b32_e32 v6, 16, v5
	v_mov_b32_e32 v7, 0x3b800000
	v_lshlrev_b32_e32 v3, 20, v3
	v_and_b32_e32 v6, 0x80000000, v6
	v_lshl_add_u32 v4, v4, 23, v7
	v_or3_b32 v4, v6, v4, v3
.LBB5_368:
	s_or_b64 exec, exec, s[6:7]
	s_nop 0
	v_mfma_f32_16x16x4f32 a[0:3], v2, v4, a[0:3]
	s_movk_i32 s4, 0xff
	v_and_b32_sdwa v3, v9, s4 dst_sel:DWORD dst_unused:UNUSED_PAD src0_sel:WORD_1 src1_sel:DWORD
	s_movk_i32 s4, 0x7f
	v_cmp_lt_i16_e32 vcc, s4, v3
	s_mov_b64 s[4:5], 0
                                        ; implicit-def: $sgpr10
	s_and_saveexec_b64 s[6:7], vcc
	s_xor_b64 s[6:7], exec, s[6:7]
	s_cbranch_execnz .LBB5_2417
; %bb.369:
	s_or_saveexec_b64 s[6:7], s[6:7]
	v_mov_b32_e32 v2, s10
	s_xor_b64 exec, exec, s[6:7]
	s_cbranch_execnz .LBB5_2420
.LBB5_370:
	s_or_b64 exec, exec, s[6:7]
	s_and_saveexec_b64 s[6:7], s[4:5]
	s_cbranch_execz .LBB5_372
.LBB5_371:
	v_bfe_u32 v2, v9, 16, 3
	v_ffbh_u32_e32 v6, v2
	v_min_u32_e32 v6, 32, v6
	v_lshrrev_b32_e32 v3, 19, v9
	v_subrev_u32_e32 v7, 28, v6
	v_and_b32_e32 v3, 15, v3
	v_lshlrev_b32_sdwa v7, v7, v9 dst_sel:DWORD dst_unused:UNUSED_PAD src0_sel:DWORD src1_sel:WORD_1
	v_bfe_u32 v4, v9, 19, 4
	v_sub_u32_e32 v6, 29, v6
	v_and_b32_e32 v7, 7, v7
	v_cmp_eq_u16_e32 vcc, 0, v3
	v_cndmask_b32_e32 v2, v2, v7, vcc
	v_cndmask_b32_e32 v3, v4, v6, vcc
	v_lshlrev_b32_e32 v4, 8, v9
	v_mov_b32_e32 v6, 0x3b800000
	v_lshlrev_b32_e32 v2, 20, v2
	v_and_b32_e32 v4, 0x80000000, v4
	v_lshl_add_u32 v3, v3, 23, v6
	v_or3_b32 v2, v4, v3, v2
.LBB5_372:
	s_or_b64 exec, exec, s[6:7]
	s_movk_i32 s4, 0xff
	v_and_b32_sdwa v3, v5, s4 dst_sel:DWORD dst_unused:UNUSED_PAD src0_sel:WORD_1 src1_sel:DWORD
	s_movk_i32 s4, 0x7f
	v_cmp_lt_i16_e32 vcc, s4, v3
	s_mov_b64 s[4:5], 0
                                        ; implicit-def: $sgpr10
	s_and_saveexec_b64 s[6:7], vcc
	s_xor_b64 s[6:7], exec, s[6:7]
	s_cbranch_execnz .LBB5_2421
; %bb.373:
	s_or_saveexec_b64 s[6:7], s[6:7]
	v_mov_b32_e32 v4, s10
	s_xor_b64 exec, exec, s[6:7]
	s_cbranch_execnz .LBB5_2424
.LBB5_374:
	s_or_b64 exec, exec, s[6:7]
	s_and_saveexec_b64 s[6:7], s[4:5]
	s_cbranch_execz .LBB5_376
.LBB5_375:
	v_bfe_u32 v3, v5, 16, 3
	v_ffbh_u32_e32 v7, v3
	v_min_u32_e32 v7, 32, v7
	v_lshrrev_b32_e32 v4, 19, v5
	v_subrev_u32_e32 v8, 28, v7
	v_and_b32_e32 v4, 15, v4
	v_lshlrev_b32_sdwa v8, v8, v5 dst_sel:DWORD dst_unused:UNUSED_PAD src0_sel:DWORD src1_sel:WORD_1
	v_bfe_u32 v6, v5, 19, 4
	v_sub_u32_e32 v7, 29, v7
	v_and_b32_e32 v8, 7, v8
	v_cmp_eq_u16_e32 vcc, 0, v4
	v_cndmask_b32_e32 v3, v3, v8, vcc
	v_cndmask_b32_e32 v4, v6, v7, vcc
	v_lshlrev_b32_e32 v6, 8, v5
	v_mov_b32_e32 v7, 0x3b800000
	v_lshlrev_b32_e32 v3, 20, v3
	v_and_b32_e32 v6, 0x80000000, v6
	v_lshl_add_u32 v4, v4, 23, v7
	v_or3_b32 v4, v6, v4, v3
.LBB5_376:
	s_or_b64 exec, exec, s[6:7]
	s_nop 0
	v_mfma_f32_16x16x4f32 a[0:3], v2, v4, a[0:3]
	s_movk_i32 s4, 0x7f
	v_cmp_gt_i16_sdwa s[6:7], v9, s4 src0_sel:BYTE_3 src1_sel:DWORD
	s_mov_b64 s[4:5], 0
                                        ; implicit-def: $sgpr10
	s_and_saveexec_b64 s[8:9], s[6:7]
	s_xor_b64 s[6:7], exec, s[8:9]
	s_cbranch_execnz .LBB5_2425
; %bb.377:
	s_or_saveexec_b64 s[6:7], s[6:7]
	v_mov_b32_e32 v2, s10
	s_xor_b64 exec, exec, s[6:7]
	s_cbranch_execnz .LBB5_2428
.LBB5_378:
	s_or_b64 exec, exec, s[6:7]
	s_and_saveexec_b64 s[6:7], s[4:5]
	s_cbranch_execz .LBB5_380
.LBB5_379:
	v_bfe_u32 v2, v9, 24, 3
	v_ffbh_u32_e32 v7, v2
	v_min_u32_e32 v7, 32, v7
	v_lshrrev_b32_e32 v4, 27, v9
	v_subrev_u32_e32 v8, 28, v7
	v_and_b32_e32 v4, 15, v4
	v_lshlrev_b32_sdwa v8, v8, v9 dst_sel:DWORD dst_unused:UNUSED_PAD src0_sel:DWORD src1_sel:BYTE_3
	v_bfe_u32 v6, v9, 27, 4
	v_sub_u32_e32 v7, 29, v7
	v_and_b32_e32 v8, 7, v8
	v_cmp_eq_u16_e32 vcc, 0, v4
	v_cndmask_b32_e32 v2, v2, v8, vcc
	v_cndmask_b32_e32 v4, v6, v7, vcc
	v_mov_b32_e32 v6, 0x3b800000
	v_and_b32_e32 v3, 0x80000000, v9
	v_lshlrev_b32_e32 v2, 20, v2
	v_lshl_add_u32 v4, v4, 23, v6
	v_or3_b32 v2, v3, v4, v2
.LBB5_380:
	s_or_b64 exec, exec, s[6:7]
	s_movk_i32 s4, 0x7f
	v_cmp_gt_i16_sdwa s[6:7], v5, s4 src0_sel:BYTE_3 src1_sel:DWORD
	s_mov_b64 s[4:5], 0
                                        ; implicit-def: $sgpr10
	s_and_saveexec_b64 s[8:9], s[6:7]
	s_xor_b64 s[6:7], exec, s[8:9]
	s_cbranch_execnz .LBB5_2429
; %bb.381:
	s_or_saveexec_b64 s[6:7], s[6:7]
	v_mov_b32_e32 v3, s10
	s_xor_b64 exec, exec, s[6:7]
	s_cbranch_execnz .LBB5_2432
.LBB5_382:
	s_or_b64 exec, exec, s[6:7]
	s_and_saveexec_b64 s[6:7], s[4:5]
	s_cbranch_execz .LBB5_384
.LBB5_383:
	v_bfe_u32 v3, v5, 24, 3
	v_ffbh_u32_e32 v8, v3
	v_min_u32_e32 v8, 32, v8
	v_lshrrev_b32_e32 v6, 27, v5
	v_subrev_u32_e32 v9, 28, v8
	v_and_b32_e32 v4, 0x80000000, v5
	v_and_b32_e32 v6, 15, v6
	v_bfe_u32 v7, v5, 27, 4
	v_lshlrev_b32_sdwa v5, v9, v5 dst_sel:DWORD dst_unused:UNUSED_PAD src0_sel:DWORD src1_sel:BYTE_3
	v_sub_u32_e32 v8, 29, v8
	v_and_b32_e32 v5, 7, v5
	v_cmp_eq_u16_e32 vcc, 0, v6
	v_cndmask_b32_e32 v3, v3, v5, vcc
	v_cndmask_b32_e32 v5, v7, v8, vcc
	v_mov_b32_e32 v6, 0x3b800000
	v_lshlrev_b32_e32 v3, 20, v3
	v_lshl_add_u32 v5, v5, 23, v6
	v_or3_b32 v3, v4, v5, v3
.LBB5_384:
	s_or_b64 exec, exec, s[6:7]
	s_nop 0
	v_mfma_f32_16x16x4f32 a[0:3], v2, v3, a[0:3]
	s_movk_i32 s4, 0x7f
                                        ; implicit-def: $sgpr10
	s_nop 7
	s_nop 1
	flat_store_dwordx4 v[10:11], a[0:3] offset:32
	flat_load_dwordx4 v[12:15], v[0:1] offset:8
	s_nop 0
	flat_load_dwordx2 v[10:11], v[0:1] offset:32
	s_waitcnt vmcnt(0) lgkmcnt(0)
	flat_load_dwordx4 v[6:9], v[12:13]
	flat_load_dwordx4 v[2:5], v[14:15] offset:96
	s_waitcnt vmcnt(0) lgkmcnt(0)
	v_cmp_gt_i16_sdwa s[6:7], v6, s4 src0_sel:BYTE_0 src1_sel:DWORD
	s_mov_b64 s[4:5], 0
	s_and_saveexec_b64 s[8:9], s[6:7]
	s_xor_b64 s[6:7], exec, s[8:9]
	s_cbranch_execnz .LBB5_2433
; %bb.385:
	s_or_saveexec_b64 s[6:7], s[6:7]
	v_mov_b32_e32 v12, s10
	s_xor_b64 exec, exec, s[6:7]
	s_cbranch_execnz .LBB5_2436
.LBB5_386:
	s_or_b64 exec, exec, s[6:7]
	s_and_saveexec_b64 s[6:7], s[4:5]
	s_cbranch_execz .LBB5_388
.LBB5_387:
	v_and_b32_e32 v12, 7, v6
	v_ffbh_u32_e32 v14, v12
	v_min_u32_e32 v14, 32, v14
	v_lshrrev_b16_e32 v13, 3, v6
	v_subrev_u32_e32 v15, 28, v14
	v_and_b32_e32 v13, 15, v13
	v_lshlrev_b32_e32 v15, v15, v6
	v_sub_u32_e32 v14, 29, v14
	v_and_b32_e32 v15, 7, v15
	v_cmp_eq_u16_e32 vcc, 0, v13
	v_cndmask_b32_e32 v12, v12, v15, vcc
	v_cndmask_b32_e32 v13, v13, v14, vcc
	v_lshlrev_b32_e32 v14, 24, v6
	v_mov_b32_e32 v15, 0x3b800000
	v_lshlrev_b32_e32 v12, 20, v12
	v_and_b32_e32 v14, 0x80000000, v14
	v_lshl_add_u32 v13, v13, 23, v15
	v_or3_b32 v12, v14, v13, v12
.LBB5_388:
	s_or_b64 exec, exec, s[6:7]
	s_movk_i32 s4, 0x7f
	v_cmp_gt_i16_sdwa s[6:7], v2, s4 src0_sel:BYTE_0 src1_sel:DWORD
	s_mov_b64 s[4:5], 0
                                        ; implicit-def: $sgpr10
	s_and_saveexec_b64 s[8:9], s[6:7]
	s_xor_b64 s[6:7], exec, s[8:9]
	s_cbranch_execnz .LBB5_2437
; %bb.389:
	s_or_saveexec_b64 s[6:7], s[6:7]
	v_mov_b32_e32 v13, s10
	s_xor_b64 exec, exec, s[6:7]
	s_cbranch_execnz .LBB5_2440
.LBB5_390:
	s_or_b64 exec, exec, s[6:7]
	s_and_saveexec_b64 s[6:7], s[4:5]
	s_cbranch_execz .LBB5_392
.LBB5_391:
	v_and_b32_e32 v13, 7, v2
	v_ffbh_u32_e32 v15, v13
	v_min_u32_e32 v15, 32, v15
	v_lshrrev_b16_e32 v14, 3, v2
	v_subrev_u32_e32 v16, 28, v15
	v_and_b32_e32 v14, 15, v14
	v_lshlrev_b32_e32 v16, v16, v2
	v_sub_u32_e32 v15, 29, v15
	v_and_b32_e32 v16, 7, v16
	v_cmp_eq_u16_e32 vcc, 0, v14
	v_cndmask_b32_e32 v13, v13, v16, vcc
	v_cndmask_b32_e32 v14, v14, v15, vcc
	v_lshlrev_b32_e32 v15, 24, v2
	v_mov_b32_e32 v16, 0x3b800000
	v_lshlrev_b32_e32 v13, 20, v13
	v_and_b32_e32 v15, 0x80000000, v15
	v_lshl_add_u32 v14, v14, 23, v16
	v_or3_b32 v13, v15, v14, v13
.LBB5_392:
	s_or_b64 exec, exec, s[6:7]
	flat_load_dwordx4 a[0:3], v[10:11] offset:48
	s_movk_i32 s4, 0x7f
                                        ; implicit-def: $sgpr10
	s_waitcnt vmcnt(0) lgkmcnt(0)
	v_mfma_f32_16x16x4f32 a[0:3], v12, v13, a[0:3]
	v_lshrrev_b32_e32 v13, 8, v6
	v_cmp_gt_i16_sdwa s[6:7], v13, s4 src0_sel:BYTE_0 src1_sel:DWORD
	s_mov_b64 s[4:5], 0
	s_and_saveexec_b64 s[8:9], s[6:7]
	s_xor_b64 s[6:7], exec, s[8:9]
	s_cbranch_execnz .LBB5_2441
; %bb.393:
	s_or_saveexec_b64 s[6:7], s[6:7]
	v_mov_b32_e32 v12, s10
	s_xor_b64 exec, exec, s[6:7]
	s_cbranch_execnz .LBB5_2444
.LBB5_394:
	s_or_b64 exec, exec, s[6:7]
	s_and_saveexec_b64 s[6:7], s[4:5]
	s_cbranch_execz .LBB5_396
.LBB5_395:
	v_bfe_u32 v12, v6, 8, 3
	v_ffbh_u32_e32 v15, v12
	v_min_u32_e32 v15, 32, v15
	v_lshrrev_b16_e32 v14, 3, v13
	v_subrev_u32_e32 v16, 28, v15
	v_and_b32_e32 v14, 15, v14
	v_lshlrev_b32_e32 v13, v16, v13
	v_sub_u32_e32 v15, 29, v15
	v_and_b32_e32 v13, 7, v13
	v_cmp_eq_u16_e32 vcc, 0, v14
	v_cndmask_b32_e32 v12, v12, v13, vcc
	v_cndmask_b32_e32 v13, v14, v15, vcc
	v_lshlrev_b32_e32 v14, 16, v6
	v_mov_b32_e32 v15, 0x3b800000
	v_lshlrev_b32_e32 v12, 20, v12
	v_and_b32_e32 v14, 0x80000000, v14
	v_lshl_add_u32 v13, v13, 23, v15
	v_or3_b32 v12, v14, v13, v12
.LBB5_396:
	s_or_b64 exec, exec, s[6:7]
	v_lshrrev_b32_e32 v13, 8, v2
	s_movk_i32 s4, 0x7f
	v_cmp_gt_i16_sdwa s[6:7], v13, s4 src0_sel:BYTE_0 src1_sel:DWORD
	s_mov_b64 s[4:5], 0
                                        ; implicit-def: $sgpr10
	s_and_saveexec_b64 s[8:9], s[6:7]
	s_xor_b64 s[6:7], exec, s[8:9]
	s_cbranch_execnz .LBB5_2445
; %bb.397:
	s_or_saveexec_b64 s[6:7], s[6:7]
	v_mov_b32_e32 v14, s10
	s_xor_b64 exec, exec, s[6:7]
	s_cbranch_execnz .LBB5_2448
.LBB5_398:
	s_or_b64 exec, exec, s[6:7]
	s_and_saveexec_b64 s[6:7], s[4:5]
	s_cbranch_execz .LBB5_400
.LBB5_399:
	v_bfe_u32 v14, v2, 8, 3
	v_ffbh_u32_e32 v16, v14
	v_min_u32_e32 v16, 32, v16
	v_lshrrev_b16_e32 v15, 3, v13
	v_subrev_u32_e32 v17, 28, v16
	v_and_b32_e32 v15, 15, v15
	v_lshlrev_b32_e32 v13, v17, v13
	v_sub_u32_e32 v16, 29, v16
	v_and_b32_e32 v13, 7, v13
	v_cmp_eq_u16_e32 vcc, 0, v15
	v_cndmask_b32_e32 v13, v14, v13, vcc
	v_cndmask_b32_e32 v14, v15, v16, vcc
	v_lshlrev_b32_e32 v15, 16, v2
	v_mov_b32_e32 v16, 0x3b800000
	v_lshlrev_b32_e32 v13, 20, v13
	v_and_b32_e32 v15, 0x80000000, v15
	v_lshl_add_u32 v14, v14, 23, v16
	v_or3_b32 v14, v15, v14, v13
.LBB5_400:
	s_or_b64 exec, exec, s[6:7]
	s_nop 0
	v_mfma_f32_16x16x4f32 a[0:3], v12, v14, a[0:3]
	s_movk_i32 s4, 0xff
	v_and_b32_sdwa v13, v6, s4 dst_sel:DWORD dst_unused:UNUSED_PAD src0_sel:WORD_1 src1_sel:DWORD
	s_movk_i32 s4, 0x7f
	v_cmp_lt_i16_e32 vcc, s4, v13
	s_mov_b64 s[4:5], 0
                                        ; implicit-def: $sgpr10
	s_and_saveexec_b64 s[6:7], vcc
	s_xor_b64 s[6:7], exec, s[6:7]
	s_cbranch_execnz .LBB5_2449
; %bb.401:
	s_or_saveexec_b64 s[6:7], s[6:7]
	v_mov_b32_e32 v12, s10
	s_xor_b64 exec, exec, s[6:7]
	s_cbranch_execnz .LBB5_2452
.LBB5_402:
	s_or_b64 exec, exec, s[6:7]
	s_and_saveexec_b64 s[6:7], s[4:5]
	s_cbranch_execz .LBB5_404
.LBB5_403:
	v_bfe_u32 v12, v6, 16, 3
	v_ffbh_u32_e32 v15, v12
	v_min_u32_e32 v15, 32, v15
	v_lshrrev_b32_e32 v13, 19, v6
	v_subrev_u32_e32 v16, 28, v15
	v_and_b32_e32 v13, 15, v13
	v_lshlrev_b32_sdwa v16, v16, v6 dst_sel:DWORD dst_unused:UNUSED_PAD src0_sel:DWORD src1_sel:WORD_1
	v_bfe_u32 v14, v6, 19, 4
	v_sub_u32_e32 v15, 29, v15
	v_and_b32_e32 v16, 7, v16
	v_cmp_eq_u16_e32 vcc, 0, v13
	v_cndmask_b32_e32 v12, v12, v16, vcc
	v_cndmask_b32_e32 v13, v14, v15, vcc
	v_lshlrev_b32_e32 v14, 8, v6
	v_mov_b32_e32 v15, 0x3b800000
	v_lshlrev_b32_e32 v12, 20, v12
	v_and_b32_e32 v14, 0x80000000, v14
	v_lshl_add_u32 v13, v13, 23, v15
	v_or3_b32 v12, v14, v13, v12
.LBB5_404:
	s_or_b64 exec, exec, s[6:7]
	s_movk_i32 s4, 0xff
	v_and_b32_sdwa v13, v2, s4 dst_sel:DWORD dst_unused:UNUSED_PAD src0_sel:WORD_1 src1_sel:DWORD
	s_movk_i32 s4, 0x7f
	v_cmp_lt_i16_e32 vcc, s4, v13
	s_mov_b64 s[4:5], 0
                                        ; implicit-def: $sgpr10
	s_and_saveexec_b64 s[6:7], vcc
	s_xor_b64 s[6:7], exec, s[6:7]
	s_cbranch_execnz .LBB5_2453
; %bb.405:
	s_or_saveexec_b64 s[6:7], s[6:7]
	v_mov_b32_e32 v14, s10
	s_xor_b64 exec, exec, s[6:7]
	s_cbranch_execnz .LBB5_2456
.LBB5_406:
	s_or_b64 exec, exec, s[6:7]
	s_and_saveexec_b64 s[6:7], s[4:5]
	s_cbranch_execz .LBB5_408
.LBB5_407:
	v_bfe_u32 v13, v2, 16, 3
	v_ffbh_u32_e32 v16, v13
	v_min_u32_e32 v16, 32, v16
	v_lshrrev_b32_e32 v14, 19, v2
	v_subrev_u32_e32 v17, 28, v16
	v_and_b32_e32 v14, 15, v14
	v_lshlrev_b32_sdwa v17, v17, v2 dst_sel:DWORD dst_unused:UNUSED_PAD src0_sel:DWORD src1_sel:WORD_1
	v_bfe_u32 v15, v2, 19, 4
	v_sub_u32_e32 v16, 29, v16
	v_and_b32_e32 v17, 7, v17
	v_cmp_eq_u16_e32 vcc, 0, v14
	v_cndmask_b32_e32 v13, v13, v17, vcc
	v_cndmask_b32_e32 v14, v15, v16, vcc
	v_lshlrev_b32_e32 v15, 8, v2
	v_mov_b32_e32 v16, 0x3b800000
	v_lshlrev_b32_e32 v13, 20, v13
	v_and_b32_e32 v15, 0x80000000, v15
	v_lshl_add_u32 v14, v14, 23, v16
	v_or3_b32 v14, v15, v14, v13
.LBB5_408:
	s_or_b64 exec, exec, s[6:7]
	s_nop 0
	v_mfma_f32_16x16x4f32 a[0:3], v12, v14, a[0:3]
	s_movk_i32 s4, 0x7f
	v_cmp_gt_i16_sdwa s[6:7], v6, s4 src0_sel:BYTE_3 src1_sel:DWORD
	s_mov_b64 s[4:5], 0
                                        ; implicit-def: $sgpr10
	s_and_saveexec_b64 s[8:9], s[6:7]
	s_xor_b64 s[6:7], exec, s[8:9]
	s_cbranch_execnz .LBB5_2457
; %bb.409:
	s_or_saveexec_b64 s[6:7], s[6:7]
	v_mov_b32_e32 v12, s10
	s_xor_b64 exec, exec, s[6:7]
	s_cbranch_execnz .LBB5_2460
.LBB5_410:
	s_or_b64 exec, exec, s[6:7]
	s_and_saveexec_b64 s[6:7], s[4:5]
	s_cbranch_execz .LBB5_412
.LBB5_411:
	v_bfe_u32 v12, v6, 24, 3
	v_ffbh_u32_e32 v16, v12
	v_min_u32_e32 v16, 32, v16
	v_lshrrev_b32_e32 v14, 27, v6
	v_subrev_u32_e32 v17, 28, v16
	v_and_b32_e32 v13, 0x80000000, v6
	v_and_b32_e32 v14, 15, v14
	v_bfe_u32 v15, v6, 27, 4
	v_lshlrev_b32_sdwa v6, v17, v6 dst_sel:DWORD dst_unused:UNUSED_PAD src0_sel:DWORD src1_sel:BYTE_3
	v_sub_u32_e32 v16, 29, v16
	v_and_b32_e32 v6, 7, v6
	v_cmp_eq_u16_e32 vcc, 0, v14
	v_cndmask_b32_e32 v6, v12, v6, vcc
	v_cndmask_b32_e32 v12, v15, v16, vcc
	v_mov_b32_e32 v14, 0x3b800000
	v_lshlrev_b32_e32 v6, 20, v6
	v_lshl_add_u32 v12, v12, 23, v14
	v_or3_b32 v12, v13, v12, v6
.LBB5_412:
	s_or_b64 exec, exec, s[6:7]
	s_movk_i32 s4, 0x7f
	v_cmp_gt_i16_sdwa s[6:7], v2, s4 src0_sel:BYTE_3 src1_sel:DWORD
	s_mov_b64 s[4:5], 0
                                        ; implicit-def: $sgpr10
	s_and_saveexec_b64 s[8:9], s[6:7]
	s_xor_b64 s[6:7], exec, s[8:9]
	s_cbranch_execnz .LBB5_2461
; %bb.413:
	s_or_saveexec_b64 s[6:7], s[6:7]
	v_mov_b32_e32 v6, s10
	s_xor_b64 exec, exec, s[6:7]
	s_cbranch_execnz .LBB5_2464
.LBB5_414:
	s_or_b64 exec, exec, s[6:7]
	s_and_saveexec_b64 s[6:7], s[4:5]
	s_cbranch_execz .LBB5_416
.LBB5_415:
	v_bfe_u32 v6, v2, 24, 3
	v_ffbh_u32_e32 v16, v6
	v_min_u32_e32 v16, 32, v16
	v_lshrrev_b32_e32 v14, 27, v2
	v_subrev_u32_e32 v17, 28, v16
	v_and_b32_e32 v13, 0x80000000, v2
	v_and_b32_e32 v14, 15, v14
	v_bfe_u32 v15, v2, 27, 4
	v_lshlrev_b32_sdwa v2, v17, v2 dst_sel:DWORD dst_unused:UNUSED_PAD src0_sel:DWORD src1_sel:BYTE_3
	v_sub_u32_e32 v16, 29, v16
	v_and_b32_e32 v2, 7, v2
	v_cmp_eq_u16_e32 vcc, 0, v14
	v_cndmask_b32_e32 v2, v6, v2, vcc
	v_cndmask_b32_e32 v6, v15, v16, vcc
	v_mov_b32_e32 v14, 0x3b800000
	v_lshlrev_b32_e32 v2, 20, v2
	v_lshl_add_u32 v6, v6, 23, v14
	v_or3_b32 v6, v13, v6, v2
.LBB5_416:
	s_or_b64 exec, exec, s[6:7]
	s_nop 0
	v_mfma_f32_16x16x4f32 a[0:3], v12, v6, a[0:3]
	s_movk_i32 s4, 0x7f
	v_cmp_gt_i16_sdwa s[6:7], v7, s4 src0_sel:BYTE_0 src1_sel:DWORD
	s_mov_b64 s[4:5], 0
                                        ; implicit-def: $sgpr10
	s_and_saveexec_b64 s[8:9], s[6:7]
	s_xor_b64 s[6:7], exec, s[8:9]
	s_cbranch_execnz .LBB5_2465
; %bb.417:
	s_or_saveexec_b64 s[6:7], s[6:7]
	v_mov_b32_e32 v2, s10
	s_xor_b64 exec, exec, s[6:7]
	s_cbranch_execnz .LBB5_2468
.LBB5_418:
	s_or_b64 exec, exec, s[6:7]
	s_and_saveexec_b64 s[6:7], s[4:5]
	s_cbranch_execz .LBB5_420
.LBB5_419:
	v_and_b32_e32 v2, 7, v7
	v_ffbh_u32_e32 v12, v2
	v_min_u32_e32 v12, 32, v12
	v_lshrrev_b16_e32 v6, 3, v7
	v_subrev_u32_e32 v13, 28, v12
	v_and_b32_e32 v6, 15, v6
	v_lshlrev_b32_e32 v13, v13, v7
	v_sub_u32_e32 v12, 29, v12
	v_and_b32_e32 v13, 7, v13
	v_cmp_eq_u16_e32 vcc, 0, v6
	v_cndmask_b32_e32 v2, v2, v13, vcc
	v_cndmask_b32_e32 v6, v6, v12, vcc
	v_lshlrev_b32_e32 v12, 24, v7
	v_mov_b32_e32 v13, 0x3b800000
	v_lshlrev_b32_e32 v2, 20, v2
	v_and_b32_e32 v12, 0x80000000, v12
	v_lshl_add_u32 v6, v6, 23, v13
	v_or3_b32 v2, v12, v6, v2
.LBB5_420:
	s_or_b64 exec, exec, s[6:7]
	s_movk_i32 s4, 0x7f
	v_cmp_gt_i16_sdwa s[6:7], v3, s4 src0_sel:BYTE_0 src1_sel:DWORD
	s_mov_b64 s[4:5], 0
                                        ; implicit-def: $sgpr10
	s_and_saveexec_b64 s[8:9], s[6:7]
	s_xor_b64 s[6:7], exec, s[8:9]
	s_cbranch_execnz .LBB5_2469
; %bb.421:
	s_or_saveexec_b64 s[6:7], s[6:7]
	v_mov_b32_e32 v6, s10
	s_xor_b64 exec, exec, s[6:7]
	s_cbranch_execnz .LBB5_2472
.LBB5_422:
	s_or_b64 exec, exec, s[6:7]
	s_and_saveexec_b64 s[6:7], s[4:5]
	s_cbranch_execz .LBB5_424
.LBB5_423:
	v_and_b32_e32 v6, 7, v3
	v_ffbh_u32_e32 v13, v6
	v_min_u32_e32 v13, 32, v13
	v_lshrrev_b16_e32 v12, 3, v3
	v_subrev_u32_e32 v14, 28, v13
	v_and_b32_e32 v12, 15, v12
	v_lshlrev_b32_e32 v14, v14, v3
	v_sub_u32_e32 v13, 29, v13
	v_and_b32_e32 v14, 7, v14
	v_cmp_eq_u16_e32 vcc, 0, v12
	v_cndmask_b32_e32 v6, v6, v14, vcc
	v_cndmask_b32_e32 v12, v12, v13, vcc
	v_lshlrev_b32_e32 v13, 24, v3
	v_mov_b32_e32 v14, 0x3b800000
	v_lshlrev_b32_e32 v6, 20, v6
	v_and_b32_e32 v13, 0x80000000, v13
	v_lshl_add_u32 v12, v12, 23, v14
	v_or3_b32 v6, v13, v12, v6
.LBB5_424:
	s_or_b64 exec, exec, s[6:7]
	s_nop 0
	v_mfma_f32_16x16x4f32 a[0:3], v2, v6, a[0:3]
	v_lshrrev_b32_e32 v6, 8, v7
	s_movk_i32 s4, 0x7f
	v_cmp_gt_i16_sdwa s[6:7], v6, s4 src0_sel:BYTE_0 src1_sel:DWORD
	s_mov_b64 s[4:5], 0
                                        ; implicit-def: $sgpr10
	s_and_saveexec_b64 s[8:9], s[6:7]
	s_xor_b64 s[6:7], exec, s[8:9]
	s_cbranch_execnz .LBB5_2473
; %bb.425:
	s_or_saveexec_b64 s[6:7], s[6:7]
	v_mov_b32_e32 v2, s10
	s_xor_b64 exec, exec, s[6:7]
	s_cbranch_execnz .LBB5_2476
.LBB5_426:
	s_or_b64 exec, exec, s[6:7]
	s_and_saveexec_b64 s[6:7], s[4:5]
	s_cbranch_execz .LBB5_428
.LBB5_427:
	v_bfe_u32 v2, v7, 8, 3
	v_ffbh_u32_e32 v13, v2
	v_min_u32_e32 v13, 32, v13
	v_lshrrev_b16_e32 v12, 3, v6
	v_subrev_u32_e32 v14, 28, v13
	v_and_b32_e32 v12, 15, v12
	v_lshlrev_b32_e32 v6, v14, v6
	v_sub_u32_e32 v13, 29, v13
	v_and_b32_e32 v6, 7, v6
	v_cmp_eq_u16_e32 vcc, 0, v12
	v_cndmask_b32_e32 v2, v2, v6, vcc
	v_cndmask_b32_e32 v6, v12, v13, vcc
	v_lshlrev_b32_e32 v12, 16, v7
	v_mov_b32_e32 v13, 0x3b800000
	v_lshlrev_b32_e32 v2, 20, v2
	v_and_b32_e32 v12, 0x80000000, v12
	v_lshl_add_u32 v6, v6, 23, v13
	v_or3_b32 v2, v12, v6, v2
.LBB5_428:
	s_or_b64 exec, exec, s[6:7]
	v_lshrrev_b32_e32 v6, 8, v3
	s_movk_i32 s4, 0x7f
	v_cmp_gt_i16_sdwa s[6:7], v6, s4 src0_sel:BYTE_0 src1_sel:DWORD
	s_mov_b64 s[4:5], 0
                                        ; implicit-def: $sgpr10
	s_and_saveexec_b64 s[8:9], s[6:7]
	s_xor_b64 s[6:7], exec, s[8:9]
	s_cbranch_execnz .LBB5_2477
; %bb.429:
	s_or_saveexec_b64 s[6:7], s[6:7]
	v_mov_b32_e32 v12, s10
	s_xor_b64 exec, exec, s[6:7]
	s_cbranch_execnz .LBB5_2480
.LBB5_430:
	s_or_b64 exec, exec, s[6:7]
	s_and_saveexec_b64 s[6:7], s[4:5]
	s_cbranch_execz .LBB5_432
.LBB5_431:
	v_bfe_u32 v12, v3, 8, 3
	v_ffbh_u32_e32 v14, v12
	v_min_u32_e32 v14, 32, v14
	v_lshrrev_b16_e32 v13, 3, v6
	v_subrev_u32_e32 v15, 28, v14
	v_and_b32_e32 v13, 15, v13
	v_lshlrev_b32_e32 v6, v15, v6
	v_sub_u32_e32 v14, 29, v14
	v_and_b32_e32 v6, 7, v6
	v_cmp_eq_u16_e32 vcc, 0, v13
	v_cndmask_b32_e32 v6, v12, v6, vcc
	v_cndmask_b32_e32 v12, v13, v14, vcc
	v_lshlrev_b32_e32 v13, 16, v3
	v_mov_b32_e32 v14, 0x3b800000
	v_lshlrev_b32_e32 v6, 20, v6
	v_and_b32_e32 v13, 0x80000000, v13
	v_lshl_add_u32 v12, v12, 23, v14
	v_or3_b32 v12, v13, v12, v6
.LBB5_432:
	s_or_b64 exec, exec, s[6:7]
	s_nop 0
	v_mfma_f32_16x16x4f32 a[0:3], v2, v12, a[0:3]
	s_movk_i32 s4, 0xff
	v_and_b32_sdwa v6, v7, s4 dst_sel:DWORD dst_unused:UNUSED_PAD src0_sel:WORD_1 src1_sel:DWORD
	s_movk_i32 s4, 0x7f
	v_cmp_lt_i16_e32 vcc, s4, v6
	s_mov_b64 s[4:5], 0
                                        ; implicit-def: $sgpr10
	s_and_saveexec_b64 s[6:7], vcc
	s_xor_b64 s[6:7], exec, s[6:7]
	s_cbranch_execnz .LBB5_2481
; %bb.433:
	s_or_saveexec_b64 s[6:7], s[6:7]
	v_mov_b32_e32 v2, s10
	s_xor_b64 exec, exec, s[6:7]
	s_cbranch_execnz .LBB5_2484
.LBB5_434:
	s_or_b64 exec, exec, s[6:7]
	s_and_saveexec_b64 s[6:7], s[4:5]
	s_cbranch_execz .LBB5_436
.LBB5_435:
	v_bfe_u32 v2, v7, 16, 3
	v_ffbh_u32_e32 v13, v2
	v_min_u32_e32 v13, 32, v13
	v_lshrrev_b32_e32 v6, 19, v7
	v_subrev_u32_e32 v14, 28, v13
	v_and_b32_e32 v6, 15, v6
	v_lshlrev_b32_sdwa v14, v14, v7 dst_sel:DWORD dst_unused:UNUSED_PAD src0_sel:DWORD src1_sel:WORD_1
	v_bfe_u32 v12, v7, 19, 4
	v_sub_u32_e32 v13, 29, v13
	v_and_b32_e32 v14, 7, v14
	v_cmp_eq_u16_e32 vcc, 0, v6
	v_cndmask_b32_e32 v2, v2, v14, vcc
	v_cndmask_b32_e32 v6, v12, v13, vcc
	v_lshlrev_b32_e32 v12, 8, v7
	v_mov_b32_e32 v13, 0x3b800000
	v_lshlrev_b32_e32 v2, 20, v2
	v_and_b32_e32 v12, 0x80000000, v12
	v_lshl_add_u32 v6, v6, 23, v13
	v_or3_b32 v2, v12, v6, v2
.LBB5_436:
	s_or_b64 exec, exec, s[6:7]
	s_movk_i32 s4, 0xff
	v_and_b32_sdwa v6, v3, s4 dst_sel:DWORD dst_unused:UNUSED_PAD src0_sel:WORD_1 src1_sel:DWORD
	s_movk_i32 s4, 0x7f
	v_cmp_lt_i16_e32 vcc, s4, v6
	s_mov_b64 s[4:5], 0
                                        ; implicit-def: $sgpr10
	s_and_saveexec_b64 s[6:7], vcc
	s_xor_b64 s[6:7], exec, s[6:7]
	s_cbranch_execnz .LBB5_2485
; %bb.437:
	s_or_saveexec_b64 s[6:7], s[6:7]
	v_mov_b32_e32 v12, s10
	s_xor_b64 exec, exec, s[6:7]
	s_cbranch_execnz .LBB5_2488
.LBB5_438:
	s_or_b64 exec, exec, s[6:7]
	s_and_saveexec_b64 s[6:7], s[4:5]
	s_cbranch_execz .LBB5_440
.LBB5_439:
	v_bfe_u32 v6, v3, 16, 3
	v_ffbh_u32_e32 v14, v6
	v_min_u32_e32 v14, 32, v14
	v_lshrrev_b32_e32 v12, 19, v3
	v_subrev_u32_e32 v15, 28, v14
	v_and_b32_e32 v12, 15, v12
	v_lshlrev_b32_sdwa v15, v15, v3 dst_sel:DWORD dst_unused:UNUSED_PAD src0_sel:DWORD src1_sel:WORD_1
	v_bfe_u32 v13, v3, 19, 4
	v_sub_u32_e32 v14, 29, v14
	v_and_b32_e32 v15, 7, v15
	v_cmp_eq_u16_e32 vcc, 0, v12
	v_cndmask_b32_e32 v6, v6, v15, vcc
	v_cndmask_b32_e32 v12, v13, v14, vcc
	v_lshlrev_b32_e32 v13, 8, v3
	v_mov_b32_e32 v14, 0x3b800000
	v_lshlrev_b32_e32 v6, 20, v6
	v_and_b32_e32 v13, 0x80000000, v13
	v_lshl_add_u32 v12, v12, 23, v14
	v_or3_b32 v12, v13, v12, v6
.LBB5_440:
	s_or_b64 exec, exec, s[6:7]
	s_nop 0
	v_mfma_f32_16x16x4f32 a[0:3], v2, v12, a[0:3]
	s_movk_i32 s4, 0x7f
	v_cmp_gt_i16_sdwa s[6:7], v7, s4 src0_sel:BYTE_3 src1_sel:DWORD
	s_mov_b64 s[4:5], 0
                                        ; implicit-def: $sgpr10
	s_and_saveexec_b64 s[8:9], s[6:7]
	s_xor_b64 s[6:7], exec, s[8:9]
	s_cbranch_execnz .LBB5_2489
; %bb.441:
	s_or_saveexec_b64 s[6:7], s[6:7]
	v_mov_b32_e32 v2, s10
	s_xor_b64 exec, exec, s[6:7]
	s_cbranch_execnz .LBB5_2492
.LBB5_442:
	s_or_b64 exec, exec, s[6:7]
	s_and_saveexec_b64 s[6:7], s[4:5]
	s_cbranch_execz .LBB5_444
.LBB5_443:
	v_bfe_u32 v2, v7, 24, 3
	v_ffbh_u32_e32 v14, v2
	v_min_u32_e32 v14, 32, v14
	v_lshrrev_b32_e32 v12, 27, v7
	v_subrev_u32_e32 v15, 28, v14
	v_and_b32_e32 v6, 0x80000000, v7
	v_and_b32_e32 v12, 15, v12
	v_bfe_u32 v13, v7, 27, 4
	v_lshlrev_b32_sdwa v7, v15, v7 dst_sel:DWORD dst_unused:UNUSED_PAD src0_sel:DWORD src1_sel:BYTE_3
	v_sub_u32_e32 v14, 29, v14
	v_and_b32_e32 v7, 7, v7
	v_cmp_eq_u16_e32 vcc, 0, v12
	v_cndmask_b32_e32 v2, v2, v7, vcc
	v_cndmask_b32_e32 v7, v13, v14, vcc
	v_mov_b32_e32 v12, 0x3b800000
	v_lshlrev_b32_e32 v2, 20, v2
	v_lshl_add_u32 v7, v7, 23, v12
	v_or3_b32 v2, v6, v7, v2
.LBB5_444:
	s_or_b64 exec, exec, s[6:7]
	s_movk_i32 s4, 0x7f
	v_cmp_gt_i16_sdwa s[6:7], v3, s4 src0_sel:BYTE_3 src1_sel:DWORD
	s_mov_b64 s[4:5], 0
                                        ; implicit-def: $sgpr10
	s_and_saveexec_b64 s[8:9], s[6:7]
	s_xor_b64 s[6:7], exec, s[8:9]
	s_cbranch_execnz .LBB5_2493
; %bb.445:
	s_or_saveexec_b64 s[6:7], s[6:7]
	v_mov_b32_e32 v6, s10
	s_xor_b64 exec, exec, s[6:7]
	s_cbranch_execnz .LBB5_2496
.LBB5_446:
	s_or_b64 exec, exec, s[6:7]
	s_and_saveexec_b64 s[6:7], s[4:5]
	s_cbranch_execz .LBB5_448
.LBB5_447:
	v_bfe_u32 v6, v3, 24, 3
	v_ffbh_u32_e32 v14, v6
	v_min_u32_e32 v14, 32, v14
	v_lshrrev_b32_e32 v12, 27, v3
	v_subrev_u32_e32 v15, 28, v14
	v_and_b32_e32 v7, 0x80000000, v3
	v_and_b32_e32 v12, 15, v12
	v_bfe_u32 v13, v3, 27, 4
	v_lshlrev_b32_sdwa v3, v15, v3 dst_sel:DWORD dst_unused:UNUSED_PAD src0_sel:DWORD src1_sel:BYTE_3
	v_sub_u32_e32 v14, 29, v14
	v_and_b32_e32 v3, 7, v3
	v_cmp_eq_u16_e32 vcc, 0, v12
	v_cndmask_b32_e32 v3, v6, v3, vcc
	v_cndmask_b32_e32 v6, v13, v14, vcc
	v_mov_b32_e32 v12, 0x3b800000
	v_lshlrev_b32_e32 v3, 20, v3
	v_lshl_add_u32 v6, v6, 23, v12
	v_or3_b32 v6, v7, v6, v3
.LBB5_448:
	s_or_b64 exec, exec, s[6:7]
	s_nop 0
	v_mfma_f32_16x16x4f32 a[0:3], v2, v6, a[0:3]
	s_movk_i32 s4, 0x7f
	v_cmp_gt_i16_sdwa s[6:7], v8, s4 src0_sel:BYTE_0 src1_sel:DWORD
	s_mov_b64 s[4:5], 0
                                        ; implicit-def: $sgpr10
	s_and_saveexec_b64 s[8:9], s[6:7]
	s_xor_b64 s[6:7], exec, s[8:9]
	s_cbranch_execnz .LBB5_2497
; %bb.449:
	s_or_saveexec_b64 s[6:7], s[6:7]
	v_mov_b32_e32 v2, s10
	s_xor_b64 exec, exec, s[6:7]
	s_cbranch_execnz .LBB5_2500
.LBB5_450:
	s_or_b64 exec, exec, s[6:7]
	s_and_saveexec_b64 s[6:7], s[4:5]
	s_cbranch_execz .LBB5_452
.LBB5_451:
	v_and_b32_e32 v2, 7, v8
	v_ffbh_u32_e32 v6, v2
	v_min_u32_e32 v6, 32, v6
	v_lshrrev_b16_e32 v3, 3, v8
	v_subrev_u32_e32 v7, 28, v6
	v_and_b32_e32 v3, 15, v3
	v_lshlrev_b32_e32 v7, v7, v8
	v_sub_u32_e32 v6, 29, v6
	v_and_b32_e32 v7, 7, v7
	v_cmp_eq_u16_e32 vcc, 0, v3
	v_cndmask_b32_e32 v2, v2, v7, vcc
	v_cndmask_b32_e32 v3, v3, v6, vcc
	v_lshlrev_b32_e32 v6, 24, v8
	v_mov_b32_e32 v7, 0x3b800000
	v_lshlrev_b32_e32 v2, 20, v2
	v_and_b32_e32 v6, 0x80000000, v6
	v_lshl_add_u32 v3, v3, 23, v7
	v_or3_b32 v2, v6, v3, v2
.LBB5_452:
	s_or_b64 exec, exec, s[6:7]
	s_movk_i32 s4, 0x7f
	v_cmp_gt_i16_sdwa s[6:7], v4, s4 src0_sel:BYTE_0 src1_sel:DWORD
	s_mov_b64 s[4:5], 0
                                        ; implicit-def: $sgpr10
	s_and_saveexec_b64 s[8:9], s[6:7]
	s_xor_b64 s[6:7], exec, s[8:9]
	s_cbranch_execnz .LBB5_2501
; %bb.453:
	s_or_saveexec_b64 s[6:7], s[6:7]
	v_mov_b32_e32 v3, s10
	s_xor_b64 exec, exec, s[6:7]
	s_cbranch_execnz .LBB5_2504
.LBB5_454:
	s_or_b64 exec, exec, s[6:7]
	s_and_saveexec_b64 s[6:7], s[4:5]
	s_cbranch_execz .LBB5_456
.LBB5_455:
	v_and_b32_e32 v3, 7, v4
	v_ffbh_u32_e32 v7, v3
	v_min_u32_e32 v7, 32, v7
	v_lshrrev_b16_e32 v6, 3, v4
	v_subrev_u32_e32 v12, 28, v7
	v_and_b32_e32 v6, 15, v6
	v_lshlrev_b32_e32 v12, v12, v4
	v_sub_u32_e32 v7, 29, v7
	v_and_b32_e32 v12, 7, v12
	v_cmp_eq_u16_e32 vcc, 0, v6
	v_cndmask_b32_e32 v3, v3, v12, vcc
	v_cndmask_b32_e32 v6, v6, v7, vcc
	v_lshlrev_b32_e32 v7, 24, v4
	v_mov_b32_e32 v12, 0x3b800000
	v_lshlrev_b32_e32 v3, 20, v3
	v_and_b32_e32 v7, 0x80000000, v7
	v_lshl_add_u32 v6, v6, 23, v12
	v_or3_b32 v3, v7, v6, v3
.LBB5_456:
	s_or_b64 exec, exec, s[6:7]
	s_nop 0
	v_mfma_f32_16x16x4f32 a[0:3], v2, v3, a[0:3]
	v_lshrrev_b32_e32 v3, 8, v8
	s_movk_i32 s4, 0x7f
	v_cmp_gt_i16_sdwa s[6:7], v3, s4 src0_sel:BYTE_0 src1_sel:DWORD
	s_mov_b64 s[4:5], 0
                                        ; implicit-def: $sgpr10
	s_and_saveexec_b64 s[8:9], s[6:7]
	s_xor_b64 s[6:7], exec, s[8:9]
	s_cbranch_execnz .LBB5_2505
; %bb.457:
	s_or_saveexec_b64 s[6:7], s[6:7]
	v_mov_b32_e32 v2, s10
	s_xor_b64 exec, exec, s[6:7]
	s_cbranch_execnz .LBB5_2508
.LBB5_458:
	s_or_b64 exec, exec, s[6:7]
	s_and_saveexec_b64 s[6:7], s[4:5]
	s_cbranch_execz .LBB5_460
.LBB5_459:
	v_bfe_u32 v2, v8, 8, 3
	v_ffbh_u32_e32 v7, v2
	v_min_u32_e32 v7, 32, v7
	v_lshrrev_b16_e32 v6, 3, v3
	v_subrev_u32_e32 v12, 28, v7
	v_and_b32_e32 v6, 15, v6
	v_lshlrev_b32_e32 v3, v12, v3
	v_sub_u32_e32 v7, 29, v7
	v_and_b32_e32 v3, 7, v3
	v_cmp_eq_u16_e32 vcc, 0, v6
	v_cndmask_b32_e32 v2, v2, v3, vcc
	v_cndmask_b32_e32 v3, v6, v7, vcc
	v_lshlrev_b32_e32 v6, 16, v8
	v_mov_b32_e32 v7, 0x3b800000
	v_lshlrev_b32_e32 v2, 20, v2
	v_and_b32_e32 v6, 0x80000000, v6
	v_lshl_add_u32 v3, v3, 23, v7
	v_or3_b32 v2, v6, v3, v2
.LBB5_460:
	s_or_b64 exec, exec, s[6:7]
	v_lshrrev_b32_e32 v3, 8, v4
	s_movk_i32 s4, 0x7f
	v_cmp_gt_i16_sdwa s[6:7], v3, s4 src0_sel:BYTE_0 src1_sel:DWORD
	s_mov_b64 s[4:5], 0
                                        ; implicit-def: $sgpr10
	s_and_saveexec_b64 s[8:9], s[6:7]
	s_xor_b64 s[6:7], exec, s[8:9]
	s_cbranch_execnz .LBB5_2509
; %bb.461:
	s_or_saveexec_b64 s[6:7], s[6:7]
	v_mov_b32_e32 v6, s10
	s_xor_b64 exec, exec, s[6:7]
	s_cbranch_execnz .LBB5_2512
.LBB5_462:
	s_or_b64 exec, exec, s[6:7]
	s_and_saveexec_b64 s[6:7], s[4:5]
	s_cbranch_execz .LBB5_464
.LBB5_463:
	v_bfe_u32 v6, v4, 8, 3
	v_ffbh_u32_e32 v12, v6
	v_min_u32_e32 v12, 32, v12
	v_lshrrev_b16_e32 v7, 3, v3
	v_subrev_u32_e32 v13, 28, v12
	v_and_b32_e32 v7, 15, v7
	v_lshlrev_b32_e32 v3, v13, v3
	v_sub_u32_e32 v12, 29, v12
	v_and_b32_e32 v3, 7, v3
	v_cmp_eq_u16_e32 vcc, 0, v7
	v_cndmask_b32_e32 v3, v6, v3, vcc
	v_cndmask_b32_e32 v6, v7, v12, vcc
	v_lshlrev_b32_e32 v7, 16, v4
	v_mov_b32_e32 v12, 0x3b800000
	v_lshlrev_b32_e32 v3, 20, v3
	v_and_b32_e32 v7, 0x80000000, v7
	v_lshl_add_u32 v6, v6, 23, v12
	v_or3_b32 v6, v7, v6, v3
.LBB5_464:
	s_or_b64 exec, exec, s[6:7]
	s_nop 0
	v_mfma_f32_16x16x4f32 a[0:3], v2, v6, a[0:3]
	s_movk_i32 s4, 0xff
	v_and_b32_sdwa v3, v8, s4 dst_sel:DWORD dst_unused:UNUSED_PAD src0_sel:WORD_1 src1_sel:DWORD
	s_movk_i32 s4, 0x7f
	v_cmp_lt_i16_e32 vcc, s4, v3
	s_mov_b64 s[4:5], 0
                                        ; implicit-def: $sgpr10
	s_and_saveexec_b64 s[6:7], vcc
	s_xor_b64 s[6:7], exec, s[6:7]
	s_cbranch_execnz .LBB5_2513
; %bb.465:
	s_or_saveexec_b64 s[6:7], s[6:7]
	v_mov_b32_e32 v2, s10
	s_xor_b64 exec, exec, s[6:7]
	s_cbranch_execnz .LBB5_2516
.LBB5_466:
	s_or_b64 exec, exec, s[6:7]
	s_and_saveexec_b64 s[6:7], s[4:5]
	s_cbranch_execz .LBB5_468
.LBB5_467:
	v_bfe_u32 v2, v8, 16, 3
	v_ffbh_u32_e32 v7, v2
	v_min_u32_e32 v7, 32, v7
	v_lshrrev_b32_e32 v3, 19, v8
	v_subrev_u32_e32 v12, 28, v7
	v_and_b32_e32 v3, 15, v3
	v_lshlrev_b32_sdwa v12, v12, v8 dst_sel:DWORD dst_unused:UNUSED_PAD src0_sel:DWORD src1_sel:WORD_1
	v_bfe_u32 v6, v8, 19, 4
	v_sub_u32_e32 v7, 29, v7
	v_and_b32_e32 v12, 7, v12
	v_cmp_eq_u16_e32 vcc, 0, v3
	v_cndmask_b32_e32 v2, v2, v12, vcc
	v_cndmask_b32_e32 v3, v6, v7, vcc
	v_lshlrev_b32_e32 v6, 8, v8
	v_mov_b32_e32 v7, 0x3b800000
	v_lshlrev_b32_e32 v2, 20, v2
	v_and_b32_e32 v6, 0x80000000, v6
	v_lshl_add_u32 v3, v3, 23, v7
	v_or3_b32 v2, v6, v3, v2
.LBB5_468:
	s_or_b64 exec, exec, s[6:7]
	s_movk_i32 s4, 0xff
	v_and_b32_sdwa v3, v4, s4 dst_sel:DWORD dst_unused:UNUSED_PAD src0_sel:WORD_1 src1_sel:DWORD
	s_movk_i32 s4, 0x7f
	v_cmp_lt_i16_e32 vcc, s4, v3
	s_mov_b64 s[4:5], 0
                                        ; implicit-def: $sgpr10
	s_and_saveexec_b64 s[6:7], vcc
	s_xor_b64 s[6:7], exec, s[6:7]
	s_cbranch_execnz .LBB5_2517
; %bb.469:
	s_or_saveexec_b64 s[6:7], s[6:7]
	v_mov_b32_e32 v6, s10
	s_xor_b64 exec, exec, s[6:7]
	s_cbranch_execnz .LBB5_2520
.LBB5_470:
	s_or_b64 exec, exec, s[6:7]
	s_and_saveexec_b64 s[6:7], s[4:5]
	s_cbranch_execz .LBB5_472
.LBB5_471:
	v_bfe_u32 v3, v4, 16, 3
	v_ffbh_u32_e32 v12, v3
	v_min_u32_e32 v12, 32, v12
	v_lshrrev_b32_e32 v6, 19, v4
	v_subrev_u32_e32 v13, 28, v12
	v_and_b32_e32 v6, 15, v6
	v_lshlrev_b32_sdwa v13, v13, v4 dst_sel:DWORD dst_unused:UNUSED_PAD src0_sel:DWORD src1_sel:WORD_1
	v_bfe_u32 v7, v4, 19, 4
	v_sub_u32_e32 v12, 29, v12
	v_and_b32_e32 v13, 7, v13
	v_cmp_eq_u16_e32 vcc, 0, v6
	v_cndmask_b32_e32 v3, v3, v13, vcc
	v_cndmask_b32_e32 v6, v7, v12, vcc
	v_lshlrev_b32_e32 v7, 8, v4
	v_mov_b32_e32 v12, 0x3b800000
	v_lshlrev_b32_e32 v3, 20, v3
	v_and_b32_e32 v7, 0x80000000, v7
	v_lshl_add_u32 v6, v6, 23, v12
	v_or3_b32 v6, v7, v6, v3
.LBB5_472:
	s_or_b64 exec, exec, s[6:7]
	s_nop 0
	v_mfma_f32_16x16x4f32 a[0:3], v2, v6, a[0:3]
	s_movk_i32 s4, 0x7f
	v_cmp_gt_i16_sdwa s[6:7], v8, s4 src0_sel:BYTE_3 src1_sel:DWORD
	s_mov_b64 s[4:5], 0
                                        ; implicit-def: $sgpr10
	s_and_saveexec_b64 s[8:9], s[6:7]
	s_xor_b64 s[6:7], exec, s[8:9]
	s_cbranch_execnz .LBB5_2521
; %bb.473:
	s_or_saveexec_b64 s[6:7], s[6:7]
	v_mov_b32_e32 v2, s10
	s_xor_b64 exec, exec, s[6:7]
	s_cbranch_execnz .LBB5_2524
.LBB5_474:
	s_or_b64 exec, exec, s[6:7]
	s_and_saveexec_b64 s[6:7], s[4:5]
	s_cbranch_execz .LBB5_476
.LBB5_475:
	v_bfe_u32 v2, v8, 24, 3
	v_ffbh_u32_e32 v12, v2
	v_min_u32_e32 v12, 32, v12
	v_lshrrev_b32_e32 v6, 27, v8
	v_subrev_u32_e32 v13, 28, v12
	v_and_b32_e32 v3, 0x80000000, v8
	v_and_b32_e32 v6, 15, v6
	v_bfe_u32 v7, v8, 27, 4
	v_lshlrev_b32_sdwa v8, v13, v8 dst_sel:DWORD dst_unused:UNUSED_PAD src0_sel:DWORD src1_sel:BYTE_3
	v_sub_u32_e32 v12, 29, v12
	v_and_b32_e32 v8, 7, v8
	v_cmp_eq_u16_e32 vcc, 0, v6
	v_cndmask_b32_e32 v2, v2, v8, vcc
	v_cndmask_b32_e32 v6, v7, v12, vcc
	v_mov_b32_e32 v7, 0x3b800000
	v_lshlrev_b32_e32 v2, 20, v2
	v_lshl_add_u32 v6, v6, 23, v7
	v_or3_b32 v2, v3, v6, v2
.LBB5_476:
	s_or_b64 exec, exec, s[6:7]
	s_movk_i32 s4, 0x7f
	v_cmp_gt_i16_sdwa s[6:7], v4, s4 src0_sel:BYTE_3 src1_sel:DWORD
	s_mov_b64 s[4:5], 0
                                        ; implicit-def: $sgpr10
	s_and_saveexec_b64 s[8:9], s[6:7]
	s_xor_b64 s[6:7], exec, s[8:9]
	s_cbranch_execnz .LBB5_2525
; %bb.477:
	s_or_saveexec_b64 s[6:7], s[6:7]
	v_mov_b32_e32 v3, s10
	s_xor_b64 exec, exec, s[6:7]
	s_cbranch_execnz .LBB5_2528
.LBB5_478:
	s_or_b64 exec, exec, s[6:7]
	s_and_saveexec_b64 s[6:7], s[4:5]
	s_cbranch_execz .LBB5_480
.LBB5_479:
	v_bfe_u32 v3, v4, 24, 3
	v_ffbh_u32_e32 v12, v3
	v_min_u32_e32 v12, 32, v12
	v_lshrrev_b32_e32 v7, 27, v4
	v_subrev_u32_e32 v13, 28, v12
	v_and_b32_e32 v6, 0x80000000, v4
	v_and_b32_e32 v7, 15, v7
	v_bfe_u32 v8, v4, 27, 4
	v_lshlrev_b32_sdwa v4, v13, v4 dst_sel:DWORD dst_unused:UNUSED_PAD src0_sel:DWORD src1_sel:BYTE_3
	v_sub_u32_e32 v12, 29, v12
	v_and_b32_e32 v4, 7, v4
	v_cmp_eq_u16_e32 vcc, 0, v7
	v_cndmask_b32_e32 v3, v3, v4, vcc
	v_cndmask_b32_e32 v4, v8, v12, vcc
	v_mov_b32_e32 v7, 0x3b800000
	v_lshlrev_b32_e32 v3, 20, v3
	v_lshl_add_u32 v4, v4, 23, v7
	v_or3_b32 v3, v6, v4, v3
.LBB5_480:
	s_or_b64 exec, exec, s[6:7]
	s_nop 0
	v_mfma_f32_16x16x4f32 a[0:3], v2, v3, a[0:3]
	s_movk_i32 s4, 0x7f
	v_cmp_gt_i16_sdwa s[6:7], v9, s4 src0_sel:BYTE_0 src1_sel:DWORD
	s_mov_b64 s[4:5], 0
                                        ; implicit-def: $sgpr10
	s_and_saveexec_b64 s[8:9], s[6:7]
	s_xor_b64 s[6:7], exec, s[8:9]
	s_cbranch_execnz .LBB5_2529
; %bb.481:
	s_or_saveexec_b64 s[6:7], s[6:7]
	v_mov_b32_e32 v2, s10
	s_xor_b64 exec, exec, s[6:7]
	s_cbranch_execnz .LBB5_2532
.LBB5_482:
	s_or_b64 exec, exec, s[6:7]
	s_and_saveexec_b64 s[6:7], s[4:5]
	s_cbranch_execz .LBB5_484
.LBB5_483:
	v_mov_b32_e32 v2, 8
	v_and_b32_e32 v3, 7, v9
	v_lshrrev_b32_sdwa v2, v2, v9 dst_sel:BYTE_1 dst_unused:UNUSED_PAD src0_sel:DWORD src1_sel:DWORD
	v_ffbh_u32_e32 v4, v3
	v_or_b32_sdwa v2, v9, v2 dst_sel:DWORD dst_unused:UNUSED_PAD src0_sel:BYTE_0 src1_sel:DWORD
	v_min_u32_e32 v4, 32, v4
	v_lshrrev_b16_e32 v2, 3, v2
	v_subrev_u32_e32 v6, 28, v4
	v_and_b32_e32 v2, 15, v2
	v_lshlrev_b32_e32 v6, v6, v9
	v_sub_u32_e32 v4, 29, v4
	v_and_b32_e32 v6, 7, v6
	v_cmp_eq_u16_e32 vcc, 0, v2
	v_cndmask_b32_e32 v3, v3, v6, vcc
	v_cndmask_b32_e32 v2, v2, v4, vcc
	v_lshlrev_b32_e32 v4, 24, v9
	v_mov_b32_e32 v6, 0x3b800000
	v_lshlrev_b32_e32 v3, 20, v3
	v_and_b32_e32 v4, 0x80000000, v4
	v_lshl_add_u32 v2, v2, 23, v6
	v_or3_b32 v2, v4, v2, v3
.LBB5_484:
	s_or_b64 exec, exec, s[6:7]
	s_movk_i32 s4, 0x7f
	v_cmp_gt_i16_sdwa s[6:7], v5, s4 src0_sel:BYTE_0 src1_sel:DWORD
	s_mov_b64 s[4:5], 0
                                        ; implicit-def: $sgpr10
	s_and_saveexec_b64 s[8:9], s[6:7]
	s_xor_b64 s[6:7], exec, s[8:9]
	s_cbranch_execnz .LBB5_2533
; %bb.485:
	s_or_saveexec_b64 s[6:7], s[6:7]
	v_mov_b32_e32 v3, s10
	s_xor_b64 exec, exec, s[6:7]
	s_cbranch_execnz .LBB5_2536
.LBB5_486:
	s_or_b64 exec, exec, s[6:7]
	s_and_saveexec_b64 s[6:7], s[4:5]
	s_cbranch_execz .LBB5_488
.LBB5_487:
	v_mov_b32_e32 v3, 8
	v_and_b32_e32 v4, 7, v5
	v_lshrrev_b32_sdwa v3, v3, v5 dst_sel:BYTE_1 dst_unused:UNUSED_PAD src0_sel:DWORD src1_sel:DWORD
	v_ffbh_u32_e32 v6, v4
	v_or_b32_sdwa v3, v5, v3 dst_sel:DWORD dst_unused:UNUSED_PAD src0_sel:BYTE_0 src1_sel:DWORD
	v_min_u32_e32 v6, 32, v6
	v_lshrrev_b16_e32 v3, 3, v3
	v_subrev_u32_e32 v7, 28, v6
	v_and_b32_e32 v3, 15, v3
	v_lshlrev_b32_e32 v7, v7, v5
	v_sub_u32_e32 v6, 29, v6
	v_and_b32_e32 v7, 7, v7
	v_cmp_eq_u16_e32 vcc, 0, v3
	v_cndmask_b32_e32 v4, v4, v7, vcc
	v_cndmask_b32_e32 v3, v3, v6, vcc
	v_lshlrev_b32_e32 v6, 24, v5
	v_mov_b32_e32 v7, 0x3b800000
	v_lshlrev_b32_e32 v4, 20, v4
	v_and_b32_e32 v6, 0x80000000, v6
	v_lshl_add_u32 v3, v3, 23, v7
	v_or3_b32 v3, v6, v3, v4
.LBB5_488:
	s_or_b64 exec, exec, s[6:7]
	s_nop 0
	v_mfma_f32_16x16x4f32 a[0:3], v2, v3, a[0:3]
	v_lshrrev_b32_e32 v3, 8, v9
	s_movk_i32 s4, 0x7f
	v_cmp_gt_i16_sdwa s[6:7], v3, s4 src0_sel:BYTE_0 src1_sel:DWORD
	s_mov_b64 s[4:5], 0
                                        ; implicit-def: $sgpr10
	s_and_saveexec_b64 s[8:9], s[6:7]
	s_xor_b64 s[6:7], exec, s[8:9]
	s_cbranch_execnz .LBB5_2537
; %bb.489:
	s_or_saveexec_b64 s[6:7], s[6:7]
	v_mov_b32_e32 v2, s10
	s_xor_b64 exec, exec, s[6:7]
	s_cbranch_execnz .LBB5_2540
.LBB5_490:
	s_or_b64 exec, exec, s[6:7]
	s_and_saveexec_b64 s[6:7], s[4:5]
	s_cbranch_execz .LBB5_492
.LBB5_491:
	v_bfe_u32 v2, v9, 8, 3
	v_ffbh_u32_e32 v6, v2
	v_min_u32_e32 v6, 32, v6
	v_lshrrev_b16_e32 v4, 3, v3
	v_subrev_u32_e32 v7, 28, v6
	v_and_b32_e32 v4, 15, v4
	v_lshlrev_b32_e32 v3, v7, v3
	v_sub_u32_e32 v6, 29, v6
	v_and_b32_e32 v3, 7, v3
	v_cmp_eq_u16_e32 vcc, 0, v4
	v_cndmask_b32_e32 v2, v2, v3, vcc
	v_cndmask_b32_e32 v3, v4, v6, vcc
	v_lshlrev_b32_e32 v4, 16, v9
	v_mov_b32_e32 v6, 0x3b800000
	v_lshlrev_b32_e32 v2, 20, v2
	v_and_b32_e32 v4, 0x80000000, v4
	v_lshl_add_u32 v3, v3, 23, v6
	v_or3_b32 v2, v4, v3, v2
.LBB5_492:
	s_or_b64 exec, exec, s[6:7]
	v_lshrrev_b32_e32 v3, 8, v5
	s_movk_i32 s4, 0x7f
	v_cmp_gt_i16_sdwa s[6:7], v3, s4 src0_sel:BYTE_0 src1_sel:DWORD
	s_mov_b64 s[4:5], 0
                                        ; implicit-def: $sgpr10
	s_and_saveexec_b64 s[8:9], s[6:7]
	s_xor_b64 s[6:7], exec, s[8:9]
	s_cbranch_execnz .LBB5_2541
; %bb.493:
	s_or_saveexec_b64 s[6:7], s[6:7]
	v_mov_b32_e32 v4, s10
	s_xor_b64 exec, exec, s[6:7]
	s_cbranch_execnz .LBB5_2544
.LBB5_494:
	s_or_b64 exec, exec, s[6:7]
	s_and_saveexec_b64 s[6:7], s[4:5]
	s_cbranch_execz .LBB5_496
.LBB5_495:
	v_bfe_u32 v4, v5, 8, 3
	v_ffbh_u32_e32 v7, v4
	v_min_u32_e32 v7, 32, v7
	v_lshrrev_b16_e32 v6, 3, v3
	v_subrev_u32_e32 v8, 28, v7
	v_and_b32_e32 v6, 15, v6
	v_lshlrev_b32_e32 v3, v8, v3
	v_sub_u32_e32 v7, 29, v7
	v_and_b32_e32 v3, 7, v3
	v_cmp_eq_u16_e32 vcc, 0, v6
	v_cndmask_b32_e32 v3, v4, v3, vcc
	v_cndmask_b32_e32 v4, v6, v7, vcc
	v_lshlrev_b32_e32 v6, 16, v5
	v_mov_b32_e32 v7, 0x3b800000
	v_lshlrev_b32_e32 v3, 20, v3
	v_and_b32_e32 v6, 0x80000000, v6
	v_lshl_add_u32 v4, v4, 23, v7
	v_or3_b32 v4, v6, v4, v3
.LBB5_496:
	s_or_b64 exec, exec, s[6:7]
	s_nop 0
	v_mfma_f32_16x16x4f32 a[0:3], v2, v4, a[0:3]
	s_movk_i32 s4, 0xff
	v_and_b32_sdwa v3, v9, s4 dst_sel:DWORD dst_unused:UNUSED_PAD src0_sel:WORD_1 src1_sel:DWORD
	s_movk_i32 s4, 0x7f
	v_cmp_lt_i16_e32 vcc, s4, v3
	s_mov_b64 s[4:5], 0
                                        ; implicit-def: $sgpr10
	s_and_saveexec_b64 s[6:7], vcc
	s_xor_b64 s[6:7], exec, s[6:7]
	s_cbranch_execnz .LBB5_2545
; %bb.497:
	s_or_saveexec_b64 s[6:7], s[6:7]
	v_mov_b32_e32 v2, s10
	s_xor_b64 exec, exec, s[6:7]
	s_cbranch_execnz .LBB5_2548
.LBB5_498:
	s_or_b64 exec, exec, s[6:7]
	s_and_saveexec_b64 s[6:7], s[4:5]
	s_cbranch_execz .LBB5_500
.LBB5_499:
	v_bfe_u32 v2, v9, 16, 3
	v_ffbh_u32_e32 v6, v2
	v_min_u32_e32 v6, 32, v6
	v_lshrrev_b32_e32 v3, 19, v9
	v_subrev_u32_e32 v7, 28, v6
	v_and_b32_e32 v3, 15, v3
	v_lshlrev_b32_sdwa v7, v7, v9 dst_sel:DWORD dst_unused:UNUSED_PAD src0_sel:DWORD src1_sel:WORD_1
	v_bfe_u32 v4, v9, 19, 4
	v_sub_u32_e32 v6, 29, v6
	v_and_b32_e32 v7, 7, v7
	v_cmp_eq_u16_e32 vcc, 0, v3
	v_cndmask_b32_e32 v2, v2, v7, vcc
	v_cndmask_b32_e32 v3, v4, v6, vcc
	v_lshlrev_b32_e32 v4, 8, v9
	v_mov_b32_e32 v6, 0x3b800000
	v_lshlrev_b32_e32 v2, 20, v2
	v_and_b32_e32 v4, 0x80000000, v4
	v_lshl_add_u32 v3, v3, 23, v6
	v_or3_b32 v2, v4, v3, v2
.LBB5_500:
	s_or_b64 exec, exec, s[6:7]
	s_movk_i32 s4, 0xff
	v_and_b32_sdwa v3, v5, s4 dst_sel:DWORD dst_unused:UNUSED_PAD src0_sel:WORD_1 src1_sel:DWORD
	s_movk_i32 s4, 0x7f
	v_cmp_lt_i16_e32 vcc, s4, v3
	s_mov_b64 s[4:5], 0
                                        ; implicit-def: $sgpr10
	s_and_saveexec_b64 s[6:7], vcc
	s_xor_b64 s[6:7], exec, s[6:7]
	s_cbranch_execnz .LBB5_2549
; %bb.501:
	s_or_saveexec_b64 s[6:7], s[6:7]
	v_mov_b32_e32 v4, s10
	s_xor_b64 exec, exec, s[6:7]
	s_cbranch_execnz .LBB5_2552
.LBB5_502:
	s_or_b64 exec, exec, s[6:7]
	s_and_saveexec_b64 s[6:7], s[4:5]
	s_cbranch_execz .LBB5_504
.LBB5_503:
	v_bfe_u32 v3, v5, 16, 3
	v_ffbh_u32_e32 v7, v3
	v_min_u32_e32 v7, 32, v7
	v_lshrrev_b32_e32 v4, 19, v5
	v_subrev_u32_e32 v8, 28, v7
	v_and_b32_e32 v4, 15, v4
	v_lshlrev_b32_sdwa v8, v8, v5 dst_sel:DWORD dst_unused:UNUSED_PAD src0_sel:DWORD src1_sel:WORD_1
	v_bfe_u32 v6, v5, 19, 4
	v_sub_u32_e32 v7, 29, v7
	v_and_b32_e32 v8, 7, v8
	v_cmp_eq_u16_e32 vcc, 0, v4
	v_cndmask_b32_e32 v3, v3, v8, vcc
	v_cndmask_b32_e32 v4, v6, v7, vcc
	v_lshlrev_b32_e32 v6, 8, v5
	v_mov_b32_e32 v7, 0x3b800000
	v_lshlrev_b32_e32 v3, 20, v3
	v_and_b32_e32 v6, 0x80000000, v6
	v_lshl_add_u32 v4, v4, 23, v7
	v_or3_b32 v4, v6, v4, v3
.LBB5_504:
	s_or_b64 exec, exec, s[6:7]
	s_nop 0
	v_mfma_f32_16x16x4f32 a[0:3], v2, v4, a[0:3]
	s_movk_i32 s4, 0x7f
	v_cmp_gt_i16_sdwa s[6:7], v9, s4 src0_sel:BYTE_3 src1_sel:DWORD
	s_mov_b64 s[4:5], 0
                                        ; implicit-def: $sgpr10
	s_and_saveexec_b64 s[8:9], s[6:7]
	s_xor_b64 s[6:7], exec, s[8:9]
	s_cbranch_execnz .LBB5_2553
; %bb.505:
	s_or_saveexec_b64 s[6:7], s[6:7]
	v_mov_b32_e32 v2, s10
	s_xor_b64 exec, exec, s[6:7]
	s_cbranch_execnz .LBB5_2556
.LBB5_506:
	s_or_b64 exec, exec, s[6:7]
	s_and_saveexec_b64 s[6:7], s[4:5]
	s_cbranch_execz .LBB5_508
.LBB5_507:
	v_bfe_u32 v2, v9, 24, 3
	v_ffbh_u32_e32 v7, v2
	v_min_u32_e32 v7, 32, v7
	v_lshrrev_b32_e32 v4, 27, v9
	v_subrev_u32_e32 v8, 28, v7
	v_and_b32_e32 v4, 15, v4
	v_lshlrev_b32_sdwa v8, v8, v9 dst_sel:DWORD dst_unused:UNUSED_PAD src0_sel:DWORD src1_sel:BYTE_3
	v_bfe_u32 v6, v9, 27, 4
	v_sub_u32_e32 v7, 29, v7
	v_and_b32_e32 v8, 7, v8
	v_cmp_eq_u16_e32 vcc, 0, v4
	v_cndmask_b32_e32 v2, v2, v8, vcc
	v_cndmask_b32_e32 v4, v6, v7, vcc
	v_mov_b32_e32 v6, 0x3b800000
	v_and_b32_e32 v3, 0x80000000, v9
	v_lshlrev_b32_e32 v2, 20, v2
	v_lshl_add_u32 v4, v4, 23, v6
	v_or3_b32 v2, v3, v4, v2
.LBB5_508:
	s_or_b64 exec, exec, s[6:7]
	s_movk_i32 s4, 0x7f
	v_cmp_gt_i16_sdwa s[6:7], v5, s4 src0_sel:BYTE_3 src1_sel:DWORD
	s_mov_b64 s[4:5], 0
                                        ; implicit-def: $sgpr10
	s_and_saveexec_b64 s[8:9], s[6:7]
	s_xor_b64 s[6:7], exec, s[8:9]
	s_cbranch_execnz .LBB5_2557
; %bb.509:
	s_or_saveexec_b64 s[6:7], s[6:7]
	v_mov_b32_e32 v3, s10
	s_xor_b64 exec, exec, s[6:7]
	s_cbranch_execnz .LBB5_2560
.LBB5_510:
	s_or_b64 exec, exec, s[6:7]
	s_and_saveexec_b64 s[6:7], s[4:5]
	s_cbranch_execz .LBB5_512
.LBB5_511:
	v_bfe_u32 v3, v5, 24, 3
	v_ffbh_u32_e32 v8, v3
	v_min_u32_e32 v8, 32, v8
	v_lshrrev_b32_e32 v6, 27, v5
	v_subrev_u32_e32 v9, 28, v8
	v_and_b32_e32 v4, 0x80000000, v5
	v_and_b32_e32 v6, 15, v6
	v_bfe_u32 v7, v5, 27, 4
	v_lshlrev_b32_sdwa v5, v9, v5 dst_sel:DWORD dst_unused:UNUSED_PAD src0_sel:DWORD src1_sel:BYTE_3
	v_sub_u32_e32 v8, 29, v8
	v_and_b32_e32 v5, 7, v5
	v_cmp_eq_u16_e32 vcc, 0, v6
	v_cndmask_b32_e32 v3, v3, v5, vcc
	v_cndmask_b32_e32 v5, v7, v8, vcc
	v_mov_b32_e32 v6, 0x3b800000
	v_lshlrev_b32_e32 v3, 20, v3
	v_lshl_add_u32 v5, v5, 23, v6
	v_or3_b32 v3, v4, v5, v3
.LBB5_512:
	s_or_b64 exec, exec, s[6:7]
	s_nop 0
	v_mfma_f32_16x16x4f32 a[0:3], v2, v3, a[0:3]
	s_movk_i32 s4, 0x7f
                                        ; implicit-def: $sgpr10
	s_nop 7
	s_nop 1
	flat_store_dwordx4 v[10:11], a[0:3] offset:48
	flat_load_dwordx4 v[12:15], v[0:1] offset:8
	s_nop 0
	flat_load_dwordx2 v[10:11], v[0:1] offset:32
	s_waitcnt vmcnt(0) lgkmcnt(0)
	flat_load_dwordx4 v[6:9], v[12:13] offset:32
	flat_load_dwordx4 v[2:5], v[14:15]
	s_waitcnt vmcnt(0) lgkmcnt(0)
	v_cmp_gt_i16_sdwa s[6:7], v6, s4 src0_sel:BYTE_0 src1_sel:DWORD
	s_mov_b64 s[4:5], 0
	s_and_saveexec_b64 s[8:9], s[6:7]
	s_xor_b64 s[6:7], exec, s[8:9]
	s_cbranch_execnz .LBB5_2561
; %bb.513:
	s_or_saveexec_b64 s[6:7], s[6:7]
	v_mov_b32_e32 v12, s10
	s_xor_b64 exec, exec, s[6:7]
	s_cbranch_execnz .LBB5_2564
.LBB5_514:
	s_or_b64 exec, exec, s[6:7]
	s_and_saveexec_b64 s[6:7], s[4:5]
	s_cbranch_execz .LBB5_516
.LBB5_515:
	v_and_b32_e32 v12, 7, v6
	v_ffbh_u32_e32 v14, v12
	v_min_u32_e32 v14, 32, v14
	v_lshrrev_b16_e32 v13, 3, v6
	v_subrev_u32_e32 v15, 28, v14
	v_and_b32_e32 v13, 15, v13
	v_lshlrev_b32_e32 v15, v15, v6
	v_sub_u32_e32 v14, 29, v14
	v_and_b32_e32 v15, 7, v15
	v_cmp_eq_u16_e32 vcc, 0, v13
	v_cndmask_b32_e32 v12, v12, v15, vcc
	v_cndmask_b32_e32 v13, v13, v14, vcc
	v_lshlrev_b32_e32 v14, 24, v6
	v_mov_b32_e32 v15, 0x3b800000
	v_lshlrev_b32_e32 v12, 20, v12
	v_and_b32_e32 v14, 0x80000000, v14
	v_lshl_add_u32 v13, v13, 23, v15
	v_or3_b32 v12, v14, v13, v12
.LBB5_516:
	s_or_b64 exec, exec, s[6:7]
	s_movk_i32 s4, 0x7f
	v_cmp_gt_i16_sdwa s[6:7], v2, s4 src0_sel:BYTE_0 src1_sel:DWORD
	s_mov_b64 s[4:5], 0
                                        ; implicit-def: $sgpr10
	s_and_saveexec_b64 s[8:9], s[6:7]
	s_xor_b64 s[6:7], exec, s[8:9]
	s_cbranch_execnz .LBB5_2565
; %bb.517:
	s_or_saveexec_b64 s[6:7], s[6:7]
	v_mov_b32_e32 v13, s10
	s_xor_b64 exec, exec, s[6:7]
	s_cbranch_execnz .LBB5_2568
.LBB5_518:
	s_or_b64 exec, exec, s[6:7]
	s_and_saveexec_b64 s[6:7], s[4:5]
	s_cbranch_execz .LBB5_520
.LBB5_519:
	v_and_b32_e32 v13, 7, v2
	v_ffbh_u32_e32 v15, v13
	v_min_u32_e32 v15, 32, v15
	v_lshrrev_b16_e32 v14, 3, v2
	v_subrev_u32_e32 v16, 28, v15
	v_and_b32_e32 v14, 15, v14
	v_lshlrev_b32_e32 v16, v16, v2
	v_sub_u32_e32 v15, 29, v15
	v_and_b32_e32 v16, 7, v16
	v_cmp_eq_u16_e32 vcc, 0, v14
	v_cndmask_b32_e32 v13, v13, v16, vcc
	v_cndmask_b32_e32 v14, v14, v15, vcc
	v_lshlrev_b32_e32 v15, 24, v2
	v_mov_b32_e32 v16, 0x3b800000
	v_lshlrev_b32_e32 v13, 20, v13
	v_and_b32_e32 v15, 0x80000000, v15
	v_lshl_add_u32 v14, v14, 23, v16
	v_or3_b32 v13, v15, v14, v13
.LBB5_520:
	s_or_b64 exec, exec, s[6:7]
	flat_load_dwordx4 a[0:3], v[10:11] offset:64
	s_movk_i32 s4, 0x7f
                                        ; implicit-def: $sgpr10
	s_waitcnt vmcnt(0) lgkmcnt(0)
	v_mfma_f32_16x16x4f32 a[0:3], v12, v13, a[0:3]
	v_lshrrev_b32_e32 v13, 8, v6
	v_cmp_gt_i16_sdwa s[6:7], v13, s4 src0_sel:BYTE_0 src1_sel:DWORD
	s_mov_b64 s[4:5], 0
	s_and_saveexec_b64 s[8:9], s[6:7]
	s_xor_b64 s[6:7], exec, s[8:9]
	s_cbranch_execnz .LBB5_2569
; %bb.521:
	s_or_saveexec_b64 s[6:7], s[6:7]
	v_mov_b32_e32 v12, s10
	s_xor_b64 exec, exec, s[6:7]
	s_cbranch_execnz .LBB5_2572
.LBB5_522:
	s_or_b64 exec, exec, s[6:7]
	s_and_saveexec_b64 s[6:7], s[4:5]
	s_cbranch_execz .LBB5_524
.LBB5_523:
	v_bfe_u32 v12, v6, 8, 3
	v_ffbh_u32_e32 v15, v12
	v_min_u32_e32 v15, 32, v15
	v_lshrrev_b16_e32 v14, 3, v13
	v_subrev_u32_e32 v16, 28, v15
	v_and_b32_e32 v14, 15, v14
	v_lshlrev_b32_e32 v13, v16, v13
	v_sub_u32_e32 v15, 29, v15
	v_and_b32_e32 v13, 7, v13
	v_cmp_eq_u16_e32 vcc, 0, v14
	v_cndmask_b32_e32 v12, v12, v13, vcc
	v_cndmask_b32_e32 v13, v14, v15, vcc
	v_lshlrev_b32_e32 v14, 16, v6
	v_mov_b32_e32 v15, 0x3b800000
	v_lshlrev_b32_e32 v12, 20, v12
	v_and_b32_e32 v14, 0x80000000, v14
	v_lshl_add_u32 v13, v13, 23, v15
	v_or3_b32 v12, v14, v13, v12
.LBB5_524:
	s_or_b64 exec, exec, s[6:7]
	v_lshrrev_b32_e32 v13, 8, v2
	s_movk_i32 s4, 0x7f
	v_cmp_gt_i16_sdwa s[6:7], v13, s4 src0_sel:BYTE_0 src1_sel:DWORD
	s_mov_b64 s[4:5], 0
                                        ; implicit-def: $sgpr10
	s_and_saveexec_b64 s[8:9], s[6:7]
	s_xor_b64 s[6:7], exec, s[8:9]
	s_cbranch_execnz .LBB5_2573
; %bb.525:
	s_or_saveexec_b64 s[6:7], s[6:7]
	v_mov_b32_e32 v14, s10
	s_xor_b64 exec, exec, s[6:7]
	s_cbranch_execnz .LBB5_2576
.LBB5_526:
	s_or_b64 exec, exec, s[6:7]
	s_and_saveexec_b64 s[6:7], s[4:5]
	s_cbranch_execz .LBB5_528
.LBB5_527:
	v_bfe_u32 v14, v2, 8, 3
	v_ffbh_u32_e32 v16, v14
	v_min_u32_e32 v16, 32, v16
	v_lshrrev_b16_e32 v15, 3, v13
	v_subrev_u32_e32 v17, 28, v16
	v_and_b32_e32 v15, 15, v15
	v_lshlrev_b32_e32 v13, v17, v13
	v_sub_u32_e32 v16, 29, v16
	v_and_b32_e32 v13, 7, v13
	v_cmp_eq_u16_e32 vcc, 0, v15
	v_cndmask_b32_e32 v13, v14, v13, vcc
	v_cndmask_b32_e32 v14, v15, v16, vcc
	v_lshlrev_b32_e32 v15, 16, v2
	v_mov_b32_e32 v16, 0x3b800000
	v_lshlrev_b32_e32 v13, 20, v13
	v_and_b32_e32 v15, 0x80000000, v15
	v_lshl_add_u32 v14, v14, 23, v16
	v_or3_b32 v14, v15, v14, v13
.LBB5_528:
	s_or_b64 exec, exec, s[6:7]
	s_nop 0
	v_mfma_f32_16x16x4f32 a[0:3], v12, v14, a[0:3]
	s_movk_i32 s4, 0xff
	v_and_b32_sdwa v13, v6, s4 dst_sel:DWORD dst_unused:UNUSED_PAD src0_sel:WORD_1 src1_sel:DWORD
	s_movk_i32 s4, 0x7f
	v_cmp_lt_i16_e32 vcc, s4, v13
	s_mov_b64 s[4:5], 0
                                        ; implicit-def: $sgpr10
	s_and_saveexec_b64 s[6:7], vcc
	s_xor_b64 s[6:7], exec, s[6:7]
	s_cbranch_execnz .LBB5_2577
; %bb.529:
	s_or_saveexec_b64 s[6:7], s[6:7]
	v_mov_b32_e32 v12, s10
	s_xor_b64 exec, exec, s[6:7]
	s_cbranch_execnz .LBB5_2580
.LBB5_530:
	s_or_b64 exec, exec, s[6:7]
	s_and_saveexec_b64 s[6:7], s[4:5]
	s_cbranch_execz .LBB5_532
.LBB5_531:
	v_bfe_u32 v12, v6, 16, 3
	v_ffbh_u32_e32 v15, v12
	v_min_u32_e32 v15, 32, v15
	v_lshrrev_b32_e32 v13, 19, v6
	v_subrev_u32_e32 v16, 28, v15
	v_and_b32_e32 v13, 15, v13
	v_lshlrev_b32_sdwa v16, v16, v6 dst_sel:DWORD dst_unused:UNUSED_PAD src0_sel:DWORD src1_sel:WORD_1
	v_bfe_u32 v14, v6, 19, 4
	v_sub_u32_e32 v15, 29, v15
	v_and_b32_e32 v16, 7, v16
	v_cmp_eq_u16_e32 vcc, 0, v13
	v_cndmask_b32_e32 v12, v12, v16, vcc
	v_cndmask_b32_e32 v13, v14, v15, vcc
	v_lshlrev_b32_e32 v14, 8, v6
	v_mov_b32_e32 v15, 0x3b800000
	v_lshlrev_b32_e32 v12, 20, v12
	v_and_b32_e32 v14, 0x80000000, v14
	v_lshl_add_u32 v13, v13, 23, v15
	v_or3_b32 v12, v14, v13, v12
.LBB5_532:
	s_or_b64 exec, exec, s[6:7]
	s_movk_i32 s4, 0xff
	v_and_b32_sdwa v13, v2, s4 dst_sel:DWORD dst_unused:UNUSED_PAD src0_sel:WORD_1 src1_sel:DWORD
	s_movk_i32 s4, 0x7f
	v_cmp_lt_i16_e32 vcc, s4, v13
	s_mov_b64 s[4:5], 0
                                        ; implicit-def: $sgpr10
	s_and_saveexec_b64 s[6:7], vcc
	s_xor_b64 s[6:7], exec, s[6:7]
	s_cbranch_execnz .LBB5_2581
; %bb.533:
	s_or_saveexec_b64 s[6:7], s[6:7]
	v_mov_b32_e32 v14, s10
	s_xor_b64 exec, exec, s[6:7]
	s_cbranch_execnz .LBB5_2584
.LBB5_534:
	s_or_b64 exec, exec, s[6:7]
	s_and_saveexec_b64 s[6:7], s[4:5]
	s_cbranch_execz .LBB5_536
.LBB5_535:
	v_bfe_u32 v13, v2, 16, 3
	v_ffbh_u32_e32 v16, v13
	v_min_u32_e32 v16, 32, v16
	v_lshrrev_b32_e32 v14, 19, v2
	v_subrev_u32_e32 v17, 28, v16
	v_and_b32_e32 v14, 15, v14
	v_lshlrev_b32_sdwa v17, v17, v2 dst_sel:DWORD dst_unused:UNUSED_PAD src0_sel:DWORD src1_sel:WORD_1
	v_bfe_u32 v15, v2, 19, 4
	v_sub_u32_e32 v16, 29, v16
	v_and_b32_e32 v17, 7, v17
	v_cmp_eq_u16_e32 vcc, 0, v14
	v_cndmask_b32_e32 v13, v13, v17, vcc
	v_cndmask_b32_e32 v14, v15, v16, vcc
	v_lshlrev_b32_e32 v15, 8, v2
	v_mov_b32_e32 v16, 0x3b800000
	v_lshlrev_b32_e32 v13, 20, v13
	v_and_b32_e32 v15, 0x80000000, v15
	v_lshl_add_u32 v14, v14, 23, v16
	v_or3_b32 v14, v15, v14, v13
.LBB5_536:
	s_or_b64 exec, exec, s[6:7]
	s_nop 0
	v_mfma_f32_16x16x4f32 a[0:3], v12, v14, a[0:3]
	s_movk_i32 s4, 0x7f
	v_cmp_gt_i16_sdwa s[6:7], v6, s4 src0_sel:BYTE_3 src1_sel:DWORD
	s_mov_b64 s[4:5], 0
                                        ; implicit-def: $sgpr10
	s_and_saveexec_b64 s[8:9], s[6:7]
	s_xor_b64 s[6:7], exec, s[8:9]
	s_cbranch_execnz .LBB5_2585
; %bb.537:
	s_or_saveexec_b64 s[6:7], s[6:7]
	v_mov_b32_e32 v12, s10
	s_xor_b64 exec, exec, s[6:7]
	s_cbranch_execnz .LBB5_2588
.LBB5_538:
	s_or_b64 exec, exec, s[6:7]
	s_and_saveexec_b64 s[6:7], s[4:5]
	s_cbranch_execz .LBB5_540
.LBB5_539:
	v_bfe_u32 v12, v6, 24, 3
	v_ffbh_u32_e32 v16, v12
	v_min_u32_e32 v16, 32, v16
	v_lshrrev_b32_e32 v14, 27, v6
	v_subrev_u32_e32 v17, 28, v16
	v_and_b32_e32 v13, 0x80000000, v6
	v_and_b32_e32 v14, 15, v14
	v_bfe_u32 v15, v6, 27, 4
	v_lshlrev_b32_sdwa v6, v17, v6 dst_sel:DWORD dst_unused:UNUSED_PAD src0_sel:DWORD src1_sel:BYTE_3
	v_sub_u32_e32 v16, 29, v16
	v_and_b32_e32 v6, 7, v6
	v_cmp_eq_u16_e32 vcc, 0, v14
	v_cndmask_b32_e32 v6, v12, v6, vcc
	v_cndmask_b32_e32 v12, v15, v16, vcc
	v_mov_b32_e32 v14, 0x3b800000
	v_lshlrev_b32_e32 v6, 20, v6
	v_lshl_add_u32 v12, v12, 23, v14
	v_or3_b32 v12, v13, v12, v6
.LBB5_540:
	s_or_b64 exec, exec, s[6:7]
	s_movk_i32 s4, 0x7f
	v_cmp_gt_i16_sdwa s[6:7], v2, s4 src0_sel:BYTE_3 src1_sel:DWORD
	s_mov_b64 s[4:5], 0
                                        ; implicit-def: $sgpr10
	s_and_saveexec_b64 s[8:9], s[6:7]
	s_xor_b64 s[6:7], exec, s[8:9]
	s_cbranch_execnz .LBB5_2589
; %bb.541:
	s_or_saveexec_b64 s[6:7], s[6:7]
	v_mov_b32_e32 v6, s10
	s_xor_b64 exec, exec, s[6:7]
	s_cbranch_execnz .LBB5_2592
.LBB5_542:
	s_or_b64 exec, exec, s[6:7]
	s_and_saveexec_b64 s[6:7], s[4:5]
	s_cbranch_execz .LBB5_544
.LBB5_543:
	v_bfe_u32 v6, v2, 24, 3
	v_ffbh_u32_e32 v16, v6
	v_min_u32_e32 v16, 32, v16
	v_lshrrev_b32_e32 v14, 27, v2
	v_subrev_u32_e32 v17, 28, v16
	v_and_b32_e32 v13, 0x80000000, v2
	v_and_b32_e32 v14, 15, v14
	v_bfe_u32 v15, v2, 27, 4
	v_lshlrev_b32_sdwa v2, v17, v2 dst_sel:DWORD dst_unused:UNUSED_PAD src0_sel:DWORD src1_sel:BYTE_3
	v_sub_u32_e32 v16, 29, v16
	v_and_b32_e32 v2, 7, v2
	v_cmp_eq_u16_e32 vcc, 0, v14
	v_cndmask_b32_e32 v2, v6, v2, vcc
	v_cndmask_b32_e32 v6, v15, v16, vcc
	v_mov_b32_e32 v14, 0x3b800000
	v_lshlrev_b32_e32 v2, 20, v2
	v_lshl_add_u32 v6, v6, 23, v14
	v_or3_b32 v6, v13, v6, v2
.LBB5_544:
	s_or_b64 exec, exec, s[6:7]
	s_nop 0
	v_mfma_f32_16x16x4f32 a[0:3], v12, v6, a[0:3]
	s_movk_i32 s4, 0x7f
	v_cmp_gt_i16_sdwa s[6:7], v7, s4 src0_sel:BYTE_0 src1_sel:DWORD
	s_mov_b64 s[4:5], 0
                                        ; implicit-def: $sgpr10
	s_and_saveexec_b64 s[8:9], s[6:7]
	s_xor_b64 s[6:7], exec, s[8:9]
	s_cbranch_execnz .LBB5_2593
; %bb.545:
	s_or_saveexec_b64 s[6:7], s[6:7]
	v_mov_b32_e32 v2, s10
	s_xor_b64 exec, exec, s[6:7]
	s_cbranch_execnz .LBB5_2596
.LBB5_546:
	s_or_b64 exec, exec, s[6:7]
	s_and_saveexec_b64 s[6:7], s[4:5]
	s_cbranch_execz .LBB5_548
.LBB5_547:
	v_and_b32_e32 v2, 7, v7
	v_ffbh_u32_e32 v12, v2
	v_min_u32_e32 v12, 32, v12
	v_lshrrev_b16_e32 v6, 3, v7
	v_subrev_u32_e32 v13, 28, v12
	v_and_b32_e32 v6, 15, v6
	v_lshlrev_b32_e32 v13, v13, v7
	v_sub_u32_e32 v12, 29, v12
	v_and_b32_e32 v13, 7, v13
	v_cmp_eq_u16_e32 vcc, 0, v6
	v_cndmask_b32_e32 v2, v2, v13, vcc
	v_cndmask_b32_e32 v6, v6, v12, vcc
	v_lshlrev_b32_e32 v12, 24, v7
	v_mov_b32_e32 v13, 0x3b800000
	v_lshlrev_b32_e32 v2, 20, v2
	v_and_b32_e32 v12, 0x80000000, v12
	v_lshl_add_u32 v6, v6, 23, v13
	v_or3_b32 v2, v12, v6, v2
.LBB5_548:
	s_or_b64 exec, exec, s[6:7]
	s_movk_i32 s4, 0x7f
	v_cmp_gt_i16_sdwa s[6:7], v3, s4 src0_sel:BYTE_0 src1_sel:DWORD
	s_mov_b64 s[4:5], 0
                                        ; implicit-def: $sgpr10
	s_and_saveexec_b64 s[8:9], s[6:7]
	s_xor_b64 s[6:7], exec, s[8:9]
	s_cbranch_execnz .LBB5_2597
; %bb.549:
	s_or_saveexec_b64 s[6:7], s[6:7]
	v_mov_b32_e32 v6, s10
	s_xor_b64 exec, exec, s[6:7]
	s_cbranch_execnz .LBB5_2600
.LBB5_550:
	s_or_b64 exec, exec, s[6:7]
	s_and_saveexec_b64 s[6:7], s[4:5]
	s_cbranch_execz .LBB5_552
.LBB5_551:
	v_and_b32_e32 v6, 7, v3
	v_ffbh_u32_e32 v13, v6
	v_min_u32_e32 v13, 32, v13
	v_lshrrev_b16_e32 v12, 3, v3
	v_subrev_u32_e32 v14, 28, v13
	v_and_b32_e32 v12, 15, v12
	v_lshlrev_b32_e32 v14, v14, v3
	v_sub_u32_e32 v13, 29, v13
	v_and_b32_e32 v14, 7, v14
	v_cmp_eq_u16_e32 vcc, 0, v12
	v_cndmask_b32_e32 v6, v6, v14, vcc
	v_cndmask_b32_e32 v12, v12, v13, vcc
	v_lshlrev_b32_e32 v13, 24, v3
	v_mov_b32_e32 v14, 0x3b800000
	v_lshlrev_b32_e32 v6, 20, v6
	v_and_b32_e32 v13, 0x80000000, v13
	v_lshl_add_u32 v12, v12, 23, v14
	v_or3_b32 v6, v13, v12, v6
.LBB5_552:
	s_or_b64 exec, exec, s[6:7]
	s_nop 0
	v_mfma_f32_16x16x4f32 a[0:3], v2, v6, a[0:3]
	v_lshrrev_b32_e32 v6, 8, v7
	s_movk_i32 s4, 0x7f
	v_cmp_gt_i16_sdwa s[6:7], v6, s4 src0_sel:BYTE_0 src1_sel:DWORD
	s_mov_b64 s[4:5], 0
                                        ; implicit-def: $sgpr10
	s_and_saveexec_b64 s[8:9], s[6:7]
	s_xor_b64 s[6:7], exec, s[8:9]
	s_cbranch_execnz .LBB5_2601
; %bb.553:
	s_or_saveexec_b64 s[6:7], s[6:7]
	v_mov_b32_e32 v2, s10
	s_xor_b64 exec, exec, s[6:7]
	s_cbranch_execnz .LBB5_2604
.LBB5_554:
	s_or_b64 exec, exec, s[6:7]
	s_and_saveexec_b64 s[6:7], s[4:5]
	s_cbranch_execz .LBB5_556
.LBB5_555:
	v_bfe_u32 v2, v7, 8, 3
	v_ffbh_u32_e32 v13, v2
	v_min_u32_e32 v13, 32, v13
	v_lshrrev_b16_e32 v12, 3, v6
	v_subrev_u32_e32 v14, 28, v13
	v_and_b32_e32 v12, 15, v12
	v_lshlrev_b32_e32 v6, v14, v6
	v_sub_u32_e32 v13, 29, v13
	v_and_b32_e32 v6, 7, v6
	v_cmp_eq_u16_e32 vcc, 0, v12
	v_cndmask_b32_e32 v2, v2, v6, vcc
	v_cndmask_b32_e32 v6, v12, v13, vcc
	v_lshlrev_b32_e32 v12, 16, v7
	v_mov_b32_e32 v13, 0x3b800000
	v_lshlrev_b32_e32 v2, 20, v2
	v_and_b32_e32 v12, 0x80000000, v12
	v_lshl_add_u32 v6, v6, 23, v13
	v_or3_b32 v2, v12, v6, v2
.LBB5_556:
	s_or_b64 exec, exec, s[6:7]
	v_lshrrev_b32_e32 v6, 8, v3
	s_movk_i32 s4, 0x7f
	v_cmp_gt_i16_sdwa s[6:7], v6, s4 src0_sel:BYTE_0 src1_sel:DWORD
	s_mov_b64 s[4:5], 0
                                        ; implicit-def: $sgpr10
	s_and_saveexec_b64 s[8:9], s[6:7]
	s_xor_b64 s[6:7], exec, s[8:9]
	s_cbranch_execnz .LBB5_2605
; %bb.557:
	s_or_saveexec_b64 s[6:7], s[6:7]
	v_mov_b32_e32 v12, s10
	s_xor_b64 exec, exec, s[6:7]
	s_cbranch_execnz .LBB5_2608
.LBB5_558:
	s_or_b64 exec, exec, s[6:7]
	s_and_saveexec_b64 s[6:7], s[4:5]
	s_cbranch_execz .LBB5_560
.LBB5_559:
	v_bfe_u32 v12, v3, 8, 3
	v_ffbh_u32_e32 v14, v12
	v_min_u32_e32 v14, 32, v14
	v_lshrrev_b16_e32 v13, 3, v6
	v_subrev_u32_e32 v15, 28, v14
	v_and_b32_e32 v13, 15, v13
	v_lshlrev_b32_e32 v6, v15, v6
	v_sub_u32_e32 v14, 29, v14
	v_and_b32_e32 v6, 7, v6
	v_cmp_eq_u16_e32 vcc, 0, v13
	v_cndmask_b32_e32 v6, v12, v6, vcc
	v_cndmask_b32_e32 v12, v13, v14, vcc
	v_lshlrev_b32_e32 v13, 16, v3
	v_mov_b32_e32 v14, 0x3b800000
	v_lshlrev_b32_e32 v6, 20, v6
	v_and_b32_e32 v13, 0x80000000, v13
	v_lshl_add_u32 v12, v12, 23, v14
	v_or3_b32 v12, v13, v12, v6
.LBB5_560:
	s_or_b64 exec, exec, s[6:7]
	s_nop 0
	v_mfma_f32_16x16x4f32 a[0:3], v2, v12, a[0:3]
	s_movk_i32 s4, 0xff
	v_and_b32_sdwa v6, v7, s4 dst_sel:DWORD dst_unused:UNUSED_PAD src0_sel:WORD_1 src1_sel:DWORD
	s_movk_i32 s4, 0x7f
	v_cmp_lt_i16_e32 vcc, s4, v6
	s_mov_b64 s[4:5], 0
                                        ; implicit-def: $sgpr10
	s_and_saveexec_b64 s[6:7], vcc
	s_xor_b64 s[6:7], exec, s[6:7]
	s_cbranch_execnz .LBB5_2609
; %bb.561:
	s_or_saveexec_b64 s[6:7], s[6:7]
	v_mov_b32_e32 v2, s10
	s_xor_b64 exec, exec, s[6:7]
	s_cbranch_execnz .LBB5_2612
.LBB5_562:
	s_or_b64 exec, exec, s[6:7]
	s_and_saveexec_b64 s[6:7], s[4:5]
	s_cbranch_execz .LBB5_564
.LBB5_563:
	v_bfe_u32 v2, v7, 16, 3
	v_ffbh_u32_e32 v13, v2
	v_min_u32_e32 v13, 32, v13
	v_lshrrev_b32_e32 v6, 19, v7
	v_subrev_u32_e32 v14, 28, v13
	v_and_b32_e32 v6, 15, v6
	v_lshlrev_b32_sdwa v14, v14, v7 dst_sel:DWORD dst_unused:UNUSED_PAD src0_sel:DWORD src1_sel:WORD_1
	v_bfe_u32 v12, v7, 19, 4
	v_sub_u32_e32 v13, 29, v13
	v_and_b32_e32 v14, 7, v14
	v_cmp_eq_u16_e32 vcc, 0, v6
	v_cndmask_b32_e32 v2, v2, v14, vcc
	v_cndmask_b32_e32 v6, v12, v13, vcc
	v_lshlrev_b32_e32 v12, 8, v7
	v_mov_b32_e32 v13, 0x3b800000
	v_lshlrev_b32_e32 v2, 20, v2
	v_and_b32_e32 v12, 0x80000000, v12
	v_lshl_add_u32 v6, v6, 23, v13
	v_or3_b32 v2, v12, v6, v2
.LBB5_564:
	s_or_b64 exec, exec, s[6:7]
	s_movk_i32 s4, 0xff
	v_and_b32_sdwa v6, v3, s4 dst_sel:DWORD dst_unused:UNUSED_PAD src0_sel:WORD_1 src1_sel:DWORD
	s_movk_i32 s4, 0x7f
	v_cmp_lt_i16_e32 vcc, s4, v6
	s_mov_b64 s[4:5], 0
                                        ; implicit-def: $sgpr10
	s_and_saveexec_b64 s[6:7], vcc
	s_xor_b64 s[6:7], exec, s[6:7]
	s_cbranch_execnz .LBB5_2613
; %bb.565:
	s_or_saveexec_b64 s[6:7], s[6:7]
	v_mov_b32_e32 v12, s10
	s_xor_b64 exec, exec, s[6:7]
	s_cbranch_execnz .LBB5_2616
.LBB5_566:
	s_or_b64 exec, exec, s[6:7]
	s_and_saveexec_b64 s[6:7], s[4:5]
	s_cbranch_execz .LBB5_568
.LBB5_567:
	v_bfe_u32 v6, v3, 16, 3
	v_ffbh_u32_e32 v14, v6
	v_min_u32_e32 v14, 32, v14
	v_lshrrev_b32_e32 v12, 19, v3
	v_subrev_u32_e32 v15, 28, v14
	v_and_b32_e32 v12, 15, v12
	v_lshlrev_b32_sdwa v15, v15, v3 dst_sel:DWORD dst_unused:UNUSED_PAD src0_sel:DWORD src1_sel:WORD_1
	v_bfe_u32 v13, v3, 19, 4
	v_sub_u32_e32 v14, 29, v14
	v_and_b32_e32 v15, 7, v15
	v_cmp_eq_u16_e32 vcc, 0, v12
	v_cndmask_b32_e32 v6, v6, v15, vcc
	v_cndmask_b32_e32 v12, v13, v14, vcc
	v_lshlrev_b32_e32 v13, 8, v3
	v_mov_b32_e32 v14, 0x3b800000
	v_lshlrev_b32_e32 v6, 20, v6
	v_and_b32_e32 v13, 0x80000000, v13
	v_lshl_add_u32 v12, v12, 23, v14
	v_or3_b32 v12, v13, v12, v6
.LBB5_568:
	s_or_b64 exec, exec, s[6:7]
	s_nop 0
	v_mfma_f32_16x16x4f32 a[0:3], v2, v12, a[0:3]
	s_movk_i32 s4, 0x7f
	v_cmp_gt_i16_sdwa s[6:7], v7, s4 src0_sel:BYTE_3 src1_sel:DWORD
	s_mov_b64 s[4:5], 0
                                        ; implicit-def: $sgpr10
	s_and_saveexec_b64 s[8:9], s[6:7]
	s_xor_b64 s[6:7], exec, s[8:9]
	s_cbranch_execnz .LBB5_2617
; %bb.569:
	s_or_saveexec_b64 s[6:7], s[6:7]
	v_mov_b32_e32 v2, s10
	s_xor_b64 exec, exec, s[6:7]
	s_cbranch_execnz .LBB5_2620
.LBB5_570:
	s_or_b64 exec, exec, s[6:7]
	s_and_saveexec_b64 s[6:7], s[4:5]
	s_cbranch_execz .LBB5_572
.LBB5_571:
	v_bfe_u32 v2, v7, 24, 3
	v_ffbh_u32_e32 v14, v2
	v_min_u32_e32 v14, 32, v14
	v_lshrrev_b32_e32 v12, 27, v7
	v_subrev_u32_e32 v15, 28, v14
	v_and_b32_e32 v6, 0x80000000, v7
	v_and_b32_e32 v12, 15, v12
	v_bfe_u32 v13, v7, 27, 4
	v_lshlrev_b32_sdwa v7, v15, v7 dst_sel:DWORD dst_unused:UNUSED_PAD src0_sel:DWORD src1_sel:BYTE_3
	v_sub_u32_e32 v14, 29, v14
	v_and_b32_e32 v7, 7, v7
	v_cmp_eq_u16_e32 vcc, 0, v12
	v_cndmask_b32_e32 v2, v2, v7, vcc
	v_cndmask_b32_e32 v7, v13, v14, vcc
	v_mov_b32_e32 v12, 0x3b800000
	v_lshlrev_b32_e32 v2, 20, v2
	v_lshl_add_u32 v7, v7, 23, v12
	v_or3_b32 v2, v6, v7, v2
.LBB5_572:
	s_or_b64 exec, exec, s[6:7]
	s_movk_i32 s4, 0x7f
	v_cmp_gt_i16_sdwa s[6:7], v3, s4 src0_sel:BYTE_3 src1_sel:DWORD
	s_mov_b64 s[4:5], 0
                                        ; implicit-def: $sgpr10
	s_and_saveexec_b64 s[8:9], s[6:7]
	s_xor_b64 s[6:7], exec, s[8:9]
	s_cbranch_execnz .LBB5_2621
; %bb.573:
	s_or_saveexec_b64 s[6:7], s[6:7]
	v_mov_b32_e32 v6, s10
	s_xor_b64 exec, exec, s[6:7]
	s_cbranch_execnz .LBB5_2624
.LBB5_574:
	s_or_b64 exec, exec, s[6:7]
	s_and_saveexec_b64 s[6:7], s[4:5]
	s_cbranch_execz .LBB5_576
.LBB5_575:
	v_bfe_u32 v6, v3, 24, 3
	v_ffbh_u32_e32 v14, v6
	v_min_u32_e32 v14, 32, v14
	v_lshrrev_b32_e32 v12, 27, v3
	v_subrev_u32_e32 v15, 28, v14
	v_and_b32_e32 v7, 0x80000000, v3
	v_and_b32_e32 v12, 15, v12
	v_bfe_u32 v13, v3, 27, 4
	v_lshlrev_b32_sdwa v3, v15, v3 dst_sel:DWORD dst_unused:UNUSED_PAD src0_sel:DWORD src1_sel:BYTE_3
	v_sub_u32_e32 v14, 29, v14
	v_and_b32_e32 v3, 7, v3
	v_cmp_eq_u16_e32 vcc, 0, v12
	v_cndmask_b32_e32 v3, v6, v3, vcc
	v_cndmask_b32_e32 v6, v13, v14, vcc
	v_mov_b32_e32 v12, 0x3b800000
	v_lshlrev_b32_e32 v3, 20, v3
	v_lshl_add_u32 v6, v6, 23, v12
	v_or3_b32 v6, v7, v6, v3
.LBB5_576:
	s_or_b64 exec, exec, s[6:7]
	s_nop 0
	v_mfma_f32_16x16x4f32 a[0:3], v2, v6, a[0:3]
	s_movk_i32 s4, 0x7f
	v_cmp_gt_i16_sdwa s[6:7], v8, s4 src0_sel:BYTE_0 src1_sel:DWORD
	s_mov_b64 s[4:5], 0
                                        ; implicit-def: $sgpr10
	s_and_saveexec_b64 s[8:9], s[6:7]
	s_xor_b64 s[6:7], exec, s[8:9]
	s_cbranch_execnz .LBB5_2625
; %bb.577:
	s_or_saveexec_b64 s[6:7], s[6:7]
	v_mov_b32_e32 v2, s10
	s_xor_b64 exec, exec, s[6:7]
	s_cbranch_execnz .LBB5_2628
.LBB5_578:
	s_or_b64 exec, exec, s[6:7]
	s_and_saveexec_b64 s[6:7], s[4:5]
	s_cbranch_execz .LBB5_580
.LBB5_579:
	v_and_b32_e32 v2, 7, v8
	v_ffbh_u32_e32 v6, v2
	v_min_u32_e32 v6, 32, v6
	v_lshrrev_b16_e32 v3, 3, v8
	v_subrev_u32_e32 v7, 28, v6
	v_and_b32_e32 v3, 15, v3
	v_lshlrev_b32_e32 v7, v7, v8
	v_sub_u32_e32 v6, 29, v6
	v_and_b32_e32 v7, 7, v7
	v_cmp_eq_u16_e32 vcc, 0, v3
	v_cndmask_b32_e32 v2, v2, v7, vcc
	v_cndmask_b32_e32 v3, v3, v6, vcc
	v_lshlrev_b32_e32 v6, 24, v8
	v_mov_b32_e32 v7, 0x3b800000
	v_lshlrev_b32_e32 v2, 20, v2
	v_and_b32_e32 v6, 0x80000000, v6
	v_lshl_add_u32 v3, v3, 23, v7
	v_or3_b32 v2, v6, v3, v2
.LBB5_580:
	s_or_b64 exec, exec, s[6:7]
	s_movk_i32 s4, 0x7f
	v_cmp_gt_i16_sdwa s[6:7], v4, s4 src0_sel:BYTE_0 src1_sel:DWORD
	s_mov_b64 s[4:5], 0
                                        ; implicit-def: $sgpr10
	s_and_saveexec_b64 s[8:9], s[6:7]
	s_xor_b64 s[6:7], exec, s[8:9]
	s_cbranch_execnz .LBB5_2629
; %bb.581:
	s_or_saveexec_b64 s[6:7], s[6:7]
	v_mov_b32_e32 v3, s10
	s_xor_b64 exec, exec, s[6:7]
	s_cbranch_execnz .LBB5_2632
.LBB5_582:
	s_or_b64 exec, exec, s[6:7]
	s_and_saveexec_b64 s[6:7], s[4:5]
	s_cbranch_execz .LBB5_584
.LBB5_583:
	v_and_b32_e32 v3, 7, v4
	v_ffbh_u32_e32 v7, v3
	v_min_u32_e32 v7, 32, v7
	v_lshrrev_b16_e32 v6, 3, v4
	v_subrev_u32_e32 v12, 28, v7
	v_and_b32_e32 v6, 15, v6
	v_lshlrev_b32_e32 v12, v12, v4
	v_sub_u32_e32 v7, 29, v7
	v_and_b32_e32 v12, 7, v12
	v_cmp_eq_u16_e32 vcc, 0, v6
	v_cndmask_b32_e32 v3, v3, v12, vcc
	v_cndmask_b32_e32 v6, v6, v7, vcc
	v_lshlrev_b32_e32 v7, 24, v4
	v_mov_b32_e32 v12, 0x3b800000
	v_lshlrev_b32_e32 v3, 20, v3
	v_and_b32_e32 v7, 0x80000000, v7
	v_lshl_add_u32 v6, v6, 23, v12
	v_or3_b32 v3, v7, v6, v3
.LBB5_584:
	s_or_b64 exec, exec, s[6:7]
	s_nop 0
	v_mfma_f32_16x16x4f32 a[0:3], v2, v3, a[0:3]
	v_lshrrev_b32_e32 v3, 8, v8
	s_movk_i32 s4, 0x7f
	v_cmp_gt_i16_sdwa s[6:7], v3, s4 src0_sel:BYTE_0 src1_sel:DWORD
	s_mov_b64 s[4:5], 0
                                        ; implicit-def: $sgpr10
	s_and_saveexec_b64 s[8:9], s[6:7]
	s_xor_b64 s[6:7], exec, s[8:9]
	s_cbranch_execnz .LBB5_2633
; %bb.585:
	s_or_saveexec_b64 s[6:7], s[6:7]
	v_mov_b32_e32 v2, s10
	s_xor_b64 exec, exec, s[6:7]
	s_cbranch_execnz .LBB5_2636
.LBB5_586:
	s_or_b64 exec, exec, s[6:7]
	s_and_saveexec_b64 s[6:7], s[4:5]
	s_cbranch_execz .LBB5_588
.LBB5_587:
	v_bfe_u32 v2, v8, 8, 3
	v_ffbh_u32_e32 v7, v2
	v_min_u32_e32 v7, 32, v7
	v_lshrrev_b16_e32 v6, 3, v3
	v_subrev_u32_e32 v12, 28, v7
	v_and_b32_e32 v6, 15, v6
	v_lshlrev_b32_e32 v3, v12, v3
	v_sub_u32_e32 v7, 29, v7
	v_and_b32_e32 v3, 7, v3
	v_cmp_eq_u16_e32 vcc, 0, v6
	v_cndmask_b32_e32 v2, v2, v3, vcc
	v_cndmask_b32_e32 v3, v6, v7, vcc
	v_lshlrev_b32_e32 v6, 16, v8
	v_mov_b32_e32 v7, 0x3b800000
	v_lshlrev_b32_e32 v2, 20, v2
	v_and_b32_e32 v6, 0x80000000, v6
	v_lshl_add_u32 v3, v3, 23, v7
	v_or3_b32 v2, v6, v3, v2
.LBB5_588:
	s_or_b64 exec, exec, s[6:7]
	v_lshrrev_b32_e32 v3, 8, v4
	s_movk_i32 s4, 0x7f
	v_cmp_gt_i16_sdwa s[6:7], v3, s4 src0_sel:BYTE_0 src1_sel:DWORD
	s_mov_b64 s[4:5], 0
                                        ; implicit-def: $sgpr10
	s_and_saveexec_b64 s[8:9], s[6:7]
	s_xor_b64 s[6:7], exec, s[8:9]
	s_cbranch_execnz .LBB5_2637
; %bb.589:
	s_or_saveexec_b64 s[6:7], s[6:7]
	v_mov_b32_e32 v6, s10
	s_xor_b64 exec, exec, s[6:7]
	s_cbranch_execnz .LBB5_2640
.LBB5_590:
	s_or_b64 exec, exec, s[6:7]
	s_and_saveexec_b64 s[6:7], s[4:5]
	s_cbranch_execz .LBB5_592
.LBB5_591:
	v_bfe_u32 v6, v4, 8, 3
	v_ffbh_u32_e32 v12, v6
	v_min_u32_e32 v12, 32, v12
	v_lshrrev_b16_e32 v7, 3, v3
	v_subrev_u32_e32 v13, 28, v12
	v_and_b32_e32 v7, 15, v7
	v_lshlrev_b32_e32 v3, v13, v3
	v_sub_u32_e32 v12, 29, v12
	v_and_b32_e32 v3, 7, v3
	v_cmp_eq_u16_e32 vcc, 0, v7
	v_cndmask_b32_e32 v3, v6, v3, vcc
	v_cndmask_b32_e32 v6, v7, v12, vcc
	v_lshlrev_b32_e32 v7, 16, v4
	v_mov_b32_e32 v12, 0x3b800000
	v_lshlrev_b32_e32 v3, 20, v3
	v_and_b32_e32 v7, 0x80000000, v7
	v_lshl_add_u32 v6, v6, 23, v12
	v_or3_b32 v6, v7, v6, v3
.LBB5_592:
	s_or_b64 exec, exec, s[6:7]
	s_nop 0
	v_mfma_f32_16x16x4f32 a[0:3], v2, v6, a[0:3]
	s_movk_i32 s4, 0xff
	v_and_b32_sdwa v3, v8, s4 dst_sel:DWORD dst_unused:UNUSED_PAD src0_sel:WORD_1 src1_sel:DWORD
	s_movk_i32 s4, 0x7f
	v_cmp_lt_i16_e32 vcc, s4, v3
	s_mov_b64 s[4:5], 0
                                        ; implicit-def: $sgpr10
	s_and_saveexec_b64 s[6:7], vcc
	s_xor_b64 s[6:7], exec, s[6:7]
	s_cbranch_execnz .LBB5_2641
; %bb.593:
	s_or_saveexec_b64 s[6:7], s[6:7]
	v_mov_b32_e32 v2, s10
	s_xor_b64 exec, exec, s[6:7]
	s_cbranch_execnz .LBB5_2644
.LBB5_594:
	s_or_b64 exec, exec, s[6:7]
	s_and_saveexec_b64 s[6:7], s[4:5]
	s_cbranch_execz .LBB5_596
.LBB5_595:
	v_bfe_u32 v2, v8, 16, 3
	v_ffbh_u32_e32 v7, v2
	v_min_u32_e32 v7, 32, v7
	v_lshrrev_b32_e32 v3, 19, v8
	v_subrev_u32_e32 v12, 28, v7
	v_and_b32_e32 v3, 15, v3
	v_lshlrev_b32_sdwa v12, v12, v8 dst_sel:DWORD dst_unused:UNUSED_PAD src0_sel:DWORD src1_sel:WORD_1
	v_bfe_u32 v6, v8, 19, 4
	v_sub_u32_e32 v7, 29, v7
	v_and_b32_e32 v12, 7, v12
	v_cmp_eq_u16_e32 vcc, 0, v3
	v_cndmask_b32_e32 v2, v2, v12, vcc
	v_cndmask_b32_e32 v3, v6, v7, vcc
	v_lshlrev_b32_e32 v6, 8, v8
	v_mov_b32_e32 v7, 0x3b800000
	v_lshlrev_b32_e32 v2, 20, v2
	v_and_b32_e32 v6, 0x80000000, v6
	v_lshl_add_u32 v3, v3, 23, v7
	v_or3_b32 v2, v6, v3, v2
.LBB5_596:
	s_or_b64 exec, exec, s[6:7]
	s_movk_i32 s4, 0xff
	v_and_b32_sdwa v3, v4, s4 dst_sel:DWORD dst_unused:UNUSED_PAD src0_sel:WORD_1 src1_sel:DWORD
	s_movk_i32 s4, 0x7f
	v_cmp_lt_i16_e32 vcc, s4, v3
	s_mov_b64 s[4:5], 0
                                        ; implicit-def: $sgpr10
	s_and_saveexec_b64 s[6:7], vcc
	s_xor_b64 s[6:7], exec, s[6:7]
	s_cbranch_execnz .LBB5_2645
; %bb.597:
	s_or_saveexec_b64 s[6:7], s[6:7]
	v_mov_b32_e32 v6, s10
	s_xor_b64 exec, exec, s[6:7]
	s_cbranch_execnz .LBB5_2648
.LBB5_598:
	s_or_b64 exec, exec, s[6:7]
	s_and_saveexec_b64 s[6:7], s[4:5]
	s_cbranch_execz .LBB5_600
.LBB5_599:
	v_bfe_u32 v3, v4, 16, 3
	v_ffbh_u32_e32 v12, v3
	v_min_u32_e32 v12, 32, v12
	v_lshrrev_b32_e32 v6, 19, v4
	v_subrev_u32_e32 v13, 28, v12
	v_and_b32_e32 v6, 15, v6
	v_lshlrev_b32_sdwa v13, v13, v4 dst_sel:DWORD dst_unused:UNUSED_PAD src0_sel:DWORD src1_sel:WORD_1
	v_bfe_u32 v7, v4, 19, 4
	v_sub_u32_e32 v12, 29, v12
	v_and_b32_e32 v13, 7, v13
	v_cmp_eq_u16_e32 vcc, 0, v6
	v_cndmask_b32_e32 v3, v3, v13, vcc
	v_cndmask_b32_e32 v6, v7, v12, vcc
	v_lshlrev_b32_e32 v7, 8, v4
	v_mov_b32_e32 v12, 0x3b800000
	v_lshlrev_b32_e32 v3, 20, v3
	v_and_b32_e32 v7, 0x80000000, v7
	v_lshl_add_u32 v6, v6, 23, v12
	v_or3_b32 v6, v7, v6, v3
.LBB5_600:
	s_or_b64 exec, exec, s[6:7]
	s_nop 0
	v_mfma_f32_16x16x4f32 a[0:3], v2, v6, a[0:3]
	s_movk_i32 s4, 0x7f
	v_cmp_gt_i16_sdwa s[6:7], v8, s4 src0_sel:BYTE_3 src1_sel:DWORD
	s_mov_b64 s[4:5], 0
                                        ; implicit-def: $sgpr10
	s_and_saveexec_b64 s[8:9], s[6:7]
	s_xor_b64 s[6:7], exec, s[8:9]
	s_cbranch_execnz .LBB5_2649
; %bb.601:
	s_or_saveexec_b64 s[6:7], s[6:7]
	v_mov_b32_e32 v2, s10
	s_xor_b64 exec, exec, s[6:7]
	s_cbranch_execnz .LBB5_2652
.LBB5_602:
	s_or_b64 exec, exec, s[6:7]
	s_and_saveexec_b64 s[6:7], s[4:5]
	s_cbranch_execz .LBB5_604
.LBB5_603:
	v_bfe_u32 v2, v8, 24, 3
	v_ffbh_u32_e32 v12, v2
	v_min_u32_e32 v12, 32, v12
	v_lshrrev_b32_e32 v6, 27, v8
	v_subrev_u32_e32 v13, 28, v12
	v_and_b32_e32 v3, 0x80000000, v8
	v_and_b32_e32 v6, 15, v6
	v_bfe_u32 v7, v8, 27, 4
	v_lshlrev_b32_sdwa v8, v13, v8 dst_sel:DWORD dst_unused:UNUSED_PAD src0_sel:DWORD src1_sel:BYTE_3
	v_sub_u32_e32 v12, 29, v12
	v_and_b32_e32 v8, 7, v8
	v_cmp_eq_u16_e32 vcc, 0, v6
	v_cndmask_b32_e32 v2, v2, v8, vcc
	v_cndmask_b32_e32 v6, v7, v12, vcc
	v_mov_b32_e32 v7, 0x3b800000
	v_lshlrev_b32_e32 v2, 20, v2
	v_lshl_add_u32 v6, v6, 23, v7
	v_or3_b32 v2, v3, v6, v2
.LBB5_604:
	s_or_b64 exec, exec, s[6:7]
	s_movk_i32 s4, 0x7f
	v_cmp_gt_i16_sdwa s[6:7], v4, s4 src0_sel:BYTE_3 src1_sel:DWORD
	s_mov_b64 s[4:5], 0
                                        ; implicit-def: $sgpr10
	s_and_saveexec_b64 s[8:9], s[6:7]
	s_xor_b64 s[6:7], exec, s[8:9]
	s_cbranch_execnz .LBB5_2653
; %bb.605:
	s_or_saveexec_b64 s[6:7], s[6:7]
	v_mov_b32_e32 v3, s10
	s_xor_b64 exec, exec, s[6:7]
	s_cbranch_execnz .LBB5_2656
.LBB5_606:
	s_or_b64 exec, exec, s[6:7]
	s_and_saveexec_b64 s[6:7], s[4:5]
	s_cbranch_execz .LBB5_608
.LBB5_607:
	v_bfe_u32 v3, v4, 24, 3
	v_ffbh_u32_e32 v12, v3
	v_min_u32_e32 v12, 32, v12
	v_lshrrev_b32_e32 v7, 27, v4
	v_subrev_u32_e32 v13, 28, v12
	v_and_b32_e32 v6, 0x80000000, v4
	v_and_b32_e32 v7, 15, v7
	v_bfe_u32 v8, v4, 27, 4
	v_lshlrev_b32_sdwa v4, v13, v4 dst_sel:DWORD dst_unused:UNUSED_PAD src0_sel:DWORD src1_sel:BYTE_3
	v_sub_u32_e32 v12, 29, v12
	v_and_b32_e32 v4, 7, v4
	v_cmp_eq_u16_e32 vcc, 0, v7
	v_cndmask_b32_e32 v3, v3, v4, vcc
	v_cndmask_b32_e32 v4, v8, v12, vcc
	v_mov_b32_e32 v7, 0x3b800000
	v_lshlrev_b32_e32 v3, 20, v3
	v_lshl_add_u32 v4, v4, 23, v7
	v_or3_b32 v3, v6, v4, v3
.LBB5_608:
	s_or_b64 exec, exec, s[6:7]
	s_nop 0
	v_mfma_f32_16x16x4f32 a[0:3], v2, v3, a[0:3]
	s_movk_i32 s4, 0x7f
	v_cmp_gt_i16_sdwa s[6:7], v9, s4 src0_sel:BYTE_0 src1_sel:DWORD
	s_mov_b64 s[4:5], 0
                                        ; implicit-def: $sgpr10
	s_and_saveexec_b64 s[8:9], s[6:7]
	s_xor_b64 s[6:7], exec, s[8:9]
	s_cbranch_execnz .LBB5_2657
; %bb.609:
	s_or_saveexec_b64 s[6:7], s[6:7]
	v_mov_b32_e32 v2, s10
	s_xor_b64 exec, exec, s[6:7]
	s_cbranch_execnz .LBB5_2660
.LBB5_610:
	s_or_b64 exec, exec, s[6:7]
	s_and_saveexec_b64 s[6:7], s[4:5]
	s_cbranch_execz .LBB5_612
.LBB5_611:
	v_mov_b32_e32 v2, 8
	v_and_b32_e32 v3, 7, v9
	v_lshrrev_b32_sdwa v2, v2, v9 dst_sel:BYTE_1 dst_unused:UNUSED_PAD src0_sel:DWORD src1_sel:DWORD
	v_ffbh_u32_e32 v4, v3
	v_or_b32_sdwa v2, v9, v2 dst_sel:DWORD dst_unused:UNUSED_PAD src0_sel:BYTE_0 src1_sel:DWORD
	v_min_u32_e32 v4, 32, v4
	v_lshrrev_b16_e32 v2, 3, v2
	v_subrev_u32_e32 v6, 28, v4
	v_and_b32_e32 v2, 15, v2
	v_lshlrev_b32_e32 v6, v6, v9
	v_sub_u32_e32 v4, 29, v4
	v_and_b32_e32 v6, 7, v6
	v_cmp_eq_u16_e32 vcc, 0, v2
	v_cndmask_b32_e32 v3, v3, v6, vcc
	v_cndmask_b32_e32 v2, v2, v4, vcc
	v_lshlrev_b32_e32 v4, 24, v9
	v_mov_b32_e32 v6, 0x3b800000
	v_lshlrev_b32_e32 v3, 20, v3
	v_and_b32_e32 v4, 0x80000000, v4
	v_lshl_add_u32 v2, v2, 23, v6
	v_or3_b32 v2, v4, v2, v3
.LBB5_612:
	s_or_b64 exec, exec, s[6:7]
	s_movk_i32 s4, 0x7f
	v_cmp_gt_i16_sdwa s[6:7], v5, s4 src0_sel:BYTE_0 src1_sel:DWORD
	s_mov_b64 s[4:5], 0
                                        ; implicit-def: $sgpr10
	s_and_saveexec_b64 s[8:9], s[6:7]
	s_xor_b64 s[6:7], exec, s[8:9]
	s_cbranch_execnz .LBB5_2661
; %bb.613:
	s_or_saveexec_b64 s[6:7], s[6:7]
	v_mov_b32_e32 v3, s10
	s_xor_b64 exec, exec, s[6:7]
	s_cbranch_execnz .LBB5_2664
.LBB5_614:
	s_or_b64 exec, exec, s[6:7]
	s_and_saveexec_b64 s[6:7], s[4:5]
	s_cbranch_execz .LBB5_616
.LBB5_615:
	v_mov_b32_e32 v3, 8
	v_and_b32_e32 v4, 7, v5
	v_lshrrev_b32_sdwa v3, v3, v5 dst_sel:BYTE_1 dst_unused:UNUSED_PAD src0_sel:DWORD src1_sel:DWORD
	v_ffbh_u32_e32 v6, v4
	v_or_b32_sdwa v3, v5, v3 dst_sel:DWORD dst_unused:UNUSED_PAD src0_sel:BYTE_0 src1_sel:DWORD
	v_min_u32_e32 v6, 32, v6
	v_lshrrev_b16_e32 v3, 3, v3
	v_subrev_u32_e32 v7, 28, v6
	v_and_b32_e32 v3, 15, v3
	v_lshlrev_b32_e32 v7, v7, v5
	v_sub_u32_e32 v6, 29, v6
	v_and_b32_e32 v7, 7, v7
	v_cmp_eq_u16_e32 vcc, 0, v3
	v_cndmask_b32_e32 v4, v4, v7, vcc
	v_cndmask_b32_e32 v3, v3, v6, vcc
	v_lshlrev_b32_e32 v6, 24, v5
	v_mov_b32_e32 v7, 0x3b800000
	v_lshlrev_b32_e32 v4, 20, v4
	v_and_b32_e32 v6, 0x80000000, v6
	v_lshl_add_u32 v3, v3, 23, v7
	v_or3_b32 v3, v6, v3, v4
.LBB5_616:
	s_or_b64 exec, exec, s[6:7]
	s_nop 0
	v_mfma_f32_16x16x4f32 a[0:3], v2, v3, a[0:3]
	v_lshrrev_b32_e32 v3, 8, v9
	s_movk_i32 s4, 0x7f
	v_cmp_gt_i16_sdwa s[6:7], v3, s4 src0_sel:BYTE_0 src1_sel:DWORD
	s_mov_b64 s[4:5], 0
                                        ; implicit-def: $sgpr10
	s_and_saveexec_b64 s[8:9], s[6:7]
	s_xor_b64 s[6:7], exec, s[8:9]
	s_cbranch_execnz .LBB5_2665
; %bb.617:
	s_or_saveexec_b64 s[6:7], s[6:7]
	v_mov_b32_e32 v2, s10
	s_xor_b64 exec, exec, s[6:7]
	s_cbranch_execnz .LBB5_2668
.LBB5_618:
	s_or_b64 exec, exec, s[6:7]
	s_and_saveexec_b64 s[6:7], s[4:5]
	s_cbranch_execz .LBB5_620
.LBB5_619:
	v_bfe_u32 v2, v9, 8, 3
	v_ffbh_u32_e32 v6, v2
	v_min_u32_e32 v6, 32, v6
	v_lshrrev_b16_e32 v4, 3, v3
	v_subrev_u32_e32 v7, 28, v6
	v_and_b32_e32 v4, 15, v4
	v_lshlrev_b32_e32 v3, v7, v3
	v_sub_u32_e32 v6, 29, v6
	v_and_b32_e32 v3, 7, v3
	v_cmp_eq_u16_e32 vcc, 0, v4
	v_cndmask_b32_e32 v2, v2, v3, vcc
	v_cndmask_b32_e32 v3, v4, v6, vcc
	v_lshlrev_b32_e32 v4, 16, v9
	v_mov_b32_e32 v6, 0x3b800000
	v_lshlrev_b32_e32 v2, 20, v2
	v_and_b32_e32 v4, 0x80000000, v4
	v_lshl_add_u32 v3, v3, 23, v6
	v_or3_b32 v2, v4, v3, v2
.LBB5_620:
	s_or_b64 exec, exec, s[6:7]
	v_lshrrev_b32_e32 v3, 8, v5
	s_movk_i32 s4, 0x7f
	v_cmp_gt_i16_sdwa s[6:7], v3, s4 src0_sel:BYTE_0 src1_sel:DWORD
	s_mov_b64 s[4:5], 0
                                        ; implicit-def: $sgpr10
	s_and_saveexec_b64 s[8:9], s[6:7]
	s_xor_b64 s[6:7], exec, s[8:9]
	s_cbranch_execnz .LBB5_2669
; %bb.621:
	s_or_saveexec_b64 s[6:7], s[6:7]
	v_mov_b32_e32 v4, s10
	s_xor_b64 exec, exec, s[6:7]
	s_cbranch_execnz .LBB5_2672
.LBB5_622:
	s_or_b64 exec, exec, s[6:7]
	s_and_saveexec_b64 s[6:7], s[4:5]
	s_cbranch_execz .LBB5_624
.LBB5_623:
	v_bfe_u32 v4, v5, 8, 3
	v_ffbh_u32_e32 v7, v4
	v_min_u32_e32 v7, 32, v7
	v_lshrrev_b16_e32 v6, 3, v3
	v_subrev_u32_e32 v8, 28, v7
	v_and_b32_e32 v6, 15, v6
	v_lshlrev_b32_e32 v3, v8, v3
	v_sub_u32_e32 v7, 29, v7
	v_and_b32_e32 v3, 7, v3
	v_cmp_eq_u16_e32 vcc, 0, v6
	v_cndmask_b32_e32 v3, v4, v3, vcc
	v_cndmask_b32_e32 v4, v6, v7, vcc
	v_lshlrev_b32_e32 v6, 16, v5
	v_mov_b32_e32 v7, 0x3b800000
	v_lshlrev_b32_e32 v3, 20, v3
	v_and_b32_e32 v6, 0x80000000, v6
	v_lshl_add_u32 v4, v4, 23, v7
	v_or3_b32 v4, v6, v4, v3
.LBB5_624:
	s_or_b64 exec, exec, s[6:7]
	s_nop 0
	v_mfma_f32_16x16x4f32 a[0:3], v2, v4, a[0:3]
	s_movk_i32 s4, 0xff
	v_and_b32_sdwa v3, v9, s4 dst_sel:DWORD dst_unused:UNUSED_PAD src0_sel:WORD_1 src1_sel:DWORD
	s_movk_i32 s4, 0x7f
	v_cmp_lt_i16_e32 vcc, s4, v3
	s_mov_b64 s[4:5], 0
                                        ; implicit-def: $sgpr10
	s_and_saveexec_b64 s[6:7], vcc
	s_xor_b64 s[6:7], exec, s[6:7]
	s_cbranch_execnz .LBB5_2673
; %bb.625:
	s_or_saveexec_b64 s[6:7], s[6:7]
	v_mov_b32_e32 v2, s10
	s_xor_b64 exec, exec, s[6:7]
	s_cbranch_execnz .LBB5_2676
.LBB5_626:
	s_or_b64 exec, exec, s[6:7]
	s_and_saveexec_b64 s[6:7], s[4:5]
	s_cbranch_execz .LBB5_628
.LBB5_627:
	v_bfe_u32 v2, v9, 16, 3
	v_ffbh_u32_e32 v6, v2
	v_min_u32_e32 v6, 32, v6
	v_lshrrev_b32_e32 v3, 19, v9
	v_subrev_u32_e32 v7, 28, v6
	v_and_b32_e32 v3, 15, v3
	v_lshlrev_b32_sdwa v7, v7, v9 dst_sel:DWORD dst_unused:UNUSED_PAD src0_sel:DWORD src1_sel:WORD_1
	v_bfe_u32 v4, v9, 19, 4
	v_sub_u32_e32 v6, 29, v6
	v_and_b32_e32 v7, 7, v7
	v_cmp_eq_u16_e32 vcc, 0, v3
	v_cndmask_b32_e32 v2, v2, v7, vcc
	v_cndmask_b32_e32 v3, v4, v6, vcc
	v_lshlrev_b32_e32 v4, 8, v9
	v_mov_b32_e32 v6, 0x3b800000
	v_lshlrev_b32_e32 v2, 20, v2
	v_and_b32_e32 v4, 0x80000000, v4
	v_lshl_add_u32 v3, v3, 23, v6
	v_or3_b32 v2, v4, v3, v2
.LBB5_628:
	s_or_b64 exec, exec, s[6:7]
	s_movk_i32 s4, 0xff
	v_and_b32_sdwa v3, v5, s4 dst_sel:DWORD dst_unused:UNUSED_PAD src0_sel:WORD_1 src1_sel:DWORD
	s_movk_i32 s4, 0x7f
	v_cmp_lt_i16_e32 vcc, s4, v3
	s_mov_b64 s[4:5], 0
                                        ; implicit-def: $sgpr10
	s_and_saveexec_b64 s[6:7], vcc
	s_xor_b64 s[6:7], exec, s[6:7]
	s_cbranch_execnz .LBB5_2677
; %bb.629:
	s_or_saveexec_b64 s[6:7], s[6:7]
	v_mov_b32_e32 v4, s10
	s_xor_b64 exec, exec, s[6:7]
	s_cbranch_execnz .LBB5_2680
.LBB5_630:
	s_or_b64 exec, exec, s[6:7]
	s_and_saveexec_b64 s[6:7], s[4:5]
	s_cbranch_execz .LBB5_632
.LBB5_631:
	v_bfe_u32 v3, v5, 16, 3
	v_ffbh_u32_e32 v7, v3
	v_min_u32_e32 v7, 32, v7
	v_lshrrev_b32_e32 v4, 19, v5
	v_subrev_u32_e32 v8, 28, v7
	v_and_b32_e32 v4, 15, v4
	v_lshlrev_b32_sdwa v8, v8, v5 dst_sel:DWORD dst_unused:UNUSED_PAD src0_sel:DWORD src1_sel:WORD_1
	v_bfe_u32 v6, v5, 19, 4
	v_sub_u32_e32 v7, 29, v7
	v_and_b32_e32 v8, 7, v8
	v_cmp_eq_u16_e32 vcc, 0, v4
	v_cndmask_b32_e32 v3, v3, v8, vcc
	v_cndmask_b32_e32 v4, v6, v7, vcc
	v_lshlrev_b32_e32 v6, 8, v5
	v_mov_b32_e32 v7, 0x3b800000
	v_lshlrev_b32_e32 v3, 20, v3
	v_and_b32_e32 v6, 0x80000000, v6
	v_lshl_add_u32 v4, v4, 23, v7
	v_or3_b32 v4, v6, v4, v3
.LBB5_632:
	s_or_b64 exec, exec, s[6:7]
	s_nop 0
	v_mfma_f32_16x16x4f32 a[0:3], v2, v4, a[0:3]
	s_movk_i32 s4, 0x7f
	v_cmp_gt_i16_sdwa s[6:7], v9, s4 src0_sel:BYTE_3 src1_sel:DWORD
	s_mov_b64 s[4:5], 0
                                        ; implicit-def: $sgpr10
	s_and_saveexec_b64 s[8:9], s[6:7]
	s_xor_b64 s[6:7], exec, s[8:9]
	s_cbranch_execnz .LBB5_2681
; %bb.633:
	s_or_saveexec_b64 s[6:7], s[6:7]
	v_mov_b32_e32 v2, s10
	s_xor_b64 exec, exec, s[6:7]
	s_cbranch_execnz .LBB5_2684
.LBB5_634:
	s_or_b64 exec, exec, s[6:7]
	s_and_saveexec_b64 s[6:7], s[4:5]
	s_cbranch_execz .LBB5_636
.LBB5_635:
	v_bfe_u32 v2, v9, 24, 3
	v_ffbh_u32_e32 v7, v2
	v_min_u32_e32 v7, 32, v7
	v_lshrrev_b32_e32 v4, 27, v9
	v_subrev_u32_e32 v8, 28, v7
	v_and_b32_e32 v4, 15, v4
	v_lshlrev_b32_sdwa v8, v8, v9 dst_sel:DWORD dst_unused:UNUSED_PAD src0_sel:DWORD src1_sel:BYTE_3
	v_bfe_u32 v6, v9, 27, 4
	v_sub_u32_e32 v7, 29, v7
	v_and_b32_e32 v8, 7, v8
	v_cmp_eq_u16_e32 vcc, 0, v4
	v_cndmask_b32_e32 v2, v2, v8, vcc
	v_cndmask_b32_e32 v4, v6, v7, vcc
	v_mov_b32_e32 v6, 0x3b800000
	v_and_b32_e32 v3, 0x80000000, v9
	v_lshlrev_b32_e32 v2, 20, v2
	v_lshl_add_u32 v4, v4, 23, v6
	v_or3_b32 v2, v3, v4, v2
.LBB5_636:
	s_or_b64 exec, exec, s[6:7]
	s_movk_i32 s4, 0x7f
	v_cmp_gt_i16_sdwa s[6:7], v5, s4 src0_sel:BYTE_3 src1_sel:DWORD
	s_mov_b64 s[4:5], 0
                                        ; implicit-def: $sgpr10
	s_and_saveexec_b64 s[8:9], s[6:7]
	s_xor_b64 s[6:7], exec, s[8:9]
	s_cbranch_execnz .LBB5_2685
; %bb.637:
	s_or_saveexec_b64 s[6:7], s[6:7]
	v_mov_b32_e32 v3, s10
	s_xor_b64 exec, exec, s[6:7]
	s_cbranch_execnz .LBB5_2688
.LBB5_638:
	s_or_b64 exec, exec, s[6:7]
	s_and_saveexec_b64 s[6:7], s[4:5]
	s_cbranch_execz .LBB5_640
.LBB5_639:
	v_bfe_u32 v3, v5, 24, 3
	v_ffbh_u32_e32 v8, v3
	v_min_u32_e32 v8, 32, v8
	v_lshrrev_b32_e32 v6, 27, v5
	v_subrev_u32_e32 v9, 28, v8
	v_and_b32_e32 v4, 0x80000000, v5
	v_and_b32_e32 v6, 15, v6
	v_bfe_u32 v7, v5, 27, 4
	v_lshlrev_b32_sdwa v5, v9, v5 dst_sel:DWORD dst_unused:UNUSED_PAD src0_sel:DWORD src1_sel:BYTE_3
	v_sub_u32_e32 v8, 29, v8
	v_and_b32_e32 v5, 7, v5
	v_cmp_eq_u16_e32 vcc, 0, v6
	v_cndmask_b32_e32 v3, v3, v5, vcc
	v_cndmask_b32_e32 v5, v7, v8, vcc
	v_mov_b32_e32 v6, 0x3b800000
	v_lshlrev_b32_e32 v3, 20, v3
	v_lshl_add_u32 v5, v5, 23, v6
	v_or3_b32 v3, v4, v5, v3
.LBB5_640:
	s_or_b64 exec, exec, s[6:7]
	s_nop 0
	v_mfma_f32_16x16x4f32 a[0:3], v2, v3, a[0:3]
	s_movk_i32 s4, 0x7f
                                        ; implicit-def: $sgpr10
	s_nop 7
	s_nop 1
	flat_store_dwordx4 v[10:11], a[0:3] offset:64
	flat_load_dwordx4 v[12:15], v[0:1] offset:8
	s_nop 0
	flat_load_dwordx2 v[10:11], v[0:1] offset:32
	s_waitcnt vmcnt(0) lgkmcnt(0)
	flat_load_dwordx4 v[6:9], v[12:13] offset:32
	flat_load_dwordx4 v[2:5], v[14:15] offset:32
	s_waitcnt vmcnt(0) lgkmcnt(0)
	v_cmp_gt_i16_sdwa s[6:7], v6, s4 src0_sel:BYTE_0 src1_sel:DWORD
	s_mov_b64 s[4:5], 0
	s_and_saveexec_b64 s[8:9], s[6:7]
	s_xor_b64 s[6:7], exec, s[8:9]
	s_cbranch_execnz .LBB5_2689
; %bb.641:
	s_or_saveexec_b64 s[6:7], s[6:7]
	v_mov_b32_e32 v12, s10
	s_xor_b64 exec, exec, s[6:7]
	s_cbranch_execnz .LBB5_2692
.LBB5_642:
	s_or_b64 exec, exec, s[6:7]
	s_and_saveexec_b64 s[6:7], s[4:5]
	s_cbranch_execz .LBB5_644
.LBB5_643:
	v_and_b32_e32 v12, 7, v6
	v_ffbh_u32_e32 v14, v12
	v_min_u32_e32 v14, 32, v14
	v_lshrrev_b16_e32 v13, 3, v6
	v_subrev_u32_e32 v15, 28, v14
	v_and_b32_e32 v13, 15, v13
	v_lshlrev_b32_e32 v15, v15, v6
	v_sub_u32_e32 v14, 29, v14
	v_and_b32_e32 v15, 7, v15
	v_cmp_eq_u16_e32 vcc, 0, v13
	v_cndmask_b32_e32 v12, v12, v15, vcc
	v_cndmask_b32_e32 v13, v13, v14, vcc
	v_lshlrev_b32_e32 v14, 24, v6
	v_mov_b32_e32 v15, 0x3b800000
	v_lshlrev_b32_e32 v12, 20, v12
	v_and_b32_e32 v14, 0x80000000, v14
	v_lshl_add_u32 v13, v13, 23, v15
	v_or3_b32 v12, v14, v13, v12
.LBB5_644:
	s_or_b64 exec, exec, s[6:7]
	s_movk_i32 s4, 0x7f
	v_cmp_gt_i16_sdwa s[6:7], v2, s4 src0_sel:BYTE_0 src1_sel:DWORD
	s_mov_b64 s[4:5], 0
                                        ; implicit-def: $sgpr10
	s_and_saveexec_b64 s[8:9], s[6:7]
	s_xor_b64 s[6:7], exec, s[8:9]
	s_cbranch_execnz .LBB5_2693
; %bb.645:
	s_or_saveexec_b64 s[6:7], s[6:7]
	v_mov_b32_e32 v13, s10
	s_xor_b64 exec, exec, s[6:7]
	s_cbranch_execnz .LBB5_2696
.LBB5_646:
	s_or_b64 exec, exec, s[6:7]
	s_and_saveexec_b64 s[6:7], s[4:5]
	s_cbranch_execz .LBB5_648
.LBB5_647:
	v_and_b32_e32 v13, 7, v2
	v_ffbh_u32_e32 v15, v13
	v_min_u32_e32 v15, 32, v15
	v_lshrrev_b16_e32 v14, 3, v2
	v_subrev_u32_e32 v16, 28, v15
	v_and_b32_e32 v14, 15, v14
	v_lshlrev_b32_e32 v16, v16, v2
	v_sub_u32_e32 v15, 29, v15
	v_and_b32_e32 v16, 7, v16
	v_cmp_eq_u16_e32 vcc, 0, v14
	v_cndmask_b32_e32 v13, v13, v16, vcc
	v_cndmask_b32_e32 v14, v14, v15, vcc
	v_lshlrev_b32_e32 v15, 24, v2
	v_mov_b32_e32 v16, 0x3b800000
	v_lshlrev_b32_e32 v13, 20, v13
	v_and_b32_e32 v15, 0x80000000, v15
	v_lshl_add_u32 v14, v14, 23, v16
	v_or3_b32 v13, v15, v14, v13
.LBB5_648:
	s_or_b64 exec, exec, s[6:7]
	flat_load_dwordx4 a[0:3], v[10:11] offset:80
	s_movk_i32 s4, 0x7f
                                        ; implicit-def: $sgpr10
	s_waitcnt vmcnt(0) lgkmcnt(0)
	v_mfma_f32_16x16x4f32 a[0:3], v12, v13, a[0:3]
	v_lshrrev_b32_e32 v13, 8, v6
	v_cmp_gt_i16_sdwa s[6:7], v13, s4 src0_sel:BYTE_0 src1_sel:DWORD
	s_mov_b64 s[4:5], 0
	s_and_saveexec_b64 s[8:9], s[6:7]
	s_xor_b64 s[6:7], exec, s[8:9]
	s_cbranch_execnz .LBB5_2697
; %bb.649:
	s_or_saveexec_b64 s[6:7], s[6:7]
	v_mov_b32_e32 v12, s10
	s_xor_b64 exec, exec, s[6:7]
	s_cbranch_execnz .LBB5_2700
.LBB5_650:
	s_or_b64 exec, exec, s[6:7]
	s_and_saveexec_b64 s[6:7], s[4:5]
	s_cbranch_execz .LBB5_652
.LBB5_651:
	v_bfe_u32 v12, v6, 8, 3
	v_ffbh_u32_e32 v15, v12
	v_min_u32_e32 v15, 32, v15
	v_lshrrev_b16_e32 v14, 3, v13
	v_subrev_u32_e32 v16, 28, v15
	v_and_b32_e32 v14, 15, v14
	v_lshlrev_b32_e32 v13, v16, v13
	v_sub_u32_e32 v15, 29, v15
	v_and_b32_e32 v13, 7, v13
	v_cmp_eq_u16_e32 vcc, 0, v14
	v_cndmask_b32_e32 v12, v12, v13, vcc
	v_cndmask_b32_e32 v13, v14, v15, vcc
	v_lshlrev_b32_e32 v14, 16, v6
	v_mov_b32_e32 v15, 0x3b800000
	v_lshlrev_b32_e32 v12, 20, v12
	v_and_b32_e32 v14, 0x80000000, v14
	v_lshl_add_u32 v13, v13, 23, v15
	v_or3_b32 v12, v14, v13, v12
.LBB5_652:
	s_or_b64 exec, exec, s[6:7]
	v_lshrrev_b32_e32 v13, 8, v2
	s_movk_i32 s4, 0x7f
	v_cmp_gt_i16_sdwa s[6:7], v13, s4 src0_sel:BYTE_0 src1_sel:DWORD
	s_mov_b64 s[4:5], 0
                                        ; implicit-def: $sgpr10
	s_and_saveexec_b64 s[8:9], s[6:7]
	s_xor_b64 s[6:7], exec, s[8:9]
	s_cbranch_execnz .LBB5_2701
; %bb.653:
	s_or_saveexec_b64 s[6:7], s[6:7]
	v_mov_b32_e32 v14, s10
	s_xor_b64 exec, exec, s[6:7]
	s_cbranch_execnz .LBB5_2704
.LBB5_654:
	s_or_b64 exec, exec, s[6:7]
	s_and_saveexec_b64 s[6:7], s[4:5]
	s_cbranch_execz .LBB5_656
.LBB5_655:
	v_bfe_u32 v14, v2, 8, 3
	v_ffbh_u32_e32 v16, v14
	v_min_u32_e32 v16, 32, v16
	v_lshrrev_b16_e32 v15, 3, v13
	v_subrev_u32_e32 v17, 28, v16
	v_and_b32_e32 v15, 15, v15
	v_lshlrev_b32_e32 v13, v17, v13
	v_sub_u32_e32 v16, 29, v16
	v_and_b32_e32 v13, 7, v13
	v_cmp_eq_u16_e32 vcc, 0, v15
	v_cndmask_b32_e32 v13, v14, v13, vcc
	v_cndmask_b32_e32 v14, v15, v16, vcc
	v_lshlrev_b32_e32 v15, 16, v2
	v_mov_b32_e32 v16, 0x3b800000
	v_lshlrev_b32_e32 v13, 20, v13
	v_and_b32_e32 v15, 0x80000000, v15
	v_lshl_add_u32 v14, v14, 23, v16
	v_or3_b32 v14, v15, v14, v13
.LBB5_656:
	s_or_b64 exec, exec, s[6:7]
	s_nop 0
	v_mfma_f32_16x16x4f32 a[0:3], v12, v14, a[0:3]
	s_movk_i32 s4, 0xff
	v_and_b32_sdwa v13, v6, s4 dst_sel:DWORD dst_unused:UNUSED_PAD src0_sel:WORD_1 src1_sel:DWORD
	s_movk_i32 s4, 0x7f
	v_cmp_lt_i16_e32 vcc, s4, v13
	s_mov_b64 s[4:5], 0
                                        ; implicit-def: $sgpr10
	s_and_saveexec_b64 s[6:7], vcc
	s_xor_b64 s[6:7], exec, s[6:7]
	s_cbranch_execnz .LBB5_2705
; %bb.657:
	s_or_saveexec_b64 s[6:7], s[6:7]
	v_mov_b32_e32 v12, s10
	s_xor_b64 exec, exec, s[6:7]
	s_cbranch_execnz .LBB5_2708
.LBB5_658:
	s_or_b64 exec, exec, s[6:7]
	s_and_saveexec_b64 s[6:7], s[4:5]
	s_cbranch_execz .LBB5_660
.LBB5_659:
	v_bfe_u32 v12, v6, 16, 3
	v_ffbh_u32_e32 v15, v12
	v_min_u32_e32 v15, 32, v15
	v_lshrrev_b32_e32 v13, 19, v6
	v_subrev_u32_e32 v16, 28, v15
	v_and_b32_e32 v13, 15, v13
	v_lshlrev_b32_sdwa v16, v16, v6 dst_sel:DWORD dst_unused:UNUSED_PAD src0_sel:DWORD src1_sel:WORD_1
	v_bfe_u32 v14, v6, 19, 4
	v_sub_u32_e32 v15, 29, v15
	v_and_b32_e32 v16, 7, v16
	v_cmp_eq_u16_e32 vcc, 0, v13
	v_cndmask_b32_e32 v12, v12, v16, vcc
	v_cndmask_b32_e32 v13, v14, v15, vcc
	v_lshlrev_b32_e32 v14, 8, v6
	v_mov_b32_e32 v15, 0x3b800000
	v_lshlrev_b32_e32 v12, 20, v12
	v_and_b32_e32 v14, 0x80000000, v14
	v_lshl_add_u32 v13, v13, 23, v15
	v_or3_b32 v12, v14, v13, v12
.LBB5_660:
	s_or_b64 exec, exec, s[6:7]
	s_movk_i32 s4, 0xff
	v_and_b32_sdwa v13, v2, s4 dst_sel:DWORD dst_unused:UNUSED_PAD src0_sel:WORD_1 src1_sel:DWORD
	s_movk_i32 s4, 0x7f
	v_cmp_lt_i16_e32 vcc, s4, v13
	s_mov_b64 s[4:5], 0
                                        ; implicit-def: $sgpr10
	s_and_saveexec_b64 s[6:7], vcc
	s_xor_b64 s[6:7], exec, s[6:7]
	s_cbranch_execnz .LBB5_2709
; %bb.661:
	s_or_saveexec_b64 s[6:7], s[6:7]
	v_mov_b32_e32 v14, s10
	s_xor_b64 exec, exec, s[6:7]
	s_cbranch_execnz .LBB5_2712
.LBB5_662:
	s_or_b64 exec, exec, s[6:7]
	s_and_saveexec_b64 s[6:7], s[4:5]
	s_cbranch_execz .LBB5_664
.LBB5_663:
	v_bfe_u32 v13, v2, 16, 3
	v_ffbh_u32_e32 v16, v13
	v_min_u32_e32 v16, 32, v16
	v_lshrrev_b32_e32 v14, 19, v2
	v_subrev_u32_e32 v17, 28, v16
	v_and_b32_e32 v14, 15, v14
	v_lshlrev_b32_sdwa v17, v17, v2 dst_sel:DWORD dst_unused:UNUSED_PAD src0_sel:DWORD src1_sel:WORD_1
	v_bfe_u32 v15, v2, 19, 4
	v_sub_u32_e32 v16, 29, v16
	v_and_b32_e32 v17, 7, v17
	v_cmp_eq_u16_e32 vcc, 0, v14
	v_cndmask_b32_e32 v13, v13, v17, vcc
	v_cndmask_b32_e32 v14, v15, v16, vcc
	v_lshlrev_b32_e32 v15, 8, v2
	v_mov_b32_e32 v16, 0x3b800000
	v_lshlrev_b32_e32 v13, 20, v13
	v_and_b32_e32 v15, 0x80000000, v15
	v_lshl_add_u32 v14, v14, 23, v16
	v_or3_b32 v14, v15, v14, v13
.LBB5_664:
	s_or_b64 exec, exec, s[6:7]
	s_nop 0
	v_mfma_f32_16x16x4f32 a[0:3], v12, v14, a[0:3]
	s_movk_i32 s4, 0x7f
	v_cmp_gt_i16_sdwa s[6:7], v6, s4 src0_sel:BYTE_3 src1_sel:DWORD
	s_mov_b64 s[4:5], 0
                                        ; implicit-def: $sgpr10
	s_and_saveexec_b64 s[8:9], s[6:7]
	s_xor_b64 s[6:7], exec, s[8:9]
	s_cbranch_execnz .LBB5_2713
; %bb.665:
	s_or_saveexec_b64 s[6:7], s[6:7]
	v_mov_b32_e32 v12, s10
	s_xor_b64 exec, exec, s[6:7]
	s_cbranch_execnz .LBB5_2716
.LBB5_666:
	s_or_b64 exec, exec, s[6:7]
	s_and_saveexec_b64 s[6:7], s[4:5]
	s_cbranch_execz .LBB5_668
.LBB5_667:
	v_bfe_u32 v12, v6, 24, 3
	v_ffbh_u32_e32 v16, v12
	v_min_u32_e32 v16, 32, v16
	v_lshrrev_b32_e32 v14, 27, v6
	v_subrev_u32_e32 v17, 28, v16
	v_and_b32_e32 v13, 0x80000000, v6
	v_and_b32_e32 v14, 15, v14
	v_bfe_u32 v15, v6, 27, 4
	v_lshlrev_b32_sdwa v6, v17, v6 dst_sel:DWORD dst_unused:UNUSED_PAD src0_sel:DWORD src1_sel:BYTE_3
	v_sub_u32_e32 v16, 29, v16
	v_and_b32_e32 v6, 7, v6
	v_cmp_eq_u16_e32 vcc, 0, v14
	v_cndmask_b32_e32 v6, v12, v6, vcc
	v_cndmask_b32_e32 v12, v15, v16, vcc
	v_mov_b32_e32 v14, 0x3b800000
	v_lshlrev_b32_e32 v6, 20, v6
	v_lshl_add_u32 v12, v12, 23, v14
	v_or3_b32 v12, v13, v12, v6
.LBB5_668:
	s_or_b64 exec, exec, s[6:7]
	s_movk_i32 s4, 0x7f
	v_cmp_gt_i16_sdwa s[6:7], v2, s4 src0_sel:BYTE_3 src1_sel:DWORD
	s_mov_b64 s[4:5], 0
                                        ; implicit-def: $sgpr10
	s_and_saveexec_b64 s[8:9], s[6:7]
	s_xor_b64 s[6:7], exec, s[8:9]
	s_cbranch_execnz .LBB5_2717
; %bb.669:
	s_or_saveexec_b64 s[6:7], s[6:7]
	v_mov_b32_e32 v6, s10
	s_xor_b64 exec, exec, s[6:7]
	s_cbranch_execnz .LBB5_2720
.LBB5_670:
	s_or_b64 exec, exec, s[6:7]
	s_and_saveexec_b64 s[6:7], s[4:5]
	s_cbranch_execz .LBB5_672
.LBB5_671:
	v_bfe_u32 v6, v2, 24, 3
	v_ffbh_u32_e32 v16, v6
	v_min_u32_e32 v16, 32, v16
	v_lshrrev_b32_e32 v14, 27, v2
	v_subrev_u32_e32 v17, 28, v16
	v_and_b32_e32 v13, 0x80000000, v2
	v_and_b32_e32 v14, 15, v14
	v_bfe_u32 v15, v2, 27, 4
	v_lshlrev_b32_sdwa v2, v17, v2 dst_sel:DWORD dst_unused:UNUSED_PAD src0_sel:DWORD src1_sel:BYTE_3
	v_sub_u32_e32 v16, 29, v16
	v_and_b32_e32 v2, 7, v2
	v_cmp_eq_u16_e32 vcc, 0, v14
	v_cndmask_b32_e32 v2, v6, v2, vcc
	v_cndmask_b32_e32 v6, v15, v16, vcc
	v_mov_b32_e32 v14, 0x3b800000
	v_lshlrev_b32_e32 v2, 20, v2
	v_lshl_add_u32 v6, v6, 23, v14
	v_or3_b32 v6, v13, v6, v2
.LBB5_672:
	s_or_b64 exec, exec, s[6:7]
	s_nop 0
	v_mfma_f32_16x16x4f32 a[0:3], v12, v6, a[0:3]
	s_movk_i32 s4, 0x7f
	v_cmp_gt_i16_sdwa s[6:7], v7, s4 src0_sel:BYTE_0 src1_sel:DWORD
	s_mov_b64 s[4:5], 0
                                        ; implicit-def: $sgpr10
	s_and_saveexec_b64 s[8:9], s[6:7]
	s_xor_b64 s[6:7], exec, s[8:9]
	s_cbranch_execnz .LBB5_2721
; %bb.673:
	s_or_saveexec_b64 s[6:7], s[6:7]
	v_mov_b32_e32 v2, s10
	s_xor_b64 exec, exec, s[6:7]
	s_cbranch_execnz .LBB5_2724
.LBB5_674:
	s_or_b64 exec, exec, s[6:7]
	s_and_saveexec_b64 s[6:7], s[4:5]
	s_cbranch_execz .LBB5_676
.LBB5_675:
	v_and_b32_e32 v2, 7, v7
	v_ffbh_u32_e32 v12, v2
	v_min_u32_e32 v12, 32, v12
	v_lshrrev_b16_e32 v6, 3, v7
	v_subrev_u32_e32 v13, 28, v12
	v_and_b32_e32 v6, 15, v6
	v_lshlrev_b32_e32 v13, v13, v7
	v_sub_u32_e32 v12, 29, v12
	v_and_b32_e32 v13, 7, v13
	v_cmp_eq_u16_e32 vcc, 0, v6
	v_cndmask_b32_e32 v2, v2, v13, vcc
	v_cndmask_b32_e32 v6, v6, v12, vcc
	v_lshlrev_b32_e32 v12, 24, v7
	v_mov_b32_e32 v13, 0x3b800000
	v_lshlrev_b32_e32 v2, 20, v2
	v_and_b32_e32 v12, 0x80000000, v12
	v_lshl_add_u32 v6, v6, 23, v13
	v_or3_b32 v2, v12, v6, v2
.LBB5_676:
	s_or_b64 exec, exec, s[6:7]
	s_movk_i32 s4, 0x7f
	v_cmp_gt_i16_sdwa s[6:7], v3, s4 src0_sel:BYTE_0 src1_sel:DWORD
	s_mov_b64 s[4:5], 0
                                        ; implicit-def: $sgpr10
	s_and_saveexec_b64 s[8:9], s[6:7]
	s_xor_b64 s[6:7], exec, s[8:9]
	s_cbranch_execnz .LBB5_2725
; %bb.677:
	s_or_saveexec_b64 s[6:7], s[6:7]
	v_mov_b32_e32 v6, s10
	s_xor_b64 exec, exec, s[6:7]
	s_cbranch_execnz .LBB5_2728
.LBB5_678:
	s_or_b64 exec, exec, s[6:7]
	s_and_saveexec_b64 s[6:7], s[4:5]
	s_cbranch_execz .LBB5_680
.LBB5_679:
	v_and_b32_e32 v6, 7, v3
	v_ffbh_u32_e32 v13, v6
	v_min_u32_e32 v13, 32, v13
	v_lshrrev_b16_e32 v12, 3, v3
	v_subrev_u32_e32 v14, 28, v13
	v_and_b32_e32 v12, 15, v12
	v_lshlrev_b32_e32 v14, v14, v3
	v_sub_u32_e32 v13, 29, v13
	v_and_b32_e32 v14, 7, v14
	v_cmp_eq_u16_e32 vcc, 0, v12
	v_cndmask_b32_e32 v6, v6, v14, vcc
	v_cndmask_b32_e32 v12, v12, v13, vcc
	v_lshlrev_b32_e32 v13, 24, v3
	v_mov_b32_e32 v14, 0x3b800000
	v_lshlrev_b32_e32 v6, 20, v6
	v_and_b32_e32 v13, 0x80000000, v13
	v_lshl_add_u32 v12, v12, 23, v14
	v_or3_b32 v6, v13, v12, v6
.LBB5_680:
	s_or_b64 exec, exec, s[6:7]
	s_nop 0
	v_mfma_f32_16x16x4f32 a[0:3], v2, v6, a[0:3]
	v_lshrrev_b32_e32 v6, 8, v7
	s_movk_i32 s4, 0x7f
	v_cmp_gt_i16_sdwa s[6:7], v6, s4 src0_sel:BYTE_0 src1_sel:DWORD
	s_mov_b64 s[4:5], 0
                                        ; implicit-def: $sgpr10
	s_and_saveexec_b64 s[8:9], s[6:7]
	s_xor_b64 s[6:7], exec, s[8:9]
	s_cbranch_execnz .LBB5_2729
; %bb.681:
	s_or_saveexec_b64 s[6:7], s[6:7]
	v_mov_b32_e32 v2, s10
	s_xor_b64 exec, exec, s[6:7]
	s_cbranch_execnz .LBB5_2732
.LBB5_682:
	s_or_b64 exec, exec, s[6:7]
	s_and_saveexec_b64 s[6:7], s[4:5]
	s_cbranch_execz .LBB5_684
.LBB5_683:
	v_bfe_u32 v2, v7, 8, 3
	v_ffbh_u32_e32 v13, v2
	v_min_u32_e32 v13, 32, v13
	v_lshrrev_b16_e32 v12, 3, v6
	v_subrev_u32_e32 v14, 28, v13
	v_and_b32_e32 v12, 15, v12
	v_lshlrev_b32_e32 v6, v14, v6
	v_sub_u32_e32 v13, 29, v13
	v_and_b32_e32 v6, 7, v6
	v_cmp_eq_u16_e32 vcc, 0, v12
	v_cndmask_b32_e32 v2, v2, v6, vcc
	v_cndmask_b32_e32 v6, v12, v13, vcc
	v_lshlrev_b32_e32 v12, 16, v7
	v_mov_b32_e32 v13, 0x3b800000
	v_lshlrev_b32_e32 v2, 20, v2
	v_and_b32_e32 v12, 0x80000000, v12
	v_lshl_add_u32 v6, v6, 23, v13
	v_or3_b32 v2, v12, v6, v2
.LBB5_684:
	s_or_b64 exec, exec, s[6:7]
	v_lshrrev_b32_e32 v6, 8, v3
	s_movk_i32 s4, 0x7f
	v_cmp_gt_i16_sdwa s[6:7], v6, s4 src0_sel:BYTE_0 src1_sel:DWORD
	s_mov_b64 s[4:5], 0
                                        ; implicit-def: $sgpr10
	s_and_saveexec_b64 s[8:9], s[6:7]
	s_xor_b64 s[6:7], exec, s[8:9]
	s_cbranch_execnz .LBB5_2733
; %bb.685:
	s_or_saveexec_b64 s[6:7], s[6:7]
	v_mov_b32_e32 v12, s10
	s_xor_b64 exec, exec, s[6:7]
	s_cbranch_execnz .LBB5_2736
.LBB5_686:
	s_or_b64 exec, exec, s[6:7]
	s_and_saveexec_b64 s[6:7], s[4:5]
	s_cbranch_execz .LBB5_688
.LBB5_687:
	v_bfe_u32 v12, v3, 8, 3
	v_ffbh_u32_e32 v14, v12
	v_min_u32_e32 v14, 32, v14
	v_lshrrev_b16_e32 v13, 3, v6
	v_subrev_u32_e32 v15, 28, v14
	v_and_b32_e32 v13, 15, v13
	v_lshlrev_b32_e32 v6, v15, v6
	v_sub_u32_e32 v14, 29, v14
	v_and_b32_e32 v6, 7, v6
	v_cmp_eq_u16_e32 vcc, 0, v13
	v_cndmask_b32_e32 v6, v12, v6, vcc
	v_cndmask_b32_e32 v12, v13, v14, vcc
	v_lshlrev_b32_e32 v13, 16, v3
	v_mov_b32_e32 v14, 0x3b800000
	v_lshlrev_b32_e32 v6, 20, v6
	v_and_b32_e32 v13, 0x80000000, v13
	v_lshl_add_u32 v12, v12, 23, v14
	v_or3_b32 v12, v13, v12, v6
.LBB5_688:
	s_or_b64 exec, exec, s[6:7]
	s_nop 0
	v_mfma_f32_16x16x4f32 a[0:3], v2, v12, a[0:3]
	s_movk_i32 s4, 0xff
	v_and_b32_sdwa v6, v7, s4 dst_sel:DWORD dst_unused:UNUSED_PAD src0_sel:WORD_1 src1_sel:DWORD
	s_movk_i32 s4, 0x7f
	v_cmp_lt_i16_e32 vcc, s4, v6
	s_mov_b64 s[4:5], 0
                                        ; implicit-def: $sgpr10
	s_and_saveexec_b64 s[6:7], vcc
	s_xor_b64 s[6:7], exec, s[6:7]
	s_cbranch_execnz .LBB5_2737
; %bb.689:
	s_or_saveexec_b64 s[6:7], s[6:7]
	v_mov_b32_e32 v2, s10
	s_xor_b64 exec, exec, s[6:7]
	s_cbranch_execnz .LBB5_2740
.LBB5_690:
	s_or_b64 exec, exec, s[6:7]
	s_and_saveexec_b64 s[6:7], s[4:5]
	s_cbranch_execz .LBB5_692
.LBB5_691:
	v_bfe_u32 v2, v7, 16, 3
	v_ffbh_u32_e32 v13, v2
	v_min_u32_e32 v13, 32, v13
	v_lshrrev_b32_e32 v6, 19, v7
	v_subrev_u32_e32 v14, 28, v13
	v_and_b32_e32 v6, 15, v6
	v_lshlrev_b32_sdwa v14, v14, v7 dst_sel:DWORD dst_unused:UNUSED_PAD src0_sel:DWORD src1_sel:WORD_1
	v_bfe_u32 v12, v7, 19, 4
	v_sub_u32_e32 v13, 29, v13
	v_and_b32_e32 v14, 7, v14
	v_cmp_eq_u16_e32 vcc, 0, v6
	v_cndmask_b32_e32 v2, v2, v14, vcc
	v_cndmask_b32_e32 v6, v12, v13, vcc
	v_lshlrev_b32_e32 v12, 8, v7
	v_mov_b32_e32 v13, 0x3b800000
	v_lshlrev_b32_e32 v2, 20, v2
	v_and_b32_e32 v12, 0x80000000, v12
	v_lshl_add_u32 v6, v6, 23, v13
	v_or3_b32 v2, v12, v6, v2
.LBB5_692:
	s_or_b64 exec, exec, s[6:7]
	s_movk_i32 s4, 0xff
	v_and_b32_sdwa v6, v3, s4 dst_sel:DWORD dst_unused:UNUSED_PAD src0_sel:WORD_1 src1_sel:DWORD
	s_movk_i32 s4, 0x7f
	v_cmp_lt_i16_e32 vcc, s4, v6
	s_mov_b64 s[4:5], 0
                                        ; implicit-def: $sgpr10
	s_and_saveexec_b64 s[6:7], vcc
	s_xor_b64 s[6:7], exec, s[6:7]
	s_cbranch_execnz .LBB5_2741
; %bb.693:
	s_or_saveexec_b64 s[6:7], s[6:7]
	v_mov_b32_e32 v12, s10
	s_xor_b64 exec, exec, s[6:7]
	s_cbranch_execnz .LBB5_2744
.LBB5_694:
	s_or_b64 exec, exec, s[6:7]
	s_and_saveexec_b64 s[6:7], s[4:5]
	s_cbranch_execz .LBB5_696
.LBB5_695:
	v_bfe_u32 v6, v3, 16, 3
	v_ffbh_u32_e32 v14, v6
	v_min_u32_e32 v14, 32, v14
	v_lshrrev_b32_e32 v12, 19, v3
	v_subrev_u32_e32 v15, 28, v14
	v_and_b32_e32 v12, 15, v12
	v_lshlrev_b32_sdwa v15, v15, v3 dst_sel:DWORD dst_unused:UNUSED_PAD src0_sel:DWORD src1_sel:WORD_1
	v_bfe_u32 v13, v3, 19, 4
	v_sub_u32_e32 v14, 29, v14
	v_and_b32_e32 v15, 7, v15
	v_cmp_eq_u16_e32 vcc, 0, v12
	v_cndmask_b32_e32 v6, v6, v15, vcc
	v_cndmask_b32_e32 v12, v13, v14, vcc
	v_lshlrev_b32_e32 v13, 8, v3
	v_mov_b32_e32 v14, 0x3b800000
	v_lshlrev_b32_e32 v6, 20, v6
	v_and_b32_e32 v13, 0x80000000, v13
	v_lshl_add_u32 v12, v12, 23, v14
	v_or3_b32 v12, v13, v12, v6
.LBB5_696:
	s_or_b64 exec, exec, s[6:7]
	s_nop 0
	v_mfma_f32_16x16x4f32 a[0:3], v2, v12, a[0:3]
	s_movk_i32 s4, 0x7f
	v_cmp_gt_i16_sdwa s[6:7], v7, s4 src0_sel:BYTE_3 src1_sel:DWORD
	s_mov_b64 s[4:5], 0
                                        ; implicit-def: $sgpr10
	s_and_saveexec_b64 s[8:9], s[6:7]
	s_xor_b64 s[6:7], exec, s[8:9]
	s_cbranch_execnz .LBB5_2745
; %bb.697:
	s_or_saveexec_b64 s[6:7], s[6:7]
	v_mov_b32_e32 v2, s10
	s_xor_b64 exec, exec, s[6:7]
	s_cbranch_execnz .LBB5_2748
.LBB5_698:
	s_or_b64 exec, exec, s[6:7]
	s_and_saveexec_b64 s[6:7], s[4:5]
	s_cbranch_execz .LBB5_700
.LBB5_699:
	v_bfe_u32 v2, v7, 24, 3
	v_ffbh_u32_e32 v14, v2
	v_min_u32_e32 v14, 32, v14
	v_lshrrev_b32_e32 v12, 27, v7
	v_subrev_u32_e32 v15, 28, v14
	v_and_b32_e32 v6, 0x80000000, v7
	v_and_b32_e32 v12, 15, v12
	v_bfe_u32 v13, v7, 27, 4
	v_lshlrev_b32_sdwa v7, v15, v7 dst_sel:DWORD dst_unused:UNUSED_PAD src0_sel:DWORD src1_sel:BYTE_3
	v_sub_u32_e32 v14, 29, v14
	v_and_b32_e32 v7, 7, v7
	v_cmp_eq_u16_e32 vcc, 0, v12
	v_cndmask_b32_e32 v2, v2, v7, vcc
	v_cndmask_b32_e32 v7, v13, v14, vcc
	v_mov_b32_e32 v12, 0x3b800000
	v_lshlrev_b32_e32 v2, 20, v2
	v_lshl_add_u32 v7, v7, 23, v12
	v_or3_b32 v2, v6, v7, v2
.LBB5_700:
	s_or_b64 exec, exec, s[6:7]
	s_movk_i32 s4, 0x7f
	v_cmp_gt_i16_sdwa s[6:7], v3, s4 src0_sel:BYTE_3 src1_sel:DWORD
	s_mov_b64 s[4:5], 0
                                        ; implicit-def: $sgpr10
	s_and_saveexec_b64 s[8:9], s[6:7]
	s_xor_b64 s[6:7], exec, s[8:9]
	s_cbranch_execnz .LBB5_2749
; %bb.701:
	s_or_saveexec_b64 s[6:7], s[6:7]
	v_mov_b32_e32 v6, s10
	s_xor_b64 exec, exec, s[6:7]
	s_cbranch_execnz .LBB5_2752
.LBB5_702:
	s_or_b64 exec, exec, s[6:7]
	s_and_saveexec_b64 s[6:7], s[4:5]
	s_cbranch_execz .LBB5_704
.LBB5_703:
	v_bfe_u32 v6, v3, 24, 3
	v_ffbh_u32_e32 v14, v6
	v_min_u32_e32 v14, 32, v14
	v_lshrrev_b32_e32 v12, 27, v3
	v_subrev_u32_e32 v15, 28, v14
	v_and_b32_e32 v7, 0x80000000, v3
	v_and_b32_e32 v12, 15, v12
	v_bfe_u32 v13, v3, 27, 4
	v_lshlrev_b32_sdwa v3, v15, v3 dst_sel:DWORD dst_unused:UNUSED_PAD src0_sel:DWORD src1_sel:BYTE_3
	v_sub_u32_e32 v14, 29, v14
	v_and_b32_e32 v3, 7, v3
	v_cmp_eq_u16_e32 vcc, 0, v12
	v_cndmask_b32_e32 v3, v6, v3, vcc
	v_cndmask_b32_e32 v6, v13, v14, vcc
	v_mov_b32_e32 v12, 0x3b800000
	v_lshlrev_b32_e32 v3, 20, v3
	v_lshl_add_u32 v6, v6, 23, v12
	v_or3_b32 v6, v7, v6, v3
.LBB5_704:
	s_or_b64 exec, exec, s[6:7]
	s_nop 0
	v_mfma_f32_16x16x4f32 a[0:3], v2, v6, a[0:3]
	s_movk_i32 s4, 0x7f
	v_cmp_gt_i16_sdwa s[6:7], v8, s4 src0_sel:BYTE_0 src1_sel:DWORD
	s_mov_b64 s[4:5], 0
                                        ; implicit-def: $sgpr10
	s_and_saveexec_b64 s[8:9], s[6:7]
	s_xor_b64 s[6:7], exec, s[8:9]
	s_cbranch_execnz .LBB5_2753
; %bb.705:
	s_or_saveexec_b64 s[6:7], s[6:7]
	v_mov_b32_e32 v2, s10
	s_xor_b64 exec, exec, s[6:7]
	s_cbranch_execnz .LBB5_2756
.LBB5_706:
	s_or_b64 exec, exec, s[6:7]
	s_and_saveexec_b64 s[6:7], s[4:5]
	s_cbranch_execz .LBB5_708
.LBB5_707:
	v_and_b32_e32 v2, 7, v8
	v_ffbh_u32_e32 v6, v2
	v_min_u32_e32 v6, 32, v6
	v_lshrrev_b16_e32 v3, 3, v8
	v_subrev_u32_e32 v7, 28, v6
	v_and_b32_e32 v3, 15, v3
	v_lshlrev_b32_e32 v7, v7, v8
	v_sub_u32_e32 v6, 29, v6
	v_and_b32_e32 v7, 7, v7
	v_cmp_eq_u16_e32 vcc, 0, v3
	v_cndmask_b32_e32 v2, v2, v7, vcc
	v_cndmask_b32_e32 v3, v3, v6, vcc
	v_lshlrev_b32_e32 v6, 24, v8
	v_mov_b32_e32 v7, 0x3b800000
	v_lshlrev_b32_e32 v2, 20, v2
	v_and_b32_e32 v6, 0x80000000, v6
	v_lshl_add_u32 v3, v3, 23, v7
	v_or3_b32 v2, v6, v3, v2
.LBB5_708:
	s_or_b64 exec, exec, s[6:7]
	s_movk_i32 s4, 0x7f
	v_cmp_gt_i16_sdwa s[6:7], v4, s4 src0_sel:BYTE_0 src1_sel:DWORD
	s_mov_b64 s[4:5], 0
                                        ; implicit-def: $sgpr10
	s_and_saveexec_b64 s[8:9], s[6:7]
	s_xor_b64 s[6:7], exec, s[8:9]
	s_cbranch_execnz .LBB5_2757
; %bb.709:
	s_or_saveexec_b64 s[6:7], s[6:7]
	v_mov_b32_e32 v3, s10
	s_xor_b64 exec, exec, s[6:7]
	s_cbranch_execnz .LBB5_2760
.LBB5_710:
	s_or_b64 exec, exec, s[6:7]
	s_and_saveexec_b64 s[6:7], s[4:5]
	s_cbranch_execz .LBB5_712
.LBB5_711:
	v_and_b32_e32 v3, 7, v4
	v_ffbh_u32_e32 v7, v3
	v_min_u32_e32 v7, 32, v7
	v_lshrrev_b16_e32 v6, 3, v4
	v_subrev_u32_e32 v12, 28, v7
	v_and_b32_e32 v6, 15, v6
	v_lshlrev_b32_e32 v12, v12, v4
	v_sub_u32_e32 v7, 29, v7
	v_and_b32_e32 v12, 7, v12
	v_cmp_eq_u16_e32 vcc, 0, v6
	v_cndmask_b32_e32 v3, v3, v12, vcc
	v_cndmask_b32_e32 v6, v6, v7, vcc
	v_lshlrev_b32_e32 v7, 24, v4
	v_mov_b32_e32 v12, 0x3b800000
	v_lshlrev_b32_e32 v3, 20, v3
	v_and_b32_e32 v7, 0x80000000, v7
	v_lshl_add_u32 v6, v6, 23, v12
	v_or3_b32 v3, v7, v6, v3
.LBB5_712:
	s_or_b64 exec, exec, s[6:7]
	s_nop 0
	v_mfma_f32_16x16x4f32 a[0:3], v2, v3, a[0:3]
	v_lshrrev_b32_e32 v3, 8, v8
	s_movk_i32 s4, 0x7f
	v_cmp_gt_i16_sdwa s[6:7], v3, s4 src0_sel:BYTE_0 src1_sel:DWORD
	s_mov_b64 s[4:5], 0
                                        ; implicit-def: $sgpr10
	s_and_saveexec_b64 s[8:9], s[6:7]
	s_xor_b64 s[6:7], exec, s[8:9]
	s_cbranch_execnz .LBB5_2761
; %bb.713:
	s_or_saveexec_b64 s[6:7], s[6:7]
	v_mov_b32_e32 v2, s10
	s_xor_b64 exec, exec, s[6:7]
	s_cbranch_execnz .LBB5_2764
.LBB5_714:
	s_or_b64 exec, exec, s[6:7]
	s_and_saveexec_b64 s[6:7], s[4:5]
	s_cbranch_execz .LBB5_716
.LBB5_715:
	v_bfe_u32 v2, v8, 8, 3
	v_ffbh_u32_e32 v7, v2
	v_min_u32_e32 v7, 32, v7
	v_lshrrev_b16_e32 v6, 3, v3
	v_subrev_u32_e32 v12, 28, v7
	v_and_b32_e32 v6, 15, v6
	v_lshlrev_b32_e32 v3, v12, v3
	v_sub_u32_e32 v7, 29, v7
	v_and_b32_e32 v3, 7, v3
	v_cmp_eq_u16_e32 vcc, 0, v6
	v_cndmask_b32_e32 v2, v2, v3, vcc
	v_cndmask_b32_e32 v3, v6, v7, vcc
	v_lshlrev_b32_e32 v6, 16, v8
	v_mov_b32_e32 v7, 0x3b800000
	v_lshlrev_b32_e32 v2, 20, v2
	v_and_b32_e32 v6, 0x80000000, v6
	v_lshl_add_u32 v3, v3, 23, v7
	v_or3_b32 v2, v6, v3, v2
.LBB5_716:
	s_or_b64 exec, exec, s[6:7]
	v_lshrrev_b32_e32 v3, 8, v4
	s_movk_i32 s4, 0x7f
	v_cmp_gt_i16_sdwa s[6:7], v3, s4 src0_sel:BYTE_0 src1_sel:DWORD
	s_mov_b64 s[4:5], 0
                                        ; implicit-def: $sgpr10
	s_and_saveexec_b64 s[8:9], s[6:7]
	s_xor_b64 s[6:7], exec, s[8:9]
	s_cbranch_execnz .LBB5_2765
; %bb.717:
	s_or_saveexec_b64 s[6:7], s[6:7]
	v_mov_b32_e32 v6, s10
	s_xor_b64 exec, exec, s[6:7]
	s_cbranch_execnz .LBB5_2768
.LBB5_718:
	s_or_b64 exec, exec, s[6:7]
	s_and_saveexec_b64 s[6:7], s[4:5]
	s_cbranch_execz .LBB5_720
.LBB5_719:
	v_bfe_u32 v6, v4, 8, 3
	v_ffbh_u32_e32 v12, v6
	v_min_u32_e32 v12, 32, v12
	v_lshrrev_b16_e32 v7, 3, v3
	v_subrev_u32_e32 v13, 28, v12
	v_and_b32_e32 v7, 15, v7
	v_lshlrev_b32_e32 v3, v13, v3
	v_sub_u32_e32 v12, 29, v12
	v_and_b32_e32 v3, 7, v3
	v_cmp_eq_u16_e32 vcc, 0, v7
	v_cndmask_b32_e32 v3, v6, v3, vcc
	v_cndmask_b32_e32 v6, v7, v12, vcc
	v_lshlrev_b32_e32 v7, 16, v4
	v_mov_b32_e32 v12, 0x3b800000
	v_lshlrev_b32_e32 v3, 20, v3
	v_and_b32_e32 v7, 0x80000000, v7
	v_lshl_add_u32 v6, v6, 23, v12
	v_or3_b32 v6, v7, v6, v3
.LBB5_720:
	s_or_b64 exec, exec, s[6:7]
	s_nop 0
	v_mfma_f32_16x16x4f32 a[0:3], v2, v6, a[0:3]
	s_movk_i32 s4, 0xff
	v_and_b32_sdwa v3, v8, s4 dst_sel:DWORD dst_unused:UNUSED_PAD src0_sel:WORD_1 src1_sel:DWORD
	s_movk_i32 s4, 0x7f
	v_cmp_lt_i16_e32 vcc, s4, v3
	s_mov_b64 s[4:5], 0
                                        ; implicit-def: $sgpr10
	s_and_saveexec_b64 s[6:7], vcc
	s_xor_b64 s[6:7], exec, s[6:7]
	s_cbranch_execnz .LBB5_2769
; %bb.721:
	s_or_saveexec_b64 s[6:7], s[6:7]
	v_mov_b32_e32 v2, s10
	s_xor_b64 exec, exec, s[6:7]
	s_cbranch_execnz .LBB5_2772
.LBB5_722:
	s_or_b64 exec, exec, s[6:7]
	s_and_saveexec_b64 s[6:7], s[4:5]
	s_cbranch_execz .LBB5_724
.LBB5_723:
	v_bfe_u32 v2, v8, 16, 3
	v_ffbh_u32_e32 v7, v2
	v_min_u32_e32 v7, 32, v7
	v_lshrrev_b32_e32 v3, 19, v8
	v_subrev_u32_e32 v12, 28, v7
	v_and_b32_e32 v3, 15, v3
	v_lshlrev_b32_sdwa v12, v12, v8 dst_sel:DWORD dst_unused:UNUSED_PAD src0_sel:DWORD src1_sel:WORD_1
	v_bfe_u32 v6, v8, 19, 4
	v_sub_u32_e32 v7, 29, v7
	v_and_b32_e32 v12, 7, v12
	v_cmp_eq_u16_e32 vcc, 0, v3
	v_cndmask_b32_e32 v2, v2, v12, vcc
	v_cndmask_b32_e32 v3, v6, v7, vcc
	v_lshlrev_b32_e32 v6, 8, v8
	v_mov_b32_e32 v7, 0x3b800000
	v_lshlrev_b32_e32 v2, 20, v2
	v_and_b32_e32 v6, 0x80000000, v6
	v_lshl_add_u32 v3, v3, 23, v7
	v_or3_b32 v2, v6, v3, v2
.LBB5_724:
	s_or_b64 exec, exec, s[6:7]
	s_movk_i32 s4, 0xff
	v_and_b32_sdwa v3, v4, s4 dst_sel:DWORD dst_unused:UNUSED_PAD src0_sel:WORD_1 src1_sel:DWORD
	s_movk_i32 s4, 0x7f
	v_cmp_lt_i16_e32 vcc, s4, v3
	s_mov_b64 s[4:5], 0
                                        ; implicit-def: $sgpr10
	s_and_saveexec_b64 s[6:7], vcc
	s_xor_b64 s[6:7], exec, s[6:7]
	s_cbranch_execnz .LBB5_2773
; %bb.725:
	s_or_saveexec_b64 s[6:7], s[6:7]
	v_mov_b32_e32 v6, s10
	s_xor_b64 exec, exec, s[6:7]
	s_cbranch_execnz .LBB5_2776
.LBB5_726:
	s_or_b64 exec, exec, s[6:7]
	s_and_saveexec_b64 s[6:7], s[4:5]
	s_cbranch_execz .LBB5_728
.LBB5_727:
	v_bfe_u32 v3, v4, 16, 3
	v_ffbh_u32_e32 v12, v3
	v_min_u32_e32 v12, 32, v12
	v_lshrrev_b32_e32 v6, 19, v4
	v_subrev_u32_e32 v13, 28, v12
	v_and_b32_e32 v6, 15, v6
	v_lshlrev_b32_sdwa v13, v13, v4 dst_sel:DWORD dst_unused:UNUSED_PAD src0_sel:DWORD src1_sel:WORD_1
	v_bfe_u32 v7, v4, 19, 4
	v_sub_u32_e32 v12, 29, v12
	v_and_b32_e32 v13, 7, v13
	v_cmp_eq_u16_e32 vcc, 0, v6
	v_cndmask_b32_e32 v3, v3, v13, vcc
	v_cndmask_b32_e32 v6, v7, v12, vcc
	v_lshlrev_b32_e32 v7, 8, v4
	v_mov_b32_e32 v12, 0x3b800000
	v_lshlrev_b32_e32 v3, 20, v3
	v_and_b32_e32 v7, 0x80000000, v7
	v_lshl_add_u32 v6, v6, 23, v12
	v_or3_b32 v6, v7, v6, v3
.LBB5_728:
	s_or_b64 exec, exec, s[6:7]
	s_nop 0
	v_mfma_f32_16x16x4f32 a[0:3], v2, v6, a[0:3]
	s_movk_i32 s4, 0x7f
	v_cmp_gt_i16_sdwa s[6:7], v8, s4 src0_sel:BYTE_3 src1_sel:DWORD
	s_mov_b64 s[4:5], 0
                                        ; implicit-def: $sgpr10
	s_and_saveexec_b64 s[8:9], s[6:7]
	s_xor_b64 s[6:7], exec, s[8:9]
	s_cbranch_execnz .LBB5_2777
; %bb.729:
	s_or_saveexec_b64 s[6:7], s[6:7]
	v_mov_b32_e32 v2, s10
	s_xor_b64 exec, exec, s[6:7]
	s_cbranch_execnz .LBB5_2780
.LBB5_730:
	s_or_b64 exec, exec, s[6:7]
	s_and_saveexec_b64 s[6:7], s[4:5]
	s_cbranch_execz .LBB5_732
.LBB5_731:
	v_bfe_u32 v2, v8, 24, 3
	v_ffbh_u32_e32 v12, v2
	v_min_u32_e32 v12, 32, v12
	v_lshrrev_b32_e32 v6, 27, v8
	v_subrev_u32_e32 v13, 28, v12
	v_and_b32_e32 v3, 0x80000000, v8
	v_and_b32_e32 v6, 15, v6
	v_bfe_u32 v7, v8, 27, 4
	v_lshlrev_b32_sdwa v8, v13, v8 dst_sel:DWORD dst_unused:UNUSED_PAD src0_sel:DWORD src1_sel:BYTE_3
	v_sub_u32_e32 v12, 29, v12
	v_and_b32_e32 v8, 7, v8
	v_cmp_eq_u16_e32 vcc, 0, v6
	v_cndmask_b32_e32 v2, v2, v8, vcc
	v_cndmask_b32_e32 v6, v7, v12, vcc
	v_mov_b32_e32 v7, 0x3b800000
	v_lshlrev_b32_e32 v2, 20, v2
	v_lshl_add_u32 v6, v6, 23, v7
	v_or3_b32 v2, v3, v6, v2
.LBB5_732:
	s_or_b64 exec, exec, s[6:7]
	s_movk_i32 s4, 0x7f
	v_cmp_gt_i16_sdwa s[6:7], v4, s4 src0_sel:BYTE_3 src1_sel:DWORD
	s_mov_b64 s[4:5], 0
                                        ; implicit-def: $sgpr10
	s_and_saveexec_b64 s[8:9], s[6:7]
	s_xor_b64 s[6:7], exec, s[8:9]
	s_cbranch_execnz .LBB5_2781
; %bb.733:
	s_or_saveexec_b64 s[6:7], s[6:7]
	v_mov_b32_e32 v3, s10
	s_xor_b64 exec, exec, s[6:7]
	s_cbranch_execnz .LBB5_2784
.LBB5_734:
	s_or_b64 exec, exec, s[6:7]
	s_and_saveexec_b64 s[6:7], s[4:5]
	s_cbranch_execz .LBB5_736
.LBB5_735:
	v_bfe_u32 v3, v4, 24, 3
	v_ffbh_u32_e32 v12, v3
	v_min_u32_e32 v12, 32, v12
	v_lshrrev_b32_e32 v7, 27, v4
	v_subrev_u32_e32 v13, 28, v12
	v_and_b32_e32 v6, 0x80000000, v4
	v_and_b32_e32 v7, 15, v7
	v_bfe_u32 v8, v4, 27, 4
	v_lshlrev_b32_sdwa v4, v13, v4 dst_sel:DWORD dst_unused:UNUSED_PAD src0_sel:DWORD src1_sel:BYTE_3
	v_sub_u32_e32 v12, 29, v12
	v_and_b32_e32 v4, 7, v4
	v_cmp_eq_u16_e32 vcc, 0, v7
	v_cndmask_b32_e32 v3, v3, v4, vcc
	v_cndmask_b32_e32 v4, v8, v12, vcc
	v_mov_b32_e32 v7, 0x3b800000
	v_lshlrev_b32_e32 v3, 20, v3
	v_lshl_add_u32 v4, v4, 23, v7
	v_or3_b32 v3, v6, v4, v3
.LBB5_736:
	s_or_b64 exec, exec, s[6:7]
	s_nop 0
	v_mfma_f32_16x16x4f32 a[0:3], v2, v3, a[0:3]
	s_movk_i32 s4, 0x7f
	v_cmp_gt_i16_sdwa s[6:7], v9, s4 src0_sel:BYTE_0 src1_sel:DWORD
	s_mov_b64 s[4:5], 0
                                        ; implicit-def: $sgpr10
	s_and_saveexec_b64 s[8:9], s[6:7]
	s_xor_b64 s[6:7], exec, s[8:9]
	s_cbranch_execnz .LBB5_2785
; %bb.737:
	s_or_saveexec_b64 s[6:7], s[6:7]
	v_mov_b32_e32 v2, s10
	s_xor_b64 exec, exec, s[6:7]
	s_cbranch_execnz .LBB5_2788
.LBB5_738:
	s_or_b64 exec, exec, s[6:7]
	s_and_saveexec_b64 s[6:7], s[4:5]
	s_cbranch_execz .LBB5_740
.LBB5_739:
	v_mov_b32_e32 v2, 8
	v_and_b32_e32 v3, 7, v9
	v_lshrrev_b32_sdwa v2, v2, v9 dst_sel:BYTE_1 dst_unused:UNUSED_PAD src0_sel:DWORD src1_sel:DWORD
	v_ffbh_u32_e32 v4, v3
	v_or_b32_sdwa v2, v9, v2 dst_sel:DWORD dst_unused:UNUSED_PAD src0_sel:BYTE_0 src1_sel:DWORD
	v_min_u32_e32 v4, 32, v4
	v_lshrrev_b16_e32 v2, 3, v2
	v_subrev_u32_e32 v6, 28, v4
	v_and_b32_e32 v2, 15, v2
	v_lshlrev_b32_e32 v6, v6, v9
	v_sub_u32_e32 v4, 29, v4
	v_and_b32_e32 v6, 7, v6
	v_cmp_eq_u16_e32 vcc, 0, v2
	v_cndmask_b32_e32 v3, v3, v6, vcc
	v_cndmask_b32_e32 v2, v2, v4, vcc
	v_lshlrev_b32_e32 v4, 24, v9
	v_mov_b32_e32 v6, 0x3b800000
	v_lshlrev_b32_e32 v3, 20, v3
	v_and_b32_e32 v4, 0x80000000, v4
	v_lshl_add_u32 v2, v2, 23, v6
	v_or3_b32 v2, v4, v2, v3
.LBB5_740:
	s_or_b64 exec, exec, s[6:7]
	s_movk_i32 s4, 0x7f
	v_cmp_gt_i16_sdwa s[6:7], v5, s4 src0_sel:BYTE_0 src1_sel:DWORD
	s_mov_b64 s[4:5], 0
                                        ; implicit-def: $sgpr10
	s_and_saveexec_b64 s[8:9], s[6:7]
	s_xor_b64 s[6:7], exec, s[8:9]
	s_cbranch_execnz .LBB5_2789
; %bb.741:
	s_or_saveexec_b64 s[6:7], s[6:7]
	v_mov_b32_e32 v3, s10
	s_xor_b64 exec, exec, s[6:7]
	s_cbranch_execnz .LBB5_2792
.LBB5_742:
	s_or_b64 exec, exec, s[6:7]
	s_and_saveexec_b64 s[6:7], s[4:5]
	s_cbranch_execz .LBB5_744
.LBB5_743:
	v_mov_b32_e32 v3, 8
	v_and_b32_e32 v4, 7, v5
	v_lshrrev_b32_sdwa v3, v3, v5 dst_sel:BYTE_1 dst_unused:UNUSED_PAD src0_sel:DWORD src1_sel:DWORD
	v_ffbh_u32_e32 v6, v4
	v_or_b32_sdwa v3, v5, v3 dst_sel:DWORD dst_unused:UNUSED_PAD src0_sel:BYTE_0 src1_sel:DWORD
	v_min_u32_e32 v6, 32, v6
	v_lshrrev_b16_e32 v3, 3, v3
	v_subrev_u32_e32 v7, 28, v6
	v_and_b32_e32 v3, 15, v3
	v_lshlrev_b32_e32 v7, v7, v5
	v_sub_u32_e32 v6, 29, v6
	v_and_b32_e32 v7, 7, v7
	v_cmp_eq_u16_e32 vcc, 0, v3
	v_cndmask_b32_e32 v4, v4, v7, vcc
	v_cndmask_b32_e32 v3, v3, v6, vcc
	v_lshlrev_b32_e32 v6, 24, v5
	v_mov_b32_e32 v7, 0x3b800000
	v_lshlrev_b32_e32 v4, 20, v4
	v_and_b32_e32 v6, 0x80000000, v6
	v_lshl_add_u32 v3, v3, 23, v7
	v_or3_b32 v3, v6, v3, v4
.LBB5_744:
	s_or_b64 exec, exec, s[6:7]
	s_nop 0
	v_mfma_f32_16x16x4f32 a[0:3], v2, v3, a[0:3]
	v_lshrrev_b32_e32 v3, 8, v9
	s_movk_i32 s4, 0x7f
	v_cmp_gt_i16_sdwa s[6:7], v3, s4 src0_sel:BYTE_0 src1_sel:DWORD
	s_mov_b64 s[4:5], 0
                                        ; implicit-def: $sgpr10
	s_and_saveexec_b64 s[8:9], s[6:7]
	s_xor_b64 s[6:7], exec, s[8:9]
	s_cbranch_execnz .LBB5_2793
; %bb.745:
	s_or_saveexec_b64 s[6:7], s[6:7]
	v_mov_b32_e32 v2, s10
	s_xor_b64 exec, exec, s[6:7]
	s_cbranch_execnz .LBB5_2796
.LBB5_746:
	s_or_b64 exec, exec, s[6:7]
	s_and_saveexec_b64 s[6:7], s[4:5]
	s_cbranch_execz .LBB5_748
.LBB5_747:
	v_bfe_u32 v2, v9, 8, 3
	v_ffbh_u32_e32 v6, v2
	v_min_u32_e32 v6, 32, v6
	v_lshrrev_b16_e32 v4, 3, v3
	v_subrev_u32_e32 v7, 28, v6
	v_and_b32_e32 v4, 15, v4
	v_lshlrev_b32_e32 v3, v7, v3
	v_sub_u32_e32 v6, 29, v6
	v_and_b32_e32 v3, 7, v3
	v_cmp_eq_u16_e32 vcc, 0, v4
	v_cndmask_b32_e32 v2, v2, v3, vcc
	v_cndmask_b32_e32 v3, v4, v6, vcc
	v_lshlrev_b32_e32 v4, 16, v9
	v_mov_b32_e32 v6, 0x3b800000
	v_lshlrev_b32_e32 v2, 20, v2
	v_and_b32_e32 v4, 0x80000000, v4
	v_lshl_add_u32 v3, v3, 23, v6
	v_or3_b32 v2, v4, v3, v2
.LBB5_748:
	s_or_b64 exec, exec, s[6:7]
	v_lshrrev_b32_e32 v3, 8, v5
	s_movk_i32 s4, 0x7f
	v_cmp_gt_i16_sdwa s[6:7], v3, s4 src0_sel:BYTE_0 src1_sel:DWORD
	s_mov_b64 s[4:5], 0
                                        ; implicit-def: $sgpr10
	s_and_saveexec_b64 s[8:9], s[6:7]
	s_xor_b64 s[6:7], exec, s[8:9]
	s_cbranch_execnz .LBB5_2797
; %bb.749:
	s_or_saveexec_b64 s[6:7], s[6:7]
	v_mov_b32_e32 v4, s10
	s_xor_b64 exec, exec, s[6:7]
	s_cbranch_execnz .LBB5_2800
.LBB5_750:
	s_or_b64 exec, exec, s[6:7]
	s_and_saveexec_b64 s[6:7], s[4:5]
	s_cbranch_execz .LBB5_752
.LBB5_751:
	v_bfe_u32 v4, v5, 8, 3
	v_ffbh_u32_e32 v7, v4
	v_min_u32_e32 v7, 32, v7
	v_lshrrev_b16_e32 v6, 3, v3
	v_subrev_u32_e32 v8, 28, v7
	v_and_b32_e32 v6, 15, v6
	v_lshlrev_b32_e32 v3, v8, v3
	v_sub_u32_e32 v7, 29, v7
	v_and_b32_e32 v3, 7, v3
	v_cmp_eq_u16_e32 vcc, 0, v6
	v_cndmask_b32_e32 v3, v4, v3, vcc
	v_cndmask_b32_e32 v4, v6, v7, vcc
	v_lshlrev_b32_e32 v6, 16, v5
	v_mov_b32_e32 v7, 0x3b800000
	v_lshlrev_b32_e32 v3, 20, v3
	v_and_b32_e32 v6, 0x80000000, v6
	v_lshl_add_u32 v4, v4, 23, v7
	v_or3_b32 v4, v6, v4, v3
.LBB5_752:
	s_or_b64 exec, exec, s[6:7]
	s_nop 0
	v_mfma_f32_16x16x4f32 a[0:3], v2, v4, a[0:3]
	s_movk_i32 s4, 0xff
	v_and_b32_sdwa v3, v9, s4 dst_sel:DWORD dst_unused:UNUSED_PAD src0_sel:WORD_1 src1_sel:DWORD
	s_movk_i32 s4, 0x7f
	v_cmp_lt_i16_e32 vcc, s4, v3
	s_mov_b64 s[4:5], 0
                                        ; implicit-def: $sgpr10
	s_and_saveexec_b64 s[6:7], vcc
	s_xor_b64 s[6:7], exec, s[6:7]
	s_cbranch_execnz .LBB5_2801
; %bb.753:
	s_or_saveexec_b64 s[6:7], s[6:7]
	v_mov_b32_e32 v2, s10
	s_xor_b64 exec, exec, s[6:7]
	s_cbranch_execnz .LBB5_2804
.LBB5_754:
	s_or_b64 exec, exec, s[6:7]
	s_and_saveexec_b64 s[6:7], s[4:5]
	s_cbranch_execz .LBB5_756
.LBB5_755:
	v_bfe_u32 v2, v9, 16, 3
	v_ffbh_u32_e32 v6, v2
	v_min_u32_e32 v6, 32, v6
	v_lshrrev_b32_e32 v3, 19, v9
	v_subrev_u32_e32 v7, 28, v6
	v_and_b32_e32 v3, 15, v3
	v_lshlrev_b32_sdwa v7, v7, v9 dst_sel:DWORD dst_unused:UNUSED_PAD src0_sel:DWORD src1_sel:WORD_1
	v_bfe_u32 v4, v9, 19, 4
	v_sub_u32_e32 v6, 29, v6
	v_and_b32_e32 v7, 7, v7
	v_cmp_eq_u16_e32 vcc, 0, v3
	v_cndmask_b32_e32 v2, v2, v7, vcc
	v_cndmask_b32_e32 v3, v4, v6, vcc
	v_lshlrev_b32_e32 v4, 8, v9
	v_mov_b32_e32 v6, 0x3b800000
	v_lshlrev_b32_e32 v2, 20, v2
	v_and_b32_e32 v4, 0x80000000, v4
	v_lshl_add_u32 v3, v3, 23, v6
	v_or3_b32 v2, v4, v3, v2
.LBB5_756:
	s_or_b64 exec, exec, s[6:7]
	s_movk_i32 s4, 0xff
	v_and_b32_sdwa v3, v5, s4 dst_sel:DWORD dst_unused:UNUSED_PAD src0_sel:WORD_1 src1_sel:DWORD
	s_movk_i32 s4, 0x7f
	v_cmp_lt_i16_e32 vcc, s4, v3
	s_mov_b64 s[4:5], 0
                                        ; implicit-def: $sgpr10
	s_and_saveexec_b64 s[6:7], vcc
	s_xor_b64 s[6:7], exec, s[6:7]
	s_cbranch_execnz .LBB5_2805
; %bb.757:
	s_or_saveexec_b64 s[6:7], s[6:7]
	v_mov_b32_e32 v4, s10
	s_xor_b64 exec, exec, s[6:7]
	s_cbranch_execnz .LBB5_2808
.LBB5_758:
	s_or_b64 exec, exec, s[6:7]
	s_and_saveexec_b64 s[6:7], s[4:5]
	s_cbranch_execz .LBB5_760
.LBB5_759:
	v_bfe_u32 v3, v5, 16, 3
	v_ffbh_u32_e32 v7, v3
	v_min_u32_e32 v7, 32, v7
	v_lshrrev_b32_e32 v4, 19, v5
	v_subrev_u32_e32 v8, 28, v7
	v_and_b32_e32 v4, 15, v4
	v_lshlrev_b32_sdwa v8, v8, v5 dst_sel:DWORD dst_unused:UNUSED_PAD src0_sel:DWORD src1_sel:WORD_1
	v_bfe_u32 v6, v5, 19, 4
	v_sub_u32_e32 v7, 29, v7
	v_and_b32_e32 v8, 7, v8
	v_cmp_eq_u16_e32 vcc, 0, v4
	v_cndmask_b32_e32 v3, v3, v8, vcc
	v_cndmask_b32_e32 v4, v6, v7, vcc
	v_lshlrev_b32_e32 v6, 8, v5
	v_mov_b32_e32 v7, 0x3b800000
	v_lshlrev_b32_e32 v3, 20, v3
	v_and_b32_e32 v6, 0x80000000, v6
	v_lshl_add_u32 v4, v4, 23, v7
	v_or3_b32 v4, v6, v4, v3
.LBB5_760:
	s_or_b64 exec, exec, s[6:7]
	s_nop 0
	v_mfma_f32_16x16x4f32 a[0:3], v2, v4, a[0:3]
	s_movk_i32 s4, 0x7f
	v_cmp_gt_i16_sdwa s[6:7], v9, s4 src0_sel:BYTE_3 src1_sel:DWORD
	s_mov_b64 s[4:5], 0
                                        ; implicit-def: $sgpr10
	s_and_saveexec_b64 s[8:9], s[6:7]
	s_xor_b64 s[6:7], exec, s[8:9]
	s_cbranch_execnz .LBB5_2809
; %bb.761:
	s_or_saveexec_b64 s[6:7], s[6:7]
	v_mov_b32_e32 v2, s10
	s_xor_b64 exec, exec, s[6:7]
	s_cbranch_execnz .LBB5_2812
.LBB5_762:
	s_or_b64 exec, exec, s[6:7]
	s_and_saveexec_b64 s[6:7], s[4:5]
	s_cbranch_execz .LBB5_764
.LBB5_763:
	v_bfe_u32 v2, v9, 24, 3
	v_ffbh_u32_e32 v7, v2
	v_min_u32_e32 v7, 32, v7
	v_lshrrev_b32_e32 v4, 27, v9
	v_subrev_u32_e32 v8, 28, v7
	v_and_b32_e32 v4, 15, v4
	v_lshlrev_b32_sdwa v8, v8, v9 dst_sel:DWORD dst_unused:UNUSED_PAD src0_sel:DWORD src1_sel:BYTE_3
	v_bfe_u32 v6, v9, 27, 4
	v_sub_u32_e32 v7, 29, v7
	v_and_b32_e32 v8, 7, v8
	v_cmp_eq_u16_e32 vcc, 0, v4
	v_cndmask_b32_e32 v2, v2, v8, vcc
	v_cndmask_b32_e32 v4, v6, v7, vcc
	v_mov_b32_e32 v6, 0x3b800000
	v_and_b32_e32 v3, 0x80000000, v9
	v_lshlrev_b32_e32 v2, 20, v2
	v_lshl_add_u32 v4, v4, 23, v6
	v_or3_b32 v2, v3, v4, v2
.LBB5_764:
	s_or_b64 exec, exec, s[6:7]
	s_movk_i32 s4, 0x7f
	v_cmp_gt_i16_sdwa s[6:7], v5, s4 src0_sel:BYTE_3 src1_sel:DWORD
	s_mov_b64 s[4:5], 0
                                        ; implicit-def: $sgpr10
	s_and_saveexec_b64 s[8:9], s[6:7]
	s_xor_b64 s[6:7], exec, s[8:9]
	s_cbranch_execnz .LBB5_2813
; %bb.765:
	s_or_saveexec_b64 s[6:7], s[6:7]
	v_mov_b32_e32 v3, s10
	s_xor_b64 exec, exec, s[6:7]
	s_cbranch_execnz .LBB5_2816
.LBB5_766:
	s_or_b64 exec, exec, s[6:7]
	s_and_saveexec_b64 s[6:7], s[4:5]
	s_cbranch_execz .LBB5_768
.LBB5_767:
	v_bfe_u32 v3, v5, 24, 3
	v_ffbh_u32_e32 v8, v3
	v_min_u32_e32 v8, 32, v8
	v_lshrrev_b32_e32 v6, 27, v5
	v_subrev_u32_e32 v9, 28, v8
	v_and_b32_e32 v4, 0x80000000, v5
	v_and_b32_e32 v6, 15, v6
	v_bfe_u32 v7, v5, 27, 4
	v_lshlrev_b32_sdwa v5, v9, v5 dst_sel:DWORD dst_unused:UNUSED_PAD src0_sel:DWORD src1_sel:BYTE_3
	v_sub_u32_e32 v8, 29, v8
	v_and_b32_e32 v5, 7, v5
	v_cmp_eq_u16_e32 vcc, 0, v6
	v_cndmask_b32_e32 v3, v3, v5, vcc
	v_cndmask_b32_e32 v5, v7, v8, vcc
	v_mov_b32_e32 v6, 0x3b800000
	v_lshlrev_b32_e32 v3, 20, v3
	v_lshl_add_u32 v5, v5, 23, v6
	v_or3_b32 v3, v4, v5, v3
.LBB5_768:
	s_or_b64 exec, exec, s[6:7]
	s_nop 0
	v_mfma_f32_16x16x4f32 a[0:3], v2, v3, a[0:3]
	s_movk_i32 s4, 0x7f
                                        ; implicit-def: $sgpr10
	s_nop 7
	s_nop 1
	flat_store_dwordx4 v[10:11], a[0:3] offset:80
	flat_load_dwordx4 v[12:15], v[0:1] offset:8
	s_nop 0
	flat_load_dwordx2 v[10:11], v[0:1] offset:32
	s_waitcnt vmcnt(0) lgkmcnt(0)
	flat_load_dwordx4 v[6:9], v[12:13] offset:32
	flat_load_dwordx4 v[2:5], v[14:15] offset:64
	s_waitcnt vmcnt(0) lgkmcnt(0)
	v_cmp_gt_i16_sdwa s[6:7], v6, s4 src0_sel:BYTE_0 src1_sel:DWORD
	s_mov_b64 s[4:5], 0
	s_and_saveexec_b64 s[8:9], s[6:7]
	s_xor_b64 s[6:7], exec, s[8:9]
	s_cbranch_execnz .LBB5_2817
; %bb.769:
	s_or_saveexec_b64 s[6:7], s[6:7]
	v_mov_b32_e32 v12, s10
	s_xor_b64 exec, exec, s[6:7]
	s_cbranch_execnz .LBB5_2820
.LBB5_770:
	s_or_b64 exec, exec, s[6:7]
	s_and_saveexec_b64 s[6:7], s[4:5]
	s_cbranch_execz .LBB5_772
.LBB5_771:
	v_and_b32_e32 v12, 7, v6
	v_ffbh_u32_e32 v14, v12
	v_min_u32_e32 v14, 32, v14
	v_lshrrev_b16_e32 v13, 3, v6
	v_subrev_u32_e32 v15, 28, v14
	v_and_b32_e32 v13, 15, v13
	v_lshlrev_b32_e32 v15, v15, v6
	v_sub_u32_e32 v14, 29, v14
	v_and_b32_e32 v15, 7, v15
	v_cmp_eq_u16_e32 vcc, 0, v13
	v_cndmask_b32_e32 v12, v12, v15, vcc
	v_cndmask_b32_e32 v13, v13, v14, vcc
	v_lshlrev_b32_e32 v14, 24, v6
	v_mov_b32_e32 v15, 0x3b800000
	v_lshlrev_b32_e32 v12, 20, v12
	v_and_b32_e32 v14, 0x80000000, v14
	v_lshl_add_u32 v13, v13, 23, v15
	v_or3_b32 v12, v14, v13, v12
.LBB5_772:
	s_or_b64 exec, exec, s[6:7]
	s_movk_i32 s4, 0x7f
	v_cmp_gt_i16_sdwa s[6:7], v2, s4 src0_sel:BYTE_0 src1_sel:DWORD
	s_mov_b64 s[4:5], 0
                                        ; implicit-def: $sgpr10
	s_and_saveexec_b64 s[8:9], s[6:7]
	s_xor_b64 s[6:7], exec, s[8:9]
	s_cbranch_execnz .LBB5_2821
; %bb.773:
	s_or_saveexec_b64 s[6:7], s[6:7]
	v_mov_b32_e32 v13, s10
	s_xor_b64 exec, exec, s[6:7]
	s_cbranch_execnz .LBB5_2824
.LBB5_774:
	s_or_b64 exec, exec, s[6:7]
	s_and_saveexec_b64 s[6:7], s[4:5]
	s_cbranch_execz .LBB5_776
.LBB5_775:
	v_and_b32_e32 v13, 7, v2
	v_ffbh_u32_e32 v15, v13
	v_min_u32_e32 v15, 32, v15
	v_lshrrev_b16_e32 v14, 3, v2
	v_subrev_u32_e32 v16, 28, v15
	v_and_b32_e32 v14, 15, v14
	v_lshlrev_b32_e32 v16, v16, v2
	v_sub_u32_e32 v15, 29, v15
	v_and_b32_e32 v16, 7, v16
	v_cmp_eq_u16_e32 vcc, 0, v14
	v_cndmask_b32_e32 v13, v13, v16, vcc
	v_cndmask_b32_e32 v14, v14, v15, vcc
	v_lshlrev_b32_e32 v15, 24, v2
	v_mov_b32_e32 v16, 0x3b800000
	v_lshlrev_b32_e32 v13, 20, v13
	v_and_b32_e32 v15, 0x80000000, v15
	v_lshl_add_u32 v14, v14, 23, v16
	v_or3_b32 v13, v15, v14, v13
.LBB5_776:
	s_or_b64 exec, exec, s[6:7]
	flat_load_dwordx4 a[0:3], v[10:11] offset:96
	s_movk_i32 s4, 0x7f
                                        ; implicit-def: $sgpr10
	s_waitcnt vmcnt(0) lgkmcnt(0)
	v_mfma_f32_16x16x4f32 a[0:3], v12, v13, a[0:3]
	v_lshrrev_b32_e32 v13, 8, v6
	v_cmp_gt_i16_sdwa s[6:7], v13, s4 src0_sel:BYTE_0 src1_sel:DWORD
	s_mov_b64 s[4:5], 0
	s_and_saveexec_b64 s[8:9], s[6:7]
	s_xor_b64 s[6:7], exec, s[8:9]
	s_cbranch_execnz .LBB5_2825
; %bb.777:
	s_or_saveexec_b64 s[6:7], s[6:7]
	v_mov_b32_e32 v12, s10
	s_xor_b64 exec, exec, s[6:7]
	s_cbranch_execnz .LBB5_2828
.LBB5_778:
	s_or_b64 exec, exec, s[6:7]
	s_and_saveexec_b64 s[6:7], s[4:5]
	s_cbranch_execz .LBB5_780
.LBB5_779:
	v_bfe_u32 v12, v6, 8, 3
	v_ffbh_u32_e32 v15, v12
	v_min_u32_e32 v15, 32, v15
	v_lshrrev_b16_e32 v14, 3, v13
	v_subrev_u32_e32 v16, 28, v15
	v_and_b32_e32 v14, 15, v14
	v_lshlrev_b32_e32 v13, v16, v13
	v_sub_u32_e32 v15, 29, v15
	v_and_b32_e32 v13, 7, v13
	v_cmp_eq_u16_e32 vcc, 0, v14
	v_cndmask_b32_e32 v12, v12, v13, vcc
	v_cndmask_b32_e32 v13, v14, v15, vcc
	v_lshlrev_b32_e32 v14, 16, v6
	v_mov_b32_e32 v15, 0x3b800000
	v_lshlrev_b32_e32 v12, 20, v12
	v_and_b32_e32 v14, 0x80000000, v14
	v_lshl_add_u32 v13, v13, 23, v15
	v_or3_b32 v12, v14, v13, v12
.LBB5_780:
	s_or_b64 exec, exec, s[6:7]
	v_lshrrev_b32_e32 v13, 8, v2
	s_movk_i32 s4, 0x7f
	v_cmp_gt_i16_sdwa s[6:7], v13, s4 src0_sel:BYTE_0 src1_sel:DWORD
	s_mov_b64 s[4:5], 0
                                        ; implicit-def: $sgpr10
	s_and_saveexec_b64 s[8:9], s[6:7]
	s_xor_b64 s[6:7], exec, s[8:9]
	s_cbranch_execnz .LBB5_2829
; %bb.781:
	s_or_saveexec_b64 s[6:7], s[6:7]
	v_mov_b32_e32 v14, s10
	s_xor_b64 exec, exec, s[6:7]
	s_cbranch_execnz .LBB5_2832
.LBB5_782:
	s_or_b64 exec, exec, s[6:7]
	s_and_saveexec_b64 s[6:7], s[4:5]
	s_cbranch_execz .LBB5_784
.LBB5_783:
	v_bfe_u32 v14, v2, 8, 3
	v_ffbh_u32_e32 v16, v14
	v_min_u32_e32 v16, 32, v16
	v_lshrrev_b16_e32 v15, 3, v13
	v_subrev_u32_e32 v17, 28, v16
	v_and_b32_e32 v15, 15, v15
	v_lshlrev_b32_e32 v13, v17, v13
	v_sub_u32_e32 v16, 29, v16
	v_and_b32_e32 v13, 7, v13
	v_cmp_eq_u16_e32 vcc, 0, v15
	v_cndmask_b32_e32 v13, v14, v13, vcc
	v_cndmask_b32_e32 v14, v15, v16, vcc
	v_lshlrev_b32_e32 v15, 16, v2
	v_mov_b32_e32 v16, 0x3b800000
	v_lshlrev_b32_e32 v13, 20, v13
	v_and_b32_e32 v15, 0x80000000, v15
	v_lshl_add_u32 v14, v14, 23, v16
	v_or3_b32 v14, v15, v14, v13
.LBB5_784:
	s_or_b64 exec, exec, s[6:7]
	s_nop 0
	v_mfma_f32_16x16x4f32 a[0:3], v12, v14, a[0:3]
	s_movk_i32 s4, 0xff
	v_and_b32_sdwa v13, v6, s4 dst_sel:DWORD dst_unused:UNUSED_PAD src0_sel:WORD_1 src1_sel:DWORD
	s_movk_i32 s4, 0x7f
	v_cmp_lt_i16_e32 vcc, s4, v13
	s_mov_b64 s[4:5], 0
                                        ; implicit-def: $sgpr10
	s_and_saveexec_b64 s[6:7], vcc
	s_xor_b64 s[6:7], exec, s[6:7]
	s_cbranch_execnz .LBB5_2833
; %bb.785:
	s_or_saveexec_b64 s[6:7], s[6:7]
	v_mov_b32_e32 v12, s10
	s_xor_b64 exec, exec, s[6:7]
	s_cbranch_execnz .LBB5_2836
.LBB5_786:
	s_or_b64 exec, exec, s[6:7]
	s_and_saveexec_b64 s[6:7], s[4:5]
	s_cbranch_execz .LBB5_788
.LBB5_787:
	v_bfe_u32 v12, v6, 16, 3
	v_ffbh_u32_e32 v15, v12
	v_min_u32_e32 v15, 32, v15
	v_lshrrev_b32_e32 v13, 19, v6
	v_subrev_u32_e32 v16, 28, v15
	v_and_b32_e32 v13, 15, v13
	v_lshlrev_b32_sdwa v16, v16, v6 dst_sel:DWORD dst_unused:UNUSED_PAD src0_sel:DWORD src1_sel:WORD_1
	v_bfe_u32 v14, v6, 19, 4
	v_sub_u32_e32 v15, 29, v15
	v_and_b32_e32 v16, 7, v16
	v_cmp_eq_u16_e32 vcc, 0, v13
	v_cndmask_b32_e32 v12, v12, v16, vcc
	v_cndmask_b32_e32 v13, v14, v15, vcc
	v_lshlrev_b32_e32 v14, 8, v6
	v_mov_b32_e32 v15, 0x3b800000
	v_lshlrev_b32_e32 v12, 20, v12
	v_and_b32_e32 v14, 0x80000000, v14
	v_lshl_add_u32 v13, v13, 23, v15
	v_or3_b32 v12, v14, v13, v12
.LBB5_788:
	s_or_b64 exec, exec, s[6:7]
	s_movk_i32 s4, 0xff
	v_and_b32_sdwa v13, v2, s4 dst_sel:DWORD dst_unused:UNUSED_PAD src0_sel:WORD_1 src1_sel:DWORD
	s_movk_i32 s4, 0x7f
	v_cmp_lt_i16_e32 vcc, s4, v13
	s_mov_b64 s[4:5], 0
                                        ; implicit-def: $sgpr10
	s_and_saveexec_b64 s[6:7], vcc
	s_xor_b64 s[6:7], exec, s[6:7]
	s_cbranch_execnz .LBB5_2837
; %bb.789:
	s_or_saveexec_b64 s[6:7], s[6:7]
	v_mov_b32_e32 v14, s10
	s_xor_b64 exec, exec, s[6:7]
	s_cbranch_execnz .LBB5_2840
.LBB5_790:
	s_or_b64 exec, exec, s[6:7]
	s_and_saveexec_b64 s[6:7], s[4:5]
	s_cbranch_execz .LBB5_792
.LBB5_791:
	v_bfe_u32 v13, v2, 16, 3
	v_ffbh_u32_e32 v16, v13
	v_min_u32_e32 v16, 32, v16
	v_lshrrev_b32_e32 v14, 19, v2
	v_subrev_u32_e32 v17, 28, v16
	v_and_b32_e32 v14, 15, v14
	v_lshlrev_b32_sdwa v17, v17, v2 dst_sel:DWORD dst_unused:UNUSED_PAD src0_sel:DWORD src1_sel:WORD_1
	v_bfe_u32 v15, v2, 19, 4
	v_sub_u32_e32 v16, 29, v16
	v_and_b32_e32 v17, 7, v17
	v_cmp_eq_u16_e32 vcc, 0, v14
	v_cndmask_b32_e32 v13, v13, v17, vcc
	v_cndmask_b32_e32 v14, v15, v16, vcc
	v_lshlrev_b32_e32 v15, 8, v2
	v_mov_b32_e32 v16, 0x3b800000
	v_lshlrev_b32_e32 v13, 20, v13
	v_and_b32_e32 v15, 0x80000000, v15
	v_lshl_add_u32 v14, v14, 23, v16
	v_or3_b32 v14, v15, v14, v13
.LBB5_792:
	s_or_b64 exec, exec, s[6:7]
	s_nop 0
	v_mfma_f32_16x16x4f32 a[0:3], v12, v14, a[0:3]
	s_movk_i32 s4, 0x7f
	v_cmp_gt_i16_sdwa s[6:7], v6, s4 src0_sel:BYTE_3 src1_sel:DWORD
	s_mov_b64 s[4:5], 0
                                        ; implicit-def: $sgpr10
	s_and_saveexec_b64 s[8:9], s[6:7]
	s_xor_b64 s[6:7], exec, s[8:9]
	s_cbranch_execnz .LBB5_2841
; %bb.793:
	s_or_saveexec_b64 s[6:7], s[6:7]
	v_mov_b32_e32 v12, s10
	s_xor_b64 exec, exec, s[6:7]
	s_cbranch_execnz .LBB5_2844
.LBB5_794:
	s_or_b64 exec, exec, s[6:7]
	s_and_saveexec_b64 s[6:7], s[4:5]
	s_cbranch_execz .LBB5_796
.LBB5_795:
	v_bfe_u32 v12, v6, 24, 3
	v_ffbh_u32_e32 v16, v12
	v_min_u32_e32 v16, 32, v16
	v_lshrrev_b32_e32 v14, 27, v6
	v_subrev_u32_e32 v17, 28, v16
	v_and_b32_e32 v13, 0x80000000, v6
	v_and_b32_e32 v14, 15, v14
	v_bfe_u32 v15, v6, 27, 4
	v_lshlrev_b32_sdwa v6, v17, v6 dst_sel:DWORD dst_unused:UNUSED_PAD src0_sel:DWORD src1_sel:BYTE_3
	v_sub_u32_e32 v16, 29, v16
	v_and_b32_e32 v6, 7, v6
	v_cmp_eq_u16_e32 vcc, 0, v14
	v_cndmask_b32_e32 v6, v12, v6, vcc
	v_cndmask_b32_e32 v12, v15, v16, vcc
	v_mov_b32_e32 v14, 0x3b800000
	v_lshlrev_b32_e32 v6, 20, v6
	v_lshl_add_u32 v12, v12, 23, v14
	v_or3_b32 v12, v13, v12, v6
.LBB5_796:
	s_or_b64 exec, exec, s[6:7]
	s_movk_i32 s4, 0x7f
	v_cmp_gt_i16_sdwa s[6:7], v2, s4 src0_sel:BYTE_3 src1_sel:DWORD
	s_mov_b64 s[4:5], 0
                                        ; implicit-def: $sgpr10
	s_and_saveexec_b64 s[8:9], s[6:7]
	s_xor_b64 s[6:7], exec, s[8:9]
	s_cbranch_execnz .LBB5_2845
; %bb.797:
	s_or_saveexec_b64 s[6:7], s[6:7]
	v_mov_b32_e32 v6, s10
	s_xor_b64 exec, exec, s[6:7]
	s_cbranch_execnz .LBB5_2848
.LBB5_798:
	s_or_b64 exec, exec, s[6:7]
	s_and_saveexec_b64 s[6:7], s[4:5]
	s_cbranch_execz .LBB5_800
.LBB5_799:
	v_bfe_u32 v6, v2, 24, 3
	v_ffbh_u32_e32 v16, v6
	v_min_u32_e32 v16, 32, v16
	v_lshrrev_b32_e32 v14, 27, v2
	v_subrev_u32_e32 v17, 28, v16
	v_and_b32_e32 v13, 0x80000000, v2
	v_and_b32_e32 v14, 15, v14
	v_bfe_u32 v15, v2, 27, 4
	v_lshlrev_b32_sdwa v2, v17, v2 dst_sel:DWORD dst_unused:UNUSED_PAD src0_sel:DWORD src1_sel:BYTE_3
	v_sub_u32_e32 v16, 29, v16
	v_and_b32_e32 v2, 7, v2
	v_cmp_eq_u16_e32 vcc, 0, v14
	v_cndmask_b32_e32 v2, v6, v2, vcc
	v_cndmask_b32_e32 v6, v15, v16, vcc
	v_mov_b32_e32 v14, 0x3b800000
	v_lshlrev_b32_e32 v2, 20, v2
	v_lshl_add_u32 v6, v6, 23, v14
	v_or3_b32 v6, v13, v6, v2
.LBB5_800:
	s_or_b64 exec, exec, s[6:7]
	s_nop 0
	v_mfma_f32_16x16x4f32 a[0:3], v12, v6, a[0:3]
	s_movk_i32 s4, 0x7f
	v_cmp_gt_i16_sdwa s[6:7], v7, s4 src0_sel:BYTE_0 src1_sel:DWORD
	s_mov_b64 s[4:5], 0
                                        ; implicit-def: $sgpr10
	s_and_saveexec_b64 s[8:9], s[6:7]
	s_xor_b64 s[6:7], exec, s[8:9]
	s_cbranch_execnz .LBB5_2849
; %bb.801:
	s_or_saveexec_b64 s[6:7], s[6:7]
	v_mov_b32_e32 v2, s10
	s_xor_b64 exec, exec, s[6:7]
	s_cbranch_execnz .LBB5_2852
.LBB5_802:
	s_or_b64 exec, exec, s[6:7]
	s_and_saveexec_b64 s[6:7], s[4:5]
	s_cbranch_execz .LBB5_804
.LBB5_803:
	v_and_b32_e32 v2, 7, v7
	v_ffbh_u32_e32 v12, v2
	v_min_u32_e32 v12, 32, v12
	v_lshrrev_b16_e32 v6, 3, v7
	v_subrev_u32_e32 v13, 28, v12
	v_and_b32_e32 v6, 15, v6
	v_lshlrev_b32_e32 v13, v13, v7
	v_sub_u32_e32 v12, 29, v12
	v_and_b32_e32 v13, 7, v13
	v_cmp_eq_u16_e32 vcc, 0, v6
	v_cndmask_b32_e32 v2, v2, v13, vcc
	v_cndmask_b32_e32 v6, v6, v12, vcc
	v_lshlrev_b32_e32 v12, 24, v7
	v_mov_b32_e32 v13, 0x3b800000
	v_lshlrev_b32_e32 v2, 20, v2
	v_and_b32_e32 v12, 0x80000000, v12
	v_lshl_add_u32 v6, v6, 23, v13
	v_or3_b32 v2, v12, v6, v2
.LBB5_804:
	s_or_b64 exec, exec, s[6:7]
	s_movk_i32 s4, 0x7f
	v_cmp_gt_i16_sdwa s[6:7], v3, s4 src0_sel:BYTE_0 src1_sel:DWORD
	s_mov_b64 s[4:5], 0
                                        ; implicit-def: $sgpr10
	s_and_saveexec_b64 s[8:9], s[6:7]
	s_xor_b64 s[6:7], exec, s[8:9]
	s_cbranch_execnz .LBB5_2853
; %bb.805:
	s_or_saveexec_b64 s[6:7], s[6:7]
	v_mov_b32_e32 v6, s10
	s_xor_b64 exec, exec, s[6:7]
	s_cbranch_execnz .LBB5_2856
.LBB5_806:
	s_or_b64 exec, exec, s[6:7]
	s_and_saveexec_b64 s[6:7], s[4:5]
	s_cbranch_execz .LBB5_808
.LBB5_807:
	v_and_b32_e32 v6, 7, v3
	v_ffbh_u32_e32 v13, v6
	v_min_u32_e32 v13, 32, v13
	v_lshrrev_b16_e32 v12, 3, v3
	v_subrev_u32_e32 v14, 28, v13
	v_and_b32_e32 v12, 15, v12
	v_lshlrev_b32_e32 v14, v14, v3
	v_sub_u32_e32 v13, 29, v13
	v_and_b32_e32 v14, 7, v14
	v_cmp_eq_u16_e32 vcc, 0, v12
	v_cndmask_b32_e32 v6, v6, v14, vcc
	v_cndmask_b32_e32 v12, v12, v13, vcc
	v_lshlrev_b32_e32 v13, 24, v3
	v_mov_b32_e32 v14, 0x3b800000
	v_lshlrev_b32_e32 v6, 20, v6
	v_and_b32_e32 v13, 0x80000000, v13
	v_lshl_add_u32 v12, v12, 23, v14
	v_or3_b32 v6, v13, v12, v6
.LBB5_808:
	s_or_b64 exec, exec, s[6:7]
	s_nop 0
	v_mfma_f32_16x16x4f32 a[0:3], v2, v6, a[0:3]
	v_lshrrev_b32_e32 v6, 8, v7
	s_movk_i32 s4, 0x7f
	v_cmp_gt_i16_sdwa s[6:7], v6, s4 src0_sel:BYTE_0 src1_sel:DWORD
	s_mov_b64 s[4:5], 0
                                        ; implicit-def: $sgpr10
	s_and_saveexec_b64 s[8:9], s[6:7]
	s_xor_b64 s[6:7], exec, s[8:9]
	s_cbranch_execnz .LBB5_2857
; %bb.809:
	s_or_saveexec_b64 s[6:7], s[6:7]
	v_mov_b32_e32 v2, s10
	s_xor_b64 exec, exec, s[6:7]
	s_cbranch_execnz .LBB5_2860
.LBB5_810:
	s_or_b64 exec, exec, s[6:7]
	s_and_saveexec_b64 s[6:7], s[4:5]
	s_cbranch_execz .LBB5_812
.LBB5_811:
	v_bfe_u32 v2, v7, 8, 3
	v_ffbh_u32_e32 v13, v2
	v_min_u32_e32 v13, 32, v13
	v_lshrrev_b16_e32 v12, 3, v6
	v_subrev_u32_e32 v14, 28, v13
	v_and_b32_e32 v12, 15, v12
	v_lshlrev_b32_e32 v6, v14, v6
	v_sub_u32_e32 v13, 29, v13
	v_and_b32_e32 v6, 7, v6
	v_cmp_eq_u16_e32 vcc, 0, v12
	v_cndmask_b32_e32 v2, v2, v6, vcc
	v_cndmask_b32_e32 v6, v12, v13, vcc
	v_lshlrev_b32_e32 v12, 16, v7
	v_mov_b32_e32 v13, 0x3b800000
	v_lshlrev_b32_e32 v2, 20, v2
	v_and_b32_e32 v12, 0x80000000, v12
	v_lshl_add_u32 v6, v6, 23, v13
	v_or3_b32 v2, v12, v6, v2
.LBB5_812:
	s_or_b64 exec, exec, s[6:7]
	v_lshrrev_b32_e32 v6, 8, v3
	s_movk_i32 s4, 0x7f
	v_cmp_gt_i16_sdwa s[6:7], v6, s4 src0_sel:BYTE_0 src1_sel:DWORD
	s_mov_b64 s[4:5], 0
                                        ; implicit-def: $sgpr10
	s_and_saveexec_b64 s[8:9], s[6:7]
	s_xor_b64 s[6:7], exec, s[8:9]
	s_cbranch_execnz .LBB5_2861
; %bb.813:
	s_or_saveexec_b64 s[6:7], s[6:7]
	v_mov_b32_e32 v12, s10
	s_xor_b64 exec, exec, s[6:7]
	s_cbranch_execnz .LBB5_2864
.LBB5_814:
	s_or_b64 exec, exec, s[6:7]
	s_and_saveexec_b64 s[6:7], s[4:5]
	s_cbranch_execz .LBB5_816
.LBB5_815:
	v_bfe_u32 v12, v3, 8, 3
	v_ffbh_u32_e32 v14, v12
	v_min_u32_e32 v14, 32, v14
	v_lshrrev_b16_e32 v13, 3, v6
	v_subrev_u32_e32 v15, 28, v14
	v_and_b32_e32 v13, 15, v13
	v_lshlrev_b32_e32 v6, v15, v6
	v_sub_u32_e32 v14, 29, v14
	v_and_b32_e32 v6, 7, v6
	v_cmp_eq_u16_e32 vcc, 0, v13
	v_cndmask_b32_e32 v6, v12, v6, vcc
	v_cndmask_b32_e32 v12, v13, v14, vcc
	v_lshlrev_b32_e32 v13, 16, v3
	v_mov_b32_e32 v14, 0x3b800000
	v_lshlrev_b32_e32 v6, 20, v6
	v_and_b32_e32 v13, 0x80000000, v13
	v_lshl_add_u32 v12, v12, 23, v14
	v_or3_b32 v12, v13, v12, v6
.LBB5_816:
	s_or_b64 exec, exec, s[6:7]
	s_nop 0
	v_mfma_f32_16x16x4f32 a[0:3], v2, v12, a[0:3]
	s_movk_i32 s4, 0xff
	v_and_b32_sdwa v6, v7, s4 dst_sel:DWORD dst_unused:UNUSED_PAD src0_sel:WORD_1 src1_sel:DWORD
	s_movk_i32 s4, 0x7f
	v_cmp_lt_i16_e32 vcc, s4, v6
	s_mov_b64 s[4:5], 0
                                        ; implicit-def: $sgpr10
	s_and_saveexec_b64 s[6:7], vcc
	s_xor_b64 s[6:7], exec, s[6:7]
	s_cbranch_execnz .LBB5_2865
; %bb.817:
	s_or_saveexec_b64 s[6:7], s[6:7]
	v_mov_b32_e32 v2, s10
	s_xor_b64 exec, exec, s[6:7]
	s_cbranch_execnz .LBB5_2868
.LBB5_818:
	s_or_b64 exec, exec, s[6:7]
	s_and_saveexec_b64 s[6:7], s[4:5]
	s_cbranch_execz .LBB5_820
.LBB5_819:
	v_bfe_u32 v2, v7, 16, 3
	v_ffbh_u32_e32 v13, v2
	v_min_u32_e32 v13, 32, v13
	v_lshrrev_b32_e32 v6, 19, v7
	v_subrev_u32_e32 v14, 28, v13
	v_and_b32_e32 v6, 15, v6
	v_lshlrev_b32_sdwa v14, v14, v7 dst_sel:DWORD dst_unused:UNUSED_PAD src0_sel:DWORD src1_sel:WORD_1
	v_bfe_u32 v12, v7, 19, 4
	v_sub_u32_e32 v13, 29, v13
	v_and_b32_e32 v14, 7, v14
	v_cmp_eq_u16_e32 vcc, 0, v6
	v_cndmask_b32_e32 v2, v2, v14, vcc
	v_cndmask_b32_e32 v6, v12, v13, vcc
	v_lshlrev_b32_e32 v12, 8, v7
	v_mov_b32_e32 v13, 0x3b800000
	v_lshlrev_b32_e32 v2, 20, v2
	v_and_b32_e32 v12, 0x80000000, v12
	v_lshl_add_u32 v6, v6, 23, v13
	v_or3_b32 v2, v12, v6, v2
.LBB5_820:
	s_or_b64 exec, exec, s[6:7]
	s_movk_i32 s4, 0xff
	v_and_b32_sdwa v6, v3, s4 dst_sel:DWORD dst_unused:UNUSED_PAD src0_sel:WORD_1 src1_sel:DWORD
	s_movk_i32 s4, 0x7f
	v_cmp_lt_i16_e32 vcc, s4, v6
	s_mov_b64 s[4:5], 0
                                        ; implicit-def: $sgpr10
	s_and_saveexec_b64 s[6:7], vcc
	s_xor_b64 s[6:7], exec, s[6:7]
	s_cbranch_execnz .LBB5_2869
; %bb.821:
	s_or_saveexec_b64 s[6:7], s[6:7]
	v_mov_b32_e32 v12, s10
	s_xor_b64 exec, exec, s[6:7]
	s_cbranch_execnz .LBB5_2872
.LBB5_822:
	s_or_b64 exec, exec, s[6:7]
	s_and_saveexec_b64 s[6:7], s[4:5]
	s_cbranch_execz .LBB5_824
.LBB5_823:
	v_bfe_u32 v6, v3, 16, 3
	v_ffbh_u32_e32 v14, v6
	v_min_u32_e32 v14, 32, v14
	v_lshrrev_b32_e32 v12, 19, v3
	v_subrev_u32_e32 v15, 28, v14
	v_and_b32_e32 v12, 15, v12
	v_lshlrev_b32_sdwa v15, v15, v3 dst_sel:DWORD dst_unused:UNUSED_PAD src0_sel:DWORD src1_sel:WORD_1
	v_bfe_u32 v13, v3, 19, 4
	v_sub_u32_e32 v14, 29, v14
	v_and_b32_e32 v15, 7, v15
	v_cmp_eq_u16_e32 vcc, 0, v12
	v_cndmask_b32_e32 v6, v6, v15, vcc
	v_cndmask_b32_e32 v12, v13, v14, vcc
	v_lshlrev_b32_e32 v13, 8, v3
	v_mov_b32_e32 v14, 0x3b800000
	v_lshlrev_b32_e32 v6, 20, v6
	v_and_b32_e32 v13, 0x80000000, v13
	v_lshl_add_u32 v12, v12, 23, v14
	v_or3_b32 v12, v13, v12, v6
.LBB5_824:
	s_or_b64 exec, exec, s[6:7]
	s_nop 0
	v_mfma_f32_16x16x4f32 a[0:3], v2, v12, a[0:3]
	s_movk_i32 s4, 0x7f
	v_cmp_gt_i16_sdwa s[6:7], v7, s4 src0_sel:BYTE_3 src1_sel:DWORD
	s_mov_b64 s[4:5], 0
                                        ; implicit-def: $sgpr10
	s_and_saveexec_b64 s[8:9], s[6:7]
	s_xor_b64 s[6:7], exec, s[8:9]
	s_cbranch_execnz .LBB5_2873
; %bb.825:
	s_or_saveexec_b64 s[6:7], s[6:7]
	v_mov_b32_e32 v2, s10
	s_xor_b64 exec, exec, s[6:7]
	s_cbranch_execnz .LBB5_2876
.LBB5_826:
	s_or_b64 exec, exec, s[6:7]
	s_and_saveexec_b64 s[6:7], s[4:5]
	s_cbranch_execz .LBB5_828
.LBB5_827:
	v_bfe_u32 v2, v7, 24, 3
	v_ffbh_u32_e32 v14, v2
	v_min_u32_e32 v14, 32, v14
	v_lshrrev_b32_e32 v12, 27, v7
	v_subrev_u32_e32 v15, 28, v14
	v_and_b32_e32 v6, 0x80000000, v7
	v_and_b32_e32 v12, 15, v12
	v_bfe_u32 v13, v7, 27, 4
	v_lshlrev_b32_sdwa v7, v15, v7 dst_sel:DWORD dst_unused:UNUSED_PAD src0_sel:DWORD src1_sel:BYTE_3
	v_sub_u32_e32 v14, 29, v14
	v_and_b32_e32 v7, 7, v7
	v_cmp_eq_u16_e32 vcc, 0, v12
	v_cndmask_b32_e32 v2, v2, v7, vcc
	v_cndmask_b32_e32 v7, v13, v14, vcc
	v_mov_b32_e32 v12, 0x3b800000
	v_lshlrev_b32_e32 v2, 20, v2
	v_lshl_add_u32 v7, v7, 23, v12
	v_or3_b32 v2, v6, v7, v2
.LBB5_828:
	s_or_b64 exec, exec, s[6:7]
	s_movk_i32 s4, 0x7f
	v_cmp_gt_i16_sdwa s[6:7], v3, s4 src0_sel:BYTE_3 src1_sel:DWORD
	s_mov_b64 s[4:5], 0
                                        ; implicit-def: $sgpr10
	s_and_saveexec_b64 s[8:9], s[6:7]
	s_xor_b64 s[6:7], exec, s[8:9]
	s_cbranch_execnz .LBB5_2877
; %bb.829:
	s_or_saveexec_b64 s[6:7], s[6:7]
	v_mov_b32_e32 v6, s10
	s_xor_b64 exec, exec, s[6:7]
	s_cbranch_execnz .LBB5_2880
.LBB5_830:
	s_or_b64 exec, exec, s[6:7]
	s_and_saveexec_b64 s[6:7], s[4:5]
	s_cbranch_execz .LBB5_832
.LBB5_831:
	v_bfe_u32 v6, v3, 24, 3
	v_ffbh_u32_e32 v14, v6
	v_min_u32_e32 v14, 32, v14
	v_lshrrev_b32_e32 v12, 27, v3
	v_subrev_u32_e32 v15, 28, v14
	v_and_b32_e32 v7, 0x80000000, v3
	v_and_b32_e32 v12, 15, v12
	v_bfe_u32 v13, v3, 27, 4
	v_lshlrev_b32_sdwa v3, v15, v3 dst_sel:DWORD dst_unused:UNUSED_PAD src0_sel:DWORD src1_sel:BYTE_3
	v_sub_u32_e32 v14, 29, v14
	v_and_b32_e32 v3, 7, v3
	v_cmp_eq_u16_e32 vcc, 0, v12
	v_cndmask_b32_e32 v3, v6, v3, vcc
	v_cndmask_b32_e32 v6, v13, v14, vcc
	v_mov_b32_e32 v12, 0x3b800000
	v_lshlrev_b32_e32 v3, 20, v3
	v_lshl_add_u32 v6, v6, 23, v12
	v_or3_b32 v6, v7, v6, v3
.LBB5_832:
	s_or_b64 exec, exec, s[6:7]
	s_nop 0
	v_mfma_f32_16x16x4f32 a[0:3], v2, v6, a[0:3]
	s_movk_i32 s4, 0x7f
	v_cmp_gt_i16_sdwa s[6:7], v8, s4 src0_sel:BYTE_0 src1_sel:DWORD
	s_mov_b64 s[4:5], 0
                                        ; implicit-def: $sgpr10
	s_and_saveexec_b64 s[8:9], s[6:7]
	s_xor_b64 s[6:7], exec, s[8:9]
	s_cbranch_execnz .LBB5_2881
; %bb.833:
	s_or_saveexec_b64 s[6:7], s[6:7]
	v_mov_b32_e32 v2, s10
	s_xor_b64 exec, exec, s[6:7]
	s_cbranch_execnz .LBB5_2884
.LBB5_834:
	s_or_b64 exec, exec, s[6:7]
	s_and_saveexec_b64 s[6:7], s[4:5]
	s_cbranch_execz .LBB5_836
.LBB5_835:
	v_and_b32_e32 v2, 7, v8
	v_ffbh_u32_e32 v6, v2
	v_min_u32_e32 v6, 32, v6
	v_lshrrev_b16_e32 v3, 3, v8
	v_subrev_u32_e32 v7, 28, v6
	v_and_b32_e32 v3, 15, v3
	v_lshlrev_b32_e32 v7, v7, v8
	v_sub_u32_e32 v6, 29, v6
	v_and_b32_e32 v7, 7, v7
	v_cmp_eq_u16_e32 vcc, 0, v3
	v_cndmask_b32_e32 v2, v2, v7, vcc
	v_cndmask_b32_e32 v3, v3, v6, vcc
	v_lshlrev_b32_e32 v6, 24, v8
	v_mov_b32_e32 v7, 0x3b800000
	v_lshlrev_b32_e32 v2, 20, v2
	v_and_b32_e32 v6, 0x80000000, v6
	v_lshl_add_u32 v3, v3, 23, v7
	v_or3_b32 v2, v6, v3, v2
.LBB5_836:
	s_or_b64 exec, exec, s[6:7]
	s_movk_i32 s4, 0x7f
	v_cmp_gt_i16_sdwa s[6:7], v4, s4 src0_sel:BYTE_0 src1_sel:DWORD
	s_mov_b64 s[4:5], 0
                                        ; implicit-def: $sgpr10
	s_and_saveexec_b64 s[8:9], s[6:7]
	s_xor_b64 s[6:7], exec, s[8:9]
	s_cbranch_execnz .LBB5_2885
; %bb.837:
	s_or_saveexec_b64 s[6:7], s[6:7]
	v_mov_b32_e32 v3, s10
	s_xor_b64 exec, exec, s[6:7]
	s_cbranch_execnz .LBB5_2888
.LBB5_838:
	s_or_b64 exec, exec, s[6:7]
	s_and_saveexec_b64 s[6:7], s[4:5]
	s_cbranch_execz .LBB5_840
.LBB5_839:
	v_and_b32_e32 v3, 7, v4
	v_ffbh_u32_e32 v7, v3
	v_min_u32_e32 v7, 32, v7
	v_lshrrev_b16_e32 v6, 3, v4
	v_subrev_u32_e32 v12, 28, v7
	v_and_b32_e32 v6, 15, v6
	v_lshlrev_b32_e32 v12, v12, v4
	v_sub_u32_e32 v7, 29, v7
	v_and_b32_e32 v12, 7, v12
	v_cmp_eq_u16_e32 vcc, 0, v6
	v_cndmask_b32_e32 v3, v3, v12, vcc
	v_cndmask_b32_e32 v6, v6, v7, vcc
	v_lshlrev_b32_e32 v7, 24, v4
	v_mov_b32_e32 v12, 0x3b800000
	v_lshlrev_b32_e32 v3, 20, v3
	v_and_b32_e32 v7, 0x80000000, v7
	v_lshl_add_u32 v6, v6, 23, v12
	v_or3_b32 v3, v7, v6, v3
.LBB5_840:
	s_or_b64 exec, exec, s[6:7]
	s_nop 0
	v_mfma_f32_16x16x4f32 a[0:3], v2, v3, a[0:3]
	v_lshrrev_b32_e32 v3, 8, v8
	s_movk_i32 s4, 0x7f
	v_cmp_gt_i16_sdwa s[6:7], v3, s4 src0_sel:BYTE_0 src1_sel:DWORD
	s_mov_b64 s[4:5], 0
                                        ; implicit-def: $sgpr10
	s_and_saveexec_b64 s[8:9], s[6:7]
	s_xor_b64 s[6:7], exec, s[8:9]
	s_cbranch_execnz .LBB5_2889
; %bb.841:
	s_or_saveexec_b64 s[6:7], s[6:7]
	v_mov_b32_e32 v2, s10
	s_xor_b64 exec, exec, s[6:7]
	s_cbranch_execnz .LBB5_2892
.LBB5_842:
	s_or_b64 exec, exec, s[6:7]
	s_and_saveexec_b64 s[6:7], s[4:5]
	s_cbranch_execz .LBB5_844
.LBB5_843:
	v_bfe_u32 v2, v8, 8, 3
	v_ffbh_u32_e32 v7, v2
	v_min_u32_e32 v7, 32, v7
	v_lshrrev_b16_e32 v6, 3, v3
	v_subrev_u32_e32 v12, 28, v7
	v_and_b32_e32 v6, 15, v6
	v_lshlrev_b32_e32 v3, v12, v3
	v_sub_u32_e32 v7, 29, v7
	v_and_b32_e32 v3, 7, v3
	v_cmp_eq_u16_e32 vcc, 0, v6
	v_cndmask_b32_e32 v2, v2, v3, vcc
	v_cndmask_b32_e32 v3, v6, v7, vcc
	v_lshlrev_b32_e32 v6, 16, v8
	v_mov_b32_e32 v7, 0x3b800000
	v_lshlrev_b32_e32 v2, 20, v2
	v_and_b32_e32 v6, 0x80000000, v6
	v_lshl_add_u32 v3, v3, 23, v7
	v_or3_b32 v2, v6, v3, v2
.LBB5_844:
	s_or_b64 exec, exec, s[6:7]
	v_lshrrev_b32_e32 v3, 8, v4
	s_movk_i32 s4, 0x7f
	v_cmp_gt_i16_sdwa s[6:7], v3, s4 src0_sel:BYTE_0 src1_sel:DWORD
	s_mov_b64 s[4:5], 0
                                        ; implicit-def: $sgpr10
	s_and_saveexec_b64 s[8:9], s[6:7]
	s_xor_b64 s[6:7], exec, s[8:9]
	s_cbranch_execnz .LBB5_2893
; %bb.845:
	s_or_saveexec_b64 s[6:7], s[6:7]
	v_mov_b32_e32 v6, s10
	s_xor_b64 exec, exec, s[6:7]
	s_cbranch_execnz .LBB5_2896
.LBB5_846:
	s_or_b64 exec, exec, s[6:7]
	s_and_saveexec_b64 s[6:7], s[4:5]
	s_cbranch_execz .LBB5_848
.LBB5_847:
	v_bfe_u32 v6, v4, 8, 3
	v_ffbh_u32_e32 v12, v6
	v_min_u32_e32 v12, 32, v12
	v_lshrrev_b16_e32 v7, 3, v3
	v_subrev_u32_e32 v13, 28, v12
	v_and_b32_e32 v7, 15, v7
	v_lshlrev_b32_e32 v3, v13, v3
	v_sub_u32_e32 v12, 29, v12
	v_and_b32_e32 v3, 7, v3
	v_cmp_eq_u16_e32 vcc, 0, v7
	v_cndmask_b32_e32 v3, v6, v3, vcc
	v_cndmask_b32_e32 v6, v7, v12, vcc
	v_lshlrev_b32_e32 v7, 16, v4
	v_mov_b32_e32 v12, 0x3b800000
	v_lshlrev_b32_e32 v3, 20, v3
	v_and_b32_e32 v7, 0x80000000, v7
	v_lshl_add_u32 v6, v6, 23, v12
	v_or3_b32 v6, v7, v6, v3
.LBB5_848:
	s_or_b64 exec, exec, s[6:7]
	s_nop 0
	v_mfma_f32_16x16x4f32 a[0:3], v2, v6, a[0:3]
	s_movk_i32 s4, 0xff
	v_and_b32_sdwa v3, v8, s4 dst_sel:DWORD dst_unused:UNUSED_PAD src0_sel:WORD_1 src1_sel:DWORD
	s_movk_i32 s4, 0x7f
	v_cmp_lt_i16_e32 vcc, s4, v3
	s_mov_b64 s[4:5], 0
                                        ; implicit-def: $sgpr10
	s_and_saveexec_b64 s[6:7], vcc
	s_xor_b64 s[6:7], exec, s[6:7]
	s_cbranch_execnz .LBB5_2897
; %bb.849:
	s_or_saveexec_b64 s[6:7], s[6:7]
	v_mov_b32_e32 v2, s10
	s_xor_b64 exec, exec, s[6:7]
	s_cbranch_execnz .LBB5_2900
.LBB5_850:
	s_or_b64 exec, exec, s[6:7]
	s_and_saveexec_b64 s[6:7], s[4:5]
	s_cbranch_execz .LBB5_852
.LBB5_851:
	v_bfe_u32 v2, v8, 16, 3
	v_ffbh_u32_e32 v7, v2
	v_min_u32_e32 v7, 32, v7
	v_lshrrev_b32_e32 v3, 19, v8
	v_subrev_u32_e32 v12, 28, v7
	v_and_b32_e32 v3, 15, v3
	v_lshlrev_b32_sdwa v12, v12, v8 dst_sel:DWORD dst_unused:UNUSED_PAD src0_sel:DWORD src1_sel:WORD_1
	v_bfe_u32 v6, v8, 19, 4
	v_sub_u32_e32 v7, 29, v7
	v_and_b32_e32 v12, 7, v12
	v_cmp_eq_u16_e32 vcc, 0, v3
	v_cndmask_b32_e32 v2, v2, v12, vcc
	v_cndmask_b32_e32 v3, v6, v7, vcc
	v_lshlrev_b32_e32 v6, 8, v8
	v_mov_b32_e32 v7, 0x3b800000
	v_lshlrev_b32_e32 v2, 20, v2
	v_and_b32_e32 v6, 0x80000000, v6
	v_lshl_add_u32 v3, v3, 23, v7
	v_or3_b32 v2, v6, v3, v2
.LBB5_852:
	s_or_b64 exec, exec, s[6:7]
	s_movk_i32 s4, 0xff
	v_and_b32_sdwa v3, v4, s4 dst_sel:DWORD dst_unused:UNUSED_PAD src0_sel:WORD_1 src1_sel:DWORD
	s_movk_i32 s4, 0x7f
	v_cmp_lt_i16_e32 vcc, s4, v3
	s_mov_b64 s[4:5], 0
                                        ; implicit-def: $sgpr10
	s_and_saveexec_b64 s[6:7], vcc
	s_xor_b64 s[6:7], exec, s[6:7]
	s_cbranch_execnz .LBB5_2901
; %bb.853:
	s_or_saveexec_b64 s[6:7], s[6:7]
	v_mov_b32_e32 v6, s10
	s_xor_b64 exec, exec, s[6:7]
	s_cbranch_execnz .LBB5_2904
.LBB5_854:
	s_or_b64 exec, exec, s[6:7]
	s_and_saveexec_b64 s[6:7], s[4:5]
	s_cbranch_execz .LBB5_856
.LBB5_855:
	v_bfe_u32 v3, v4, 16, 3
	v_ffbh_u32_e32 v12, v3
	v_min_u32_e32 v12, 32, v12
	v_lshrrev_b32_e32 v6, 19, v4
	v_subrev_u32_e32 v13, 28, v12
	v_and_b32_e32 v6, 15, v6
	v_lshlrev_b32_sdwa v13, v13, v4 dst_sel:DWORD dst_unused:UNUSED_PAD src0_sel:DWORD src1_sel:WORD_1
	v_bfe_u32 v7, v4, 19, 4
	v_sub_u32_e32 v12, 29, v12
	v_and_b32_e32 v13, 7, v13
	v_cmp_eq_u16_e32 vcc, 0, v6
	v_cndmask_b32_e32 v3, v3, v13, vcc
	v_cndmask_b32_e32 v6, v7, v12, vcc
	v_lshlrev_b32_e32 v7, 8, v4
	v_mov_b32_e32 v12, 0x3b800000
	v_lshlrev_b32_e32 v3, 20, v3
	v_and_b32_e32 v7, 0x80000000, v7
	v_lshl_add_u32 v6, v6, 23, v12
	v_or3_b32 v6, v7, v6, v3
.LBB5_856:
	s_or_b64 exec, exec, s[6:7]
	s_nop 0
	v_mfma_f32_16x16x4f32 a[0:3], v2, v6, a[0:3]
	s_movk_i32 s4, 0x7f
	v_cmp_gt_i16_sdwa s[6:7], v8, s4 src0_sel:BYTE_3 src1_sel:DWORD
	s_mov_b64 s[4:5], 0
                                        ; implicit-def: $sgpr10
	s_and_saveexec_b64 s[8:9], s[6:7]
	s_xor_b64 s[6:7], exec, s[8:9]
	s_cbranch_execnz .LBB5_2905
; %bb.857:
	s_or_saveexec_b64 s[6:7], s[6:7]
	v_mov_b32_e32 v2, s10
	s_xor_b64 exec, exec, s[6:7]
	s_cbranch_execnz .LBB5_2908
.LBB5_858:
	s_or_b64 exec, exec, s[6:7]
	s_and_saveexec_b64 s[6:7], s[4:5]
	s_cbranch_execz .LBB5_860
.LBB5_859:
	v_bfe_u32 v2, v8, 24, 3
	v_ffbh_u32_e32 v12, v2
	v_min_u32_e32 v12, 32, v12
	v_lshrrev_b32_e32 v6, 27, v8
	v_subrev_u32_e32 v13, 28, v12
	v_and_b32_e32 v3, 0x80000000, v8
	v_and_b32_e32 v6, 15, v6
	v_bfe_u32 v7, v8, 27, 4
	v_lshlrev_b32_sdwa v8, v13, v8 dst_sel:DWORD dst_unused:UNUSED_PAD src0_sel:DWORD src1_sel:BYTE_3
	v_sub_u32_e32 v12, 29, v12
	v_and_b32_e32 v8, 7, v8
	v_cmp_eq_u16_e32 vcc, 0, v6
	v_cndmask_b32_e32 v2, v2, v8, vcc
	v_cndmask_b32_e32 v6, v7, v12, vcc
	v_mov_b32_e32 v7, 0x3b800000
	v_lshlrev_b32_e32 v2, 20, v2
	v_lshl_add_u32 v6, v6, 23, v7
	v_or3_b32 v2, v3, v6, v2
.LBB5_860:
	s_or_b64 exec, exec, s[6:7]
	s_movk_i32 s4, 0x7f
	v_cmp_gt_i16_sdwa s[6:7], v4, s4 src0_sel:BYTE_3 src1_sel:DWORD
	s_mov_b64 s[4:5], 0
                                        ; implicit-def: $sgpr10
	s_and_saveexec_b64 s[8:9], s[6:7]
	s_xor_b64 s[6:7], exec, s[8:9]
	s_cbranch_execnz .LBB5_2909
; %bb.861:
	s_or_saveexec_b64 s[6:7], s[6:7]
	v_mov_b32_e32 v3, s10
	s_xor_b64 exec, exec, s[6:7]
	s_cbranch_execnz .LBB5_2912
.LBB5_862:
	s_or_b64 exec, exec, s[6:7]
	s_and_saveexec_b64 s[6:7], s[4:5]
	s_cbranch_execz .LBB5_864
.LBB5_863:
	v_bfe_u32 v3, v4, 24, 3
	v_ffbh_u32_e32 v12, v3
	v_min_u32_e32 v12, 32, v12
	v_lshrrev_b32_e32 v7, 27, v4
	v_subrev_u32_e32 v13, 28, v12
	v_and_b32_e32 v6, 0x80000000, v4
	v_and_b32_e32 v7, 15, v7
	v_bfe_u32 v8, v4, 27, 4
	v_lshlrev_b32_sdwa v4, v13, v4 dst_sel:DWORD dst_unused:UNUSED_PAD src0_sel:DWORD src1_sel:BYTE_3
	v_sub_u32_e32 v12, 29, v12
	v_and_b32_e32 v4, 7, v4
	v_cmp_eq_u16_e32 vcc, 0, v7
	v_cndmask_b32_e32 v3, v3, v4, vcc
	v_cndmask_b32_e32 v4, v8, v12, vcc
	v_mov_b32_e32 v7, 0x3b800000
	v_lshlrev_b32_e32 v3, 20, v3
	v_lshl_add_u32 v4, v4, 23, v7
	v_or3_b32 v3, v6, v4, v3
.LBB5_864:
	s_or_b64 exec, exec, s[6:7]
	s_nop 0
	v_mfma_f32_16x16x4f32 a[0:3], v2, v3, a[0:3]
	s_movk_i32 s4, 0x7f
	v_cmp_gt_i16_sdwa s[6:7], v9, s4 src0_sel:BYTE_0 src1_sel:DWORD
	s_mov_b64 s[4:5], 0
                                        ; implicit-def: $sgpr10
	s_and_saveexec_b64 s[8:9], s[6:7]
	s_xor_b64 s[6:7], exec, s[8:9]
	s_cbranch_execnz .LBB5_2913
; %bb.865:
	s_or_saveexec_b64 s[6:7], s[6:7]
	v_mov_b32_e32 v2, s10
	s_xor_b64 exec, exec, s[6:7]
	s_cbranch_execnz .LBB5_2916
.LBB5_866:
	s_or_b64 exec, exec, s[6:7]
	s_and_saveexec_b64 s[6:7], s[4:5]
	s_cbranch_execz .LBB5_868
.LBB5_867:
	v_mov_b32_e32 v2, 8
	v_and_b32_e32 v3, 7, v9
	v_lshrrev_b32_sdwa v2, v2, v9 dst_sel:BYTE_1 dst_unused:UNUSED_PAD src0_sel:DWORD src1_sel:DWORD
	v_ffbh_u32_e32 v4, v3
	v_or_b32_sdwa v2, v9, v2 dst_sel:DWORD dst_unused:UNUSED_PAD src0_sel:BYTE_0 src1_sel:DWORD
	v_min_u32_e32 v4, 32, v4
	v_lshrrev_b16_e32 v2, 3, v2
	v_subrev_u32_e32 v6, 28, v4
	v_and_b32_e32 v2, 15, v2
	v_lshlrev_b32_e32 v6, v6, v9
	v_sub_u32_e32 v4, 29, v4
	v_and_b32_e32 v6, 7, v6
	v_cmp_eq_u16_e32 vcc, 0, v2
	v_cndmask_b32_e32 v3, v3, v6, vcc
	v_cndmask_b32_e32 v2, v2, v4, vcc
	v_lshlrev_b32_e32 v4, 24, v9
	v_mov_b32_e32 v6, 0x3b800000
	v_lshlrev_b32_e32 v3, 20, v3
	v_and_b32_e32 v4, 0x80000000, v4
	v_lshl_add_u32 v2, v2, 23, v6
	v_or3_b32 v2, v4, v2, v3
.LBB5_868:
	s_or_b64 exec, exec, s[6:7]
	s_movk_i32 s4, 0x7f
	v_cmp_gt_i16_sdwa s[6:7], v5, s4 src0_sel:BYTE_0 src1_sel:DWORD
	s_mov_b64 s[4:5], 0
                                        ; implicit-def: $sgpr10
	s_and_saveexec_b64 s[8:9], s[6:7]
	s_xor_b64 s[6:7], exec, s[8:9]
	s_cbranch_execnz .LBB5_2917
; %bb.869:
	s_or_saveexec_b64 s[6:7], s[6:7]
	v_mov_b32_e32 v3, s10
	s_xor_b64 exec, exec, s[6:7]
	s_cbranch_execnz .LBB5_2920
.LBB5_870:
	s_or_b64 exec, exec, s[6:7]
	s_and_saveexec_b64 s[6:7], s[4:5]
	s_cbranch_execz .LBB5_872
.LBB5_871:
	v_mov_b32_e32 v3, 8
	v_and_b32_e32 v4, 7, v5
	v_lshrrev_b32_sdwa v3, v3, v5 dst_sel:BYTE_1 dst_unused:UNUSED_PAD src0_sel:DWORD src1_sel:DWORD
	v_ffbh_u32_e32 v6, v4
	v_or_b32_sdwa v3, v5, v3 dst_sel:DWORD dst_unused:UNUSED_PAD src0_sel:BYTE_0 src1_sel:DWORD
	v_min_u32_e32 v6, 32, v6
	v_lshrrev_b16_e32 v3, 3, v3
	v_subrev_u32_e32 v7, 28, v6
	v_and_b32_e32 v3, 15, v3
	v_lshlrev_b32_e32 v7, v7, v5
	v_sub_u32_e32 v6, 29, v6
	v_and_b32_e32 v7, 7, v7
	v_cmp_eq_u16_e32 vcc, 0, v3
	v_cndmask_b32_e32 v4, v4, v7, vcc
	v_cndmask_b32_e32 v3, v3, v6, vcc
	v_lshlrev_b32_e32 v6, 24, v5
	v_mov_b32_e32 v7, 0x3b800000
	v_lshlrev_b32_e32 v4, 20, v4
	v_and_b32_e32 v6, 0x80000000, v6
	v_lshl_add_u32 v3, v3, 23, v7
	v_or3_b32 v3, v6, v3, v4
.LBB5_872:
	s_or_b64 exec, exec, s[6:7]
	s_nop 0
	v_mfma_f32_16x16x4f32 a[0:3], v2, v3, a[0:3]
	v_lshrrev_b32_e32 v3, 8, v9
	s_movk_i32 s4, 0x7f
	v_cmp_gt_i16_sdwa s[6:7], v3, s4 src0_sel:BYTE_0 src1_sel:DWORD
	s_mov_b64 s[4:5], 0
                                        ; implicit-def: $sgpr10
	s_and_saveexec_b64 s[8:9], s[6:7]
	s_xor_b64 s[6:7], exec, s[8:9]
	s_cbranch_execnz .LBB5_2921
; %bb.873:
	s_or_saveexec_b64 s[6:7], s[6:7]
	v_mov_b32_e32 v2, s10
	s_xor_b64 exec, exec, s[6:7]
	s_cbranch_execnz .LBB5_2924
.LBB5_874:
	s_or_b64 exec, exec, s[6:7]
	s_and_saveexec_b64 s[6:7], s[4:5]
	s_cbranch_execz .LBB5_876
.LBB5_875:
	v_bfe_u32 v2, v9, 8, 3
	v_ffbh_u32_e32 v6, v2
	v_min_u32_e32 v6, 32, v6
	v_lshrrev_b16_e32 v4, 3, v3
	v_subrev_u32_e32 v7, 28, v6
	v_and_b32_e32 v4, 15, v4
	v_lshlrev_b32_e32 v3, v7, v3
	v_sub_u32_e32 v6, 29, v6
	v_and_b32_e32 v3, 7, v3
	v_cmp_eq_u16_e32 vcc, 0, v4
	v_cndmask_b32_e32 v2, v2, v3, vcc
	v_cndmask_b32_e32 v3, v4, v6, vcc
	v_lshlrev_b32_e32 v4, 16, v9
	v_mov_b32_e32 v6, 0x3b800000
	v_lshlrev_b32_e32 v2, 20, v2
	v_and_b32_e32 v4, 0x80000000, v4
	v_lshl_add_u32 v3, v3, 23, v6
	v_or3_b32 v2, v4, v3, v2
.LBB5_876:
	s_or_b64 exec, exec, s[6:7]
	v_lshrrev_b32_e32 v3, 8, v5
	s_movk_i32 s4, 0x7f
	v_cmp_gt_i16_sdwa s[6:7], v3, s4 src0_sel:BYTE_0 src1_sel:DWORD
	s_mov_b64 s[4:5], 0
                                        ; implicit-def: $sgpr10
	s_and_saveexec_b64 s[8:9], s[6:7]
	s_xor_b64 s[6:7], exec, s[8:9]
	s_cbranch_execnz .LBB5_2925
; %bb.877:
	s_or_saveexec_b64 s[6:7], s[6:7]
	v_mov_b32_e32 v4, s10
	s_xor_b64 exec, exec, s[6:7]
	s_cbranch_execnz .LBB5_2928
.LBB5_878:
	s_or_b64 exec, exec, s[6:7]
	s_and_saveexec_b64 s[6:7], s[4:5]
	s_cbranch_execz .LBB5_880
.LBB5_879:
	v_bfe_u32 v4, v5, 8, 3
	v_ffbh_u32_e32 v7, v4
	v_min_u32_e32 v7, 32, v7
	v_lshrrev_b16_e32 v6, 3, v3
	v_subrev_u32_e32 v8, 28, v7
	v_and_b32_e32 v6, 15, v6
	v_lshlrev_b32_e32 v3, v8, v3
	v_sub_u32_e32 v7, 29, v7
	v_and_b32_e32 v3, 7, v3
	v_cmp_eq_u16_e32 vcc, 0, v6
	v_cndmask_b32_e32 v3, v4, v3, vcc
	v_cndmask_b32_e32 v4, v6, v7, vcc
	v_lshlrev_b32_e32 v6, 16, v5
	v_mov_b32_e32 v7, 0x3b800000
	v_lshlrev_b32_e32 v3, 20, v3
	v_and_b32_e32 v6, 0x80000000, v6
	v_lshl_add_u32 v4, v4, 23, v7
	v_or3_b32 v4, v6, v4, v3
.LBB5_880:
	s_or_b64 exec, exec, s[6:7]
	s_nop 0
	v_mfma_f32_16x16x4f32 a[0:3], v2, v4, a[0:3]
	s_movk_i32 s4, 0xff
	v_and_b32_sdwa v3, v9, s4 dst_sel:DWORD dst_unused:UNUSED_PAD src0_sel:WORD_1 src1_sel:DWORD
	s_movk_i32 s4, 0x7f
	v_cmp_lt_i16_e32 vcc, s4, v3
	s_mov_b64 s[4:5], 0
                                        ; implicit-def: $sgpr10
	s_and_saveexec_b64 s[6:7], vcc
	s_xor_b64 s[6:7], exec, s[6:7]
	s_cbranch_execnz .LBB5_2929
; %bb.881:
	s_or_saveexec_b64 s[6:7], s[6:7]
	v_mov_b32_e32 v2, s10
	s_xor_b64 exec, exec, s[6:7]
	s_cbranch_execnz .LBB5_2932
.LBB5_882:
	s_or_b64 exec, exec, s[6:7]
	s_and_saveexec_b64 s[6:7], s[4:5]
	s_cbranch_execz .LBB5_884
.LBB5_883:
	v_bfe_u32 v2, v9, 16, 3
	v_ffbh_u32_e32 v6, v2
	v_min_u32_e32 v6, 32, v6
	v_lshrrev_b32_e32 v3, 19, v9
	v_subrev_u32_e32 v7, 28, v6
	v_and_b32_e32 v3, 15, v3
	v_lshlrev_b32_sdwa v7, v7, v9 dst_sel:DWORD dst_unused:UNUSED_PAD src0_sel:DWORD src1_sel:WORD_1
	v_bfe_u32 v4, v9, 19, 4
	v_sub_u32_e32 v6, 29, v6
	v_and_b32_e32 v7, 7, v7
	v_cmp_eq_u16_e32 vcc, 0, v3
	v_cndmask_b32_e32 v2, v2, v7, vcc
	v_cndmask_b32_e32 v3, v4, v6, vcc
	v_lshlrev_b32_e32 v4, 8, v9
	v_mov_b32_e32 v6, 0x3b800000
	v_lshlrev_b32_e32 v2, 20, v2
	v_and_b32_e32 v4, 0x80000000, v4
	v_lshl_add_u32 v3, v3, 23, v6
	v_or3_b32 v2, v4, v3, v2
.LBB5_884:
	s_or_b64 exec, exec, s[6:7]
	s_movk_i32 s4, 0xff
	v_and_b32_sdwa v3, v5, s4 dst_sel:DWORD dst_unused:UNUSED_PAD src0_sel:WORD_1 src1_sel:DWORD
	s_movk_i32 s4, 0x7f
	v_cmp_lt_i16_e32 vcc, s4, v3
	s_mov_b64 s[4:5], 0
                                        ; implicit-def: $sgpr10
	s_and_saveexec_b64 s[6:7], vcc
	s_xor_b64 s[6:7], exec, s[6:7]
	s_cbranch_execnz .LBB5_2933
; %bb.885:
	s_or_saveexec_b64 s[6:7], s[6:7]
	v_mov_b32_e32 v4, s10
	s_xor_b64 exec, exec, s[6:7]
	s_cbranch_execnz .LBB5_2936
.LBB5_886:
	s_or_b64 exec, exec, s[6:7]
	s_and_saveexec_b64 s[6:7], s[4:5]
	s_cbranch_execz .LBB5_888
.LBB5_887:
	v_bfe_u32 v3, v5, 16, 3
	v_ffbh_u32_e32 v7, v3
	v_min_u32_e32 v7, 32, v7
	v_lshrrev_b32_e32 v4, 19, v5
	v_subrev_u32_e32 v8, 28, v7
	v_and_b32_e32 v4, 15, v4
	v_lshlrev_b32_sdwa v8, v8, v5 dst_sel:DWORD dst_unused:UNUSED_PAD src0_sel:DWORD src1_sel:WORD_1
	v_bfe_u32 v6, v5, 19, 4
	v_sub_u32_e32 v7, 29, v7
	v_and_b32_e32 v8, 7, v8
	v_cmp_eq_u16_e32 vcc, 0, v4
	v_cndmask_b32_e32 v3, v3, v8, vcc
	v_cndmask_b32_e32 v4, v6, v7, vcc
	v_lshlrev_b32_e32 v6, 8, v5
	v_mov_b32_e32 v7, 0x3b800000
	v_lshlrev_b32_e32 v3, 20, v3
	v_and_b32_e32 v6, 0x80000000, v6
	v_lshl_add_u32 v4, v4, 23, v7
	v_or3_b32 v4, v6, v4, v3
.LBB5_888:
	s_or_b64 exec, exec, s[6:7]
	s_nop 0
	v_mfma_f32_16x16x4f32 a[0:3], v2, v4, a[0:3]
	s_movk_i32 s4, 0x7f
	v_cmp_gt_i16_sdwa s[6:7], v9, s4 src0_sel:BYTE_3 src1_sel:DWORD
	s_mov_b64 s[4:5], 0
                                        ; implicit-def: $sgpr10
	s_and_saveexec_b64 s[8:9], s[6:7]
	s_xor_b64 s[6:7], exec, s[8:9]
	s_cbranch_execnz .LBB5_2937
; %bb.889:
	s_or_saveexec_b64 s[6:7], s[6:7]
	v_mov_b32_e32 v2, s10
	s_xor_b64 exec, exec, s[6:7]
	s_cbranch_execnz .LBB5_2940
.LBB5_890:
	s_or_b64 exec, exec, s[6:7]
	s_and_saveexec_b64 s[6:7], s[4:5]
	s_cbranch_execz .LBB5_892
.LBB5_891:
	v_bfe_u32 v2, v9, 24, 3
	v_ffbh_u32_e32 v7, v2
	v_min_u32_e32 v7, 32, v7
	v_lshrrev_b32_e32 v4, 27, v9
	v_subrev_u32_e32 v8, 28, v7
	v_and_b32_e32 v4, 15, v4
	v_lshlrev_b32_sdwa v8, v8, v9 dst_sel:DWORD dst_unused:UNUSED_PAD src0_sel:DWORD src1_sel:BYTE_3
	v_bfe_u32 v6, v9, 27, 4
	v_sub_u32_e32 v7, 29, v7
	v_and_b32_e32 v8, 7, v8
	v_cmp_eq_u16_e32 vcc, 0, v4
	v_cndmask_b32_e32 v2, v2, v8, vcc
	v_cndmask_b32_e32 v4, v6, v7, vcc
	v_mov_b32_e32 v6, 0x3b800000
	v_and_b32_e32 v3, 0x80000000, v9
	v_lshlrev_b32_e32 v2, 20, v2
	v_lshl_add_u32 v4, v4, 23, v6
	v_or3_b32 v2, v3, v4, v2
.LBB5_892:
	s_or_b64 exec, exec, s[6:7]
	s_movk_i32 s4, 0x7f
	v_cmp_gt_i16_sdwa s[6:7], v5, s4 src0_sel:BYTE_3 src1_sel:DWORD
	s_mov_b64 s[4:5], 0
                                        ; implicit-def: $sgpr10
	s_and_saveexec_b64 s[8:9], s[6:7]
	s_xor_b64 s[6:7], exec, s[8:9]
	s_cbranch_execnz .LBB5_2941
; %bb.893:
	s_or_saveexec_b64 s[6:7], s[6:7]
	v_mov_b32_e32 v3, s10
	s_xor_b64 exec, exec, s[6:7]
	s_cbranch_execnz .LBB5_2944
.LBB5_894:
	s_or_b64 exec, exec, s[6:7]
	s_and_saveexec_b64 s[6:7], s[4:5]
	s_cbranch_execz .LBB5_896
.LBB5_895:
	v_bfe_u32 v3, v5, 24, 3
	v_ffbh_u32_e32 v8, v3
	v_min_u32_e32 v8, 32, v8
	v_lshrrev_b32_e32 v6, 27, v5
	v_subrev_u32_e32 v9, 28, v8
	v_and_b32_e32 v4, 0x80000000, v5
	v_and_b32_e32 v6, 15, v6
	v_bfe_u32 v7, v5, 27, 4
	v_lshlrev_b32_sdwa v5, v9, v5 dst_sel:DWORD dst_unused:UNUSED_PAD src0_sel:DWORD src1_sel:BYTE_3
	v_sub_u32_e32 v8, 29, v8
	v_and_b32_e32 v5, 7, v5
	v_cmp_eq_u16_e32 vcc, 0, v6
	v_cndmask_b32_e32 v3, v3, v5, vcc
	v_cndmask_b32_e32 v5, v7, v8, vcc
	v_mov_b32_e32 v6, 0x3b800000
	v_lshlrev_b32_e32 v3, 20, v3
	v_lshl_add_u32 v5, v5, 23, v6
	v_or3_b32 v3, v4, v5, v3
.LBB5_896:
	s_or_b64 exec, exec, s[6:7]
	s_nop 0
	v_mfma_f32_16x16x4f32 a[0:3], v2, v3, a[0:3]
	s_movk_i32 s4, 0x7f
                                        ; implicit-def: $sgpr10
	s_nop 7
	s_nop 1
	flat_store_dwordx4 v[10:11], a[0:3] offset:96
	flat_load_dwordx4 v[12:15], v[0:1] offset:8
	s_nop 0
	flat_load_dwordx2 v[10:11], v[0:1] offset:32
	s_waitcnt vmcnt(0) lgkmcnt(0)
	flat_load_dwordx4 v[6:9], v[12:13] offset:32
	flat_load_dwordx4 v[2:5], v[14:15] offset:96
	s_waitcnt vmcnt(0) lgkmcnt(0)
	v_cmp_gt_i16_sdwa s[6:7], v6, s4 src0_sel:BYTE_0 src1_sel:DWORD
	s_mov_b64 s[4:5], 0
	s_and_saveexec_b64 s[8:9], s[6:7]
	s_xor_b64 s[6:7], exec, s[8:9]
	s_cbranch_execnz .LBB5_2945
; %bb.897:
	s_or_saveexec_b64 s[6:7], s[6:7]
	v_mov_b32_e32 v12, s10
	s_xor_b64 exec, exec, s[6:7]
	s_cbranch_execnz .LBB5_2948
.LBB5_898:
	s_or_b64 exec, exec, s[6:7]
	s_and_saveexec_b64 s[6:7], s[4:5]
	s_cbranch_execz .LBB5_900
.LBB5_899:
	v_and_b32_e32 v12, 7, v6
	v_ffbh_u32_e32 v14, v12
	v_min_u32_e32 v14, 32, v14
	v_lshrrev_b16_e32 v13, 3, v6
	v_subrev_u32_e32 v15, 28, v14
	v_and_b32_e32 v13, 15, v13
	v_lshlrev_b32_e32 v15, v15, v6
	v_sub_u32_e32 v14, 29, v14
	v_and_b32_e32 v15, 7, v15
	v_cmp_eq_u16_e32 vcc, 0, v13
	v_cndmask_b32_e32 v12, v12, v15, vcc
	v_cndmask_b32_e32 v13, v13, v14, vcc
	v_lshlrev_b32_e32 v14, 24, v6
	v_mov_b32_e32 v15, 0x3b800000
	v_lshlrev_b32_e32 v12, 20, v12
	v_and_b32_e32 v14, 0x80000000, v14
	v_lshl_add_u32 v13, v13, 23, v15
	v_or3_b32 v12, v14, v13, v12
.LBB5_900:
	s_or_b64 exec, exec, s[6:7]
	s_movk_i32 s4, 0x7f
	v_cmp_gt_i16_sdwa s[6:7], v2, s4 src0_sel:BYTE_0 src1_sel:DWORD
	s_mov_b64 s[4:5], 0
                                        ; implicit-def: $sgpr10
	s_and_saveexec_b64 s[8:9], s[6:7]
	s_xor_b64 s[6:7], exec, s[8:9]
	s_cbranch_execnz .LBB5_2949
; %bb.901:
	s_or_saveexec_b64 s[6:7], s[6:7]
	v_mov_b32_e32 v13, s10
	s_xor_b64 exec, exec, s[6:7]
	s_cbranch_execnz .LBB5_2952
.LBB5_902:
	s_or_b64 exec, exec, s[6:7]
	s_and_saveexec_b64 s[6:7], s[4:5]
	s_cbranch_execz .LBB5_904
.LBB5_903:
	v_and_b32_e32 v13, 7, v2
	v_ffbh_u32_e32 v15, v13
	v_min_u32_e32 v15, 32, v15
	v_lshrrev_b16_e32 v14, 3, v2
	v_subrev_u32_e32 v16, 28, v15
	v_and_b32_e32 v14, 15, v14
	v_lshlrev_b32_e32 v16, v16, v2
	v_sub_u32_e32 v15, 29, v15
	v_and_b32_e32 v16, 7, v16
	v_cmp_eq_u16_e32 vcc, 0, v14
	v_cndmask_b32_e32 v13, v13, v16, vcc
	v_cndmask_b32_e32 v14, v14, v15, vcc
	v_lshlrev_b32_e32 v15, 24, v2
	v_mov_b32_e32 v16, 0x3b800000
	v_lshlrev_b32_e32 v13, 20, v13
	v_and_b32_e32 v15, 0x80000000, v15
	v_lshl_add_u32 v14, v14, 23, v16
	v_or3_b32 v13, v15, v14, v13
.LBB5_904:
	s_or_b64 exec, exec, s[6:7]
	flat_load_dwordx4 a[0:3], v[10:11] offset:112
	s_movk_i32 s4, 0x7f
                                        ; implicit-def: $sgpr10
	s_waitcnt vmcnt(0) lgkmcnt(0)
	v_mfma_f32_16x16x4f32 a[0:3], v12, v13, a[0:3]
	v_lshrrev_b32_e32 v13, 8, v6
	v_cmp_gt_i16_sdwa s[6:7], v13, s4 src0_sel:BYTE_0 src1_sel:DWORD
	s_mov_b64 s[4:5], 0
	s_and_saveexec_b64 s[8:9], s[6:7]
	s_xor_b64 s[6:7], exec, s[8:9]
	s_cbranch_execnz .LBB5_2953
; %bb.905:
	s_or_saveexec_b64 s[6:7], s[6:7]
	v_mov_b32_e32 v12, s10
	s_xor_b64 exec, exec, s[6:7]
	s_cbranch_execnz .LBB5_2956
.LBB5_906:
	s_or_b64 exec, exec, s[6:7]
	s_and_saveexec_b64 s[6:7], s[4:5]
	s_cbranch_execz .LBB5_908
.LBB5_907:
	v_bfe_u32 v12, v6, 8, 3
	v_ffbh_u32_e32 v15, v12
	v_min_u32_e32 v15, 32, v15
	v_lshrrev_b16_e32 v14, 3, v13
	v_subrev_u32_e32 v16, 28, v15
	v_and_b32_e32 v14, 15, v14
	v_lshlrev_b32_e32 v13, v16, v13
	v_sub_u32_e32 v15, 29, v15
	v_and_b32_e32 v13, 7, v13
	v_cmp_eq_u16_e32 vcc, 0, v14
	v_cndmask_b32_e32 v12, v12, v13, vcc
	v_cndmask_b32_e32 v13, v14, v15, vcc
	v_lshlrev_b32_e32 v14, 16, v6
	v_mov_b32_e32 v15, 0x3b800000
	v_lshlrev_b32_e32 v12, 20, v12
	v_and_b32_e32 v14, 0x80000000, v14
	v_lshl_add_u32 v13, v13, 23, v15
	v_or3_b32 v12, v14, v13, v12
.LBB5_908:
	s_or_b64 exec, exec, s[6:7]
	v_lshrrev_b32_e32 v13, 8, v2
	s_movk_i32 s4, 0x7f
	v_cmp_gt_i16_sdwa s[6:7], v13, s4 src0_sel:BYTE_0 src1_sel:DWORD
	s_mov_b64 s[4:5], 0
                                        ; implicit-def: $sgpr10
	s_and_saveexec_b64 s[8:9], s[6:7]
	s_xor_b64 s[6:7], exec, s[8:9]
	s_cbranch_execnz .LBB5_2957
; %bb.909:
	s_or_saveexec_b64 s[6:7], s[6:7]
	v_mov_b32_e32 v14, s10
	s_xor_b64 exec, exec, s[6:7]
	s_cbranch_execnz .LBB5_2960
.LBB5_910:
	s_or_b64 exec, exec, s[6:7]
	s_and_saveexec_b64 s[6:7], s[4:5]
	s_cbranch_execz .LBB5_912
.LBB5_911:
	v_bfe_u32 v14, v2, 8, 3
	v_ffbh_u32_e32 v16, v14
	v_min_u32_e32 v16, 32, v16
	v_lshrrev_b16_e32 v15, 3, v13
	v_subrev_u32_e32 v17, 28, v16
	v_and_b32_e32 v15, 15, v15
	v_lshlrev_b32_e32 v13, v17, v13
	v_sub_u32_e32 v16, 29, v16
	v_and_b32_e32 v13, 7, v13
	v_cmp_eq_u16_e32 vcc, 0, v15
	v_cndmask_b32_e32 v13, v14, v13, vcc
	v_cndmask_b32_e32 v14, v15, v16, vcc
	v_lshlrev_b32_e32 v15, 16, v2
	v_mov_b32_e32 v16, 0x3b800000
	v_lshlrev_b32_e32 v13, 20, v13
	v_and_b32_e32 v15, 0x80000000, v15
	v_lshl_add_u32 v14, v14, 23, v16
	v_or3_b32 v14, v15, v14, v13
.LBB5_912:
	s_or_b64 exec, exec, s[6:7]
	s_nop 0
	v_mfma_f32_16x16x4f32 a[0:3], v12, v14, a[0:3]
	s_movk_i32 s4, 0xff
	v_and_b32_sdwa v13, v6, s4 dst_sel:DWORD dst_unused:UNUSED_PAD src0_sel:WORD_1 src1_sel:DWORD
	s_movk_i32 s4, 0x7f
	v_cmp_lt_i16_e32 vcc, s4, v13
	s_mov_b64 s[4:5], 0
                                        ; implicit-def: $sgpr10
	s_and_saveexec_b64 s[6:7], vcc
	s_xor_b64 s[6:7], exec, s[6:7]
	s_cbranch_execnz .LBB5_2961
; %bb.913:
	s_or_saveexec_b64 s[6:7], s[6:7]
	v_mov_b32_e32 v12, s10
	s_xor_b64 exec, exec, s[6:7]
	s_cbranch_execnz .LBB5_2964
.LBB5_914:
	s_or_b64 exec, exec, s[6:7]
	s_and_saveexec_b64 s[6:7], s[4:5]
	s_cbranch_execz .LBB5_916
.LBB5_915:
	v_bfe_u32 v12, v6, 16, 3
	v_ffbh_u32_e32 v15, v12
	v_min_u32_e32 v15, 32, v15
	v_lshrrev_b32_e32 v13, 19, v6
	v_subrev_u32_e32 v16, 28, v15
	v_and_b32_e32 v13, 15, v13
	v_lshlrev_b32_sdwa v16, v16, v6 dst_sel:DWORD dst_unused:UNUSED_PAD src0_sel:DWORD src1_sel:WORD_1
	v_bfe_u32 v14, v6, 19, 4
	v_sub_u32_e32 v15, 29, v15
	v_and_b32_e32 v16, 7, v16
	v_cmp_eq_u16_e32 vcc, 0, v13
	v_cndmask_b32_e32 v12, v12, v16, vcc
	v_cndmask_b32_e32 v13, v14, v15, vcc
	v_lshlrev_b32_e32 v14, 8, v6
	v_mov_b32_e32 v15, 0x3b800000
	v_lshlrev_b32_e32 v12, 20, v12
	v_and_b32_e32 v14, 0x80000000, v14
	v_lshl_add_u32 v13, v13, 23, v15
	v_or3_b32 v12, v14, v13, v12
.LBB5_916:
	s_or_b64 exec, exec, s[6:7]
	s_movk_i32 s4, 0xff
	v_and_b32_sdwa v13, v2, s4 dst_sel:DWORD dst_unused:UNUSED_PAD src0_sel:WORD_1 src1_sel:DWORD
	s_movk_i32 s4, 0x7f
	v_cmp_lt_i16_e32 vcc, s4, v13
	s_mov_b64 s[4:5], 0
                                        ; implicit-def: $sgpr10
	s_and_saveexec_b64 s[6:7], vcc
	s_xor_b64 s[6:7], exec, s[6:7]
	s_cbranch_execnz .LBB5_2965
; %bb.917:
	s_or_saveexec_b64 s[6:7], s[6:7]
	v_mov_b32_e32 v14, s10
	s_xor_b64 exec, exec, s[6:7]
	s_cbranch_execnz .LBB5_2968
.LBB5_918:
	s_or_b64 exec, exec, s[6:7]
	s_and_saveexec_b64 s[6:7], s[4:5]
	s_cbranch_execz .LBB5_920
.LBB5_919:
	v_bfe_u32 v13, v2, 16, 3
	v_ffbh_u32_e32 v16, v13
	v_min_u32_e32 v16, 32, v16
	v_lshrrev_b32_e32 v14, 19, v2
	v_subrev_u32_e32 v17, 28, v16
	v_and_b32_e32 v14, 15, v14
	v_lshlrev_b32_sdwa v17, v17, v2 dst_sel:DWORD dst_unused:UNUSED_PAD src0_sel:DWORD src1_sel:WORD_1
	v_bfe_u32 v15, v2, 19, 4
	v_sub_u32_e32 v16, 29, v16
	v_and_b32_e32 v17, 7, v17
	v_cmp_eq_u16_e32 vcc, 0, v14
	v_cndmask_b32_e32 v13, v13, v17, vcc
	v_cndmask_b32_e32 v14, v15, v16, vcc
	v_lshlrev_b32_e32 v15, 8, v2
	v_mov_b32_e32 v16, 0x3b800000
	v_lshlrev_b32_e32 v13, 20, v13
	v_and_b32_e32 v15, 0x80000000, v15
	v_lshl_add_u32 v14, v14, 23, v16
	v_or3_b32 v14, v15, v14, v13
.LBB5_920:
	s_or_b64 exec, exec, s[6:7]
	s_nop 0
	v_mfma_f32_16x16x4f32 a[0:3], v12, v14, a[0:3]
	s_movk_i32 s4, 0x7f
	v_cmp_gt_i16_sdwa s[6:7], v6, s4 src0_sel:BYTE_3 src1_sel:DWORD
	s_mov_b64 s[4:5], 0
                                        ; implicit-def: $sgpr10
	s_and_saveexec_b64 s[8:9], s[6:7]
	s_xor_b64 s[6:7], exec, s[8:9]
	s_cbranch_execnz .LBB5_2969
; %bb.921:
	s_or_saveexec_b64 s[6:7], s[6:7]
	v_mov_b32_e32 v12, s10
	s_xor_b64 exec, exec, s[6:7]
	s_cbranch_execnz .LBB5_2972
.LBB5_922:
	s_or_b64 exec, exec, s[6:7]
	s_and_saveexec_b64 s[6:7], s[4:5]
	s_cbranch_execz .LBB5_924
.LBB5_923:
	v_bfe_u32 v12, v6, 24, 3
	v_ffbh_u32_e32 v16, v12
	v_min_u32_e32 v16, 32, v16
	v_lshrrev_b32_e32 v14, 27, v6
	v_subrev_u32_e32 v17, 28, v16
	v_and_b32_e32 v13, 0x80000000, v6
	v_and_b32_e32 v14, 15, v14
	v_bfe_u32 v15, v6, 27, 4
	v_lshlrev_b32_sdwa v6, v17, v6 dst_sel:DWORD dst_unused:UNUSED_PAD src0_sel:DWORD src1_sel:BYTE_3
	v_sub_u32_e32 v16, 29, v16
	v_and_b32_e32 v6, 7, v6
	v_cmp_eq_u16_e32 vcc, 0, v14
	v_cndmask_b32_e32 v6, v12, v6, vcc
	v_cndmask_b32_e32 v12, v15, v16, vcc
	v_mov_b32_e32 v14, 0x3b800000
	v_lshlrev_b32_e32 v6, 20, v6
	v_lshl_add_u32 v12, v12, 23, v14
	v_or3_b32 v12, v13, v12, v6
.LBB5_924:
	s_or_b64 exec, exec, s[6:7]
	s_movk_i32 s4, 0x7f
	v_cmp_gt_i16_sdwa s[6:7], v2, s4 src0_sel:BYTE_3 src1_sel:DWORD
	s_mov_b64 s[4:5], 0
                                        ; implicit-def: $sgpr10
	s_and_saveexec_b64 s[8:9], s[6:7]
	s_xor_b64 s[6:7], exec, s[8:9]
	s_cbranch_execnz .LBB5_2973
; %bb.925:
	s_or_saveexec_b64 s[6:7], s[6:7]
	v_mov_b32_e32 v6, s10
	s_xor_b64 exec, exec, s[6:7]
	s_cbranch_execnz .LBB5_2976
.LBB5_926:
	s_or_b64 exec, exec, s[6:7]
	s_and_saveexec_b64 s[6:7], s[4:5]
	s_cbranch_execz .LBB5_928
.LBB5_927:
	v_bfe_u32 v6, v2, 24, 3
	v_ffbh_u32_e32 v16, v6
	v_min_u32_e32 v16, 32, v16
	v_lshrrev_b32_e32 v14, 27, v2
	v_subrev_u32_e32 v17, 28, v16
	v_and_b32_e32 v13, 0x80000000, v2
	v_and_b32_e32 v14, 15, v14
	v_bfe_u32 v15, v2, 27, 4
	v_lshlrev_b32_sdwa v2, v17, v2 dst_sel:DWORD dst_unused:UNUSED_PAD src0_sel:DWORD src1_sel:BYTE_3
	v_sub_u32_e32 v16, 29, v16
	v_and_b32_e32 v2, 7, v2
	v_cmp_eq_u16_e32 vcc, 0, v14
	v_cndmask_b32_e32 v2, v6, v2, vcc
	v_cndmask_b32_e32 v6, v15, v16, vcc
	v_mov_b32_e32 v14, 0x3b800000
	v_lshlrev_b32_e32 v2, 20, v2
	v_lshl_add_u32 v6, v6, 23, v14
	v_or3_b32 v6, v13, v6, v2
.LBB5_928:
	s_or_b64 exec, exec, s[6:7]
	s_nop 0
	v_mfma_f32_16x16x4f32 a[0:3], v12, v6, a[0:3]
	s_movk_i32 s4, 0x7f
	v_cmp_gt_i16_sdwa s[6:7], v7, s4 src0_sel:BYTE_0 src1_sel:DWORD
	s_mov_b64 s[4:5], 0
                                        ; implicit-def: $sgpr10
	s_and_saveexec_b64 s[8:9], s[6:7]
	s_xor_b64 s[6:7], exec, s[8:9]
	s_cbranch_execnz .LBB5_2977
; %bb.929:
	s_or_saveexec_b64 s[6:7], s[6:7]
	v_mov_b32_e32 v2, s10
	s_xor_b64 exec, exec, s[6:7]
	s_cbranch_execnz .LBB5_2980
.LBB5_930:
	s_or_b64 exec, exec, s[6:7]
	s_and_saveexec_b64 s[6:7], s[4:5]
	s_cbranch_execz .LBB5_932
.LBB5_931:
	v_and_b32_e32 v2, 7, v7
	v_ffbh_u32_e32 v12, v2
	v_min_u32_e32 v12, 32, v12
	v_lshrrev_b16_e32 v6, 3, v7
	v_subrev_u32_e32 v13, 28, v12
	v_and_b32_e32 v6, 15, v6
	v_lshlrev_b32_e32 v13, v13, v7
	v_sub_u32_e32 v12, 29, v12
	v_and_b32_e32 v13, 7, v13
	v_cmp_eq_u16_e32 vcc, 0, v6
	v_cndmask_b32_e32 v2, v2, v13, vcc
	v_cndmask_b32_e32 v6, v6, v12, vcc
	v_lshlrev_b32_e32 v12, 24, v7
	v_mov_b32_e32 v13, 0x3b800000
	v_lshlrev_b32_e32 v2, 20, v2
	v_and_b32_e32 v12, 0x80000000, v12
	v_lshl_add_u32 v6, v6, 23, v13
	v_or3_b32 v2, v12, v6, v2
.LBB5_932:
	s_or_b64 exec, exec, s[6:7]
	s_movk_i32 s4, 0x7f
	v_cmp_gt_i16_sdwa s[6:7], v3, s4 src0_sel:BYTE_0 src1_sel:DWORD
	s_mov_b64 s[4:5], 0
                                        ; implicit-def: $sgpr10
	s_and_saveexec_b64 s[8:9], s[6:7]
	s_xor_b64 s[6:7], exec, s[8:9]
	s_cbranch_execnz .LBB5_2981
; %bb.933:
	s_or_saveexec_b64 s[6:7], s[6:7]
	v_mov_b32_e32 v6, s10
	s_xor_b64 exec, exec, s[6:7]
	s_cbranch_execnz .LBB5_2984
.LBB5_934:
	s_or_b64 exec, exec, s[6:7]
	s_and_saveexec_b64 s[6:7], s[4:5]
	s_cbranch_execz .LBB5_936
.LBB5_935:
	v_and_b32_e32 v6, 7, v3
	v_ffbh_u32_e32 v13, v6
	v_min_u32_e32 v13, 32, v13
	v_lshrrev_b16_e32 v12, 3, v3
	v_subrev_u32_e32 v14, 28, v13
	v_and_b32_e32 v12, 15, v12
	v_lshlrev_b32_e32 v14, v14, v3
	v_sub_u32_e32 v13, 29, v13
	v_and_b32_e32 v14, 7, v14
	v_cmp_eq_u16_e32 vcc, 0, v12
	v_cndmask_b32_e32 v6, v6, v14, vcc
	v_cndmask_b32_e32 v12, v12, v13, vcc
	v_lshlrev_b32_e32 v13, 24, v3
	v_mov_b32_e32 v14, 0x3b800000
	v_lshlrev_b32_e32 v6, 20, v6
	v_and_b32_e32 v13, 0x80000000, v13
	v_lshl_add_u32 v12, v12, 23, v14
	v_or3_b32 v6, v13, v12, v6
.LBB5_936:
	s_or_b64 exec, exec, s[6:7]
	s_nop 0
	v_mfma_f32_16x16x4f32 a[0:3], v2, v6, a[0:3]
	v_lshrrev_b32_e32 v6, 8, v7
	s_movk_i32 s4, 0x7f
	v_cmp_gt_i16_sdwa s[6:7], v6, s4 src0_sel:BYTE_0 src1_sel:DWORD
	s_mov_b64 s[4:5], 0
                                        ; implicit-def: $sgpr10
	s_and_saveexec_b64 s[8:9], s[6:7]
	s_xor_b64 s[6:7], exec, s[8:9]
	s_cbranch_execnz .LBB5_2985
; %bb.937:
	s_or_saveexec_b64 s[6:7], s[6:7]
	v_mov_b32_e32 v2, s10
	s_xor_b64 exec, exec, s[6:7]
	s_cbranch_execnz .LBB5_2988
.LBB5_938:
	s_or_b64 exec, exec, s[6:7]
	s_and_saveexec_b64 s[6:7], s[4:5]
	s_cbranch_execz .LBB5_940
.LBB5_939:
	v_bfe_u32 v2, v7, 8, 3
	v_ffbh_u32_e32 v13, v2
	v_min_u32_e32 v13, 32, v13
	v_lshrrev_b16_e32 v12, 3, v6
	v_subrev_u32_e32 v14, 28, v13
	v_and_b32_e32 v12, 15, v12
	v_lshlrev_b32_e32 v6, v14, v6
	v_sub_u32_e32 v13, 29, v13
	v_and_b32_e32 v6, 7, v6
	v_cmp_eq_u16_e32 vcc, 0, v12
	v_cndmask_b32_e32 v2, v2, v6, vcc
	v_cndmask_b32_e32 v6, v12, v13, vcc
	v_lshlrev_b32_e32 v12, 16, v7
	v_mov_b32_e32 v13, 0x3b800000
	v_lshlrev_b32_e32 v2, 20, v2
	v_and_b32_e32 v12, 0x80000000, v12
	v_lshl_add_u32 v6, v6, 23, v13
	v_or3_b32 v2, v12, v6, v2
.LBB5_940:
	s_or_b64 exec, exec, s[6:7]
	v_lshrrev_b32_e32 v6, 8, v3
	s_movk_i32 s4, 0x7f
	v_cmp_gt_i16_sdwa s[6:7], v6, s4 src0_sel:BYTE_0 src1_sel:DWORD
	s_mov_b64 s[4:5], 0
                                        ; implicit-def: $sgpr10
	s_and_saveexec_b64 s[8:9], s[6:7]
	s_xor_b64 s[6:7], exec, s[8:9]
	s_cbranch_execnz .LBB5_2989
; %bb.941:
	s_or_saveexec_b64 s[6:7], s[6:7]
	v_mov_b32_e32 v12, s10
	s_xor_b64 exec, exec, s[6:7]
	s_cbranch_execnz .LBB5_2992
.LBB5_942:
	s_or_b64 exec, exec, s[6:7]
	s_and_saveexec_b64 s[6:7], s[4:5]
	s_cbranch_execz .LBB5_944
.LBB5_943:
	v_bfe_u32 v12, v3, 8, 3
	v_ffbh_u32_e32 v14, v12
	v_min_u32_e32 v14, 32, v14
	v_lshrrev_b16_e32 v13, 3, v6
	v_subrev_u32_e32 v15, 28, v14
	v_and_b32_e32 v13, 15, v13
	v_lshlrev_b32_e32 v6, v15, v6
	v_sub_u32_e32 v14, 29, v14
	v_and_b32_e32 v6, 7, v6
	v_cmp_eq_u16_e32 vcc, 0, v13
	v_cndmask_b32_e32 v6, v12, v6, vcc
	v_cndmask_b32_e32 v12, v13, v14, vcc
	v_lshlrev_b32_e32 v13, 16, v3
	v_mov_b32_e32 v14, 0x3b800000
	v_lshlrev_b32_e32 v6, 20, v6
	v_and_b32_e32 v13, 0x80000000, v13
	v_lshl_add_u32 v12, v12, 23, v14
	v_or3_b32 v12, v13, v12, v6
.LBB5_944:
	s_or_b64 exec, exec, s[6:7]
	s_nop 0
	v_mfma_f32_16x16x4f32 a[0:3], v2, v12, a[0:3]
	s_movk_i32 s4, 0xff
	v_and_b32_sdwa v6, v7, s4 dst_sel:DWORD dst_unused:UNUSED_PAD src0_sel:WORD_1 src1_sel:DWORD
	s_movk_i32 s4, 0x7f
	v_cmp_lt_i16_e32 vcc, s4, v6
	s_mov_b64 s[4:5], 0
                                        ; implicit-def: $sgpr10
	s_and_saveexec_b64 s[6:7], vcc
	s_xor_b64 s[6:7], exec, s[6:7]
	s_cbranch_execnz .LBB5_2993
; %bb.945:
	s_or_saveexec_b64 s[6:7], s[6:7]
	v_mov_b32_e32 v2, s10
	s_xor_b64 exec, exec, s[6:7]
	s_cbranch_execnz .LBB5_2996
.LBB5_946:
	s_or_b64 exec, exec, s[6:7]
	s_and_saveexec_b64 s[6:7], s[4:5]
	s_cbranch_execz .LBB5_948
.LBB5_947:
	v_bfe_u32 v2, v7, 16, 3
	v_ffbh_u32_e32 v13, v2
	v_min_u32_e32 v13, 32, v13
	v_lshrrev_b32_e32 v6, 19, v7
	v_subrev_u32_e32 v14, 28, v13
	v_and_b32_e32 v6, 15, v6
	v_lshlrev_b32_sdwa v14, v14, v7 dst_sel:DWORD dst_unused:UNUSED_PAD src0_sel:DWORD src1_sel:WORD_1
	v_bfe_u32 v12, v7, 19, 4
	v_sub_u32_e32 v13, 29, v13
	v_and_b32_e32 v14, 7, v14
	v_cmp_eq_u16_e32 vcc, 0, v6
	v_cndmask_b32_e32 v2, v2, v14, vcc
	v_cndmask_b32_e32 v6, v12, v13, vcc
	v_lshlrev_b32_e32 v12, 8, v7
	v_mov_b32_e32 v13, 0x3b800000
	v_lshlrev_b32_e32 v2, 20, v2
	v_and_b32_e32 v12, 0x80000000, v12
	v_lshl_add_u32 v6, v6, 23, v13
	v_or3_b32 v2, v12, v6, v2
.LBB5_948:
	s_or_b64 exec, exec, s[6:7]
	s_movk_i32 s4, 0xff
	v_and_b32_sdwa v6, v3, s4 dst_sel:DWORD dst_unused:UNUSED_PAD src0_sel:WORD_1 src1_sel:DWORD
	s_movk_i32 s4, 0x7f
	v_cmp_lt_i16_e32 vcc, s4, v6
	s_mov_b64 s[4:5], 0
                                        ; implicit-def: $sgpr10
	s_and_saveexec_b64 s[6:7], vcc
	s_xor_b64 s[6:7], exec, s[6:7]
	s_cbranch_execnz .LBB5_2997
; %bb.949:
	s_or_saveexec_b64 s[6:7], s[6:7]
	v_mov_b32_e32 v12, s10
	s_xor_b64 exec, exec, s[6:7]
	s_cbranch_execnz .LBB5_3000
.LBB5_950:
	s_or_b64 exec, exec, s[6:7]
	s_and_saveexec_b64 s[6:7], s[4:5]
	s_cbranch_execz .LBB5_952
.LBB5_951:
	v_bfe_u32 v6, v3, 16, 3
	v_ffbh_u32_e32 v14, v6
	v_min_u32_e32 v14, 32, v14
	v_lshrrev_b32_e32 v12, 19, v3
	v_subrev_u32_e32 v15, 28, v14
	v_and_b32_e32 v12, 15, v12
	v_lshlrev_b32_sdwa v15, v15, v3 dst_sel:DWORD dst_unused:UNUSED_PAD src0_sel:DWORD src1_sel:WORD_1
	v_bfe_u32 v13, v3, 19, 4
	v_sub_u32_e32 v14, 29, v14
	v_and_b32_e32 v15, 7, v15
	v_cmp_eq_u16_e32 vcc, 0, v12
	v_cndmask_b32_e32 v6, v6, v15, vcc
	v_cndmask_b32_e32 v12, v13, v14, vcc
	v_lshlrev_b32_e32 v13, 8, v3
	v_mov_b32_e32 v14, 0x3b800000
	v_lshlrev_b32_e32 v6, 20, v6
	v_and_b32_e32 v13, 0x80000000, v13
	v_lshl_add_u32 v12, v12, 23, v14
	v_or3_b32 v12, v13, v12, v6
.LBB5_952:
	s_or_b64 exec, exec, s[6:7]
	s_nop 0
	v_mfma_f32_16x16x4f32 a[0:3], v2, v12, a[0:3]
	s_movk_i32 s4, 0x7f
	v_cmp_gt_i16_sdwa s[6:7], v7, s4 src0_sel:BYTE_3 src1_sel:DWORD
	s_mov_b64 s[4:5], 0
                                        ; implicit-def: $sgpr10
	s_and_saveexec_b64 s[8:9], s[6:7]
	s_xor_b64 s[6:7], exec, s[8:9]
	s_cbranch_execnz .LBB5_3001
; %bb.953:
	s_or_saveexec_b64 s[6:7], s[6:7]
	v_mov_b32_e32 v2, s10
	s_xor_b64 exec, exec, s[6:7]
	s_cbranch_execnz .LBB5_3004
.LBB5_954:
	s_or_b64 exec, exec, s[6:7]
	s_and_saveexec_b64 s[6:7], s[4:5]
	s_cbranch_execz .LBB5_956
.LBB5_955:
	v_bfe_u32 v2, v7, 24, 3
	v_ffbh_u32_e32 v14, v2
	v_min_u32_e32 v14, 32, v14
	v_lshrrev_b32_e32 v12, 27, v7
	v_subrev_u32_e32 v15, 28, v14
	v_and_b32_e32 v6, 0x80000000, v7
	v_and_b32_e32 v12, 15, v12
	v_bfe_u32 v13, v7, 27, 4
	v_lshlrev_b32_sdwa v7, v15, v7 dst_sel:DWORD dst_unused:UNUSED_PAD src0_sel:DWORD src1_sel:BYTE_3
	v_sub_u32_e32 v14, 29, v14
	v_and_b32_e32 v7, 7, v7
	v_cmp_eq_u16_e32 vcc, 0, v12
	v_cndmask_b32_e32 v2, v2, v7, vcc
	v_cndmask_b32_e32 v7, v13, v14, vcc
	v_mov_b32_e32 v12, 0x3b800000
	v_lshlrev_b32_e32 v2, 20, v2
	v_lshl_add_u32 v7, v7, 23, v12
	v_or3_b32 v2, v6, v7, v2
.LBB5_956:
	s_or_b64 exec, exec, s[6:7]
	s_movk_i32 s4, 0x7f
	v_cmp_gt_i16_sdwa s[6:7], v3, s4 src0_sel:BYTE_3 src1_sel:DWORD
	s_mov_b64 s[4:5], 0
                                        ; implicit-def: $sgpr10
	s_and_saveexec_b64 s[8:9], s[6:7]
	s_xor_b64 s[6:7], exec, s[8:9]
	s_cbranch_execnz .LBB5_3005
; %bb.957:
	s_or_saveexec_b64 s[6:7], s[6:7]
	v_mov_b32_e32 v6, s10
	s_xor_b64 exec, exec, s[6:7]
	s_cbranch_execnz .LBB5_3008
.LBB5_958:
	s_or_b64 exec, exec, s[6:7]
	s_and_saveexec_b64 s[6:7], s[4:5]
	s_cbranch_execz .LBB5_960
.LBB5_959:
	v_bfe_u32 v6, v3, 24, 3
	v_ffbh_u32_e32 v14, v6
	v_min_u32_e32 v14, 32, v14
	v_lshrrev_b32_e32 v12, 27, v3
	v_subrev_u32_e32 v15, 28, v14
	v_and_b32_e32 v7, 0x80000000, v3
	v_and_b32_e32 v12, 15, v12
	v_bfe_u32 v13, v3, 27, 4
	v_lshlrev_b32_sdwa v3, v15, v3 dst_sel:DWORD dst_unused:UNUSED_PAD src0_sel:DWORD src1_sel:BYTE_3
	v_sub_u32_e32 v14, 29, v14
	v_and_b32_e32 v3, 7, v3
	v_cmp_eq_u16_e32 vcc, 0, v12
	v_cndmask_b32_e32 v3, v6, v3, vcc
	v_cndmask_b32_e32 v6, v13, v14, vcc
	v_mov_b32_e32 v12, 0x3b800000
	v_lshlrev_b32_e32 v3, 20, v3
	v_lshl_add_u32 v6, v6, 23, v12
	v_or3_b32 v6, v7, v6, v3
.LBB5_960:
	s_or_b64 exec, exec, s[6:7]
	s_nop 0
	v_mfma_f32_16x16x4f32 a[0:3], v2, v6, a[0:3]
	s_movk_i32 s4, 0x7f
	v_cmp_gt_i16_sdwa s[6:7], v8, s4 src0_sel:BYTE_0 src1_sel:DWORD
	s_mov_b64 s[4:5], 0
                                        ; implicit-def: $sgpr10
	s_and_saveexec_b64 s[8:9], s[6:7]
	s_xor_b64 s[6:7], exec, s[8:9]
	s_cbranch_execnz .LBB5_3009
; %bb.961:
	s_or_saveexec_b64 s[6:7], s[6:7]
	v_mov_b32_e32 v2, s10
	s_xor_b64 exec, exec, s[6:7]
	s_cbranch_execnz .LBB5_3012
.LBB5_962:
	s_or_b64 exec, exec, s[6:7]
	s_and_saveexec_b64 s[6:7], s[4:5]
	s_cbranch_execz .LBB5_964
.LBB5_963:
	v_and_b32_e32 v2, 7, v8
	v_ffbh_u32_e32 v6, v2
	v_min_u32_e32 v6, 32, v6
	v_lshrrev_b16_e32 v3, 3, v8
	v_subrev_u32_e32 v7, 28, v6
	v_and_b32_e32 v3, 15, v3
	v_lshlrev_b32_e32 v7, v7, v8
	v_sub_u32_e32 v6, 29, v6
	v_and_b32_e32 v7, 7, v7
	v_cmp_eq_u16_e32 vcc, 0, v3
	v_cndmask_b32_e32 v2, v2, v7, vcc
	v_cndmask_b32_e32 v3, v3, v6, vcc
	v_lshlrev_b32_e32 v6, 24, v8
	v_mov_b32_e32 v7, 0x3b800000
	v_lshlrev_b32_e32 v2, 20, v2
	v_and_b32_e32 v6, 0x80000000, v6
	v_lshl_add_u32 v3, v3, 23, v7
	v_or3_b32 v2, v6, v3, v2
.LBB5_964:
	s_or_b64 exec, exec, s[6:7]
	s_movk_i32 s4, 0x7f
	v_cmp_gt_i16_sdwa s[6:7], v4, s4 src0_sel:BYTE_0 src1_sel:DWORD
	s_mov_b64 s[4:5], 0
                                        ; implicit-def: $sgpr10
	s_and_saveexec_b64 s[8:9], s[6:7]
	s_xor_b64 s[6:7], exec, s[8:9]
	s_cbranch_execnz .LBB5_3013
; %bb.965:
	s_or_saveexec_b64 s[6:7], s[6:7]
	v_mov_b32_e32 v3, s10
	s_xor_b64 exec, exec, s[6:7]
	s_cbranch_execnz .LBB5_3016
.LBB5_966:
	s_or_b64 exec, exec, s[6:7]
	s_and_saveexec_b64 s[6:7], s[4:5]
	s_cbranch_execz .LBB5_968
.LBB5_967:
	v_and_b32_e32 v3, 7, v4
	v_ffbh_u32_e32 v7, v3
	v_min_u32_e32 v7, 32, v7
	v_lshrrev_b16_e32 v6, 3, v4
	v_subrev_u32_e32 v12, 28, v7
	v_and_b32_e32 v6, 15, v6
	v_lshlrev_b32_e32 v12, v12, v4
	v_sub_u32_e32 v7, 29, v7
	v_and_b32_e32 v12, 7, v12
	v_cmp_eq_u16_e32 vcc, 0, v6
	v_cndmask_b32_e32 v3, v3, v12, vcc
	v_cndmask_b32_e32 v6, v6, v7, vcc
	v_lshlrev_b32_e32 v7, 24, v4
	v_mov_b32_e32 v12, 0x3b800000
	v_lshlrev_b32_e32 v3, 20, v3
	v_and_b32_e32 v7, 0x80000000, v7
	v_lshl_add_u32 v6, v6, 23, v12
	v_or3_b32 v3, v7, v6, v3
.LBB5_968:
	s_or_b64 exec, exec, s[6:7]
	s_nop 0
	v_mfma_f32_16x16x4f32 a[0:3], v2, v3, a[0:3]
	v_lshrrev_b32_e32 v3, 8, v8
	s_movk_i32 s4, 0x7f
	v_cmp_gt_i16_sdwa s[6:7], v3, s4 src0_sel:BYTE_0 src1_sel:DWORD
	s_mov_b64 s[4:5], 0
                                        ; implicit-def: $sgpr10
	s_and_saveexec_b64 s[8:9], s[6:7]
	s_xor_b64 s[6:7], exec, s[8:9]
	s_cbranch_execnz .LBB5_3017
; %bb.969:
	s_or_saveexec_b64 s[6:7], s[6:7]
	v_mov_b32_e32 v2, s10
	s_xor_b64 exec, exec, s[6:7]
	s_cbranch_execnz .LBB5_3020
.LBB5_970:
	s_or_b64 exec, exec, s[6:7]
	s_and_saveexec_b64 s[6:7], s[4:5]
	s_cbranch_execz .LBB5_972
.LBB5_971:
	v_bfe_u32 v2, v8, 8, 3
	v_ffbh_u32_e32 v7, v2
	v_min_u32_e32 v7, 32, v7
	v_lshrrev_b16_e32 v6, 3, v3
	v_subrev_u32_e32 v12, 28, v7
	v_and_b32_e32 v6, 15, v6
	v_lshlrev_b32_e32 v3, v12, v3
	v_sub_u32_e32 v7, 29, v7
	v_and_b32_e32 v3, 7, v3
	v_cmp_eq_u16_e32 vcc, 0, v6
	v_cndmask_b32_e32 v2, v2, v3, vcc
	v_cndmask_b32_e32 v3, v6, v7, vcc
	v_lshlrev_b32_e32 v6, 16, v8
	v_mov_b32_e32 v7, 0x3b800000
	v_lshlrev_b32_e32 v2, 20, v2
	v_and_b32_e32 v6, 0x80000000, v6
	v_lshl_add_u32 v3, v3, 23, v7
	v_or3_b32 v2, v6, v3, v2
.LBB5_972:
	s_or_b64 exec, exec, s[6:7]
	v_lshrrev_b32_e32 v3, 8, v4
	s_movk_i32 s4, 0x7f
	v_cmp_gt_i16_sdwa s[6:7], v3, s4 src0_sel:BYTE_0 src1_sel:DWORD
	s_mov_b64 s[4:5], 0
                                        ; implicit-def: $sgpr10
	s_and_saveexec_b64 s[8:9], s[6:7]
	s_xor_b64 s[6:7], exec, s[8:9]
	s_cbranch_execnz .LBB5_3021
; %bb.973:
	s_or_saveexec_b64 s[6:7], s[6:7]
	v_mov_b32_e32 v6, s10
	s_xor_b64 exec, exec, s[6:7]
	s_cbranch_execnz .LBB5_3024
.LBB5_974:
	s_or_b64 exec, exec, s[6:7]
	s_and_saveexec_b64 s[6:7], s[4:5]
	s_cbranch_execz .LBB5_976
.LBB5_975:
	v_bfe_u32 v6, v4, 8, 3
	v_ffbh_u32_e32 v12, v6
	v_min_u32_e32 v12, 32, v12
	v_lshrrev_b16_e32 v7, 3, v3
	v_subrev_u32_e32 v13, 28, v12
	v_and_b32_e32 v7, 15, v7
	v_lshlrev_b32_e32 v3, v13, v3
	v_sub_u32_e32 v12, 29, v12
	v_and_b32_e32 v3, 7, v3
	v_cmp_eq_u16_e32 vcc, 0, v7
	v_cndmask_b32_e32 v3, v6, v3, vcc
	v_cndmask_b32_e32 v6, v7, v12, vcc
	v_lshlrev_b32_e32 v7, 16, v4
	v_mov_b32_e32 v12, 0x3b800000
	v_lshlrev_b32_e32 v3, 20, v3
	v_and_b32_e32 v7, 0x80000000, v7
	v_lshl_add_u32 v6, v6, 23, v12
	v_or3_b32 v6, v7, v6, v3
.LBB5_976:
	s_or_b64 exec, exec, s[6:7]
	s_nop 0
	v_mfma_f32_16x16x4f32 a[0:3], v2, v6, a[0:3]
	s_movk_i32 s4, 0xff
	v_and_b32_sdwa v3, v8, s4 dst_sel:DWORD dst_unused:UNUSED_PAD src0_sel:WORD_1 src1_sel:DWORD
	s_movk_i32 s4, 0x7f
	v_cmp_lt_i16_e32 vcc, s4, v3
	s_mov_b64 s[4:5], 0
                                        ; implicit-def: $sgpr10
	s_and_saveexec_b64 s[6:7], vcc
	s_xor_b64 s[6:7], exec, s[6:7]
	s_cbranch_execnz .LBB5_3025
; %bb.977:
	s_or_saveexec_b64 s[6:7], s[6:7]
	v_mov_b32_e32 v2, s10
	s_xor_b64 exec, exec, s[6:7]
	s_cbranch_execnz .LBB5_3028
.LBB5_978:
	s_or_b64 exec, exec, s[6:7]
	s_and_saveexec_b64 s[6:7], s[4:5]
	s_cbranch_execz .LBB5_980
.LBB5_979:
	v_bfe_u32 v2, v8, 16, 3
	v_ffbh_u32_e32 v7, v2
	v_min_u32_e32 v7, 32, v7
	v_lshrrev_b32_e32 v3, 19, v8
	v_subrev_u32_e32 v12, 28, v7
	v_and_b32_e32 v3, 15, v3
	v_lshlrev_b32_sdwa v12, v12, v8 dst_sel:DWORD dst_unused:UNUSED_PAD src0_sel:DWORD src1_sel:WORD_1
	v_bfe_u32 v6, v8, 19, 4
	v_sub_u32_e32 v7, 29, v7
	v_and_b32_e32 v12, 7, v12
	v_cmp_eq_u16_e32 vcc, 0, v3
	v_cndmask_b32_e32 v2, v2, v12, vcc
	v_cndmask_b32_e32 v3, v6, v7, vcc
	v_lshlrev_b32_e32 v6, 8, v8
	v_mov_b32_e32 v7, 0x3b800000
	v_lshlrev_b32_e32 v2, 20, v2
	v_and_b32_e32 v6, 0x80000000, v6
	v_lshl_add_u32 v3, v3, 23, v7
	v_or3_b32 v2, v6, v3, v2
.LBB5_980:
	s_or_b64 exec, exec, s[6:7]
	s_movk_i32 s4, 0xff
	v_and_b32_sdwa v3, v4, s4 dst_sel:DWORD dst_unused:UNUSED_PAD src0_sel:WORD_1 src1_sel:DWORD
	s_movk_i32 s4, 0x7f
	v_cmp_lt_i16_e32 vcc, s4, v3
	s_mov_b64 s[4:5], 0
                                        ; implicit-def: $sgpr10
	s_and_saveexec_b64 s[6:7], vcc
	s_xor_b64 s[6:7], exec, s[6:7]
	s_cbranch_execnz .LBB5_3029
; %bb.981:
	s_or_saveexec_b64 s[6:7], s[6:7]
	v_mov_b32_e32 v6, s10
	s_xor_b64 exec, exec, s[6:7]
	s_cbranch_execnz .LBB5_3032
.LBB5_982:
	s_or_b64 exec, exec, s[6:7]
	s_and_saveexec_b64 s[6:7], s[4:5]
	s_cbranch_execz .LBB5_984
.LBB5_983:
	v_bfe_u32 v3, v4, 16, 3
	v_ffbh_u32_e32 v12, v3
	v_min_u32_e32 v12, 32, v12
	v_lshrrev_b32_e32 v6, 19, v4
	v_subrev_u32_e32 v13, 28, v12
	v_and_b32_e32 v6, 15, v6
	v_lshlrev_b32_sdwa v13, v13, v4 dst_sel:DWORD dst_unused:UNUSED_PAD src0_sel:DWORD src1_sel:WORD_1
	v_bfe_u32 v7, v4, 19, 4
	v_sub_u32_e32 v12, 29, v12
	v_and_b32_e32 v13, 7, v13
	v_cmp_eq_u16_e32 vcc, 0, v6
	v_cndmask_b32_e32 v3, v3, v13, vcc
	v_cndmask_b32_e32 v6, v7, v12, vcc
	v_lshlrev_b32_e32 v7, 8, v4
	v_mov_b32_e32 v12, 0x3b800000
	v_lshlrev_b32_e32 v3, 20, v3
	v_and_b32_e32 v7, 0x80000000, v7
	v_lshl_add_u32 v6, v6, 23, v12
	v_or3_b32 v6, v7, v6, v3
.LBB5_984:
	s_or_b64 exec, exec, s[6:7]
	s_nop 0
	v_mfma_f32_16x16x4f32 a[0:3], v2, v6, a[0:3]
	s_movk_i32 s4, 0x7f
	v_cmp_gt_i16_sdwa s[6:7], v8, s4 src0_sel:BYTE_3 src1_sel:DWORD
	s_mov_b64 s[4:5], 0
                                        ; implicit-def: $sgpr10
	s_and_saveexec_b64 s[8:9], s[6:7]
	s_xor_b64 s[6:7], exec, s[8:9]
	s_cbranch_execnz .LBB5_3033
; %bb.985:
	s_or_saveexec_b64 s[6:7], s[6:7]
	v_mov_b32_e32 v2, s10
	s_xor_b64 exec, exec, s[6:7]
	s_cbranch_execnz .LBB5_3036
.LBB5_986:
	s_or_b64 exec, exec, s[6:7]
	s_and_saveexec_b64 s[6:7], s[4:5]
	s_cbranch_execz .LBB5_988
.LBB5_987:
	v_bfe_u32 v2, v8, 24, 3
	v_ffbh_u32_e32 v12, v2
	v_min_u32_e32 v12, 32, v12
	v_lshrrev_b32_e32 v6, 27, v8
	v_subrev_u32_e32 v13, 28, v12
	v_and_b32_e32 v3, 0x80000000, v8
	v_and_b32_e32 v6, 15, v6
	v_bfe_u32 v7, v8, 27, 4
	v_lshlrev_b32_sdwa v8, v13, v8 dst_sel:DWORD dst_unused:UNUSED_PAD src0_sel:DWORD src1_sel:BYTE_3
	v_sub_u32_e32 v12, 29, v12
	v_and_b32_e32 v8, 7, v8
	v_cmp_eq_u16_e32 vcc, 0, v6
	v_cndmask_b32_e32 v2, v2, v8, vcc
	v_cndmask_b32_e32 v6, v7, v12, vcc
	v_mov_b32_e32 v7, 0x3b800000
	v_lshlrev_b32_e32 v2, 20, v2
	v_lshl_add_u32 v6, v6, 23, v7
	v_or3_b32 v2, v3, v6, v2
.LBB5_988:
	s_or_b64 exec, exec, s[6:7]
	s_movk_i32 s4, 0x7f
	v_cmp_gt_i16_sdwa s[6:7], v4, s4 src0_sel:BYTE_3 src1_sel:DWORD
	s_mov_b64 s[4:5], 0
                                        ; implicit-def: $sgpr10
	s_and_saveexec_b64 s[8:9], s[6:7]
	s_xor_b64 s[6:7], exec, s[8:9]
	s_cbranch_execnz .LBB5_3037
; %bb.989:
	s_or_saveexec_b64 s[6:7], s[6:7]
	v_mov_b32_e32 v3, s10
	s_xor_b64 exec, exec, s[6:7]
	s_cbranch_execnz .LBB5_3040
.LBB5_990:
	s_or_b64 exec, exec, s[6:7]
	s_and_saveexec_b64 s[6:7], s[4:5]
	s_cbranch_execz .LBB5_992
.LBB5_991:
	v_bfe_u32 v3, v4, 24, 3
	v_ffbh_u32_e32 v12, v3
	v_min_u32_e32 v12, 32, v12
	v_lshrrev_b32_e32 v7, 27, v4
	v_subrev_u32_e32 v13, 28, v12
	v_and_b32_e32 v6, 0x80000000, v4
	v_and_b32_e32 v7, 15, v7
	v_bfe_u32 v8, v4, 27, 4
	v_lshlrev_b32_sdwa v4, v13, v4 dst_sel:DWORD dst_unused:UNUSED_PAD src0_sel:DWORD src1_sel:BYTE_3
	v_sub_u32_e32 v12, 29, v12
	v_and_b32_e32 v4, 7, v4
	v_cmp_eq_u16_e32 vcc, 0, v7
	v_cndmask_b32_e32 v3, v3, v4, vcc
	v_cndmask_b32_e32 v4, v8, v12, vcc
	v_mov_b32_e32 v7, 0x3b800000
	v_lshlrev_b32_e32 v3, 20, v3
	v_lshl_add_u32 v4, v4, 23, v7
	v_or3_b32 v3, v6, v4, v3
.LBB5_992:
	s_or_b64 exec, exec, s[6:7]
	s_nop 0
	v_mfma_f32_16x16x4f32 a[0:3], v2, v3, a[0:3]
	s_movk_i32 s4, 0x7f
	v_cmp_gt_i16_sdwa s[6:7], v9, s4 src0_sel:BYTE_0 src1_sel:DWORD
	s_mov_b64 s[4:5], 0
                                        ; implicit-def: $sgpr10
	s_and_saveexec_b64 s[8:9], s[6:7]
	s_xor_b64 s[6:7], exec, s[8:9]
	s_cbranch_execnz .LBB5_3041
; %bb.993:
	s_or_saveexec_b64 s[6:7], s[6:7]
	v_mov_b32_e32 v2, s10
	s_xor_b64 exec, exec, s[6:7]
	s_cbranch_execnz .LBB5_3044
.LBB5_994:
	s_or_b64 exec, exec, s[6:7]
	s_and_saveexec_b64 s[6:7], s[4:5]
	s_cbranch_execz .LBB5_996
.LBB5_995:
	v_mov_b32_e32 v2, 8
	v_and_b32_e32 v3, 7, v9
	v_lshrrev_b32_sdwa v2, v2, v9 dst_sel:BYTE_1 dst_unused:UNUSED_PAD src0_sel:DWORD src1_sel:DWORD
	v_ffbh_u32_e32 v4, v3
	v_or_b32_sdwa v2, v9, v2 dst_sel:DWORD dst_unused:UNUSED_PAD src0_sel:BYTE_0 src1_sel:DWORD
	v_min_u32_e32 v4, 32, v4
	v_lshrrev_b16_e32 v2, 3, v2
	v_subrev_u32_e32 v6, 28, v4
	v_and_b32_e32 v2, 15, v2
	v_lshlrev_b32_e32 v6, v6, v9
	v_sub_u32_e32 v4, 29, v4
	v_and_b32_e32 v6, 7, v6
	v_cmp_eq_u16_e32 vcc, 0, v2
	v_cndmask_b32_e32 v3, v3, v6, vcc
	v_cndmask_b32_e32 v2, v2, v4, vcc
	v_lshlrev_b32_e32 v4, 24, v9
	v_mov_b32_e32 v6, 0x3b800000
	v_lshlrev_b32_e32 v3, 20, v3
	v_and_b32_e32 v4, 0x80000000, v4
	v_lshl_add_u32 v2, v2, 23, v6
	v_or3_b32 v2, v4, v2, v3
.LBB5_996:
	s_or_b64 exec, exec, s[6:7]
	s_movk_i32 s4, 0x7f
	v_cmp_gt_i16_sdwa s[6:7], v5, s4 src0_sel:BYTE_0 src1_sel:DWORD
	s_mov_b64 s[4:5], 0
                                        ; implicit-def: $sgpr10
	s_and_saveexec_b64 s[8:9], s[6:7]
	s_xor_b64 s[6:7], exec, s[8:9]
	s_cbranch_execnz .LBB5_3045
; %bb.997:
	s_or_saveexec_b64 s[6:7], s[6:7]
	v_mov_b32_e32 v3, s10
	s_xor_b64 exec, exec, s[6:7]
	s_cbranch_execnz .LBB5_3048
.LBB5_998:
	s_or_b64 exec, exec, s[6:7]
	s_and_saveexec_b64 s[6:7], s[4:5]
	s_cbranch_execz .LBB5_1000
.LBB5_999:
	v_mov_b32_e32 v3, 8
	v_and_b32_e32 v4, 7, v5
	v_lshrrev_b32_sdwa v3, v3, v5 dst_sel:BYTE_1 dst_unused:UNUSED_PAD src0_sel:DWORD src1_sel:DWORD
	v_ffbh_u32_e32 v6, v4
	v_or_b32_sdwa v3, v5, v3 dst_sel:DWORD dst_unused:UNUSED_PAD src0_sel:BYTE_0 src1_sel:DWORD
	v_min_u32_e32 v6, 32, v6
	v_lshrrev_b16_e32 v3, 3, v3
	v_subrev_u32_e32 v7, 28, v6
	v_and_b32_e32 v3, 15, v3
	v_lshlrev_b32_e32 v7, v7, v5
	v_sub_u32_e32 v6, 29, v6
	v_and_b32_e32 v7, 7, v7
	v_cmp_eq_u16_e32 vcc, 0, v3
	v_cndmask_b32_e32 v4, v4, v7, vcc
	v_cndmask_b32_e32 v3, v3, v6, vcc
	v_lshlrev_b32_e32 v6, 24, v5
	v_mov_b32_e32 v7, 0x3b800000
	v_lshlrev_b32_e32 v4, 20, v4
	v_and_b32_e32 v6, 0x80000000, v6
	v_lshl_add_u32 v3, v3, 23, v7
	v_or3_b32 v3, v6, v3, v4
.LBB5_1000:
	s_or_b64 exec, exec, s[6:7]
	s_nop 0
	v_mfma_f32_16x16x4f32 a[0:3], v2, v3, a[0:3]
	v_lshrrev_b32_e32 v3, 8, v9
	s_movk_i32 s4, 0x7f
	v_cmp_gt_i16_sdwa s[6:7], v3, s4 src0_sel:BYTE_0 src1_sel:DWORD
	s_mov_b64 s[4:5], 0
                                        ; implicit-def: $sgpr10
	s_and_saveexec_b64 s[8:9], s[6:7]
	s_xor_b64 s[6:7], exec, s[8:9]
	s_cbranch_execnz .LBB5_3049
; %bb.1001:
	s_or_saveexec_b64 s[6:7], s[6:7]
	v_mov_b32_e32 v2, s10
	s_xor_b64 exec, exec, s[6:7]
	s_cbranch_execnz .LBB5_3052
.LBB5_1002:
	s_or_b64 exec, exec, s[6:7]
	s_and_saveexec_b64 s[6:7], s[4:5]
	s_cbranch_execz .LBB5_1004
.LBB5_1003:
	v_bfe_u32 v2, v9, 8, 3
	v_ffbh_u32_e32 v6, v2
	v_min_u32_e32 v6, 32, v6
	v_lshrrev_b16_e32 v4, 3, v3
	v_subrev_u32_e32 v7, 28, v6
	v_and_b32_e32 v4, 15, v4
	v_lshlrev_b32_e32 v3, v7, v3
	v_sub_u32_e32 v6, 29, v6
	v_and_b32_e32 v3, 7, v3
	v_cmp_eq_u16_e32 vcc, 0, v4
	v_cndmask_b32_e32 v2, v2, v3, vcc
	v_cndmask_b32_e32 v3, v4, v6, vcc
	v_lshlrev_b32_e32 v4, 16, v9
	v_mov_b32_e32 v6, 0x3b800000
	v_lshlrev_b32_e32 v2, 20, v2
	v_and_b32_e32 v4, 0x80000000, v4
	v_lshl_add_u32 v3, v3, 23, v6
	v_or3_b32 v2, v4, v3, v2
.LBB5_1004:
	s_or_b64 exec, exec, s[6:7]
	v_lshrrev_b32_e32 v3, 8, v5
	s_movk_i32 s4, 0x7f
	v_cmp_gt_i16_sdwa s[6:7], v3, s4 src0_sel:BYTE_0 src1_sel:DWORD
	s_mov_b64 s[4:5], 0
                                        ; implicit-def: $sgpr10
	s_and_saveexec_b64 s[8:9], s[6:7]
	s_xor_b64 s[6:7], exec, s[8:9]
	s_cbranch_execnz .LBB5_3053
; %bb.1005:
	s_or_saveexec_b64 s[6:7], s[6:7]
	v_mov_b32_e32 v4, s10
	s_xor_b64 exec, exec, s[6:7]
	s_cbranch_execnz .LBB5_3056
.LBB5_1006:
	s_or_b64 exec, exec, s[6:7]
	s_and_saveexec_b64 s[6:7], s[4:5]
	s_cbranch_execz .LBB5_1008
.LBB5_1007:
	v_bfe_u32 v4, v5, 8, 3
	v_ffbh_u32_e32 v7, v4
	v_min_u32_e32 v7, 32, v7
	v_lshrrev_b16_e32 v6, 3, v3
	v_subrev_u32_e32 v8, 28, v7
	v_and_b32_e32 v6, 15, v6
	v_lshlrev_b32_e32 v3, v8, v3
	v_sub_u32_e32 v7, 29, v7
	v_and_b32_e32 v3, 7, v3
	v_cmp_eq_u16_e32 vcc, 0, v6
	v_cndmask_b32_e32 v3, v4, v3, vcc
	v_cndmask_b32_e32 v4, v6, v7, vcc
	v_lshlrev_b32_e32 v6, 16, v5
	v_mov_b32_e32 v7, 0x3b800000
	v_lshlrev_b32_e32 v3, 20, v3
	v_and_b32_e32 v6, 0x80000000, v6
	v_lshl_add_u32 v4, v4, 23, v7
	v_or3_b32 v4, v6, v4, v3
.LBB5_1008:
	s_or_b64 exec, exec, s[6:7]
	s_nop 0
	v_mfma_f32_16x16x4f32 a[0:3], v2, v4, a[0:3]
	s_movk_i32 s4, 0xff
	v_and_b32_sdwa v3, v9, s4 dst_sel:DWORD dst_unused:UNUSED_PAD src0_sel:WORD_1 src1_sel:DWORD
	s_movk_i32 s4, 0x7f
	v_cmp_lt_i16_e32 vcc, s4, v3
	s_mov_b64 s[4:5], 0
                                        ; implicit-def: $sgpr10
	s_and_saveexec_b64 s[6:7], vcc
	s_xor_b64 s[6:7], exec, s[6:7]
	s_cbranch_execnz .LBB5_3057
; %bb.1009:
	s_or_saveexec_b64 s[6:7], s[6:7]
	v_mov_b32_e32 v2, s10
	s_xor_b64 exec, exec, s[6:7]
	s_cbranch_execnz .LBB5_3060
.LBB5_1010:
	s_or_b64 exec, exec, s[6:7]
	s_and_saveexec_b64 s[6:7], s[4:5]
	s_cbranch_execz .LBB5_1012
.LBB5_1011:
	v_bfe_u32 v2, v9, 16, 3
	v_ffbh_u32_e32 v6, v2
	v_min_u32_e32 v6, 32, v6
	v_lshrrev_b32_e32 v3, 19, v9
	v_subrev_u32_e32 v7, 28, v6
	v_and_b32_e32 v3, 15, v3
	v_lshlrev_b32_sdwa v7, v7, v9 dst_sel:DWORD dst_unused:UNUSED_PAD src0_sel:DWORD src1_sel:WORD_1
	v_bfe_u32 v4, v9, 19, 4
	v_sub_u32_e32 v6, 29, v6
	v_and_b32_e32 v7, 7, v7
	v_cmp_eq_u16_e32 vcc, 0, v3
	v_cndmask_b32_e32 v2, v2, v7, vcc
	v_cndmask_b32_e32 v3, v4, v6, vcc
	v_lshlrev_b32_e32 v4, 8, v9
	v_mov_b32_e32 v6, 0x3b800000
	v_lshlrev_b32_e32 v2, 20, v2
	v_and_b32_e32 v4, 0x80000000, v4
	v_lshl_add_u32 v3, v3, 23, v6
	v_or3_b32 v2, v4, v3, v2
.LBB5_1012:
	s_or_b64 exec, exec, s[6:7]
	s_movk_i32 s4, 0xff
	v_and_b32_sdwa v3, v5, s4 dst_sel:DWORD dst_unused:UNUSED_PAD src0_sel:WORD_1 src1_sel:DWORD
	s_movk_i32 s4, 0x7f
	v_cmp_lt_i16_e32 vcc, s4, v3
	s_mov_b64 s[4:5], 0
                                        ; implicit-def: $sgpr10
	s_and_saveexec_b64 s[6:7], vcc
	s_xor_b64 s[6:7], exec, s[6:7]
	s_cbranch_execnz .LBB5_3061
; %bb.1013:
	s_or_saveexec_b64 s[6:7], s[6:7]
	v_mov_b32_e32 v4, s10
	s_xor_b64 exec, exec, s[6:7]
	s_cbranch_execnz .LBB5_3064
.LBB5_1014:
	s_or_b64 exec, exec, s[6:7]
	s_and_saveexec_b64 s[6:7], s[4:5]
	s_cbranch_execz .LBB5_1016
.LBB5_1015:
	v_bfe_u32 v3, v5, 16, 3
	v_ffbh_u32_e32 v7, v3
	v_min_u32_e32 v7, 32, v7
	v_lshrrev_b32_e32 v4, 19, v5
	v_subrev_u32_e32 v8, 28, v7
	v_and_b32_e32 v4, 15, v4
	v_lshlrev_b32_sdwa v8, v8, v5 dst_sel:DWORD dst_unused:UNUSED_PAD src0_sel:DWORD src1_sel:WORD_1
	v_bfe_u32 v6, v5, 19, 4
	v_sub_u32_e32 v7, 29, v7
	v_and_b32_e32 v8, 7, v8
	v_cmp_eq_u16_e32 vcc, 0, v4
	v_cndmask_b32_e32 v3, v3, v8, vcc
	v_cndmask_b32_e32 v4, v6, v7, vcc
	v_lshlrev_b32_e32 v6, 8, v5
	v_mov_b32_e32 v7, 0x3b800000
	v_lshlrev_b32_e32 v3, 20, v3
	v_and_b32_e32 v6, 0x80000000, v6
	v_lshl_add_u32 v4, v4, 23, v7
	v_or3_b32 v4, v6, v4, v3
.LBB5_1016:
	s_or_b64 exec, exec, s[6:7]
	s_nop 0
	v_mfma_f32_16x16x4f32 a[0:3], v2, v4, a[0:3]
	s_movk_i32 s4, 0x7f
	v_cmp_gt_i16_sdwa s[6:7], v9, s4 src0_sel:BYTE_3 src1_sel:DWORD
	s_mov_b64 s[4:5], 0
                                        ; implicit-def: $sgpr10
	s_and_saveexec_b64 s[8:9], s[6:7]
	s_xor_b64 s[6:7], exec, s[8:9]
	s_cbranch_execnz .LBB5_3065
; %bb.1017:
	s_or_saveexec_b64 s[6:7], s[6:7]
	v_mov_b32_e32 v2, s10
	s_xor_b64 exec, exec, s[6:7]
	s_cbranch_execnz .LBB5_3068
.LBB5_1018:
	s_or_b64 exec, exec, s[6:7]
	s_and_saveexec_b64 s[6:7], s[4:5]
	s_cbranch_execz .LBB5_1020
.LBB5_1019:
	v_bfe_u32 v2, v9, 24, 3
	v_ffbh_u32_e32 v7, v2
	v_min_u32_e32 v7, 32, v7
	v_lshrrev_b32_e32 v4, 27, v9
	v_subrev_u32_e32 v8, 28, v7
	v_and_b32_e32 v4, 15, v4
	v_lshlrev_b32_sdwa v8, v8, v9 dst_sel:DWORD dst_unused:UNUSED_PAD src0_sel:DWORD src1_sel:BYTE_3
	v_bfe_u32 v6, v9, 27, 4
	v_sub_u32_e32 v7, 29, v7
	v_and_b32_e32 v8, 7, v8
	v_cmp_eq_u16_e32 vcc, 0, v4
	v_cndmask_b32_e32 v2, v2, v8, vcc
	v_cndmask_b32_e32 v4, v6, v7, vcc
	v_mov_b32_e32 v6, 0x3b800000
	v_and_b32_e32 v3, 0x80000000, v9
	v_lshlrev_b32_e32 v2, 20, v2
	v_lshl_add_u32 v4, v4, 23, v6
	v_or3_b32 v2, v3, v4, v2
.LBB5_1020:
	s_or_b64 exec, exec, s[6:7]
	s_movk_i32 s4, 0x7f
	v_cmp_gt_i16_sdwa s[6:7], v5, s4 src0_sel:BYTE_3 src1_sel:DWORD
	s_mov_b64 s[4:5], 0
                                        ; implicit-def: $sgpr10
	s_and_saveexec_b64 s[8:9], s[6:7]
	s_xor_b64 s[6:7], exec, s[8:9]
	s_cbranch_execnz .LBB5_3069
; %bb.1021:
	s_or_saveexec_b64 s[6:7], s[6:7]
	v_mov_b32_e32 v3, s10
	s_xor_b64 exec, exec, s[6:7]
	s_cbranch_execnz .LBB5_3072
.LBB5_1022:
	s_or_b64 exec, exec, s[6:7]
	s_and_saveexec_b64 s[6:7], s[4:5]
	s_cbranch_execz .LBB5_1024
.LBB5_1023:
	v_bfe_u32 v3, v5, 24, 3
	v_ffbh_u32_e32 v8, v3
	v_min_u32_e32 v8, 32, v8
	v_lshrrev_b32_e32 v6, 27, v5
	v_subrev_u32_e32 v9, 28, v8
	v_and_b32_e32 v4, 0x80000000, v5
	v_and_b32_e32 v6, 15, v6
	v_bfe_u32 v7, v5, 27, 4
	v_lshlrev_b32_sdwa v5, v9, v5 dst_sel:DWORD dst_unused:UNUSED_PAD src0_sel:DWORD src1_sel:BYTE_3
	v_sub_u32_e32 v8, 29, v8
	v_and_b32_e32 v5, 7, v5
	v_cmp_eq_u16_e32 vcc, 0, v6
	v_cndmask_b32_e32 v3, v3, v5, vcc
	v_cndmask_b32_e32 v5, v7, v8, vcc
	v_mov_b32_e32 v6, 0x3b800000
	v_lshlrev_b32_e32 v3, 20, v3
	v_lshl_add_u32 v5, v5, 23, v6
	v_or3_b32 v3, v4, v5, v3
.LBB5_1024:
	s_or_b64 exec, exec, s[6:7]
	s_nop 0
	v_mfma_f32_16x16x4f32 a[0:3], v2, v3, a[0:3]
	s_movk_i32 s4, 0x7f
                                        ; implicit-def: $sgpr10
	s_nop 7
	s_nop 1
	flat_store_dwordx4 v[10:11], a[0:3] offset:112
	flat_load_dwordx4 v[12:15], v[0:1] offset:8
	s_nop 0
	flat_load_dwordx2 v[10:11], v[0:1] offset:32
	s_waitcnt vmcnt(0) lgkmcnt(0)
	flat_load_dwordx4 v[6:9], v[12:13] offset:64
	flat_load_dwordx4 v[2:5], v[14:15]
	s_waitcnt vmcnt(0) lgkmcnt(0)
	v_cmp_gt_i16_sdwa s[6:7], v6, s4 src0_sel:BYTE_0 src1_sel:DWORD
	s_mov_b64 s[4:5], 0
	s_and_saveexec_b64 s[8:9], s[6:7]
	s_xor_b64 s[6:7], exec, s[8:9]
	s_cbranch_execnz .LBB5_3073
; %bb.1025:
	s_or_saveexec_b64 s[6:7], s[6:7]
	v_mov_b32_e32 v12, s10
	s_xor_b64 exec, exec, s[6:7]
	s_cbranch_execnz .LBB5_3076
.LBB5_1026:
	s_or_b64 exec, exec, s[6:7]
	s_and_saveexec_b64 s[6:7], s[4:5]
	s_cbranch_execz .LBB5_1028
.LBB5_1027:
	v_and_b32_e32 v12, 7, v6
	v_ffbh_u32_e32 v14, v12
	v_min_u32_e32 v14, 32, v14
	v_lshrrev_b16_e32 v13, 3, v6
	v_subrev_u32_e32 v15, 28, v14
	v_and_b32_e32 v13, 15, v13
	v_lshlrev_b32_e32 v15, v15, v6
	v_sub_u32_e32 v14, 29, v14
	v_and_b32_e32 v15, 7, v15
	v_cmp_eq_u16_e32 vcc, 0, v13
	v_cndmask_b32_e32 v12, v12, v15, vcc
	v_cndmask_b32_e32 v13, v13, v14, vcc
	v_lshlrev_b32_e32 v14, 24, v6
	v_mov_b32_e32 v15, 0x3b800000
	v_lshlrev_b32_e32 v12, 20, v12
	v_and_b32_e32 v14, 0x80000000, v14
	v_lshl_add_u32 v13, v13, 23, v15
	v_or3_b32 v12, v14, v13, v12
.LBB5_1028:
	s_or_b64 exec, exec, s[6:7]
	s_movk_i32 s4, 0x7f
	v_cmp_gt_i16_sdwa s[6:7], v2, s4 src0_sel:BYTE_0 src1_sel:DWORD
	s_mov_b64 s[4:5], 0
                                        ; implicit-def: $sgpr10
	s_and_saveexec_b64 s[8:9], s[6:7]
	s_xor_b64 s[6:7], exec, s[8:9]
	s_cbranch_execnz .LBB5_3077
; %bb.1029:
	s_or_saveexec_b64 s[6:7], s[6:7]
	v_mov_b32_e32 v13, s10
	s_xor_b64 exec, exec, s[6:7]
	s_cbranch_execnz .LBB5_3080
.LBB5_1030:
	s_or_b64 exec, exec, s[6:7]
	s_and_saveexec_b64 s[6:7], s[4:5]
	s_cbranch_execz .LBB5_1032
.LBB5_1031:
	v_and_b32_e32 v13, 7, v2
	v_ffbh_u32_e32 v15, v13
	v_min_u32_e32 v15, 32, v15
	v_lshrrev_b16_e32 v14, 3, v2
	v_subrev_u32_e32 v16, 28, v15
	v_and_b32_e32 v14, 15, v14
	v_lshlrev_b32_e32 v16, v16, v2
	v_sub_u32_e32 v15, 29, v15
	v_and_b32_e32 v16, 7, v16
	v_cmp_eq_u16_e32 vcc, 0, v14
	v_cndmask_b32_e32 v13, v13, v16, vcc
	v_cndmask_b32_e32 v14, v14, v15, vcc
	v_lshlrev_b32_e32 v15, 24, v2
	v_mov_b32_e32 v16, 0x3b800000
	v_lshlrev_b32_e32 v13, 20, v13
	v_and_b32_e32 v15, 0x80000000, v15
	v_lshl_add_u32 v14, v14, 23, v16
	v_or3_b32 v13, v15, v14, v13
.LBB5_1032:
	s_or_b64 exec, exec, s[6:7]
	flat_load_dwordx4 a[0:3], v[10:11] offset:128
	s_movk_i32 s4, 0x7f
                                        ; implicit-def: $sgpr10
	s_waitcnt vmcnt(0) lgkmcnt(0)
	v_mfma_f32_16x16x4f32 a[0:3], v12, v13, a[0:3]
	v_lshrrev_b32_e32 v13, 8, v6
	v_cmp_gt_i16_sdwa s[6:7], v13, s4 src0_sel:BYTE_0 src1_sel:DWORD
	s_mov_b64 s[4:5], 0
	s_and_saveexec_b64 s[8:9], s[6:7]
	s_xor_b64 s[6:7], exec, s[8:9]
	s_cbranch_execnz .LBB5_3081
; %bb.1033:
	s_or_saveexec_b64 s[6:7], s[6:7]
	v_mov_b32_e32 v12, s10
	s_xor_b64 exec, exec, s[6:7]
	s_cbranch_execnz .LBB5_3084
.LBB5_1034:
	s_or_b64 exec, exec, s[6:7]
	s_and_saveexec_b64 s[6:7], s[4:5]
	s_cbranch_execz .LBB5_1036
.LBB5_1035:
	v_bfe_u32 v12, v6, 8, 3
	v_ffbh_u32_e32 v15, v12
	v_min_u32_e32 v15, 32, v15
	v_lshrrev_b16_e32 v14, 3, v13
	v_subrev_u32_e32 v16, 28, v15
	v_and_b32_e32 v14, 15, v14
	v_lshlrev_b32_e32 v13, v16, v13
	v_sub_u32_e32 v15, 29, v15
	v_and_b32_e32 v13, 7, v13
	v_cmp_eq_u16_e32 vcc, 0, v14
	v_cndmask_b32_e32 v12, v12, v13, vcc
	v_cndmask_b32_e32 v13, v14, v15, vcc
	v_lshlrev_b32_e32 v14, 16, v6
	v_mov_b32_e32 v15, 0x3b800000
	v_lshlrev_b32_e32 v12, 20, v12
	v_and_b32_e32 v14, 0x80000000, v14
	v_lshl_add_u32 v13, v13, 23, v15
	v_or3_b32 v12, v14, v13, v12
.LBB5_1036:
	s_or_b64 exec, exec, s[6:7]
	v_lshrrev_b32_e32 v13, 8, v2
	s_movk_i32 s4, 0x7f
	v_cmp_gt_i16_sdwa s[6:7], v13, s4 src0_sel:BYTE_0 src1_sel:DWORD
	s_mov_b64 s[4:5], 0
                                        ; implicit-def: $sgpr10
	s_and_saveexec_b64 s[8:9], s[6:7]
	s_xor_b64 s[6:7], exec, s[8:9]
	s_cbranch_execnz .LBB5_3085
; %bb.1037:
	s_or_saveexec_b64 s[6:7], s[6:7]
	v_mov_b32_e32 v14, s10
	s_xor_b64 exec, exec, s[6:7]
	s_cbranch_execnz .LBB5_3088
.LBB5_1038:
	s_or_b64 exec, exec, s[6:7]
	s_and_saveexec_b64 s[6:7], s[4:5]
	s_cbranch_execz .LBB5_1040
.LBB5_1039:
	v_bfe_u32 v14, v2, 8, 3
	v_ffbh_u32_e32 v16, v14
	v_min_u32_e32 v16, 32, v16
	v_lshrrev_b16_e32 v15, 3, v13
	v_subrev_u32_e32 v17, 28, v16
	v_and_b32_e32 v15, 15, v15
	v_lshlrev_b32_e32 v13, v17, v13
	v_sub_u32_e32 v16, 29, v16
	v_and_b32_e32 v13, 7, v13
	v_cmp_eq_u16_e32 vcc, 0, v15
	v_cndmask_b32_e32 v13, v14, v13, vcc
	v_cndmask_b32_e32 v14, v15, v16, vcc
	v_lshlrev_b32_e32 v15, 16, v2
	v_mov_b32_e32 v16, 0x3b800000
	v_lshlrev_b32_e32 v13, 20, v13
	v_and_b32_e32 v15, 0x80000000, v15
	v_lshl_add_u32 v14, v14, 23, v16
	v_or3_b32 v14, v15, v14, v13
.LBB5_1040:
	s_or_b64 exec, exec, s[6:7]
	s_nop 0
	v_mfma_f32_16x16x4f32 a[0:3], v12, v14, a[0:3]
	s_movk_i32 s4, 0xff
	v_and_b32_sdwa v13, v6, s4 dst_sel:DWORD dst_unused:UNUSED_PAD src0_sel:WORD_1 src1_sel:DWORD
	s_movk_i32 s4, 0x7f
	v_cmp_lt_i16_e32 vcc, s4, v13
	s_mov_b64 s[4:5], 0
                                        ; implicit-def: $sgpr10
	s_and_saveexec_b64 s[6:7], vcc
	s_xor_b64 s[6:7], exec, s[6:7]
	s_cbranch_execnz .LBB5_3089
; %bb.1041:
	s_or_saveexec_b64 s[6:7], s[6:7]
	v_mov_b32_e32 v12, s10
	s_xor_b64 exec, exec, s[6:7]
	s_cbranch_execnz .LBB5_3092
.LBB5_1042:
	s_or_b64 exec, exec, s[6:7]
	s_and_saveexec_b64 s[6:7], s[4:5]
	s_cbranch_execz .LBB5_1044
.LBB5_1043:
	v_bfe_u32 v12, v6, 16, 3
	v_ffbh_u32_e32 v15, v12
	v_min_u32_e32 v15, 32, v15
	v_lshrrev_b32_e32 v13, 19, v6
	v_subrev_u32_e32 v16, 28, v15
	v_and_b32_e32 v13, 15, v13
	v_lshlrev_b32_sdwa v16, v16, v6 dst_sel:DWORD dst_unused:UNUSED_PAD src0_sel:DWORD src1_sel:WORD_1
	v_bfe_u32 v14, v6, 19, 4
	v_sub_u32_e32 v15, 29, v15
	v_and_b32_e32 v16, 7, v16
	v_cmp_eq_u16_e32 vcc, 0, v13
	v_cndmask_b32_e32 v12, v12, v16, vcc
	v_cndmask_b32_e32 v13, v14, v15, vcc
	v_lshlrev_b32_e32 v14, 8, v6
	v_mov_b32_e32 v15, 0x3b800000
	v_lshlrev_b32_e32 v12, 20, v12
	v_and_b32_e32 v14, 0x80000000, v14
	v_lshl_add_u32 v13, v13, 23, v15
	v_or3_b32 v12, v14, v13, v12
.LBB5_1044:
	s_or_b64 exec, exec, s[6:7]
	s_movk_i32 s4, 0xff
	v_and_b32_sdwa v13, v2, s4 dst_sel:DWORD dst_unused:UNUSED_PAD src0_sel:WORD_1 src1_sel:DWORD
	s_movk_i32 s4, 0x7f
	v_cmp_lt_i16_e32 vcc, s4, v13
	s_mov_b64 s[4:5], 0
                                        ; implicit-def: $sgpr10
	s_and_saveexec_b64 s[6:7], vcc
	s_xor_b64 s[6:7], exec, s[6:7]
	s_cbranch_execnz .LBB5_3093
; %bb.1045:
	s_or_saveexec_b64 s[6:7], s[6:7]
	v_mov_b32_e32 v14, s10
	s_xor_b64 exec, exec, s[6:7]
	s_cbranch_execnz .LBB5_3096
.LBB5_1046:
	s_or_b64 exec, exec, s[6:7]
	s_and_saveexec_b64 s[6:7], s[4:5]
	s_cbranch_execz .LBB5_1048
.LBB5_1047:
	v_bfe_u32 v13, v2, 16, 3
	v_ffbh_u32_e32 v16, v13
	v_min_u32_e32 v16, 32, v16
	v_lshrrev_b32_e32 v14, 19, v2
	v_subrev_u32_e32 v17, 28, v16
	v_and_b32_e32 v14, 15, v14
	v_lshlrev_b32_sdwa v17, v17, v2 dst_sel:DWORD dst_unused:UNUSED_PAD src0_sel:DWORD src1_sel:WORD_1
	v_bfe_u32 v15, v2, 19, 4
	v_sub_u32_e32 v16, 29, v16
	v_and_b32_e32 v17, 7, v17
	v_cmp_eq_u16_e32 vcc, 0, v14
	v_cndmask_b32_e32 v13, v13, v17, vcc
	v_cndmask_b32_e32 v14, v15, v16, vcc
	v_lshlrev_b32_e32 v15, 8, v2
	v_mov_b32_e32 v16, 0x3b800000
	v_lshlrev_b32_e32 v13, 20, v13
	v_and_b32_e32 v15, 0x80000000, v15
	v_lshl_add_u32 v14, v14, 23, v16
	v_or3_b32 v14, v15, v14, v13
.LBB5_1048:
	s_or_b64 exec, exec, s[6:7]
	s_nop 0
	v_mfma_f32_16x16x4f32 a[0:3], v12, v14, a[0:3]
	s_movk_i32 s4, 0x7f
	v_cmp_gt_i16_sdwa s[6:7], v6, s4 src0_sel:BYTE_3 src1_sel:DWORD
	s_mov_b64 s[4:5], 0
                                        ; implicit-def: $sgpr10
	s_and_saveexec_b64 s[8:9], s[6:7]
	s_xor_b64 s[6:7], exec, s[8:9]
	s_cbranch_execnz .LBB5_3097
; %bb.1049:
	s_or_saveexec_b64 s[6:7], s[6:7]
	v_mov_b32_e32 v12, s10
	s_xor_b64 exec, exec, s[6:7]
	s_cbranch_execnz .LBB5_3100
.LBB5_1050:
	s_or_b64 exec, exec, s[6:7]
	s_and_saveexec_b64 s[6:7], s[4:5]
	s_cbranch_execz .LBB5_1052
.LBB5_1051:
	v_bfe_u32 v12, v6, 24, 3
	v_ffbh_u32_e32 v16, v12
	v_min_u32_e32 v16, 32, v16
	v_lshrrev_b32_e32 v14, 27, v6
	v_subrev_u32_e32 v17, 28, v16
	v_and_b32_e32 v13, 0x80000000, v6
	v_and_b32_e32 v14, 15, v14
	v_bfe_u32 v15, v6, 27, 4
	v_lshlrev_b32_sdwa v6, v17, v6 dst_sel:DWORD dst_unused:UNUSED_PAD src0_sel:DWORD src1_sel:BYTE_3
	v_sub_u32_e32 v16, 29, v16
	v_and_b32_e32 v6, 7, v6
	v_cmp_eq_u16_e32 vcc, 0, v14
	v_cndmask_b32_e32 v6, v12, v6, vcc
	v_cndmask_b32_e32 v12, v15, v16, vcc
	v_mov_b32_e32 v14, 0x3b800000
	v_lshlrev_b32_e32 v6, 20, v6
	v_lshl_add_u32 v12, v12, 23, v14
	v_or3_b32 v12, v13, v12, v6
.LBB5_1052:
	s_or_b64 exec, exec, s[6:7]
	s_movk_i32 s4, 0x7f
	v_cmp_gt_i16_sdwa s[6:7], v2, s4 src0_sel:BYTE_3 src1_sel:DWORD
	s_mov_b64 s[4:5], 0
                                        ; implicit-def: $sgpr10
	s_and_saveexec_b64 s[8:9], s[6:7]
	s_xor_b64 s[6:7], exec, s[8:9]
	s_cbranch_execnz .LBB5_3101
; %bb.1053:
	s_or_saveexec_b64 s[6:7], s[6:7]
	v_mov_b32_e32 v6, s10
	s_xor_b64 exec, exec, s[6:7]
	s_cbranch_execnz .LBB5_3104
.LBB5_1054:
	s_or_b64 exec, exec, s[6:7]
	s_and_saveexec_b64 s[6:7], s[4:5]
	s_cbranch_execz .LBB5_1056
.LBB5_1055:
	v_bfe_u32 v6, v2, 24, 3
	v_ffbh_u32_e32 v16, v6
	v_min_u32_e32 v16, 32, v16
	v_lshrrev_b32_e32 v14, 27, v2
	v_subrev_u32_e32 v17, 28, v16
	v_and_b32_e32 v13, 0x80000000, v2
	v_and_b32_e32 v14, 15, v14
	v_bfe_u32 v15, v2, 27, 4
	v_lshlrev_b32_sdwa v2, v17, v2 dst_sel:DWORD dst_unused:UNUSED_PAD src0_sel:DWORD src1_sel:BYTE_3
	v_sub_u32_e32 v16, 29, v16
	v_and_b32_e32 v2, 7, v2
	v_cmp_eq_u16_e32 vcc, 0, v14
	v_cndmask_b32_e32 v2, v6, v2, vcc
	v_cndmask_b32_e32 v6, v15, v16, vcc
	v_mov_b32_e32 v14, 0x3b800000
	v_lshlrev_b32_e32 v2, 20, v2
	v_lshl_add_u32 v6, v6, 23, v14
	v_or3_b32 v6, v13, v6, v2
.LBB5_1056:
	s_or_b64 exec, exec, s[6:7]
	s_nop 0
	v_mfma_f32_16x16x4f32 a[0:3], v12, v6, a[0:3]
	s_movk_i32 s4, 0x7f
	v_cmp_gt_i16_sdwa s[6:7], v7, s4 src0_sel:BYTE_0 src1_sel:DWORD
	s_mov_b64 s[4:5], 0
                                        ; implicit-def: $sgpr10
	s_and_saveexec_b64 s[8:9], s[6:7]
	s_xor_b64 s[6:7], exec, s[8:9]
	s_cbranch_execnz .LBB5_3105
; %bb.1057:
	s_or_saveexec_b64 s[6:7], s[6:7]
	v_mov_b32_e32 v2, s10
	s_xor_b64 exec, exec, s[6:7]
	s_cbranch_execnz .LBB5_3108
.LBB5_1058:
	s_or_b64 exec, exec, s[6:7]
	s_and_saveexec_b64 s[6:7], s[4:5]
	s_cbranch_execz .LBB5_1060
.LBB5_1059:
	v_and_b32_e32 v2, 7, v7
	v_ffbh_u32_e32 v12, v2
	v_min_u32_e32 v12, 32, v12
	v_lshrrev_b16_e32 v6, 3, v7
	v_subrev_u32_e32 v13, 28, v12
	v_and_b32_e32 v6, 15, v6
	v_lshlrev_b32_e32 v13, v13, v7
	v_sub_u32_e32 v12, 29, v12
	v_and_b32_e32 v13, 7, v13
	v_cmp_eq_u16_e32 vcc, 0, v6
	v_cndmask_b32_e32 v2, v2, v13, vcc
	v_cndmask_b32_e32 v6, v6, v12, vcc
	v_lshlrev_b32_e32 v12, 24, v7
	v_mov_b32_e32 v13, 0x3b800000
	v_lshlrev_b32_e32 v2, 20, v2
	v_and_b32_e32 v12, 0x80000000, v12
	v_lshl_add_u32 v6, v6, 23, v13
	v_or3_b32 v2, v12, v6, v2
.LBB5_1060:
	s_or_b64 exec, exec, s[6:7]
	s_movk_i32 s4, 0x7f
	v_cmp_gt_i16_sdwa s[6:7], v3, s4 src0_sel:BYTE_0 src1_sel:DWORD
	s_mov_b64 s[4:5], 0
                                        ; implicit-def: $sgpr10
	s_and_saveexec_b64 s[8:9], s[6:7]
	s_xor_b64 s[6:7], exec, s[8:9]
	s_cbranch_execnz .LBB5_3109
; %bb.1061:
	s_or_saveexec_b64 s[6:7], s[6:7]
	v_mov_b32_e32 v6, s10
	s_xor_b64 exec, exec, s[6:7]
	s_cbranch_execnz .LBB5_3112
.LBB5_1062:
	s_or_b64 exec, exec, s[6:7]
	s_and_saveexec_b64 s[6:7], s[4:5]
	s_cbranch_execz .LBB5_1064
.LBB5_1063:
	v_and_b32_e32 v6, 7, v3
	v_ffbh_u32_e32 v13, v6
	v_min_u32_e32 v13, 32, v13
	v_lshrrev_b16_e32 v12, 3, v3
	v_subrev_u32_e32 v14, 28, v13
	v_and_b32_e32 v12, 15, v12
	v_lshlrev_b32_e32 v14, v14, v3
	v_sub_u32_e32 v13, 29, v13
	v_and_b32_e32 v14, 7, v14
	v_cmp_eq_u16_e32 vcc, 0, v12
	v_cndmask_b32_e32 v6, v6, v14, vcc
	v_cndmask_b32_e32 v12, v12, v13, vcc
	v_lshlrev_b32_e32 v13, 24, v3
	v_mov_b32_e32 v14, 0x3b800000
	v_lshlrev_b32_e32 v6, 20, v6
	v_and_b32_e32 v13, 0x80000000, v13
	v_lshl_add_u32 v12, v12, 23, v14
	v_or3_b32 v6, v13, v12, v6
.LBB5_1064:
	s_or_b64 exec, exec, s[6:7]
	s_nop 0
	v_mfma_f32_16x16x4f32 a[0:3], v2, v6, a[0:3]
	v_lshrrev_b32_e32 v6, 8, v7
	s_movk_i32 s4, 0x7f
	v_cmp_gt_i16_sdwa s[6:7], v6, s4 src0_sel:BYTE_0 src1_sel:DWORD
	s_mov_b64 s[4:5], 0
                                        ; implicit-def: $sgpr10
	s_and_saveexec_b64 s[8:9], s[6:7]
	s_xor_b64 s[6:7], exec, s[8:9]
	s_cbranch_execnz .LBB5_3113
; %bb.1065:
	s_or_saveexec_b64 s[6:7], s[6:7]
	v_mov_b32_e32 v2, s10
	s_xor_b64 exec, exec, s[6:7]
	s_cbranch_execnz .LBB5_3116
.LBB5_1066:
	s_or_b64 exec, exec, s[6:7]
	s_and_saveexec_b64 s[6:7], s[4:5]
	s_cbranch_execz .LBB5_1068
.LBB5_1067:
	v_bfe_u32 v2, v7, 8, 3
	v_ffbh_u32_e32 v13, v2
	v_min_u32_e32 v13, 32, v13
	v_lshrrev_b16_e32 v12, 3, v6
	v_subrev_u32_e32 v14, 28, v13
	v_and_b32_e32 v12, 15, v12
	v_lshlrev_b32_e32 v6, v14, v6
	v_sub_u32_e32 v13, 29, v13
	v_and_b32_e32 v6, 7, v6
	v_cmp_eq_u16_e32 vcc, 0, v12
	v_cndmask_b32_e32 v2, v2, v6, vcc
	v_cndmask_b32_e32 v6, v12, v13, vcc
	v_lshlrev_b32_e32 v12, 16, v7
	v_mov_b32_e32 v13, 0x3b800000
	v_lshlrev_b32_e32 v2, 20, v2
	v_and_b32_e32 v12, 0x80000000, v12
	v_lshl_add_u32 v6, v6, 23, v13
	v_or3_b32 v2, v12, v6, v2
.LBB5_1068:
	s_or_b64 exec, exec, s[6:7]
	v_lshrrev_b32_e32 v6, 8, v3
	s_movk_i32 s4, 0x7f
	v_cmp_gt_i16_sdwa s[6:7], v6, s4 src0_sel:BYTE_0 src1_sel:DWORD
	s_mov_b64 s[4:5], 0
                                        ; implicit-def: $sgpr10
	s_and_saveexec_b64 s[8:9], s[6:7]
	s_xor_b64 s[6:7], exec, s[8:9]
	s_cbranch_execnz .LBB5_3117
; %bb.1069:
	s_or_saveexec_b64 s[6:7], s[6:7]
	v_mov_b32_e32 v12, s10
	s_xor_b64 exec, exec, s[6:7]
	s_cbranch_execnz .LBB5_3120
.LBB5_1070:
	s_or_b64 exec, exec, s[6:7]
	s_and_saveexec_b64 s[6:7], s[4:5]
	s_cbranch_execz .LBB5_1072
.LBB5_1071:
	v_bfe_u32 v12, v3, 8, 3
	v_ffbh_u32_e32 v14, v12
	v_min_u32_e32 v14, 32, v14
	v_lshrrev_b16_e32 v13, 3, v6
	v_subrev_u32_e32 v15, 28, v14
	v_and_b32_e32 v13, 15, v13
	v_lshlrev_b32_e32 v6, v15, v6
	v_sub_u32_e32 v14, 29, v14
	v_and_b32_e32 v6, 7, v6
	v_cmp_eq_u16_e32 vcc, 0, v13
	v_cndmask_b32_e32 v6, v12, v6, vcc
	v_cndmask_b32_e32 v12, v13, v14, vcc
	v_lshlrev_b32_e32 v13, 16, v3
	v_mov_b32_e32 v14, 0x3b800000
	v_lshlrev_b32_e32 v6, 20, v6
	v_and_b32_e32 v13, 0x80000000, v13
	v_lshl_add_u32 v12, v12, 23, v14
	v_or3_b32 v12, v13, v12, v6
.LBB5_1072:
	s_or_b64 exec, exec, s[6:7]
	s_nop 0
	v_mfma_f32_16x16x4f32 a[0:3], v2, v12, a[0:3]
	s_movk_i32 s4, 0xff
	v_and_b32_sdwa v6, v7, s4 dst_sel:DWORD dst_unused:UNUSED_PAD src0_sel:WORD_1 src1_sel:DWORD
	s_movk_i32 s4, 0x7f
	v_cmp_lt_i16_e32 vcc, s4, v6
	s_mov_b64 s[4:5], 0
                                        ; implicit-def: $sgpr10
	s_and_saveexec_b64 s[6:7], vcc
	s_xor_b64 s[6:7], exec, s[6:7]
	s_cbranch_execnz .LBB5_3121
; %bb.1073:
	s_or_saveexec_b64 s[6:7], s[6:7]
	v_mov_b32_e32 v2, s10
	s_xor_b64 exec, exec, s[6:7]
	s_cbranch_execnz .LBB5_3124
.LBB5_1074:
	s_or_b64 exec, exec, s[6:7]
	s_and_saveexec_b64 s[6:7], s[4:5]
	s_cbranch_execz .LBB5_1076
.LBB5_1075:
	v_bfe_u32 v2, v7, 16, 3
	v_ffbh_u32_e32 v13, v2
	v_min_u32_e32 v13, 32, v13
	v_lshrrev_b32_e32 v6, 19, v7
	v_subrev_u32_e32 v14, 28, v13
	v_and_b32_e32 v6, 15, v6
	v_lshlrev_b32_sdwa v14, v14, v7 dst_sel:DWORD dst_unused:UNUSED_PAD src0_sel:DWORD src1_sel:WORD_1
	v_bfe_u32 v12, v7, 19, 4
	v_sub_u32_e32 v13, 29, v13
	v_and_b32_e32 v14, 7, v14
	v_cmp_eq_u16_e32 vcc, 0, v6
	v_cndmask_b32_e32 v2, v2, v14, vcc
	v_cndmask_b32_e32 v6, v12, v13, vcc
	v_lshlrev_b32_e32 v12, 8, v7
	v_mov_b32_e32 v13, 0x3b800000
	v_lshlrev_b32_e32 v2, 20, v2
	v_and_b32_e32 v12, 0x80000000, v12
	v_lshl_add_u32 v6, v6, 23, v13
	v_or3_b32 v2, v12, v6, v2
.LBB5_1076:
	s_or_b64 exec, exec, s[6:7]
	s_movk_i32 s4, 0xff
	v_and_b32_sdwa v6, v3, s4 dst_sel:DWORD dst_unused:UNUSED_PAD src0_sel:WORD_1 src1_sel:DWORD
	s_movk_i32 s4, 0x7f
	v_cmp_lt_i16_e32 vcc, s4, v6
	s_mov_b64 s[4:5], 0
                                        ; implicit-def: $sgpr10
	s_and_saveexec_b64 s[6:7], vcc
	s_xor_b64 s[6:7], exec, s[6:7]
	s_cbranch_execnz .LBB5_3125
; %bb.1077:
	s_or_saveexec_b64 s[6:7], s[6:7]
	v_mov_b32_e32 v12, s10
	s_xor_b64 exec, exec, s[6:7]
	s_cbranch_execnz .LBB5_3128
.LBB5_1078:
	s_or_b64 exec, exec, s[6:7]
	s_and_saveexec_b64 s[6:7], s[4:5]
	s_cbranch_execz .LBB5_1080
.LBB5_1079:
	v_bfe_u32 v6, v3, 16, 3
	v_ffbh_u32_e32 v14, v6
	v_min_u32_e32 v14, 32, v14
	v_lshrrev_b32_e32 v12, 19, v3
	v_subrev_u32_e32 v15, 28, v14
	v_and_b32_e32 v12, 15, v12
	v_lshlrev_b32_sdwa v15, v15, v3 dst_sel:DWORD dst_unused:UNUSED_PAD src0_sel:DWORD src1_sel:WORD_1
	v_bfe_u32 v13, v3, 19, 4
	v_sub_u32_e32 v14, 29, v14
	v_and_b32_e32 v15, 7, v15
	v_cmp_eq_u16_e32 vcc, 0, v12
	v_cndmask_b32_e32 v6, v6, v15, vcc
	v_cndmask_b32_e32 v12, v13, v14, vcc
	v_lshlrev_b32_e32 v13, 8, v3
	v_mov_b32_e32 v14, 0x3b800000
	v_lshlrev_b32_e32 v6, 20, v6
	v_and_b32_e32 v13, 0x80000000, v13
	v_lshl_add_u32 v12, v12, 23, v14
	v_or3_b32 v12, v13, v12, v6
.LBB5_1080:
	s_or_b64 exec, exec, s[6:7]
	s_nop 0
	v_mfma_f32_16x16x4f32 a[0:3], v2, v12, a[0:3]
	s_movk_i32 s4, 0x7f
	v_cmp_gt_i16_sdwa s[6:7], v7, s4 src0_sel:BYTE_3 src1_sel:DWORD
	s_mov_b64 s[4:5], 0
                                        ; implicit-def: $sgpr10
	s_and_saveexec_b64 s[8:9], s[6:7]
	s_xor_b64 s[6:7], exec, s[8:9]
	s_cbranch_execnz .LBB5_3129
; %bb.1081:
	s_or_saveexec_b64 s[6:7], s[6:7]
	v_mov_b32_e32 v2, s10
	s_xor_b64 exec, exec, s[6:7]
	s_cbranch_execnz .LBB5_3132
.LBB5_1082:
	s_or_b64 exec, exec, s[6:7]
	s_and_saveexec_b64 s[6:7], s[4:5]
	s_cbranch_execz .LBB5_1084
.LBB5_1083:
	v_bfe_u32 v2, v7, 24, 3
	v_ffbh_u32_e32 v14, v2
	v_min_u32_e32 v14, 32, v14
	v_lshrrev_b32_e32 v12, 27, v7
	v_subrev_u32_e32 v15, 28, v14
	v_and_b32_e32 v6, 0x80000000, v7
	v_and_b32_e32 v12, 15, v12
	v_bfe_u32 v13, v7, 27, 4
	v_lshlrev_b32_sdwa v7, v15, v7 dst_sel:DWORD dst_unused:UNUSED_PAD src0_sel:DWORD src1_sel:BYTE_3
	v_sub_u32_e32 v14, 29, v14
	v_and_b32_e32 v7, 7, v7
	v_cmp_eq_u16_e32 vcc, 0, v12
	v_cndmask_b32_e32 v2, v2, v7, vcc
	v_cndmask_b32_e32 v7, v13, v14, vcc
	v_mov_b32_e32 v12, 0x3b800000
	v_lshlrev_b32_e32 v2, 20, v2
	v_lshl_add_u32 v7, v7, 23, v12
	v_or3_b32 v2, v6, v7, v2
.LBB5_1084:
	s_or_b64 exec, exec, s[6:7]
	s_movk_i32 s4, 0x7f
	v_cmp_gt_i16_sdwa s[6:7], v3, s4 src0_sel:BYTE_3 src1_sel:DWORD
	s_mov_b64 s[4:5], 0
                                        ; implicit-def: $sgpr10
	s_and_saveexec_b64 s[8:9], s[6:7]
	s_xor_b64 s[6:7], exec, s[8:9]
	s_cbranch_execnz .LBB5_3133
; %bb.1085:
	s_or_saveexec_b64 s[6:7], s[6:7]
	v_mov_b32_e32 v6, s10
	s_xor_b64 exec, exec, s[6:7]
	s_cbranch_execnz .LBB5_3136
.LBB5_1086:
	s_or_b64 exec, exec, s[6:7]
	s_and_saveexec_b64 s[6:7], s[4:5]
	s_cbranch_execz .LBB5_1088
.LBB5_1087:
	v_bfe_u32 v6, v3, 24, 3
	v_ffbh_u32_e32 v14, v6
	v_min_u32_e32 v14, 32, v14
	v_lshrrev_b32_e32 v12, 27, v3
	v_subrev_u32_e32 v15, 28, v14
	v_and_b32_e32 v7, 0x80000000, v3
	v_and_b32_e32 v12, 15, v12
	v_bfe_u32 v13, v3, 27, 4
	v_lshlrev_b32_sdwa v3, v15, v3 dst_sel:DWORD dst_unused:UNUSED_PAD src0_sel:DWORD src1_sel:BYTE_3
	v_sub_u32_e32 v14, 29, v14
	v_and_b32_e32 v3, 7, v3
	v_cmp_eq_u16_e32 vcc, 0, v12
	v_cndmask_b32_e32 v3, v6, v3, vcc
	v_cndmask_b32_e32 v6, v13, v14, vcc
	v_mov_b32_e32 v12, 0x3b800000
	v_lshlrev_b32_e32 v3, 20, v3
	v_lshl_add_u32 v6, v6, 23, v12
	v_or3_b32 v6, v7, v6, v3
.LBB5_1088:
	s_or_b64 exec, exec, s[6:7]
	s_nop 0
	v_mfma_f32_16x16x4f32 a[0:3], v2, v6, a[0:3]
	s_movk_i32 s4, 0x7f
	v_cmp_gt_i16_sdwa s[6:7], v8, s4 src0_sel:BYTE_0 src1_sel:DWORD
	s_mov_b64 s[4:5], 0
                                        ; implicit-def: $sgpr10
	s_and_saveexec_b64 s[8:9], s[6:7]
	s_xor_b64 s[6:7], exec, s[8:9]
	s_cbranch_execnz .LBB5_3137
; %bb.1089:
	s_or_saveexec_b64 s[6:7], s[6:7]
	v_mov_b32_e32 v2, s10
	s_xor_b64 exec, exec, s[6:7]
	s_cbranch_execnz .LBB5_3140
.LBB5_1090:
	s_or_b64 exec, exec, s[6:7]
	s_and_saveexec_b64 s[6:7], s[4:5]
	s_cbranch_execz .LBB5_1092
.LBB5_1091:
	v_and_b32_e32 v2, 7, v8
	v_ffbh_u32_e32 v6, v2
	v_min_u32_e32 v6, 32, v6
	v_lshrrev_b16_e32 v3, 3, v8
	v_subrev_u32_e32 v7, 28, v6
	v_and_b32_e32 v3, 15, v3
	v_lshlrev_b32_e32 v7, v7, v8
	v_sub_u32_e32 v6, 29, v6
	v_and_b32_e32 v7, 7, v7
	v_cmp_eq_u16_e32 vcc, 0, v3
	v_cndmask_b32_e32 v2, v2, v7, vcc
	v_cndmask_b32_e32 v3, v3, v6, vcc
	v_lshlrev_b32_e32 v6, 24, v8
	v_mov_b32_e32 v7, 0x3b800000
	v_lshlrev_b32_e32 v2, 20, v2
	v_and_b32_e32 v6, 0x80000000, v6
	v_lshl_add_u32 v3, v3, 23, v7
	v_or3_b32 v2, v6, v3, v2
.LBB5_1092:
	s_or_b64 exec, exec, s[6:7]
	s_movk_i32 s4, 0x7f
	v_cmp_gt_i16_sdwa s[6:7], v4, s4 src0_sel:BYTE_0 src1_sel:DWORD
	s_mov_b64 s[4:5], 0
                                        ; implicit-def: $sgpr10
	s_and_saveexec_b64 s[8:9], s[6:7]
	s_xor_b64 s[6:7], exec, s[8:9]
	s_cbranch_execnz .LBB5_3141
; %bb.1093:
	s_or_saveexec_b64 s[6:7], s[6:7]
	v_mov_b32_e32 v3, s10
	s_xor_b64 exec, exec, s[6:7]
	s_cbranch_execnz .LBB5_3144
.LBB5_1094:
	s_or_b64 exec, exec, s[6:7]
	s_and_saveexec_b64 s[6:7], s[4:5]
	s_cbranch_execz .LBB5_1096
.LBB5_1095:
	v_and_b32_e32 v3, 7, v4
	v_ffbh_u32_e32 v7, v3
	v_min_u32_e32 v7, 32, v7
	v_lshrrev_b16_e32 v6, 3, v4
	v_subrev_u32_e32 v12, 28, v7
	v_and_b32_e32 v6, 15, v6
	v_lshlrev_b32_e32 v12, v12, v4
	v_sub_u32_e32 v7, 29, v7
	v_and_b32_e32 v12, 7, v12
	v_cmp_eq_u16_e32 vcc, 0, v6
	v_cndmask_b32_e32 v3, v3, v12, vcc
	v_cndmask_b32_e32 v6, v6, v7, vcc
	v_lshlrev_b32_e32 v7, 24, v4
	v_mov_b32_e32 v12, 0x3b800000
	v_lshlrev_b32_e32 v3, 20, v3
	v_and_b32_e32 v7, 0x80000000, v7
	v_lshl_add_u32 v6, v6, 23, v12
	v_or3_b32 v3, v7, v6, v3
.LBB5_1096:
	s_or_b64 exec, exec, s[6:7]
	s_nop 0
	v_mfma_f32_16x16x4f32 a[0:3], v2, v3, a[0:3]
	v_lshrrev_b32_e32 v3, 8, v8
	s_movk_i32 s4, 0x7f
	v_cmp_gt_i16_sdwa s[6:7], v3, s4 src0_sel:BYTE_0 src1_sel:DWORD
	s_mov_b64 s[4:5], 0
                                        ; implicit-def: $sgpr10
	s_and_saveexec_b64 s[8:9], s[6:7]
	s_xor_b64 s[6:7], exec, s[8:9]
	s_cbranch_execnz .LBB5_3145
; %bb.1097:
	s_or_saveexec_b64 s[6:7], s[6:7]
	v_mov_b32_e32 v2, s10
	s_xor_b64 exec, exec, s[6:7]
	s_cbranch_execnz .LBB5_3148
.LBB5_1098:
	s_or_b64 exec, exec, s[6:7]
	s_and_saveexec_b64 s[6:7], s[4:5]
	s_cbranch_execz .LBB5_1100
.LBB5_1099:
	v_bfe_u32 v2, v8, 8, 3
	v_ffbh_u32_e32 v7, v2
	v_min_u32_e32 v7, 32, v7
	v_lshrrev_b16_e32 v6, 3, v3
	v_subrev_u32_e32 v12, 28, v7
	v_and_b32_e32 v6, 15, v6
	v_lshlrev_b32_e32 v3, v12, v3
	v_sub_u32_e32 v7, 29, v7
	v_and_b32_e32 v3, 7, v3
	v_cmp_eq_u16_e32 vcc, 0, v6
	v_cndmask_b32_e32 v2, v2, v3, vcc
	v_cndmask_b32_e32 v3, v6, v7, vcc
	v_lshlrev_b32_e32 v6, 16, v8
	v_mov_b32_e32 v7, 0x3b800000
	v_lshlrev_b32_e32 v2, 20, v2
	v_and_b32_e32 v6, 0x80000000, v6
	v_lshl_add_u32 v3, v3, 23, v7
	v_or3_b32 v2, v6, v3, v2
.LBB5_1100:
	s_or_b64 exec, exec, s[6:7]
	v_lshrrev_b32_e32 v3, 8, v4
	s_movk_i32 s4, 0x7f
	v_cmp_gt_i16_sdwa s[6:7], v3, s4 src0_sel:BYTE_0 src1_sel:DWORD
	s_mov_b64 s[4:5], 0
                                        ; implicit-def: $sgpr10
	s_and_saveexec_b64 s[8:9], s[6:7]
	s_xor_b64 s[6:7], exec, s[8:9]
	s_cbranch_execnz .LBB5_3149
; %bb.1101:
	s_or_saveexec_b64 s[6:7], s[6:7]
	v_mov_b32_e32 v6, s10
	s_xor_b64 exec, exec, s[6:7]
	s_cbranch_execnz .LBB5_3152
.LBB5_1102:
	s_or_b64 exec, exec, s[6:7]
	s_and_saveexec_b64 s[6:7], s[4:5]
	s_cbranch_execz .LBB5_1104
.LBB5_1103:
	v_bfe_u32 v6, v4, 8, 3
	v_ffbh_u32_e32 v12, v6
	v_min_u32_e32 v12, 32, v12
	v_lshrrev_b16_e32 v7, 3, v3
	v_subrev_u32_e32 v13, 28, v12
	v_and_b32_e32 v7, 15, v7
	v_lshlrev_b32_e32 v3, v13, v3
	v_sub_u32_e32 v12, 29, v12
	v_and_b32_e32 v3, 7, v3
	v_cmp_eq_u16_e32 vcc, 0, v7
	v_cndmask_b32_e32 v3, v6, v3, vcc
	v_cndmask_b32_e32 v6, v7, v12, vcc
	v_lshlrev_b32_e32 v7, 16, v4
	v_mov_b32_e32 v12, 0x3b800000
	v_lshlrev_b32_e32 v3, 20, v3
	v_and_b32_e32 v7, 0x80000000, v7
	v_lshl_add_u32 v6, v6, 23, v12
	v_or3_b32 v6, v7, v6, v3
.LBB5_1104:
	s_or_b64 exec, exec, s[6:7]
	s_nop 0
	v_mfma_f32_16x16x4f32 a[0:3], v2, v6, a[0:3]
	s_movk_i32 s4, 0xff
	v_and_b32_sdwa v3, v8, s4 dst_sel:DWORD dst_unused:UNUSED_PAD src0_sel:WORD_1 src1_sel:DWORD
	s_movk_i32 s4, 0x7f
	v_cmp_lt_i16_e32 vcc, s4, v3
	s_mov_b64 s[4:5], 0
                                        ; implicit-def: $sgpr10
	s_and_saveexec_b64 s[6:7], vcc
	s_xor_b64 s[6:7], exec, s[6:7]
	s_cbranch_execnz .LBB5_3153
; %bb.1105:
	s_or_saveexec_b64 s[6:7], s[6:7]
	v_mov_b32_e32 v2, s10
	s_xor_b64 exec, exec, s[6:7]
	s_cbranch_execnz .LBB5_3156
.LBB5_1106:
	s_or_b64 exec, exec, s[6:7]
	s_and_saveexec_b64 s[6:7], s[4:5]
	s_cbranch_execz .LBB5_1108
.LBB5_1107:
	v_bfe_u32 v2, v8, 16, 3
	v_ffbh_u32_e32 v7, v2
	v_min_u32_e32 v7, 32, v7
	v_lshrrev_b32_e32 v3, 19, v8
	v_subrev_u32_e32 v12, 28, v7
	v_and_b32_e32 v3, 15, v3
	v_lshlrev_b32_sdwa v12, v12, v8 dst_sel:DWORD dst_unused:UNUSED_PAD src0_sel:DWORD src1_sel:WORD_1
	v_bfe_u32 v6, v8, 19, 4
	v_sub_u32_e32 v7, 29, v7
	v_and_b32_e32 v12, 7, v12
	v_cmp_eq_u16_e32 vcc, 0, v3
	v_cndmask_b32_e32 v2, v2, v12, vcc
	v_cndmask_b32_e32 v3, v6, v7, vcc
	v_lshlrev_b32_e32 v6, 8, v8
	v_mov_b32_e32 v7, 0x3b800000
	v_lshlrev_b32_e32 v2, 20, v2
	v_and_b32_e32 v6, 0x80000000, v6
	v_lshl_add_u32 v3, v3, 23, v7
	v_or3_b32 v2, v6, v3, v2
.LBB5_1108:
	s_or_b64 exec, exec, s[6:7]
	s_movk_i32 s4, 0xff
	v_and_b32_sdwa v3, v4, s4 dst_sel:DWORD dst_unused:UNUSED_PAD src0_sel:WORD_1 src1_sel:DWORD
	s_movk_i32 s4, 0x7f
	v_cmp_lt_i16_e32 vcc, s4, v3
	s_mov_b64 s[4:5], 0
                                        ; implicit-def: $sgpr10
	s_and_saveexec_b64 s[6:7], vcc
	s_xor_b64 s[6:7], exec, s[6:7]
	s_cbranch_execnz .LBB5_3157
; %bb.1109:
	s_or_saveexec_b64 s[6:7], s[6:7]
	v_mov_b32_e32 v6, s10
	s_xor_b64 exec, exec, s[6:7]
	s_cbranch_execnz .LBB5_3160
.LBB5_1110:
	s_or_b64 exec, exec, s[6:7]
	s_and_saveexec_b64 s[6:7], s[4:5]
	s_cbranch_execz .LBB5_1112
.LBB5_1111:
	v_bfe_u32 v3, v4, 16, 3
	v_ffbh_u32_e32 v12, v3
	v_min_u32_e32 v12, 32, v12
	v_lshrrev_b32_e32 v6, 19, v4
	v_subrev_u32_e32 v13, 28, v12
	v_and_b32_e32 v6, 15, v6
	v_lshlrev_b32_sdwa v13, v13, v4 dst_sel:DWORD dst_unused:UNUSED_PAD src0_sel:DWORD src1_sel:WORD_1
	v_bfe_u32 v7, v4, 19, 4
	v_sub_u32_e32 v12, 29, v12
	v_and_b32_e32 v13, 7, v13
	v_cmp_eq_u16_e32 vcc, 0, v6
	v_cndmask_b32_e32 v3, v3, v13, vcc
	v_cndmask_b32_e32 v6, v7, v12, vcc
	v_lshlrev_b32_e32 v7, 8, v4
	v_mov_b32_e32 v12, 0x3b800000
	v_lshlrev_b32_e32 v3, 20, v3
	v_and_b32_e32 v7, 0x80000000, v7
	v_lshl_add_u32 v6, v6, 23, v12
	v_or3_b32 v6, v7, v6, v3
.LBB5_1112:
	s_or_b64 exec, exec, s[6:7]
	s_nop 0
	v_mfma_f32_16x16x4f32 a[0:3], v2, v6, a[0:3]
	s_movk_i32 s4, 0x7f
	v_cmp_gt_i16_sdwa s[6:7], v8, s4 src0_sel:BYTE_3 src1_sel:DWORD
	s_mov_b64 s[4:5], 0
                                        ; implicit-def: $sgpr10
	s_and_saveexec_b64 s[8:9], s[6:7]
	s_xor_b64 s[6:7], exec, s[8:9]
	s_cbranch_execnz .LBB5_3161
; %bb.1113:
	s_or_saveexec_b64 s[6:7], s[6:7]
	v_mov_b32_e32 v2, s10
	s_xor_b64 exec, exec, s[6:7]
	s_cbranch_execnz .LBB5_3164
.LBB5_1114:
	s_or_b64 exec, exec, s[6:7]
	s_and_saveexec_b64 s[6:7], s[4:5]
	s_cbranch_execz .LBB5_1116
.LBB5_1115:
	v_bfe_u32 v2, v8, 24, 3
	v_ffbh_u32_e32 v12, v2
	v_min_u32_e32 v12, 32, v12
	v_lshrrev_b32_e32 v6, 27, v8
	v_subrev_u32_e32 v13, 28, v12
	v_and_b32_e32 v3, 0x80000000, v8
	v_and_b32_e32 v6, 15, v6
	v_bfe_u32 v7, v8, 27, 4
	v_lshlrev_b32_sdwa v8, v13, v8 dst_sel:DWORD dst_unused:UNUSED_PAD src0_sel:DWORD src1_sel:BYTE_3
	v_sub_u32_e32 v12, 29, v12
	v_and_b32_e32 v8, 7, v8
	v_cmp_eq_u16_e32 vcc, 0, v6
	v_cndmask_b32_e32 v2, v2, v8, vcc
	v_cndmask_b32_e32 v6, v7, v12, vcc
	v_mov_b32_e32 v7, 0x3b800000
	v_lshlrev_b32_e32 v2, 20, v2
	v_lshl_add_u32 v6, v6, 23, v7
	v_or3_b32 v2, v3, v6, v2
.LBB5_1116:
	s_or_b64 exec, exec, s[6:7]
	s_movk_i32 s4, 0x7f
	v_cmp_gt_i16_sdwa s[6:7], v4, s4 src0_sel:BYTE_3 src1_sel:DWORD
	s_mov_b64 s[4:5], 0
                                        ; implicit-def: $sgpr10
	s_and_saveexec_b64 s[8:9], s[6:7]
	s_xor_b64 s[6:7], exec, s[8:9]
	s_cbranch_execnz .LBB5_3165
; %bb.1117:
	s_or_saveexec_b64 s[6:7], s[6:7]
	v_mov_b32_e32 v3, s10
	s_xor_b64 exec, exec, s[6:7]
	s_cbranch_execnz .LBB5_3168
.LBB5_1118:
	s_or_b64 exec, exec, s[6:7]
	s_and_saveexec_b64 s[6:7], s[4:5]
	s_cbranch_execz .LBB5_1120
.LBB5_1119:
	v_bfe_u32 v3, v4, 24, 3
	v_ffbh_u32_e32 v12, v3
	v_min_u32_e32 v12, 32, v12
	v_lshrrev_b32_e32 v7, 27, v4
	v_subrev_u32_e32 v13, 28, v12
	v_and_b32_e32 v6, 0x80000000, v4
	v_and_b32_e32 v7, 15, v7
	v_bfe_u32 v8, v4, 27, 4
	v_lshlrev_b32_sdwa v4, v13, v4 dst_sel:DWORD dst_unused:UNUSED_PAD src0_sel:DWORD src1_sel:BYTE_3
	v_sub_u32_e32 v12, 29, v12
	v_and_b32_e32 v4, 7, v4
	v_cmp_eq_u16_e32 vcc, 0, v7
	v_cndmask_b32_e32 v3, v3, v4, vcc
	v_cndmask_b32_e32 v4, v8, v12, vcc
	v_mov_b32_e32 v7, 0x3b800000
	v_lshlrev_b32_e32 v3, 20, v3
	v_lshl_add_u32 v4, v4, 23, v7
	v_or3_b32 v3, v6, v4, v3
.LBB5_1120:
	s_or_b64 exec, exec, s[6:7]
	s_nop 0
	v_mfma_f32_16x16x4f32 a[0:3], v2, v3, a[0:3]
	s_movk_i32 s4, 0x7f
	v_cmp_gt_i16_sdwa s[6:7], v9, s4 src0_sel:BYTE_0 src1_sel:DWORD
	s_mov_b64 s[4:5], 0
                                        ; implicit-def: $sgpr10
	s_and_saveexec_b64 s[8:9], s[6:7]
	s_xor_b64 s[6:7], exec, s[8:9]
	s_cbranch_execnz .LBB5_3169
; %bb.1121:
	s_or_saveexec_b64 s[6:7], s[6:7]
	v_mov_b32_e32 v2, s10
	s_xor_b64 exec, exec, s[6:7]
	s_cbranch_execnz .LBB5_3172
.LBB5_1122:
	s_or_b64 exec, exec, s[6:7]
	s_and_saveexec_b64 s[6:7], s[4:5]
	s_cbranch_execz .LBB5_1124
.LBB5_1123:
	v_mov_b32_e32 v2, 8
	v_and_b32_e32 v3, 7, v9
	v_lshrrev_b32_sdwa v2, v2, v9 dst_sel:BYTE_1 dst_unused:UNUSED_PAD src0_sel:DWORD src1_sel:DWORD
	v_ffbh_u32_e32 v4, v3
	v_or_b32_sdwa v2, v9, v2 dst_sel:DWORD dst_unused:UNUSED_PAD src0_sel:BYTE_0 src1_sel:DWORD
	v_min_u32_e32 v4, 32, v4
	v_lshrrev_b16_e32 v2, 3, v2
	v_subrev_u32_e32 v6, 28, v4
	v_and_b32_e32 v2, 15, v2
	v_lshlrev_b32_e32 v6, v6, v9
	v_sub_u32_e32 v4, 29, v4
	v_and_b32_e32 v6, 7, v6
	v_cmp_eq_u16_e32 vcc, 0, v2
	v_cndmask_b32_e32 v3, v3, v6, vcc
	v_cndmask_b32_e32 v2, v2, v4, vcc
	v_lshlrev_b32_e32 v4, 24, v9
	v_mov_b32_e32 v6, 0x3b800000
	v_lshlrev_b32_e32 v3, 20, v3
	v_and_b32_e32 v4, 0x80000000, v4
	v_lshl_add_u32 v2, v2, 23, v6
	v_or3_b32 v2, v4, v2, v3
.LBB5_1124:
	s_or_b64 exec, exec, s[6:7]
	s_movk_i32 s4, 0x7f
	v_cmp_gt_i16_sdwa s[6:7], v5, s4 src0_sel:BYTE_0 src1_sel:DWORD
	s_mov_b64 s[4:5], 0
                                        ; implicit-def: $sgpr10
	s_and_saveexec_b64 s[8:9], s[6:7]
	s_xor_b64 s[6:7], exec, s[8:9]
	s_cbranch_execnz .LBB5_3173
; %bb.1125:
	s_or_saveexec_b64 s[6:7], s[6:7]
	v_mov_b32_e32 v3, s10
	s_xor_b64 exec, exec, s[6:7]
	s_cbranch_execnz .LBB5_3176
.LBB5_1126:
	s_or_b64 exec, exec, s[6:7]
	s_and_saveexec_b64 s[6:7], s[4:5]
	s_cbranch_execz .LBB5_1128
.LBB5_1127:
	v_mov_b32_e32 v3, 8
	v_and_b32_e32 v4, 7, v5
	v_lshrrev_b32_sdwa v3, v3, v5 dst_sel:BYTE_1 dst_unused:UNUSED_PAD src0_sel:DWORD src1_sel:DWORD
	v_ffbh_u32_e32 v6, v4
	v_or_b32_sdwa v3, v5, v3 dst_sel:DWORD dst_unused:UNUSED_PAD src0_sel:BYTE_0 src1_sel:DWORD
	v_min_u32_e32 v6, 32, v6
	v_lshrrev_b16_e32 v3, 3, v3
	v_subrev_u32_e32 v7, 28, v6
	v_and_b32_e32 v3, 15, v3
	v_lshlrev_b32_e32 v7, v7, v5
	v_sub_u32_e32 v6, 29, v6
	v_and_b32_e32 v7, 7, v7
	v_cmp_eq_u16_e32 vcc, 0, v3
	v_cndmask_b32_e32 v4, v4, v7, vcc
	v_cndmask_b32_e32 v3, v3, v6, vcc
	v_lshlrev_b32_e32 v6, 24, v5
	v_mov_b32_e32 v7, 0x3b800000
	v_lshlrev_b32_e32 v4, 20, v4
	v_and_b32_e32 v6, 0x80000000, v6
	v_lshl_add_u32 v3, v3, 23, v7
	v_or3_b32 v3, v6, v3, v4
.LBB5_1128:
	s_or_b64 exec, exec, s[6:7]
	s_nop 0
	v_mfma_f32_16x16x4f32 a[0:3], v2, v3, a[0:3]
	v_lshrrev_b32_e32 v3, 8, v9
	s_movk_i32 s4, 0x7f
	v_cmp_gt_i16_sdwa s[6:7], v3, s4 src0_sel:BYTE_0 src1_sel:DWORD
	s_mov_b64 s[4:5], 0
                                        ; implicit-def: $sgpr10
	s_and_saveexec_b64 s[8:9], s[6:7]
	s_xor_b64 s[6:7], exec, s[8:9]
	s_cbranch_execnz .LBB5_3177
; %bb.1129:
	s_or_saveexec_b64 s[6:7], s[6:7]
	v_mov_b32_e32 v2, s10
	s_xor_b64 exec, exec, s[6:7]
	s_cbranch_execnz .LBB5_3180
.LBB5_1130:
	s_or_b64 exec, exec, s[6:7]
	s_and_saveexec_b64 s[6:7], s[4:5]
	s_cbranch_execz .LBB5_1132
.LBB5_1131:
	v_bfe_u32 v2, v9, 8, 3
	v_ffbh_u32_e32 v6, v2
	v_min_u32_e32 v6, 32, v6
	v_lshrrev_b16_e32 v4, 3, v3
	v_subrev_u32_e32 v7, 28, v6
	v_and_b32_e32 v4, 15, v4
	v_lshlrev_b32_e32 v3, v7, v3
	v_sub_u32_e32 v6, 29, v6
	v_and_b32_e32 v3, 7, v3
	v_cmp_eq_u16_e32 vcc, 0, v4
	v_cndmask_b32_e32 v2, v2, v3, vcc
	v_cndmask_b32_e32 v3, v4, v6, vcc
	v_lshlrev_b32_e32 v4, 16, v9
	v_mov_b32_e32 v6, 0x3b800000
	v_lshlrev_b32_e32 v2, 20, v2
	v_and_b32_e32 v4, 0x80000000, v4
	v_lshl_add_u32 v3, v3, 23, v6
	v_or3_b32 v2, v4, v3, v2
.LBB5_1132:
	s_or_b64 exec, exec, s[6:7]
	v_lshrrev_b32_e32 v3, 8, v5
	s_movk_i32 s4, 0x7f
	v_cmp_gt_i16_sdwa s[6:7], v3, s4 src0_sel:BYTE_0 src1_sel:DWORD
	s_mov_b64 s[4:5], 0
                                        ; implicit-def: $sgpr10
	s_and_saveexec_b64 s[8:9], s[6:7]
	s_xor_b64 s[6:7], exec, s[8:9]
	s_cbranch_execnz .LBB5_3181
; %bb.1133:
	s_or_saveexec_b64 s[6:7], s[6:7]
	v_mov_b32_e32 v4, s10
	s_xor_b64 exec, exec, s[6:7]
	s_cbranch_execnz .LBB5_3184
.LBB5_1134:
	s_or_b64 exec, exec, s[6:7]
	s_and_saveexec_b64 s[6:7], s[4:5]
	s_cbranch_execz .LBB5_1136
.LBB5_1135:
	v_bfe_u32 v4, v5, 8, 3
	v_ffbh_u32_e32 v7, v4
	v_min_u32_e32 v7, 32, v7
	v_lshrrev_b16_e32 v6, 3, v3
	v_subrev_u32_e32 v8, 28, v7
	v_and_b32_e32 v6, 15, v6
	v_lshlrev_b32_e32 v3, v8, v3
	v_sub_u32_e32 v7, 29, v7
	v_and_b32_e32 v3, 7, v3
	v_cmp_eq_u16_e32 vcc, 0, v6
	v_cndmask_b32_e32 v3, v4, v3, vcc
	v_cndmask_b32_e32 v4, v6, v7, vcc
	v_lshlrev_b32_e32 v6, 16, v5
	v_mov_b32_e32 v7, 0x3b800000
	v_lshlrev_b32_e32 v3, 20, v3
	v_and_b32_e32 v6, 0x80000000, v6
	v_lshl_add_u32 v4, v4, 23, v7
	v_or3_b32 v4, v6, v4, v3
.LBB5_1136:
	s_or_b64 exec, exec, s[6:7]
	s_nop 0
	v_mfma_f32_16x16x4f32 a[0:3], v2, v4, a[0:3]
	s_movk_i32 s4, 0xff
	v_and_b32_sdwa v3, v9, s4 dst_sel:DWORD dst_unused:UNUSED_PAD src0_sel:WORD_1 src1_sel:DWORD
	s_movk_i32 s4, 0x7f
	v_cmp_lt_i16_e32 vcc, s4, v3
	s_mov_b64 s[4:5], 0
                                        ; implicit-def: $sgpr10
	s_and_saveexec_b64 s[6:7], vcc
	s_xor_b64 s[6:7], exec, s[6:7]
	s_cbranch_execnz .LBB5_3185
; %bb.1137:
	s_or_saveexec_b64 s[6:7], s[6:7]
	v_mov_b32_e32 v2, s10
	s_xor_b64 exec, exec, s[6:7]
	s_cbranch_execnz .LBB5_3188
.LBB5_1138:
	s_or_b64 exec, exec, s[6:7]
	s_and_saveexec_b64 s[6:7], s[4:5]
	s_cbranch_execz .LBB5_1140
.LBB5_1139:
	v_bfe_u32 v2, v9, 16, 3
	v_ffbh_u32_e32 v6, v2
	v_min_u32_e32 v6, 32, v6
	v_lshrrev_b32_e32 v3, 19, v9
	v_subrev_u32_e32 v7, 28, v6
	v_and_b32_e32 v3, 15, v3
	v_lshlrev_b32_sdwa v7, v7, v9 dst_sel:DWORD dst_unused:UNUSED_PAD src0_sel:DWORD src1_sel:WORD_1
	v_bfe_u32 v4, v9, 19, 4
	v_sub_u32_e32 v6, 29, v6
	v_and_b32_e32 v7, 7, v7
	v_cmp_eq_u16_e32 vcc, 0, v3
	v_cndmask_b32_e32 v2, v2, v7, vcc
	v_cndmask_b32_e32 v3, v4, v6, vcc
	v_lshlrev_b32_e32 v4, 8, v9
	v_mov_b32_e32 v6, 0x3b800000
	v_lshlrev_b32_e32 v2, 20, v2
	v_and_b32_e32 v4, 0x80000000, v4
	v_lshl_add_u32 v3, v3, 23, v6
	v_or3_b32 v2, v4, v3, v2
.LBB5_1140:
	s_or_b64 exec, exec, s[6:7]
	s_movk_i32 s4, 0xff
	v_and_b32_sdwa v3, v5, s4 dst_sel:DWORD dst_unused:UNUSED_PAD src0_sel:WORD_1 src1_sel:DWORD
	s_movk_i32 s4, 0x7f
	v_cmp_lt_i16_e32 vcc, s4, v3
	s_mov_b64 s[4:5], 0
                                        ; implicit-def: $sgpr10
	s_and_saveexec_b64 s[6:7], vcc
	s_xor_b64 s[6:7], exec, s[6:7]
	s_cbranch_execnz .LBB5_3189
; %bb.1141:
	s_or_saveexec_b64 s[6:7], s[6:7]
	v_mov_b32_e32 v4, s10
	s_xor_b64 exec, exec, s[6:7]
	s_cbranch_execnz .LBB5_3192
.LBB5_1142:
	s_or_b64 exec, exec, s[6:7]
	s_and_saveexec_b64 s[6:7], s[4:5]
	s_cbranch_execz .LBB5_1144
.LBB5_1143:
	v_bfe_u32 v3, v5, 16, 3
	v_ffbh_u32_e32 v7, v3
	v_min_u32_e32 v7, 32, v7
	v_lshrrev_b32_e32 v4, 19, v5
	v_subrev_u32_e32 v8, 28, v7
	v_and_b32_e32 v4, 15, v4
	v_lshlrev_b32_sdwa v8, v8, v5 dst_sel:DWORD dst_unused:UNUSED_PAD src0_sel:DWORD src1_sel:WORD_1
	v_bfe_u32 v6, v5, 19, 4
	v_sub_u32_e32 v7, 29, v7
	v_and_b32_e32 v8, 7, v8
	v_cmp_eq_u16_e32 vcc, 0, v4
	v_cndmask_b32_e32 v3, v3, v8, vcc
	v_cndmask_b32_e32 v4, v6, v7, vcc
	v_lshlrev_b32_e32 v6, 8, v5
	v_mov_b32_e32 v7, 0x3b800000
	v_lshlrev_b32_e32 v3, 20, v3
	v_and_b32_e32 v6, 0x80000000, v6
	v_lshl_add_u32 v4, v4, 23, v7
	v_or3_b32 v4, v6, v4, v3
.LBB5_1144:
	s_or_b64 exec, exec, s[6:7]
	s_nop 0
	v_mfma_f32_16x16x4f32 a[0:3], v2, v4, a[0:3]
	s_movk_i32 s4, 0x7f
	v_cmp_gt_i16_sdwa s[6:7], v9, s4 src0_sel:BYTE_3 src1_sel:DWORD
	s_mov_b64 s[4:5], 0
                                        ; implicit-def: $sgpr10
	s_and_saveexec_b64 s[8:9], s[6:7]
	s_xor_b64 s[6:7], exec, s[8:9]
	s_cbranch_execnz .LBB5_3193
; %bb.1145:
	s_or_saveexec_b64 s[6:7], s[6:7]
	v_mov_b32_e32 v2, s10
	s_xor_b64 exec, exec, s[6:7]
	s_cbranch_execnz .LBB5_3196
.LBB5_1146:
	s_or_b64 exec, exec, s[6:7]
	s_and_saveexec_b64 s[6:7], s[4:5]
	s_cbranch_execz .LBB5_1148
.LBB5_1147:
	v_bfe_u32 v2, v9, 24, 3
	v_ffbh_u32_e32 v7, v2
	v_min_u32_e32 v7, 32, v7
	v_lshrrev_b32_e32 v4, 27, v9
	v_subrev_u32_e32 v8, 28, v7
	v_and_b32_e32 v4, 15, v4
	v_lshlrev_b32_sdwa v8, v8, v9 dst_sel:DWORD dst_unused:UNUSED_PAD src0_sel:DWORD src1_sel:BYTE_3
	v_bfe_u32 v6, v9, 27, 4
	v_sub_u32_e32 v7, 29, v7
	v_and_b32_e32 v8, 7, v8
	v_cmp_eq_u16_e32 vcc, 0, v4
	v_cndmask_b32_e32 v2, v2, v8, vcc
	v_cndmask_b32_e32 v4, v6, v7, vcc
	v_mov_b32_e32 v6, 0x3b800000
	v_and_b32_e32 v3, 0x80000000, v9
	v_lshlrev_b32_e32 v2, 20, v2
	v_lshl_add_u32 v4, v4, 23, v6
	v_or3_b32 v2, v3, v4, v2
.LBB5_1148:
	s_or_b64 exec, exec, s[6:7]
	s_movk_i32 s4, 0x7f
	v_cmp_gt_i16_sdwa s[6:7], v5, s4 src0_sel:BYTE_3 src1_sel:DWORD
	s_mov_b64 s[4:5], 0
                                        ; implicit-def: $sgpr10
	s_and_saveexec_b64 s[8:9], s[6:7]
	s_xor_b64 s[6:7], exec, s[8:9]
	s_cbranch_execnz .LBB5_3197
; %bb.1149:
	s_or_saveexec_b64 s[6:7], s[6:7]
	v_mov_b32_e32 v3, s10
	s_xor_b64 exec, exec, s[6:7]
	s_cbranch_execnz .LBB5_3200
.LBB5_1150:
	s_or_b64 exec, exec, s[6:7]
	s_and_saveexec_b64 s[6:7], s[4:5]
	s_cbranch_execz .LBB5_1152
.LBB5_1151:
	v_bfe_u32 v3, v5, 24, 3
	v_ffbh_u32_e32 v8, v3
	v_min_u32_e32 v8, 32, v8
	v_lshrrev_b32_e32 v6, 27, v5
	v_subrev_u32_e32 v9, 28, v8
	v_and_b32_e32 v4, 0x80000000, v5
	v_and_b32_e32 v6, 15, v6
	v_bfe_u32 v7, v5, 27, 4
	v_lshlrev_b32_sdwa v5, v9, v5 dst_sel:DWORD dst_unused:UNUSED_PAD src0_sel:DWORD src1_sel:BYTE_3
	v_sub_u32_e32 v8, 29, v8
	v_and_b32_e32 v5, 7, v5
	v_cmp_eq_u16_e32 vcc, 0, v6
	v_cndmask_b32_e32 v3, v3, v5, vcc
	v_cndmask_b32_e32 v5, v7, v8, vcc
	v_mov_b32_e32 v6, 0x3b800000
	v_lshlrev_b32_e32 v3, 20, v3
	v_lshl_add_u32 v5, v5, 23, v6
	v_or3_b32 v3, v4, v5, v3
.LBB5_1152:
	s_or_b64 exec, exec, s[6:7]
	s_nop 0
	v_mfma_f32_16x16x4f32 a[0:3], v2, v3, a[0:3]
	s_movk_i32 s4, 0x7f
                                        ; implicit-def: $sgpr10
	s_nop 7
	s_nop 1
	flat_store_dwordx4 v[10:11], a[0:3] offset:128
	flat_load_dwordx4 v[12:15], v[0:1] offset:8
	s_nop 0
	flat_load_dwordx2 v[10:11], v[0:1] offset:32
	s_waitcnt vmcnt(0) lgkmcnt(0)
	flat_load_dwordx4 v[6:9], v[12:13] offset:64
	flat_load_dwordx4 v[2:5], v[14:15] offset:32
	s_waitcnt vmcnt(0) lgkmcnt(0)
	v_cmp_gt_i16_sdwa s[6:7], v6, s4 src0_sel:BYTE_0 src1_sel:DWORD
	s_mov_b64 s[4:5], 0
	s_and_saveexec_b64 s[8:9], s[6:7]
	s_xor_b64 s[6:7], exec, s[8:9]
	s_cbranch_execnz .LBB5_3201
; %bb.1153:
	s_or_saveexec_b64 s[6:7], s[6:7]
	v_mov_b32_e32 v12, s10
	s_xor_b64 exec, exec, s[6:7]
	s_cbranch_execnz .LBB5_3204
.LBB5_1154:
	s_or_b64 exec, exec, s[6:7]
	s_and_saveexec_b64 s[6:7], s[4:5]
	s_cbranch_execz .LBB5_1156
.LBB5_1155:
	v_and_b32_e32 v12, 7, v6
	v_ffbh_u32_e32 v14, v12
	v_min_u32_e32 v14, 32, v14
	v_lshrrev_b16_e32 v13, 3, v6
	v_subrev_u32_e32 v15, 28, v14
	v_and_b32_e32 v13, 15, v13
	v_lshlrev_b32_e32 v15, v15, v6
	v_sub_u32_e32 v14, 29, v14
	v_and_b32_e32 v15, 7, v15
	v_cmp_eq_u16_e32 vcc, 0, v13
	v_cndmask_b32_e32 v12, v12, v15, vcc
	v_cndmask_b32_e32 v13, v13, v14, vcc
	v_lshlrev_b32_e32 v14, 24, v6
	v_mov_b32_e32 v15, 0x3b800000
	v_lshlrev_b32_e32 v12, 20, v12
	v_and_b32_e32 v14, 0x80000000, v14
	v_lshl_add_u32 v13, v13, 23, v15
	v_or3_b32 v12, v14, v13, v12
.LBB5_1156:
	s_or_b64 exec, exec, s[6:7]
	s_movk_i32 s4, 0x7f
	v_cmp_gt_i16_sdwa s[6:7], v2, s4 src0_sel:BYTE_0 src1_sel:DWORD
	s_mov_b64 s[4:5], 0
                                        ; implicit-def: $sgpr10
	s_and_saveexec_b64 s[8:9], s[6:7]
	s_xor_b64 s[6:7], exec, s[8:9]
	s_cbranch_execnz .LBB5_3205
; %bb.1157:
	s_or_saveexec_b64 s[6:7], s[6:7]
	v_mov_b32_e32 v13, s10
	s_xor_b64 exec, exec, s[6:7]
	s_cbranch_execnz .LBB5_3208
.LBB5_1158:
	s_or_b64 exec, exec, s[6:7]
	s_and_saveexec_b64 s[6:7], s[4:5]
	s_cbranch_execz .LBB5_1160
.LBB5_1159:
	v_and_b32_e32 v13, 7, v2
	v_ffbh_u32_e32 v15, v13
	v_min_u32_e32 v15, 32, v15
	v_lshrrev_b16_e32 v14, 3, v2
	v_subrev_u32_e32 v16, 28, v15
	v_and_b32_e32 v14, 15, v14
	v_lshlrev_b32_e32 v16, v16, v2
	v_sub_u32_e32 v15, 29, v15
	v_and_b32_e32 v16, 7, v16
	v_cmp_eq_u16_e32 vcc, 0, v14
	v_cndmask_b32_e32 v13, v13, v16, vcc
	v_cndmask_b32_e32 v14, v14, v15, vcc
	v_lshlrev_b32_e32 v15, 24, v2
	v_mov_b32_e32 v16, 0x3b800000
	v_lshlrev_b32_e32 v13, 20, v13
	v_and_b32_e32 v15, 0x80000000, v15
	v_lshl_add_u32 v14, v14, 23, v16
	v_or3_b32 v13, v15, v14, v13
.LBB5_1160:
	s_or_b64 exec, exec, s[6:7]
	flat_load_dwordx4 a[0:3], v[10:11] offset:144
	s_movk_i32 s4, 0x7f
                                        ; implicit-def: $sgpr10
	s_waitcnt vmcnt(0) lgkmcnt(0)
	v_mfma_f32_16x16x4f32 a[0:3], v12, v13, a[0:3]
	v_lshrrev_b32_e32 v13, 8, v6
	v_cmp_gt_i16_sdwa s[6:7], v13, s4 src0_sel:BYTE_0 src1_sel:DWORD
	s_mov_b64 s[4:5], 0
	s_and_saveexec_b64 s[8:9], s[6:7]
	s_xor_b64 s[6:7], exec, s[8:9]
	s_cbranch_execnz .LBB5_3209
; %bb.1161:
	s_or_saveexec_b64 s[6:7], s[6:7]
	v_mov_b32_e32 v12, s10
	s_xor_b64 exec, exec, s[6:7]
	s_cbranch_execnz .LBB5_3212
.LBB5_1162:
	s_or_b64 exec, exec, s[6:7]
	s_and_saveexec_b64 s[6:7], s[4:5]
	s_cbranch_execz .LBB5_1164
.LBB5_1163:
	v_bfe_u32 v12, v6, 8, 3
	v_ffbh_u32_e32 v15, v12
	v_min_u32_e32 v15, 32, v15
	v_lshrrev_b16_e32 v14, 3, v13
	v_subrev_u32_e32 v16, 28, v15
	v_and_b32_e32 v14, 15, v14
	v_lshlrev_b32_e32 v13, v16, v13
	v_sub_u32_e32 v15, 29, v15
	v_and_b32_e32 v13, 7, v13
	v_cmp_eq_u16_e32 vcc, 0, v14
	v_cndmask_b32_e32 v12, v12, v13, vcc
	v_cndmask_b32_e32 v13, v14, v15, vcc
	v_lshlrev_b32_e32 v14, 16, v6
	v_mov_b32_e32 v15, 0x3b800000
	v_lshlrev_b32_e32 v12, 20, v12
	v_and_b32_e32 v14, 0x80000000, v14
	v_lshl_add_u32 v13, v13, 23, v15
	v_or3_b32 v12, v14, v13, v12
.LBB5_1164:
	s_or_b64 exec, exec, s[6:7]
	v_lshrrev_b32_e32 v13, 8, v2
	s_movk_i32 s4, 0x7f
	v_cmp_gt_i16_sdwa s[6:7], v13, s4 src0_sel:BYTE_0 src1_sel:DWORD
	s_mov_b64 s[4:5], 0
                                        ; implicit-def: $sgpr10
	s_and_saveexec_b64 s[8:9], s[6:7]
	s_xor_b64 s[6:7], exec, s[8:9]
	s_cbranch_execnz .LBB5_3213
; %bb.1165:
	s_or_saveexec_b64 s[6:7], s[6:7]
	v_mov_b32_e32 v14, s10
	s_xor_b64 exec, exec, s[6:7]
	s_cbranch_execnz .LBB5_3216
.LBB5_1166:
	s_or_b64 exec, exec, s[6:7]
	s_and_saveexec_b64 s[6:7], s[4:5]
	s_cbranch_execz .LBB5_1168
.LBB5_1167:
	v_bfe_u32 v14, v2, 8, 3
	v_ffbh_u32_e32 v16, v14
	v_min_u32_e32 v16, 32, v16
	v_lshrrev_b16_e32 v15, 3, v13
	v_subrev_u32_e32 v17, 28, v16
	v_and_b32_e32 v15, 15, v15
	v_lshlrev_b32_e32 v13, v17, v13
	v_sub_u32_e32 v16, 29, v16
	v_and_b32_e32 v13, 7, v13
	v_cmp_eq_u16_e32 vcc, 0, v15
	v_cndmask_b32_e32 v13, v14, v13, vcc
	v_cndmask_b32_e32 v14, v15, v16, vcc
	v_lshlrev_b32_e32 v15, 16, v2
	v_mov_b32_e32 v16, 0x3b800000
	v_lshlrev_b32_e32 v13, 20, v13
	v_and_b32_e32 v15, 0x80000000, v15
	v_lshl_add_u32 v14, v14, 23, v16
	v_or3_b32 v14, v15, v14, v13
.LBB5_1168:
	s_or_b64 exec, exec, s[6:7]
	s_nop 0
	v_mfma_f32_16x16x4f32 a[0:3], v12, v14, a[0:3]
	s_movk_i32 s4, 0xff
	v_and_b32_sdwa v13, v6, s4 dst_sel:DWORD dst_unused:UNUSED_PAD src0_sel:WORD_1 src1_sel:DWORD
	s_movk_i32 s4, 0x7f
	v_cmp_lt_i16_e32 vcc, s4, v13
	s_mov_b64 s[4:5], 0
                                        ; implicit-def: $sgpr10
	s_and_saveexec_b64 s[6:7], vcc
	s_xor_b64 s[6:7], exec, s[6:7]
	s_cbranch_execnz .LBB5_3217
; %bb.1169:
	s_or_saveexec_b64 s[6:7], s[6:7]
	v_mov_b32_e32 v12, s10
	s_xor_b64 exec, exec, s[6:7]
	s_cbranch_execnz .LBB5_3220
.LBB5_1170:
	s_or_b64 exec, exec, s[6:7]
	s_and_saveexec_b64 s[6:7], s[4:5]
	s_cbranch_execz .LBB5_1172
.LBB5_1171:
	v_bfe_u32 v12, v6, 16, 3
	v_ffbh_u32_e32 v15, v12
	v_min_u32_e32 v15, 32, v15
	v_lshrrev_b32_e32 v13, 19, v6
	v_subrev_u32_e32 v16, 28, v15
	v_and_b32_e32 v13, 15, v13
	v_lshlrev_b32_sdwa v16, v16, v6 dst_sel:DWORD dst_unused:UNUSED_PAD src0_sel:DWORD src1_sel:WORD_1
	v_bfe_u32 v14, v6, 19, 4
	v_sub_u32_e32 v15, 29, v15
	v_and_b32_e32 v16, 7, v16
	v_cmp_eq_u16_e32 vcc, 0, v13
	v_cndmask_b32_e32 v12, v12, v16, vcc
	v_cndmask_b32_e32 v13, v14, v15, vcc
	v_lshlrev_b32_e32 v14, 8, v6
	v_mov_b32_e32 v15, 0x3b800000
	v_lshlrev_b32_e32 v12, 20, v12
	v_and_b32_e32 v14, 0x80000000, v14
	v_lshl_add_u32 v13, v13, 23, v15
	v_or3_b32 v12, v14, v13, v12
.LBB5_1172:
	s_or_b64 exec, exec, s[6:7]
	s_movk_i32 s4, 0xff
	v_and_b32_sdwa v13, v2, s4 dst_sel:DWORD dst_unused:UNUSED_PAD src0_sel:WORD_1 src1_sel:DWORD
	s_movk_i32 s4, 0x7f
	v_cmp_lt_i16_e32 vcc, s4, v13
	s_mov_b64 s[4:5], 0
                                        ; implicit-def: $sgpr10
	s_and_saveexec_b64 s[6:7], vcc
	s_xor_b64 s[6:7], exec, s[6:7]
	s_cbranch_execnz .LBB5_3221
; %bb.1173:
	s_or_saveexec_b64 s[6:7], s[6:7]
	v_mov_b32_e32 v14, s10
	s_xor_b64 exec, exec, s[6:7]
	s_cbranch_execnz .LBB5_3224
.LBB5_1174:
	s_or_b64 exec, exec, s[6:7]
	s_and_saveexec_b64 s[6:7], s[4:5]
	s_cbranch_execz .LBB5_1176
.LBB5_1175:
	v_bfe_u32 v13, v2, 16, 3
	v_ffbh_u32_e32 v16, v13
	v_min_u32_e32 v16, 32, v16
	v_lshrrev_b32_e32 v14, 19, v2
	v_subrev_u32_e32 v17, 28, v16
	v_and_b32_e32 v14, 15, v14
	v_lshlrev_b32_sdwa v17, v17, v2 dst_sel:DWORD dst_unused:UNUSED_PAD src0_sel:DWORD src1_sel:WORD_1
	v_bfe_u32 v15, v2, 19, 4
	v_sub_u32_e32 v16, 29, v16
	v_and_b32_e32 v17, 7, v17
	v_cmp_eq_u16_e32 vcc, 0, v14
	v_cndmask_b32_e32 v13, v13, v17, vcc
	v_cndmask_b32_e32 v14, v15, v16, vcc
	v_lshlrev_b32_e32 v15, 8, v2
	v_mov_b32_e32 v16, 0x3b800000
	v_lshlrev_b32_e32 v13, 20, v13
	v_and_b32_e32 v15, 0x80000000, v15
	v_lshl_add_u32 v14, v14, 23, v16
	v_or3_b32 v14, v15, v14, v13
.LBB5_1176:
	s_or_b64 exec, exec, s[6:7]
	s_nop 0
	v_mfma_f32_16x16x4f32 a[0:3], v12, v14, a[0:3]
	s_movk_i32 s4, 0x7f
	v_cmp_gt_i16_sdwa s[6:7], v6, s4 src0_sel:BYTE_3 src1_sel:DWORD
	s_mov_b64 s[4:5], 0
                                        ; implicit-def: $sgpr10
	s_and_saveexec_b64 s[8:9], s[6:7]
	s_xor_b64 s[6:7], exec, s[8:9]
	s_cbranch_execnz .LBB5_3225
; %bb.1177:
	s_or_saveexec_b64 s[6:7], s[6:7]
	v_mov_b32_e32 v12, s10
	s_xor_b64 exec, exec, s[6:7]
	s_cbranch_execnz .LBB5_3228
.LBB5_1178:
	s_or_b64 exec, exec, s[6:7]
	s_and_saveexec_b64 s[6:7], s[4:5]
	s_cbranch_execz .LBB5_1180
.LBB5_1179:
	v_bfe_u32 v12, v6, 24, 3
	v_ffbh_u32_e32 v16, v12
	v_min_u32_e32 v16, 32, v16
	v_lshrrev_b32_e32 v14, 27, v6
	v_subrev_u32_e32 v17, 28, v16
	v_and_b32_e32 v13, 0x80000000, v6
	v_and_b32_e32 v14, 15, v14
	v_bfe_u32 v15, v6, 27, 4
	v_lshlrev_b32_sdwa v6, v17, v6 dst_sel:DWORD dst_unused:UNUSED_PAD src0_sel:DWORD src1_sel:BYTE_3
	v_sub_u32_e32 v16, 29, v16
	v_and_b32_e32 v6, 7, v6
	v_cmp_eq_u16_e32 vcc, 0, v14
	v_cndmask_b32_e32 v6, v12, v6, vcc
	v_cndmask_b32_e32 v12, v15, v16, vcc
	v_mov_b32_e32 v14, 0x3b800000
	v_lshlrev_b32_e32 v6, 20, v6
	v_lshl_add_u32 v12, v12, 23, v14
	v_or3_b32 v12, v13, v12, v6
.LBB5_1180:
	s_or_b64 exec, exec, s[6:7]
	s_movk_i32 s4, 0x7f
	v_cmp_gt_i16_sdwa s[6:7], v2, s4 src0_sel:BYTE_3 src1_sel:DWORD
	s_mov_b64 s[4:5], 0
                                        ; implicit-def: $sgpr10
	s_and_saveexec_b64 s[8:9], s[6:7]
	s_xor_b64 s[6:7], exec, s[8:9]
	s_cbranch_execnz .LBB5_3229
; %bb.1181:
	s_or_saveexec_b64 s[6:7], s[6:7]
	v_mov_b32_e32 v6, s10
	s_xor_b64 exec, exec, s[6:7]
	s_cbranch_execnz .LBB5_3232
.LBB5_1182:
	s_or_b64 exec, exec, s[6:7]
	s_and_saveexec_b64 s[6:7], s[4:5]
	s_cbranch_execz .LBB5_1184
.LBB5_1183:
	v_bfe_u32 v6, v2, 24, 3
	v_ffbh_u32_e32 v16, v6
	v_min_u32_e32 v16, 32, v16
	v_lshrrev_b32_e32 v14, 27, v2
	v_subrev_u32_e32 v17, 28, v16
	v_and_b32_e32 v13, 0x80000000, v2
	v_and_b32_e32 v14, 15, v14
	v_bfe_u32 v15, v2, 27, 4
	v_lshlrev_b32_sdwa v2, v17, v2 dst_sel:DWORD dst_unused:UNUSED_PAD src0_sel:DWORD src1_sel:BYTE_3
	v_sub_u32_e32 v16, 29, v16
	v_and_b32_e32 v2, 7, v2
	v_cmp_eq_u16_e32 vcc, 0, v14
	v_cndmask_b32_e32 v2, v6, v2, vcc
	v_cndmask_b32_e32 v6, v15, v16, vcc
	v_mov_b32_e32 v14, 0x3b800000
	v_lshlrev_b32_e32 v2, 20, v2
	v_lshl_add_u32 v6, v6, 23, v14
	v_or3_b32 v6, v13, v6, v2
.LBB5_1184:
	s_or_b64 exec, exec, s[6:7]
	s_nop 0
	v_mfma_f32_16x16x4f32 a[0:3], v12, v6, a[0:3]
	s_movk_i32 s4, 0x7f
	v_cmp_gt_i16_sdwa s[6:7], v7, s4 src0_sel:BYTE_0 src1_sel:DWORD
	s_mov_b64 s[4:5], 0
                                        ; implicit-def: $sgpr10
	s_and_saveexec_b64 s[8:9], s[6:7]
	s_xor_b64 s[6:7], exec, s[8:9]
	s_cbranch_execnz .LBB5_3233
; %bb.1185:
	s_or_saveexec_b64 s[6:7], s[6:7]
	v_mov_b32_e32 v2, s10
	s_xor_b64 exec, exec, s[6:7]
	s_cbranch_execnz .LBB5_3236
.LBB5_1186:
	s_or_b64 exec, exec, s[6:7]
	s_and_saveexec_b64 s[6:7], s[4:5]
	s_cbranch_execz .LBB5_1188
.LBB5_1187:
	v_and_b32_e32 v2, 7, v7
	v_ffbh_u32_e32 v12, v2
	v_min_u32_e32 v12, 32, v12
	v_lshrrev_b16_e32 v6, 3, v7
	v_subrev_u32_e32 v13, 28, v12
	v_and_b32_e32 v6, 15, v6
	v_lshlrev_b32_e32 v13, v13, v7
	v_sub_u32_e32 v12, 29, v12
	v_and_b32_e32 v13, 7, v13
	v_cmp_eq_u16_e32 vcc, 0, v6
	v_cndmask_b32_e32 v2, v2, v13, vcc
	v_cndmask_b32_e32 v6, v6, v12, vcc
	v_lshlrev_b32_e32 v12, 24, v7
	v_mov_b32_e32 v13, 0x3b800000
	v_lshlrev_b32_e32 v2, 20, v2
	v_and_b32_e32 v12, 0x80000000, v12
	v_lshl_add_u32 v6, v6, 23, v13
	v_or3_b32 v2, v12, v6, v2
.LBB5_1188:
	s_or_b64 exec, exec, s[6:7]
	s_movk_i32 s4, 0x7f
	v_cmp_gt_i16_sdwa s[6:7], v3, s4 src0_sel:BYTE_0 src1_sel:DWORD
	s_mov_b64 s[4:5], 0
                                        ; implicit-def: $sgpr10
	s_and_saveexec_b64 s[8:9], s[6:7]
	s_xor_b64 s[6:7], exec, s[8:9]
	s_cbranch_execnz .LBB5_3237
; %bb.1189:
	s_or_saveexec_b64 s[6:7], s[6:7]
	v_mov_b32_e32 v6, s10
	s_xor_b64 exec, exec, s[6:7]
	s_cbranch_execnz .LBB5_3240
.LBB5_1190:
	s_or_b64 exec, exec, s[6:7]
	s_and_saveexec_b64 s[6:7], s[4:5]
	s_cbranch_execz .LBB5_1192
.LBB5_1191:
	v_and_b32_e32 v6, 7, v3
	v_ffbh_u32_e32 v13, v6
	v_min_u32_e32 v13, 32, v13
	v_lshrrev_b16_e32 v12, 3, v3
	v_subrev_u32_e32 v14, 28, v13
	v_and_b32_e32 v12, 15, v12
	v_lshlrev_b32_e32 v14, v14, v3
	v_sub_u32_e32 v13, 29, v13
	v_and_b32_e32 v14, 7, v14
	v_cmp_eq_u16_e32 vcc, 0, v12
	v_cndmask_b32_e32 v6, v6, v14, vcc
	v_cndmask_b32_e32 v12, v12, v13, vcc
	v_lshlrev_b32_e32 v13, 24, v3
	v_mov_b32_e32 v14, 0x3b800000
	v_lshlrev_b32_e32 v6, 20, v6
	v_and_b32_e32 v13, 0x80000000, v13
	v_lshl_add_u32 v12, v12, 23, v14
	v_or3_b32 v6, v13, v12, v6
.LBB5_1192:
	s_or_b64 exec, exec, s[6:7]
	s_nop 0
	v_mfma_f32_16x16x4f32 a[0:3], v2, v6, a[0:3]
	v_lshrrev_b32_e32 v6, 8, v7
	s_movk_i32 s4, 0x7f
	v_cmp_gt_i16_sdwa s[6:7], v6, s4 src0_sel:BYTE_0 src1_sel:DWORD
	s_mov_b64 s[4:5], 0
                                        ; implicit-def: $sgpr10
	s_and_saveexec_b64 s[8:9], s[6:7]
	s_xor_b64 s[6:7], exec, s[8:9]
	s_cbranch_execnz .LBB5_3241
; %bb.1193:
	s_or_saveexec_b64 s[6:7], s[6:7]
	v_mov_b32_e32 v2, s10
	s_xor_b64 exec, exec, s[6:7]
	s_cbranch_execnz .LBB5_3244
.LBB5_1194:
	s_or_b64 exec, exec, s[6:7]
	s_and_saveexec_b64 s[6:7], s[4:5]
	s_cbranch_execz .LBB5_1196
.LBB5_1195:
	v_bfe_u32 v2, v7, 8, 3
	v_ffbh_u32_e32 v13, v2
	v_min_u32_e32 v13, 32, v13
	v_lshrrev_b16_e32 v12, 3, v6
	v_subrev_u32_e32 v14, 28, v13
	v_and_b32_e32 v12, 15, v12
	v_lshlrev_b32_e32 v6, v14, v6
	v_sub_u32_e32 v13, 29, v13
	v_and_b32_e32 v6, 7, v6
	v_cmp_eq_u16_e32 vcc, 0, v12
	v_cndmask_b32_e32 v2, v2, v6, vcc
	v_cndmask_b32_e32 v6, v12, v13, vcc
	v_lshlrev_b32_e32 v12, 16, v7
	v_mov_b32_e32 v13, 0x3b800000
	v_lshlrev_b32_e32 v2, 20, v2
	v_and_b32_e32 v12, 0x80000000, v12
	v_lshl_add_u32 v6, v6, 23, v13
	v_or3_b32 v2, v12, v6, v2
.LBB5_1196:
	s_or_b64 exec, exec, s[6:7]
	v_lshrrev_b32_e32 v6, 8, v3
	s_movk_i32 s4, 0x7f
	v_cmp_gt_i16_sdwa s[6:7], v6, s4 src0_sel:BYTE_0 src1_sel:DWORD
	s_mov_b64 s[4:5], 0
                                        ; implicit-def: $sgpr10
	s_and_saveexec_b64 s[8:9], s[6:7]
	s_xor_b64 s[6:7], exec, s[8:9]
	s_cbranch_execnz .LBB5_3245
; %bb.1197:
	s_or_saveexec_b64 s[6:7], s[6:7]
	v_mov_b32_e32 v12, s10
	s_xor_b64 exec, exec, s[6:7]
	s_cbranch_execnz .LBB5_3248
.LBB5_1198:
	s_or_b64 exec, exec, s[6:7]
	s_and_saveexec_b64 s[6:7], s[4:5]
	s_cbranch_execz .LBB5_1200
.LBB5_1199:
	v_bfe_u32 v12, v3, 8, 3
	v_ffbh_u32_e32 v14, v12
	v_min_u32_e32 v14, 32, v14
	v_lshrrev_b16_e32 v13, 3, v6
	v_subrev_u32_e32 v15, 28, v14
	v_and_b32_e32 v13, 15, v13
	v_lshlrev_b32_e32 v6, v15, v6
	v_sub_u32_e32 v14, 29, v14
	v_and_b32_e32 v6, 7, v6
	v_cmp_eq_u16_e32 vcc, 0, v13
	v_cndmask_b32_e32 v6, v12, v6, vcc
	v_cndmask_b32_e32 v12, v13, v14, vcc
	v_lshlrev_b32_e32 v13, 16, v3
	v_mov_b32_e32 v14, 0x3b800000
	v_lshlrev_b32_e32 v6, 20, v6
	v_and_b32_e32 v13, 0x80000000, v13
	v_lshl_add_u32 v12, v12, 23, v14
	v_or3_b32 v12, v13, v12, v6
.LBB5_1200:
	s_or_b64 exec, exec, s[6:7]
	s_nop 0
	v_mfma_f32_16x16x4f32 a[0:3], v2, v12, a[0:3]
	s_movk_i32 s4, 0xff
	v_and_b32_sdwa v6, v7, s4 dst_sel:DWORD dst_unused:UNUSED_PAD src0_sel:WORD_1 src1_sel:DWORD
	s_movk_i32 s4, 0x7f
	v_cmp_lt_i16_e32 vcc, s4, v6
	s_mov_b64 s[4:5], 0
                                        ; implicit-def: $sgpr10
	s_and_saveexec_b64 s[6:7], vcc
	s_xor_b64 s[6:7], exec, s[6:7]
	s_cbranch_execnz .LBB5_3249
; %bb.1201:
	s_or_saveexec_b64 s[6:7], s[6:7]
	v_mov_b32_e32 v2, s10
	s_xor_b64 exec, exec, s[6:7]
	s_cbranch_execnz .LBB5_3252
.LBB5_1202:
	s_or_b64 exec, exec, s[6:7]
	s_and_saveexec_b64 s[6:7], s[4:5]
	s_cbranch_execz .LBB5_1204
.LBB5_1203:
	v_bfe_u32 v2, v7, 16, 3
	v_ffbh_u32_e32 v13, v2
	v_min_u32_e32 v13, 32, v13
	v_lshrrev_b32_e32 v6, 19, v7
	v_subrev_u32_e32 v14, 28, v13
	v_and_b32_e32 v6, 15, v6
	v_lshlrev_b32_sdwa v14, v14, v7 dst_sel:DWORD dst_unused:UNUSED_PAD src0_sel:DWORD src1_sel:WORD_1
	v_bfe_u32 v12, v7, 19, 4
	v_sub_u32_e32 v13, 29, v13
	v_and_b32_e32 v14, 7, v14
	v_cmp_eq_u16_e32 vcc, 0, v6
	v_cndmask_b32_e32 v2, v2, v14, vcc
	v_cndmask_b32_e32 v6, v12, v13, vcc
	v_lshlrev_b32_e32 v12, 8, v7
	v_mov_b32_e32 v13, 0x3b800000
	v_lshlrev_b32_e32 v2, 20, v2
	v_and_b32_e32 v12, 0x80000000, v12
	v_lshl_add_u32 v6, v6, 23, v13
	v_or3_b32 v2, v12, v6, v2
.LBB5_1204:
	s_or_b64 exec, exec, s[6:7]
	s_movk_i32 s4, 0xff
	v_and_b32_sdwa v6, v3, s4 dst_sel:DWORD dst_unused:UNUSED_PAD src0_sel:WORD_1 src1_sel:DWORD
	s_movk_i32 s4, 0x7f
	v_cmp_lt_i16_e32 vcc, s4, v6
	s_mov_b64 s[4:5], 0
                                        ; implicit-def: $sgpr10
	s_and_saveexec_b64 s[6:7], vcc
	s_xor_b64 s[6:7], exec, s[6:7]
	s_cbranch_execnz .LBB5_3253
; %bb.1205:
	s_or_saveexec_b64 s[6:7], s[6:7]
	v_mov_b32_e32 v12, s10
	s_xor_b64 exec, exec, s[6:7]
	s_cbranch_execnz .LBB5_3256
.LBB5_1206:
	s_or_b64 exec, exec, s[6:7]
	s_and_saveexec_b64 s[6:7], s[4:5]
	s_cbranch_execz .LBB5_1208
.LBB5_1207:
	v_bfe_u32 v6, v3, 16, 3
	v_ffbh_u32_e32 v14, v6
	v_min_u32_e32 v14, 32, v14
	v_lshrrev_b32_e32 v12, 19, v3
	v_subrev_u32_e32 v15, 28, v14
	v_and_b32_e32 v12, 15, v12
	v_lshlrev_b32_sdwa v15, v15, v3 dst_sel:DWORD dst_unused:UNUSED_PAD src0_sel:DWORD src1_sel:WORD_1
	v_bfe_u32 v13, v3, 19, 4
	v_sub_u32_e32 v14, 29, v14
	v_and_b32_e32 v15, 7, v15
	v_cmp_eq_u16_e32 vcc, 0, v12
	v_cndmask_b32_e32 v6, v6, v15, vcc
	v_cndmask_b32_e32 v12, v13, v14, vcc
	v_lshlrev_b32_e32 v13, 8, v3
	v_mov_b32_e32 v14, 0x3b800000
	v_lshlrev_b32_e32 v6, 20, v6
	v_and_b32_e32 v13, 0x80000000, v13
	v_lshl_add_u32 v12, v12, 23, v14
	v_or3_b32 v12, v13, v12, v6
.LBB5_1208:
	s_or_b64 exec, exec, s[6:7]
	s_nop 0
	v_mfma_f32_16x16x4f32 a[0:3], v2, v12, a[0:3]
	s_movk_i32 s4, 0x7f
	v_cmp_gt_i16_sdwa s[6:7], v7, s4 src0_sel:BYTE_3 src1_sel:DWORD
	s_mov_b64 s[4:5], 0
                                        ; implicit-def: $sgpr10
	s_and_saveexec_b64 s[8:9], s[6:7]
	s_xor_b64 s[6:7], exec, s[8:9]
	s_cbranch_execnz .LBB5_3257
; %bb.1209:
	s_or_saveexec_b64 s[6:7], s[6:7]
	v_mov_b32_e32 v2, s10
	s_xor_b64 exec, exec, s[6:7]
	s_cbranch_execnz .LBB5_3260
.LBB5_1210:
	s_or_b64 exec, exec, s[6:7]
	s_and_saveexec_b64 s[6:7], s[4:5]
	s_cbranch_execz .LBB5_1212
.LBB5_1211:
	v_bfe_u32 v2, v7, 24, 3
	v_ffbh_u32_e32 v14, v2
	v_min_u32_e32 v14, 32, v14
	v_lshrrev_b32_e32 v12, 27, v7
	v_subrev_u32_e32 v15, 28, v14
	v_and_b32_e32 v6, 0x80000000, v7
	v_and_b32_e32 v12, 15, v12
	v_bfe_u32 v13, v7, 27, 4
	v_lshlrev_b32_sdwa v7, v15, v7 dst_sel:DWORD dst_unused:UNUSED_PAD src0_sel:DWORD src1_sel:BYTE_3
	v_sub_u32_e32 v14, 29, v14
	v_and_b32_e32 v7, 7, v7
	v_cmp_eq_u16_e32 vcc, 0, v12
	v_cndmask_b32_e32 v2, v2, v7, vcc
	v_cndmask_b32_e32 v7, v13, v14, vcc
	v_mov_b32_e32 v12, 0x3b800000
	v_lshlrev_b32_e32 v2, 20, v2
	v_lshl_add_u32 v7, v7, 23, v12
	v_or3_b32 v2, v6, v7, v2
.LBB5_1212:
	s_or_b64 exec, exec, s[6:7]
	s_movk_i32 s4, 0x7f
	v_cmp_gt_i16_sdwa s[6:7], v3, s4 src0_sel:BYTE_3 src1_sel:DWORD
	s_mov_b64 s[4:5], 0
                                        ; implicit-def: $sgpr10
	s_and_saveexec_b64 s[8:9], s[6:7]
	s_xor_b64 s[6:7], exec, s[8:9]
	s_cbranch_execnz .LBB5_3261
; %bb.1213:
	s_or_saveexec_b64 s[6:7], s[6:7]
	v_mov_b32_e32 v6, s10
	s_xor_b64 exec, exec, s[6:7]
	s_cbranch_execnz .LBB5_3264
.LBB5_1214:
	s_or_b64 exec, exec, s[6:7]
	s_and_saveexec_b64 s[6:7], s[4:5]
	s_cbranch_execz .LBB5_1216
.LBB5_1215:
	v_bfe_u32 v6, v3, 24, 3
	v_ffbh_u32_e32 v14, v6
	v_min_u32_e32 v14, 32, v14
	v_lshrrev_b32_e32 v12, 27, v3
	v_subrev_u32_e32 v15, 28, v14
	v_and_b32_e32 v7, 0x80000000, v3
	v_and_b32_e32 v12, 15, v12
	v_bfe_u32 v13, v3, 27, 4
	v_lshlrev_b32_sdwa v3, v15, v3 dst_sel:DWORD dst_unused:UNUSED_PAD src0_sel:DWORD src1_sel:BYTE_3
	v_sub_u32_e32 v14, 29, v14
	v_and_b32_e32 v3, 7, v3
	v_cmp_eq_u16_e32 vcc, 0, v12
	v_cndmask_b32_e32 v3, v6, v3, vcc
	v_cndmask_b32_e32 v6, v13, v14, vcc
	v_mov_b32_e32 v12, 0x3b800000
	v_lshlrev_b32_e32 v3, 20, v3
	v_lshl_add_u32 v6, v6, 23, v12
	v_or3_b32 v6, v7, v6, v3
.LBB5_1216:
	s_or_b64 exec, exec, s[6:7]
	s_nop 0
	v_mfma_f32_16x16x4f32 a[0:3], v2, v6, a[0:3]
	s_movk_i32 s4, 0x7f
	v_cmp_gt_i16_sdwa s[6:7], v8, s4 src0_sel:BYTE_0 src1_sel:DWORD
	s_mov_b64 s[4:5], 0
                                        ; implicit-def: $sgpr10
	s_and_saveexec_b64 s[8:9], s[6:7]
	s_xor_b64 s[6:7], exec, s[8:9]
	s_cbranch_execnz .LBB5_3265
; %bb.1217:
	s_or_saveexec_b64 s[6:7], s[6:7]
	v_mov_b32_e32 v2, s10
	s_xor_b64 exec, exec, s[6:7]
	s_cbranch_execnz .LBB5_3268
.LBB5_1218:
	s_or_b64 exec, exec, s[6:7]
	s_and_saveexec_b64 s[6:7], s[4:5]
	s_cbranch_execz .LBB5_1220
.LBB5_1219:
	v_and_b32_e32 v2, 7, v8
	v_ffbh_u32_e32 v6, v2
	v_min_u32_e32 v6, 32, v6
	v_lshrrev_b16_e32 v3, 3, v8
	v_subrev_u32_e32 v7, 28, v6
	v_and_b32_e32 v3, 15, v3
	v_lshlrev_b32_e32 v7, v7, v8
	v_sub_u32_e32 v6, 29, v6
	v_and_b32_e32 v7, 7, v7
	v_cmp_eq_u16_e32 vcc, 0, v3
	v_cndmask_b32_e32 v2, v2, v7, vcc
	v_cndmask_b32_e32 v3, v3, v6, vcc
	v_lshlrev_b32_e32 v6, 24, v8
	v_mov_b32_e32 v7, 0x3b800000
	v_lshlrev_b32_e32 v2, 20, v2
	v_and_b32_e32 v6, 0x80000000, v6
	v_lshl_add_u32 v3, v3, 23, v7
	v_or3_b32 v2, v6, v3, v2
.LBB5_1220:
	s_or_b64 exec, exec, s[6:7]
	s_movk_i32 s4, 0x7f
	v_cmp_gt_i16_sdwa s[6:7], v4, s4 src0_sel:BYTE_0 src1_sel:DWORD
	s_mov_b64 s[4:5], 0
                                        ; implicit-def: $sgpr10
	s_and_saveexec_b64 s[8:9], s[6:7]
	s_xor_b64 s[6:7], exec, s[8:9]
	s_cbranch_execnz .LBB5_3269
; %bb.1221:
	s_or_saveexec_b64 s[6:7], s[6:7]
	v_mov_b32_e32 v3, s10
	s_xor_b64 exec, exec, s[6:7]
	s_cbranch_execnz .LBB5_3272
.LBB5_1222:
	s_or_b64 exec, exec, s[6:7]
	s_and_saveexec_b64 s[6:7], s[4:5]
	s_cbranch_execz .LBB5_1224
.LBB5_1223:
	v_and_b32_e32 v3, 7, v4
	v_ffbh_u32_e32 v7, v3
	v_min_u32_e32 v7, 32, v7
	v_lshrrev_b16_e32 v6, 3, v4
	v_subrev_u32_e32 v12, 28, v7
	v_and_b32_e32 v6, 15, v6
	v_lshlrev_b32_e32 v12, v12, v4
	v_sub_u32_e32 v7, 29, v7
	v_and_b32_e32 v12, 7, v12
	v_cmp_eq_u16_e32 vcc, 0, v6
	v_cndmask_b32_e32 v3, v3, v12, vcc
	v_cndmask_b32_e32 v6, v6, v7, vcc
	v_lshlrev_b32_e32 v7, 24, v4
	v_mov_b32_e32 v12, 0x3b800000
	v_lshlrev_b32_e32 v3, 20, v3
	v_and_b32_e32 v7, 0x80000000, v7
	v_lshl_add_u32 v6, v6, 23, v12
	v_or3_b32 v3, v7, v6, v3
.LBB5_1224:
	s_or_b64 exec, exec, s[6:7]
	s_nop 0
	v_mfma_f32_16x16x4f32 a[0:3], v2, v3, a[0:3]
	v_lshrrev_b32_e32 v3, 8, v8
	s_movk_i32 s4, 0x7f
	v_cmp_gt_i16_sdwa s[6:7], v3, s4 src0_sel:BYTE_0 src1_sel:DWORD
	s_mov_b64 s[4:5], 0
                                        ; implicit-def: $sgpr10
	s_and_saveexec_b64 s[8:9], s[6:7]
	s_xor_b64 s[6:7], exec, s[8:9]
	s_cbranch_execnz .LBB5_3273
; %bb.1225:
	s_or_saveexec_b64 s[6:7], s[6:7]
	v_mov_b32_e32 v2, s10
	s_xor_b64 exec, exec, s[6:7]
	s_cbranch_execnz .LBB5_3276
.LBB5_1226:
	s_or_b64 exec, exec, s[6:7]
	s_and_saveexec_b64 s[6:7], s[4:5]
	s_cbranch_execz .LBB5_1228
.LBB5_1227:
	v_bfe_u32 v2, v8, 8, 3
	v_ffbh_u32_e32 v7, v2
	v_min_u32_e32 v7, 32, v7
	v_lshrrev_b16_e32 v6, 3, v3
	v_subrev_u32_e32 v12, 28, v7
	v_and_b32_e32 v6, 15, v6
	v_lshlrev_b32_e32 v3, v12, v3
	v_sub_u32_e32 v7, 29, v7
	v_and_b32_e32 v3, 7, v3
	v_cmp_eq_u16_e32 vcc, 0, v6
	v_cndmask_b32_e32 v2, v2, v3, vcc
	v_cndmask_b32_e32 v3, v6, v7, vcc
	v_lshlrev_b32_e32 v6, 16, v8
	v_mov_b32_e32 v7, 0x3b800000
	v_lshlrev_b32_e32 v2, 20, v2
	v_and_b32_e32 v6, 0x80000000, v6
	v_lshl_add_u32 v3, v3, 23, v7
	v_or3_b32 v2, v6, v3, v2
.LBB5_1228:
	s_or_b64 exec, exec, s[6:7]
	v_lshrrev_b32_e32 v3, 8, v4
	s_movk_i32 s4, 0x7f
	v_cmp_gt_i16_sdwa s[6:7], v3, s4 src0_sel:BYTE_0 src1_sel:DWORD
	s_mov_b64 s[4:5], 0
                                        ; implicit-def: $sgpr10
	s_and_saveexec_b64 s[8:9], s[6:7]
	s_xor_b64 s[6:7], exec, s[8:9]
	s_cbranch_execnz .LBB5_3277
; %bb.1229:
	s_or_saveexec_b64 s[6:7], s[6:7]
	v_mov_b32_e32 v6, s10
	s_xor_b64 exec, exec, s[6:7]
	s_cbranch_execnz .LBB5_3280
.LBB5_1230:
	s_or_b64 exec, exec, s[6:7]
	s_and_saveexec_b64 s[6:7], s[4:5]
	s_cbranch_execz .LBB5_1232
.LBB5_1231:
	v_bfe_u32 v6, v4, 8, 3
	v_ffbh_u32_e32 v12, v6
	v_min_u32_e32 v12, 32, v12
	v_lshrrev_b16_e32 v7, 3, v3
	v_subrev_u32_e32 v13, 28, v12
	v_and_b32_e32 v7, 15, v7
	v_lshlrev_b32_e32 v3, v13, v3
	v_sub_u32_e32 v12, 29, v12
	v_and_b32_e32 v3, 7, v3
	v_cmp_eq_u16_e32 vcc, 0, v7
	v_cndmask_b32_e32 v3, v6, v3, vcc
	v_cndmask_b32_e32 v6, v7, v12, vcc
	v_lshlrev_b32_e32 v7, 16, v4
	v_mov_b32_e32 v12, 0x3b800000
	v_lshlrev_b32_e32 v3, 20, v3
	v_and_b32_e32 v7, 0x80000000, v7
	v_lshl_add_u32 v6, v6, 23, v12
	v_or3_b32 v6, v7, v6, v3
.LBB5_1232:
	s_or_b64 exec, exec, s[6:7]
	s_nop 0
	v_mfma_f32_16x16x4f32 a[0:3], v2, v6, a[0:3]
	s_movk_i32 s4, 0xff
	v_and_b32_sdwa v3, v8, s4 dst_sel:DWORD dst_unused:UNUSED_PAD src0_sel:WORD_1 src1_sel:DWORD
	s_movk_i32 s4, 0x7f
	v_cmp_lt_i16_e32 vcc, s4, v3
	s_mov_b64 s[4:5], 0
                                        ; implicit-def: $sgpr10
	s_and_saveexec_b64 s[6:7], vcc
	s_xor_b64 s[6:7], exec, s[6:7]
	s_cbranch_execnz .LBB5_3281
; %bb.1233:
	s_or_saveexec_b64 s[6:7], s[6:7]
	v_mov_b32_e32 v2, s10
	s_xor_b64 exec, exec, s[6:7]
	s_cbranch_execnz .LBB5_3284
.LBB5_1234:
	s_or_b64 exec, exec, s[6:7]
	s_and_saveexec_b64 s[6:7], s[4:5]
	s_cbranch_execz .LBB5_1236
.LBB5_1235:
	v_bfe_u32 v2, v8, 16, 3
	v_ffbh_u32_e32 v7, v2
	v_min_u32_e32 v7, 32, v7
	v_lshrrev_b32_e32 v3, 19, v8
	v_subrev_u32_e32 v12, 28, v7
	v_and_b32_e32 v3, 15, v3
	v_lshlrev_b32_sdwa v12, v12, v8 dst_sel:DWORD dst_unused:UNUSED_PAD src0_sel:DWORD src1_sel:WORD_1
	v_bfe_u32 v6, v8, 19, 4
	v_sub_u32_e32 v7, 29, v7
	v_and_b32_e32 v12, 7, v12
	v_cmp_eq_u16_e32 vcc, 0, v3
	v_cndmask_b32_e32 v2, v2, v12, vcc
	v_cndmask_b32_e32 v3, v6, v7, vcc
	v_lshlrev_b32_e32 v6, 8, v8
	v_mov_b32_e32 v7, 0x3b800000
	v_lshlrev_b32_e32 v2, 20, v2
	v_and_b32_e32 v6, 0x80000000, v6
	v_lshl_add_u32 v3, v3, 23, v7
	v_or3_b32 v2, v6, v3, v2
.LBB5_1236:
	s_or_b64 exec, exec, s[6:7]
	s_movk_i32 s4, 0xff
	v_and_b32_sdwa v3, v4, s4 dst_sel:DWORD dst_unused:UNUSED_PAD src0_sel:WORD_1 src1_sel:DWORD
	s_movk_i32 s4, 0x7f
	v_cmp_lt_i16_e32 vcc, s4, v3
	s_mov_b64 s[4:5], 0
                                        ; implicit-def: $sgpr10
	s_and_saveexec_b64 s[6:7], vcc
	s_xor_b64 s[6:7], exec, s[6:7]
	s_cbranch_execnz .LBB5_3285
; %bb.1237:
	s_or_saveexec_b64 s[6:7], s[6:7]
	v_mov_b32_e32 v6, s10
	s_xor_b64 exec, exec, s[6:7]
	s_cbranch_execnz .LBB5_3288
.LBB5_1238:
	s_or_b64 exec, exec, s[6:7]
	s_and_saveexec_b64 s[6:7], s[4:5]
	s_cbranch_execz .LBB5_1240
.LBB5_1239:
	v_bfe_u32 v3, v4, 16, 3
	v_ffbh_u32_e32 v12, v3
	v_min_u32_e32 v12, 32, v12
	v_lshrrev_b32_e32 v6, 19, v4
	v_subrev_u32_e32 v13, 28, v12
	v_and_b32_e32 v6, 15, v6
	v_lshlrev_b32_sdwa v13, v13, v4 dst_sel:DWORD dst_unused:UNUSED_PAD src0_sel:DWORD src1_sel:WORD_1
	v_bfe_u32 v7, v4, 19, 4
	v_sub_u32_e32 v12, 29, v12
	v_and_b32_e32 v13, 7, v13
	v_cmp_eq_u16_e32 vcc, 0, v6
	v_cndmask_b32_e32 v3, v3, v13, vcc
	v_cndmask_b32_e32 v6, v7, v12, vcc
	v_lshlrev_b32_e32 v7, 8, v4
	v_mov_b32_e32 v12, 0x3b800000
	v_lshlrev_b32_e32 v3, 20, v3
	v_and_b32_e32 v7, 0x80000000, v7
	v_lshl_add_u32 v6, v6, 23, v12
	v_or3_b32 v6, v7, v6, v3
.LBB5_1240:
	s_or_b64 exec, exec, s[6:7]
	s_nop 0
	v_mfma_f32_16x16x4f32 a[0:3], v2, v6, a[0:3]
	s_movk_i32 s4, 0x7f
	v_cmp_gt_i16_sdwa s[6:7], v8, s4 src0_sel:BYTE_3 src1_sel:DWORD
	s_mov_b64 s[4:5], 0
                                        ; implicit-def: $sgpr10
	s_and_saveexec_b64 s[8:9], s[6:7]
	s_xor_b64 s[6:7], exec, s[8:9]
	s_cbranch_execnz .LBB5_3289
; %bb.1241:
	s_or_saveexec_b64 s[6:7], s[6:7]
	v_mov_b32_e32 v2, s10
	s_xor_b64 exec, exec, s[6:7]
	s_cbranch_execnz .LBB5_3292
.LBB5_1242:
	s_or_b64 exec, exec, s[6:7]
	s_and_saveexec_b64 s[6:7], s[4:5]
	s_cbranch_execz .LBB5_1244
.LBB5_1243:
	v_bfe_u32 v2, v8, 24, 3
	v_ffbh_u32_e32 v12, v2
	v_min_u32_e32 v12, 32, v12
	v_lshrrev_b32_e32 v6, 27, v8
	v_subrev_u32_e32 v13, 28, v12
	v_and_b32_e32 v3, 0x80000000, v8
	v_and_b32_e32 v6, 15, v6
	v_bfe_u32 v7, v8, 27, 4
	v_lshlrev_b32_sdwa v8, v13, v8 dst_sel:DWORD dst_unused:UNUSED_PAD src0_sel:DWORD src1_sel:BYTE_3
	v_sub_u32_e32 v12, 29, v12
	v_and_b32_e32 v8, 7, v8
	v_cmp_eq_u16_e32 vcc, 0, v6
	v_cndmask_b32_e32 v2, v2, v8, vcc
	v_cndmask_b32_e32 v6, v7, v12, vcc
	v_mov_b32_e32 v7, 0x3b800000
	v_lshlrev_b32_e32 v2, 20, v2
	v_lshl_add_u32 v6, v6, 23, v7
	v_or3_b32 v2, v3, v6, v2
.LBB5_1244:
	s_or_b64 exec, exec, s[6:7]
	s_movk_i32 s4, 0x7f
	v_cmp_gt_i16_sdwa s[6:7], v4, s4 src0_sel:BYTE_3 src1_sel:DWORD
	s_mov_b64 s[4:5], 0
                                        ; implicit-def: $sgpr10
	s_and_saveexec_b64 s[8:9], s[6:7]
	s_xor_b64 s[6:7], exec, s[8:9]
	s_cbranch_execnz .LBB5_3293
; %bb.1245:
	s_or_saveexec_b64 s[6:7], s[6:7]
	v_mov_b32_e32 v3, s10
	s_xor_b64 exec, exec, s[6:7]
	s_cbranch_execnz .LBB5_3296
.LBB5_1246:
	s_or_b64 exec, exec, s[6:7]
	s_and_saveexec_b64 s[6:7], s[4:5]
	s_cbranch_execz .LBB5_1248
.LBB5_1247:
	v_bfe_u32 v3, v4, 24, 3
	v_ffbh_u32_e32 v12, v3
	v_min_u32_e32 v12, 32, v12
	v_lshrrev_b32_e32 v7, 27, v4
	v_subrev_u32_e32 v13, 28, v12
	v_and_b32_e32 v6, 0x80000000, v4
	v_and_b32_e32 v7, 15, v7
	v_bfe_u32 v8, v4, 27, 4
	v_lshlrev_b32_sdwa v4, v13, v4 dst_sel:DWORD dst_unused:UNUSED_PAD src0_sel:DWORD src1_sel:BYTE_3
	v_sub_u32_e32 v12, 29, v12
	v_and_b32_e32 v4, 7, v4
	v_cmp_eq_u16_e32 vcc, 0, v7
	v_cndmask_b32_e32 v3, v3, v4, vcc
	v_cndmask_b32_e32 v4, v8, v12, vcc
	v_mov_b32_e32 v7, 0x3b800000
	v_lshlrev_b32_e32 v3, 20, v3
	v_lshl_add_u32 v4, v4, 23, v7
	v_or3_b32 v3, v6, v4, v3
.LBB5_1248:
	s_or_b64 exec, exec, s[6:7]
	s_nop 0
	v_mfma_f32_16x16x4f32 a[0:3], v2, v3, a[0:3]
	s_movk_i32 s4, 0x7f
	v_cmp_gt_i16_sdwa s[6:7], v9, s4 src0_sel:BYTE_0 src1_sel:DWORD
	s_mov_b64 s[4:5], 0
                                        ; implicit-def: $sgpr10
	s_and_saveexec_b64 s[8:9], s[6:7]
	s_xor_b64 s[6:7], exec, s[8:9]
	s_cbranch_execnz .LBB5_3297
; %bb.1249:
	s_or_saveexec_b64 s[6:7], s[6:7]
	v_mov_b32_e32 v2, s10
	s_xor_b64 exec, exec, s[6:7]
	s_cbranch_execnz .LBB5_3300
.LBB5_1250:
	s_or_b64 exec, exec, s[6:7]
	s_and_saveexec_b64 s[6:7], s[4:5]
	s_cbranch_execz .LBB5_1252
.LBB5_1251:
	v_mov_b32_e32 v2, 8
	v_and_b32_e32 v3, 7, v9
	v_lshrrev_b32_sdwa v2, v2, v9 dst_sel:BYTE_1 dst_unused:UNUSED_PAD src0_sel:DWORD src1_sel:DWORD
	v_ffbh_u32_e32 v4, v3
	v_or_b32_sdwa v2, v9, v2 dst_sel:DWORD dst_unused:UNUSED_PAD src0_sel:BYTE_0 src1_sel:DWORD
	v_min_u32_e32 v4, 32, v4
	v_lshrrev_b16_e32 v2, 3, v2
	v_subrev_u32_e32 v6, 28, v4
	v_and_b32_e32 v2, 15, v2
	v_lshlrev_b32_e32 v6, v6, v9
	v_sub_u32_e32 v4, 29, v4
	v_and_b32_e32 v6, 7, v6
	v_cmp_eq_u16_e32 vcc, 0, v2
	v_cndmask_b32_e32 v3, v3, v6, vcc
	v_cndmask_b32_e32 v2, v2, v4, vcc
	v_lshlrev_b32_e32 v4, 24, v9
	v_mov_b32_e32 v6, 0x3b800000
	v_lshlrev_b32_e32 v3, 20, v3
	v_and_b32_e32 v4, 0x80000000, v4
	v_lshl_add_u32 v2, v2, 23, v6
	v_or3_b32 v2, v4, v2, v3
.LBB5_1252:
	s_or_b64 exec, exec, s[6:7]
	s_movk_i32 s4, 0x7f
	v_cmp_gt_i16_sdwa s[6:7], v5, s4 src0_sel:BYTE_0 src1_sel:DWORD
	s_mov_b64 s[4:5], 0
                                        ; implicit-def: $sgpr10
	s_and_saveexec_b64 s[8:9], s[6:7]
	s_xor_b64 s[6:7], exec, s[8:9]
	s_cbranch_execnz .LBB5_3301
; %bb.1253:
	s_or_saveexec_b64 s[6:7], s[6:7]
	v_mov_b32_e32 v3, s10
	s_xor_b64 exec, exec, s[6:7]
	s_cbranch_execnz .LBB5_3304
.LBB5_1254:
	s_or_b64 exec, exec, s[6:7]
	s_and_saveexec_b64 s[6:7], s[4:5]
	s_cbranch_execz .LBB5_1256
.LBB5_1255:
	v_mov_b32_e32 v3, 8
	v_and_b32_e32 v4, 7, v5
	v_lshrrev_b32_sdwa v3, v3, v5 dst_sel:BYTE_1 dst_unused:UNUSED_PAD src0_sel:DWORD src1_sel:DWORD
	v_ffbh_u32_e32 v6, v4
	v_or_b32_sdwa v3, v5, v3 dst_sel:DWORD dst_unused:UNUSED_PAD src0_sel:BYTE_0 src1_sel:DWORD
	v_min_u32_e32 v6, 32, v6
	v_lshrrev_b16_e32 v3, 3, v3
	v_subrev_u32_e32 v7, 28, v6
	v_and_b32_e32 v3, 15, v3
	v_lshlrev_b32_e32 v7, v7, v5
	v_sub_u32_e32 v6, 29, v6
	v_and_b32_e32 v7, 7, v7
	v_cmp_eq_u16_e32 vcc, 0, v3
	v_cndmask_b32_e32 v4, v4, v7, vcc
	v_cndmask_b32_e32 v3, v3, v6, vcc
	v_lshlrev_b32_e32 v6, 24, v5
	v_mov_b32_e32 v7, 0x3b800000
	v_lshlrev_b32_e32 v4, 20, v4
	v_and_b32_e32 v6, 0x80000000, v6
	v_lshl_add_u32 v3, v3, 23, v7
	v_or3_b32 v3, v6, v3, v4
.LBB5_1256:
	s_or_b64 exec, exec, s[6:7]
	s_nop 0
	v_mfma_f32_16x16x4f32 a[0:3], v2, v3, a[0:3]
	v_lshrrev_b32_e32 v3, 8, v9
	s_movk_i32 s4, 0x7f
	v_cmp_gt_i16_sdwa s[6:7], v3, s4 src0_sel:BYTE_0 src1_sel:DWORD
	s_mov_b64 s[4:5], 0
                                        ; implicit-def: $sgpr10
	s_and_saveexec_b64 s[8:9], s[6:7]
	s_xor_b64 s[6:7], exec, s[8:9]
	s_cbranch_execnz .LBB5_3305
; %bb.1257:
	s_or_saveexec_b64 s[6:7], s[6:7]
	v_mov_b32_e32 v2, s10
	s_xor_b64 exec, exec, s[6:7]
	s_cbranch_execnz .LBB5_3308
.LBB5_1258:
	s_or_b64 exec, exec, s[6:7]
	s_and_saveexec_b64 s[6:7], s[4:5]
	s_cbranch_execz .LBB5_1260
.LBB5_1259:
	v_bfe_u32 v2, v9, 8, 3
	v_ffbh_u32_e32 v6, v2
	v_min_u32_e32 v6, 32, v6
	v_lshrrev_b16_e32 v4, 3, v3
	v_subrev_u32_e32 v7, 28, v6
	v_and_b32_e32 v4, 15, v4
	v_lshlrev_b32_e32 v3, v7, v3
	v_sub_u32_e32 v6, 29, v6
	v_and_b32_e32 v3, 7, v3
	v_cmp_eq_u16_e32 vcc, 0, v4
	v_cndmask_b32_e32 v2, v2, v3, vcc
	v_cndmask_b32_e32 v3, v4, v6, vcc
	v_lshlrev_b32_e32 v4, 16, v9
	v_mov_b32_e32 v6, 0x3b800000
	v_lshlrev_b32_e32 v2, 20, v2
	v_and_b32_e32 v4, 0x80000000, v4
	v_lshl_add_u32 v3, v3, 23, v6
	v_or3_b32 v2, v4, v3, v2
.LBB5_1260:
	s_or_b64 exec, exec, s[6:7]
	v_lshrrev_b32_e32 v3, 8, v5
	s_movk_i32 s4, 0x7f
	v_cmp_gt_i16_sdwa s[6:7], v3, s4 src0_sel:BYTE_0 src1_sel:DWORD
	s_mov_b64 s[4:5], 0
                                        ; implicit-def: $sgpr10
	s_and_saveexec_b64 s[8:9], s[6:7]
	s_xor_b64 s[6:7], exec, s[8:9]
	s_cbranch_execnz .LBB5_3309
; %bb.1261:
	s_or_saveexec_b64 s[6:7], s[6:7]
	v_mov_b32_e32 v4, s10
	s_xor_b64 exec, exec, s[6:7]
	s_cbranch_execnz .LBB5_3312
.LBB5_1262:
	s_or_b64 exec, exec, s[6:7]
	s_and_saveexec_b64 s[6:7], s[4:5]
	s_cbranch_execz .LBB5_1264
.LBB5_1263:
	v_bfe_u32 v4, v5, 8, 3
	v_ffbh_u32_e32 v7, v4
	v_min_u32_e32 v7, 32, v7
	v_lshrrev_b16_e32 v6, 3, v3
	v_subrev_u32_e32 v8, 28, v7
	v_and_b32_e32 v6, 15, v6
	v_lshlrev_b32_e32 v3, v8, v3
	v_sub_u32_e32 v7, 29, v7
	v_and_b32_e32 v3, 7, v3
	v_cmp_eq_u16_e32 vcc, 0, v6
	v_cndmask_b32_e32 v3, v4, v3, vcc
	v_cndmask_b32_e32 v4, v6, v7, vcc
	v_lshlrev_b32_e32 v6, 16, v5
	v_mov_b32_e32 v7, 0x3b800000
	v_lshlrev_b32_e32 v3, 20, v3
	v_and_b32_e32 v6, 0x80000000, v6
	v_lshl_add_u32 v4, v4, 23, v7
	v_or3_b32 v4, v6, v4, v3
.LBB5_1264:
	s_or_b64 exec, exec, s[6:7]
	s_nop 0
	v_mfma_f32_16x16x4f32 a[0:3], v2, v4, a[0:3]
	s_movk_i32 s4, 0xff
	v_and_b32_sdwa v3, v9, s4 dst_sel:DWORD dst_unused:UNUSED_PAD src0_sel:WORD_1 src1_sel:DWORD
	s_movk_i32 s4, 0x7f
	v_cmp_lt_i16_e32 vcc, s4, v3
	s_mov_b64 s[4:5], 0
                                        ; implicit-def: $sgpr10
	s_and_saveexec_b64 s[6:7], vcc
	s_xor_b64 s[6:7], exec, s[6:7]
	s_cbranch_execnz .LBB5_3313
; %bb.1265:
	s_or_saveexec_b64 s[6:7], s[6:7]
	v_mov_b32_e32 v2, s10
	s_xor_b64 exec, exec, s[6:7]
	s_cbranch_execnz .LBB5_3316
.LBB5_1266:
	s_or_b64 exec, exec, s[6:7]
	s_and_saveexec_b64 s[6:7], s[4:5]
	s_cbranch_execz .LBB5_1268
.LBB5_1267:
	v_bfe_u32 v2, v9, 16, 3
	v_ffbh_u32_e32 v6, v2
	v_min_u32_e32 v6, 32, v6
	v_lshrrev_b32_e32 v3, 19, v9
	v_subrev_u32_e32 v7, 28, v6
	v_and_b32_e32 v3, 15, v3
	v_lshlrev_b32_sdwa v7, v7, v9 dst_sel:DWORD dst_unused:UNUSED_PAD src0_sel:DWORD src1_sel:WORD_1
	v_bfe_u32 v4, v9, 19, 4
	v_sub_u32_e32 v6, 29, v6
	v_and_b32_e32 v7, 7, v7
	v_cmp_eq_u16_e32 vcc, 0, v3
	v_cndmask_b32_e32 v2, v2, v7, vcc
	v_cndmask_b32_e32 v3, v4, v6, vcc
	v_lshlrev_b32_e32 v4, 8, v9
	v_mov_b32_e32 v6, 0x3b800000
	v_lshlrev_b32_e32 v2, 20, v2
	v_and_b32_e32 v4, 0x80000000, v4
	v_lshl_add_u32 v3, v3, 23, v6
	v_or3_b32 v2, v4, v3, v2
.LBB5_1268:
	s_or_b64 exec, exec, s[6:7]
	s_movk_i32 s4, 0xff
	v_and_b32_sdwa v3, v5, s4 dst_sel:DWORD dst_unused:UNUSED_PAD src0_sel:WORD_1 src1_sel:DWORD
	s_movk_i32 s4, 0x7f
	v_cmp_lt_i16_e32 vcc, s4, v3
	s_mov_b64 s[4:5], 0
                                        ; implicit-def: $sgpr10
	s_and_saveexec_b64 s[6:7], vcc
	s_xor_b64 s[6:7], exec, s[6:7]
	s_cbranch_execnz .LBB5_3317
; %bb.1269:
	s_or_saveexec_b64 s[6:7], s[6:7]
	v_mov_b32_e32 v4, s10
	s_xor_b64 exec, exec, s[6:7]
	s_cbranch_execnz .LBB5_3320
.LBB5_1270:
	s_or_b64 exec, exec, s[6:7]
	s_and_saveexec_b64 s[6:7], s[4:5]
	s_cbranch_execz .LBB5_1272
.LBB5_1271:
	v_bfe_u32 v3, v5, 16, 3
	v_ffbh_u32_e32 v7, v3
	v_min_u32_e32 v7, 32, v7
	v_lshrrev_b32_e32 v4, 19, v5
	v_subrev_u32_e32 v8, 28, v7
	v_and_b32_e32 v4, 15, v4
	v_lshlrev_b32_sdwa v8, v8, v5 dst_sel:DWORD dst_unused:UNUSED_PAD src0_sel:DWORD src1_sel:WORD_1
	v_bfe_u32 v6, v5, 19, 4
	v_sub_u32_e32 v7, 29, v7
	v_and_b32_e32 v8, 7, v8
	v_cmp_eq_u16_e32 vcc, 0, v4
	v_cndmask_b32_e32 v3, v3, v8, vcc
	v_cndmask_b32_e32 v4, v6, v7, vcc
	v_lshlrev_b32_e32 v6, 8, v5
	v_mov_b32_e32 v7, 0x3b800000
	v_lshlrev_b32_e32 v3, 20, v3
	v_and_b32_e32 v6, 0x80000000, v6
	v_lshl_add_u32 v4, v4, 23, v7
	v_or3_b32 v4, v6, v4, v3
.LBB5_1272:
	s_or_b64 exec, exec, s[6:7]
	s_nop 0
	v_mfma_f32_16x16x4f32 a[0:3], v2, v4, a[0:3]
	s_movk_i32 s4, 0x7f
	v_cmp_gt_i16_sdwa s[6:7], v9, s4 src0_sel:BYTE_3 src1_sel:DWORD
	s_mov_b64 s[4:5], 0
                                        ; implicit-def: $sgpr10
	s_and_saveexec_b64 s[8:9], s[6:7]
	s_xor_b64 s[6:7], exec, s[8:9]
	s_cbranch_execnz .LBB5_3321
; %bb.1273:
	s_or_saveexec_b64 s[6:7], s[6:7]
	v_mov_b32_e32 v2, s10
	s_xor_b64 exec, exec, s[6:7]
	s_cbranch_execnz .LBB5_3324
.LBB5_1274:
	s_or_b64 exec, exec, s[6:7]
	s_and_saveexec_b64 s[6:7], s[4:5]
	s_cbranch_execz .LBB5_1276
.LBB5_1275:
	v_bfe_u32 v2, v9, 24, 3
	v_ffbh_u32_e32 v7, v2
	v_min_u32_e32 v7, 32, v7
	v_lshrrev_b32_e32 v4, 27, v9
	v_subrev_u32_e32 v8, 28, v7
	v_and_b32_e32 v4, 15, v4
	v_lshlrev_b32_sdwa v8, v8, v9 dst_sel:DWORD dst_unused:UNUSED_PAD src0_sel:DWORD src1_sel:BYTE_3
	v_bfe_u32 v6, v9, 27, 4
	v_sub_u32_e32 v7, 29, v7
	v_and_b32_e32 v8, 7, v8
	v_cmp_eq_u16_e32 vcc, 0, v4
	v_cndmask_b32_e32 v2, v2, v8, vcc
	v_cndmask_b32_e32 v4, v6, v7, vcc
	v_mov_b32_e32 v6, 0x3b800000
	v_and_b32_e32 v3, 0x80000000, v9
	v_lshlrev_b32_e32 v2, 20, v2
	v_lshl_add_u32 v4, v4, 23, v6
	v_or3_b32 v2, v3, v4, v2
.LBB5_1276:
	s_or_b64 exec, exec, s[6:7]
	s_movk_i32 s4, 0x7f
	v_cmp_gt_i16_sdwa s[6:7], v5, s4 src0_sel:BYTE_3 src1_sel:DWORD
	s_mov_b64 s[4:5], 0
                                        ; implicit-def: $sgpr10
	s_and_saveexec_b64 s[8:9], s[6:7]
	s_xor_b64 s[6:7], exec, s[8:9]
	s_cbranch_execnz .LBB5_3325
; %bb.1277:
	s_or_saveexec_b64 s[6:7], s[6:7]
	v_mov_b32_e32 v3, s10
	s_xor_b64 exec, exec, s[6:7]
	s_cbranch_execnz .LBB5_3328
.LBB5_1278:
	s_or_b64 exec, exec, s[6:7]
	s_and_saveexec_b64 s[6:7], s[4:5]
	s_cbranch_execz .LBB5_1280
.LBB5_1279:
	v_bfe_u32 v3, v5, 24, 3
	v_ffbh_u32_e32 v8, v3
	v_min_u32_e32 v8, 32, v8
	v_lshrrev_b32_e32 v6, 27, v5
	v_subrev_u32_e32 v9, 28, v8
	v_and_b32_e32 v4, 0x80000000, v5
	v_and_b32_e32 v6, 15, v6
	v_bfe_u32 v7, v5, 27, 4
	v_lshlrev_b32_sdwa v5, v9, v5 dst_sel:DWORD dst_unused:UNUSED_PAD src0_sel:DWORD src1_sel:BYTE_3
	v_sub_u32_e32 v8, 29, v8
	v_and_b32_e32 v5, 7, v5
	v_cmp_eq_u16_e32 vcc, 0, v6
	v_cndmask_b32_e32 v3, v3, v5, vcc
	v_cndmask_b32_e32 v5, v7, v8, vcc
	v_mov_b32_e32 v6, 0x3b800000
	v_lshlrev_b32_e32 v3, 20, v3
	v_lshl_add_u32 v5, v5, 23, v6
	v_or3_b32 v3, v4, v5, v3
.LBB5_1280:
	s_or_b64 exec, exec, s[6:7]
	s_nop 0
	v_mfma_f32_16x16x4f32 a[0:3], v2, v3, a[0:3]
	s_movk_i32 s4, 0x7f
                                        ; implicit-def: $sgpr10
	s_nop 7
	s_nop 1
	flat_store_dwordx4 v[10:11], a[0:3] offset:144
	flat_load_dwordx4 v[12:15], v[0:1] offset:8
	s_nop 0
	flat_load_dwordx2 v[10:11], v[0:1] offset:32
	s_waitcnt vmcnt(0) lgkmcnt(0)
	flat_load_dwordx4 v[6:9], v[12:13] offset:64
	flat_load_dwordx4 v[2:5], v[14:15] offset:64
	s_waitcnt vmcnt(0) lgkmcnt(0)
	v_cmp_gt_i16_sdwa s[6:7], v6, s4 src0_sel:BYTE_0 src1_sel:DWORD
	s_mov_b64 s[4:5], 0
	s_and_saveexec_b64 s[8:9], s[6:7]
	s_xor_b64 s[6:7], exec, s[8:9]
	s_cbranch_execnz .LBB5_3329
; %bb.1281:
	s_or_saveexec_b64 s[6:7], s[6:7]
	v_mov_b32_e32 v12, s10
	s_xor_b64 exec, exec, s[6:7]
	s_cbranch_execnz .LBB5_3332
.LBB5_1282:
	s_or_b64 exec, exec, s[6:7]
	s_and_saveexec_b64 s[6:7], s[4:5]
	s_cbranch_execz .LBB5_1284
.LBB5_1283:
	v_and_b32_e32 v12, 7, v6
	v_ffbh_u32_e32 v14, v12
	v_min_u32_e32 v14, 32, v14
	v_lshrrev_b16_e32 v13, 3, v6
	v_subrev_u32_e32 v15, 28, v14
	v_and_b32_e32 v13, 15, v13
	v_lshlrev_b32_e32 v15, v15, v6
	v_sub_u32_e32 v14, 29, v14
	v_and_b32_e32 v15, 7, v15
	v_cmp_eq_u16_e32 vcc, 0, v13
	v_cndmask_b32_e32 v12, v12, v15, vcc
	v_cndmask_b32_e32 v13, v13, v14, vcc
	v_lshlrev_b32_e32 v14, 24, v6
	v_mov_b32_e32 v15, 0x3b800000
	v_lshlrev_b32_e32 v12, 20, v12
	v_and_b32_e32 v14, 0x80000000, v14
	v_lshl_add_u32 v13, v13, 23, v15
	v_or3_b32 v12, v14, v13, v12
.LBB5_1284:
	s_or_b64 exec, exec, s[6:7]
	s_movk_i32 s4, 0x7f
	v_cmp_gt_i16_sdwa s[6:7], v2, s4 src0_sel:BYTE_0 src1_sel:DWORD
	s_mov_b64 s[4:5], 0
                                        ; implicit-def: $sgpr10
	s_and_saveexec_b64 s[8:9], s[6:7]
	s_xor_b64 s[6:7], exec, s[8:9]
	s_cbranch_execnz .LBB5_3333
; %bb.1285:
	s_or_saveexec_b64 s[6:7], s[6:7]
	v_mov_b32_e32 v13, s10
	s_xor_b64 exec, exec, s[6:7]
	s_cbranch_execnz .LBB5_3336
.LBB5_1286:
	s_or_b64 exec, exec, s[6:7]
	s_and_saveexec_b64 s[6:7], s[4:5]
	s_cbranch_execz .LBB5_1288
.LBB5_1287:
	v_and_b32_e32 v13, 7, v2
	v_ffbh_u32_e32 v15, v13
	v_min_u32_e32 v15, 32, v15
	v_lshrrev_b16_e32 v14, 3, v2
	v_subrev_u32_e32 v16, 28, v15
	v_and_b32_e32 v14, 15, v14
	v_lshlrev_b32_e32 v16, v16, v2
	v_sub_u32_e32 v15, 29, v15
	v_and_b32_e32 v16, 7, v16
	v_cmp_eq_u16_e32 vcc, 0, v14
	v_cndmask_b32_e32 v13, v13, v16, vcc
	v_cndmask_b32_e32 v14, v14, v15, vcc
	v_lshlrev_b32_e32 v15, 24, v2
	v_mov_b32_e32 v16, 0x3b800000
	v_lshlrev_b32_e32 v13, 20, v13
	v_and_b32_e32 v15, 0x80000000, v15
	v_lshl_add_u32 v14, v14, 23, v16
	v_or3_b32 v13, v15, v14, v13
.LBB5_1288:
	s_or_b64 exec, exec, s[6:7]
	flat_load_dwordx4 a[0:3], v[10:11] offset:160
	s_movk_i32 s4, 0x7f
                                        ; implicit-def: $sgpr10
	s_waitcnt vmcnt(0) lgkmcnt(0)
	v_mfma_f32_16x16x4f32 a[0:3], v12, v13, a[0:3]
	v_lshrrev_b32_e32 v13, 8, v6
	v_cmp_gt_i16_sdwa s[6:7], v13, s4 src0_sel:BYTE_0 src1_sel:DWORD
	s_mov_b64 s[4:5], 0
	s_and_saveexec_b64 s[8:9], s[6:7]
	s_xor_b64 s[6:7], exec, s[8:9]
	s_cbranch_execnz .LBB5_3337
; %bb.1289:
	s_or_saveexec_b64 s[6:7], s[6:7]
	v_mov_b32_e32 v12, s10
	s_xor_b64 exec, exec, s[6:7]
	s_cbranch_execnz .LBB5_3340
.LBB5_1290:
	s_or_b64 exec, exec, s[6:7]
	s_and_saveexec_b64 s[6:7], s[4:5]
	s_cbranch_execz .LBB5_1292
.LBB5_1291:
	v_bfe_u32 v12, v6, 8, 3
	v_ffbh_u32_e32 v15, v12
	v_min_u32_e32 v15, 32, v15
	v_lshrrev_b16_e32 v14, 3, v13
	v_subrev_u32_e32 v16, 28, v15
	v_and_b32_e32 v14, 15, v14
	v_lshlrev_b32_e32 v13, v16, v13
	v_sub_u32_e32 v15, 29, v15
	v_and_b32_e32 v13, 7, v13
	v_cmp_eq_u16_e32 vcc, 0, v14
	v_cndmask_b32_e32 v12, v12, v13, vcc
	v_cndmask_b32_e32 v13, v14, v15, vcc
	v_lshlrev_b32_e32 v14, 16, v6
	v_mov_b32_e32 v15, 0x3b800000
	v_lshlrev_b32_e32 v12, 20, v12
	v_and_b32_e32 v14, 0x80000000, v14
	v_lshl_add_u32 v13, v13, 23, v15
	v_or3_b32 v12, v14, v13, v12
.LBB5_1292:
	s_or_b64 exec, exec, s[6:7]
	v_lshrrev_b32_e32 v13, 8, v2
	s_movk_i32 s4, 0x7f
	v_cmp_gt_i16_sdwa s[6:7], v13, s4 src0_sel:BYTE_0 src1_sel:DWORD
	s_mov_b64 s[4:5], 0
                                        ; implicit-def: $sgpr10
	s_and_saveexec_b64 s[8:9], s[6:7]
	s_xor_b64 s[6:7], exec, s[8:9]
	s_cbranch_execnz .LBB5_3341
; %bb.1293:
	s_or_saveexec_b64 s[6:7], s[6:7]
	v_mov_b32_e32 v14, s10
	s_xor_b64 exec, exec, s[6:7]
	s_cbranch_execnz .LBB5_3344
.LBB5_1294:
	s_or_b64 exec, exec, s[6:7]
	s_and_saveexec_b64 s[6:7], s[4:5]
	s_cbranch_execz .LBB5_1296
.LBB5_1295:
	v_bfe_u32 v14, v2, 8, 3
	v_ffbh_u32_e32 v16, v14
	v_min_u32_e32 v16, 32, v16
	v_lshrrev_b16_e32 v15, 3, v13
	v_subrev_u32_e32 v17, 28, v16
	v_and_b32_e32 v15, 15, v15
	v_lshlrev_b32_e32 v13, v17, v13
	v_sub_u32_e32 v16, 29, v16
	v_and_b32_e32 v13, 7, v13
	v_cmp_eq_u16_e32 vcc, 0, v15
	v_cndmask_b32_e32 v13, v14, v13, vcc
	v_cndmask_b32_e32 v14, v15, v16, vcc
	v_lshlrev_b32_e32 v15, 16, v2
	v_mov_b32_e32 v16, 0x3b800000
	v_lshlrev_b32_e32 v13, 20, v13
	v_and_b32_e32 v15, 0x80000000, v15
	v_lshl_add_u32 v14, v14, 23, v16
	v_or3_b32 v14, v15, v14, v13
.LBB5_1296:
	s_or_b64 exec, exec, s[6:7]
	s_nop 0
	v_mfma_f32_16x16x4f32 a[0:3], v12, v14, a[0:3]
	s_movk_i32 s4, 0xff
	v_and_b32_sdwa v13, v6, s4 dst_sel:DWORD dst_unused:UNUSED_PAD src0_sel:WORD_1 src1_sel:DWORD
	s_movk_i32 s4, 0x7f
	v_cmp_lt_i16_e32 vcc, s4, v13
	s_mov_b64 s[4:5], 0
                                        ; implicit-def: $sgpr10
	s_and_saveexec_b64 s[6:7], vcc
	s_xor_b64 s[6:7], exec, s[6:7]
	s_cbranch_execnz .LBB5_3345
; %bb.1297:
	s_or_saveexec_b64 s[6:7], s[6:7]
	v_mov_b32_e32 v12, s10
	s_xor_b64 exec, exec, s[6:7]
	s_cbranch_execnz .LBB5_3348
.LBB5_1298:
	s_or_b64 exec, exec, s[6:7]
	s_and_saveexec_b64 s[6:7], s[4:5]
	s_cbranch_execz .LBB5_1300
.LBB5_1299:
	v_bfe_u32 v12, v6, 16, 3
	v_ffbh_u32_e32 v15, v12
	v_min_u32_e32 v15, 32, v15
	v_lshrrev_b32_e32 v13, 19, v6
	v_subrev_u32_e32 v16, 28, v15
	v_and_b32_e32 v13, 15, v13
	v_lshlrev_b32_sdwa v16, v16, v6 dst_sel:DWORD dst_unused:UNUSED_PAD src0_sel:DWORD src1_sel:WORD_1
	v_bfe_u32 v14, v6, 19, 4
	v_sub_u32_e32 v15, 29, v15
	v_and_b32_e32 v16, 7, v16
	v_cmp_eq_u16_e32 vcc, 0, v13
	v_cndmask_b32_e32 v12, v12, v16, vcc
	v_cndmask_b32_e32 v13, v14, v15, vcc
	v_lshlrev_b32_e32 v14, 8, v6
	v_mov_b32_e32 v15, 0x3b800000
	v_lshlrev_b32_e32 v12, 20, v12
	v_and_b32_e32 v14, 0x80000000, v14
	v_lshl_add_u32 v13, v13, 23, v15
	v_or3_b32 v12, v14, v13, v12
.LBB5_1300:
	s_or_b64 exec, exec, s[6:7]
	s_movk_i32 s4, 0xff
	v_and_b32_sdwa v13, v2, s4 dst_sel:DWORD dst_unused:UNUSED_PAD src0_sel:WORD_1 src1_sel:DWORD
	s_movk_i32 s4, 0x7f
	v_cmp_lt_i16_e32 vcc, s4, v13
	s_mov_b64 s[4:5], 0
                                        ; implicit-def: $sgpr10
	s_and_saveexec_b64 s[6:7], vcc
	s_xor_b64 s[6:7], exec, s[6:7]
	s_cbranch_execnz .LBB5_3349
; %bb.1301:
	s_or_saveexec_b64 s[6:7], s[6:7]
	v_mov_b32_e32 v14, s10
	s_xor_b64 exec, exec, s[6:7]
	s_cbranch_execnz .LBB5_3352
.LBB5_1302:
	s_or_b64 exec, exec, s[6:7]
	s_and_saveexec_b64 s[6:7], s[4:5]
	s_cbranch_execz .LBB5_1304
.LBB5_1303:
	v_bfe_u32 v13, v2, 16, 3
	v_ffbh_u32_e32 v16, v13
	v_min_u32_e32 v16, 32, v16
	v_lshrrev_b32_e32 v14, 19, v2
	v_subrev_u32_e32 v17, 28, v16
	v_and_b32_e32 v14, 15, v14
	v_lshlrev_b32_sdwa v17, v17, v2 dst_sel:DWORD dst_unused:UNUSED_PAD src0_sel:DWORD src1_sel:WORD_1
	v_bfe_u32 v15, v2, 19, 4
	v_sub_u32_e32 v16, 29, v16
	v_and_b32_e32 v17, 7, v17
	v_cmp_eq_u16_e32 vcc, 0, v14
	v_cndmask_b32_e32 v13, v13, v17, vcc
	v_cndmask_b32_e32 v14, v15, v16, vcc
	v_lshlrev_b32_e32 v15, 8, v2
	v_mov_b32_e32 v16, 0x3b800000
	v_lshlrev_b32_e32 v13, 20, v13
	v_and_b32_e32 v15, 0x80000000, v15
	v_lshl_add_u32 v14, v14, 23, v16
	v_or3_b32 v14, v15, v14, v13
.LBB5_1304:
	s_or_b64 exec, exec, s[6:7]
	s_nop 0
	v_mfma_f32_16x16x4f32 a[0:3], v12, v14, a[0:3]
	s_movk_i32 s4, 0x7f
	v_cmp_gt_i16_sdwa s[6:7], v6, s4 src0_sel:BYTE_3 src1_sel:DWORD
	s_mov_b64 s[4:5], 0
                                        ; implicit-def: $sgpr10
	s_and_saveexec_b64 s[8:9], s[6:7]
	s_xor_b64 s[6:7], exec, s[8:9]
	s_cbranch_execnz .LBB5_3353
; %bb.1305:
	s_or_saveexec_b64 s[6:7], s[6:7]
	v_mov_b32_e32 v12, s10
	s_xor_b64 exec, exec, s[6:7]
	s_cbranch_execnz .LBB5_3356
.LBB5_1306:
	s_or_b64 exec, exec, s[6:7]
	s_and_saveexec_b64 s[6:7], s[4:5]
	s_cbranch_execz .LBB5_1308
.LBB5_1307:
	v_bfe_u32 v12, v6, 24, 3
	v_ffbh_u32_e32 v16, v12
	v_min_u32_e32 v16, 32, v16
	v_lshrrev_b32_e32 v14, 27, v6
	v_subrev_u32_e32 v17, 28, v16
	v_and_b32_e32 v13, 0x80000000, v6
	v_and_b32_e32 v14, 15, v14
	v_bfe_u32 v15, v6, 27, 4
	v_lshlrev_b32_sdwa v6, v17, v6 dst_sel:DWORD dst_unused:UNUSED_PAD src0_sel:DWORD src1_sel:BYTE_3
	v_sub_u32_e32 v16, 29, v16
	v_and_b32_e32 v6, 7, v6
	v_cmp_eq_u16_e32 vcc, 0, v14
	v_cndmask_b32_e32 v6, v12, v6, vcc
	v_cndmask_b32_e32 v12, v15, v16, vcc
	v_mov_b32_e32 v14, 0x3b800000
	v_lshlrev_b32_e32 v6, 20, v6
	v_lshl_add_u32 v12, v12, 23, v14
	v_or3_b32 v12, v13, v12, v6
.LBB5_1308:
	s_or_b64 exec, exec, s[6:7]
	s_movk_i32 s4, 0x7f
	v_cmp_gt_i16_sdwa s[6:7], v2, s4 src0_sel:BYTE_3 src1_sel:DWORD
	s_mov_b64 s[4:5], 0
                                        ; implicit-def: $sgpr10
	s_and_saveexec_b64 s[8:9], s[6:7]
	s_xor_b64 s[6:7], exec, s[8:9]
	s_cbranch_execnz .LBB5_3357
; %bb.1309:
	s_or_saveexec_b64 s[6:7], s[6:7]
	v_mov_b32_e32 v6, s10
	s_xor_b64 exec, exec, s[6:7]
	s_cbranch_execnz .LBB5_3360
.LBB5_1310:
	s_or_b64 exec, exec, s[6:7]
	s_and_saveexec_b64 s[6:7], s[4:5]
	s_cbranch_execz .LBB5_1312
.LBB5_1311:
	v_bfe_u32 v6, v2, 24, 3
	v_ffbh_u32_e32 v16, v6
	v_min_u32_e32 v16, 32, v16
	v_lshrrev_b32_e32 v14, 27, v2
	v_subrev_u32_e32 v17, 28, v16
	v_and_b32_e32 v13, 0x80000000, v2
	v_and_b32_e32 v14, 15, v14
	v_bfe_u32 v15, v2, 27, 4
	v_lshlrev_b32_sdwa v2, v17, v2 dst_sel:DWORD dst_unused:UNUSED_PAD src0_sel:DWORD src1_sel:BYTE_3
	v_sub_u32_e32 v16, 29, v16
	v_and_b32_e32 v2, 7, v2
	v_cmp_eq_u16_e32 vcc, 0, v14
	v_cndmask_b32_e32 v2, v6, v2, vcc
	v_cndmask_b32_e32 v6, v15, v16, vcc
	v_mov_b32_e32 v14, 0x3b800000
	v_lshlrev_b32_e32 v2, 20, v2
	v_lshl_add_u32 v6, v6, 23, v14
	v_or3_b32 v6, v13, v6, v2
.LBB5_1312:
	s_or_b64 exec, exec, s[6:7]
	s_nop 0
	v_mfma_f32_16x16x4f32 a[0:3], v12, v6, a[0:3]
	s_movk_i32 s4, 0x7f
	v_cmp_gt_i16_sdwa s[6:7], v7, s4 src0_sel:BYTE_0 src1_sel:DWORD
	s_mov_b64 s[4:5], 0
                                        ; implicit-def: $sgpr10
	s_and_saveexec_b64 s[8:9], s[6:7]
	s_xor_b64 s[6:7], exec, s[8:9]
	s_cbranch_execnz .LBB5_3361
; %bb.1313:
	s_or_saveexec_b64 s[6:7], s[6:7]
	v_mov_b32_e32 v2, s10
	s_xor_b64 exec, exec, s[6:7]
	s_cbranch_execnz .LBB5_3364
.LBB5_1314:
	s_or_b64 exec, exec, s[6:7]
	s_and_saveexec_b64 s[6:7], s[4:5]
	s_cbranch_execz .LBB5_1316
.LBB5_1315:
	v_and_b32_e32 v2, 7, v7
	v_ffbh_u32_e32 v12, v2
	v_min_u32_e32 v12, 32, v12
	v_lshrrev_b16_e32 v6, 3, v7
	v_subrev_u32_e32 v13, 28, v12
	v_and_b32_e32 v6, 15, v6
	v_lshlrev_b32_e32 v13, v13, v7
	v_sub_u32_e32 v12, 29, v12
	v_and_b32_e32 v13, 7, v13
	v_cmp_eq_u16_e32 vcc, 0, v6
	v_cndmask_b32_e32 v2, v2, v13, vcc
	v_cndmask_b32_e32 v6, v6, v12, vcc
	v_lshlrev_b32_e32 v12, 24, v7
	v_mov_b32_e32 v13, 0x3b800000
	v_lshlrev_b32_e32 v2, 20, v2
	v_and_b32_e32 v12, 0x80000000, v12
	v_lshl_add_u32 v6, v6, 23, v13
	v_or3_b32 v2, v12, v6, v2
.LBB5_1316:
	s_or_b64 exec, exec, s[6:7]
	s_movk_i32 s4, 0x7f
	v_cmp_gt_i16_sdwa s[6:7], v3, s4 src0_sel:BYTE_0 src1_sel:DWORD
	s_mov_b64 s[4:5], 0
                                        ; implicit-def: $sgpr10
	s_and_saveexec_b64 s[8:9], s[6:7]
	s_xor_b64 s[6:7], exec, s[8:9]
	s_cbranch_execnz .LBB5_3365
; %bb.1317:
	s_or_saveexec_b64 s[6:7], s[6:7]
	v_mov_b32_e32 v6, s10
	s_xor_b64 exec, exec, s[6:7]
	s_cbranch_execnz .LBB5_3368
.LBB5_1318:
	s_or_b64 exec, exec, s[6:7]
	s_and_saveexec_b64 s[6:7], s[4:5]
	s_cbranch_execz .LBB5_1320
.LBB5_1319:
	v_and_b32_e32 v6, 7, v3
	v_ffbh_u32_e32 v13, v6
	v_min_u32_e32 v13, 32, v13
	v_lshrrev_b16_e32 v12, 3, v3
	v_subrev_u32_e32 v14, 28, v13
	v_and_b32_e32 v12, 15, v12
	v_lshlrev_b32_e32 v14, v14, v3
	v_sub_u32_e32 v13, 29, v13
	v_and_b32_e32 v14, 7, v14
	v_cmp_eq_u16_e32 vcc, 0, v12
	v_cndmask_b32_e32 v6, v6, v14, vcc
	v_cndmask_b32_e32 v12, v12, v13, vcc
	v_lshlrev_b32_e32 v13, 24, v3
	v_mov_b32_e32 v14, 0x3b800000
	v_lshlrev_b32_e32 v6, 20, v6
	v_and_b32_e32 v13, 0x80000000, v13
	v_lshl_add_u32 v12, v12, 23, v14
	v_or3_b32 v6, v13, v12, v6
.LBB5_1320:
	s_or_b64 exec, exec, s[6:7]
	s_nop 0
	v_mfma_f32_16x16x4f32 a[0:3], v2, v6, a[0:3]
	v_lshrrev_b32_e32 v6, 8, v7
	s_movk_i32 s4, 0x7f
	v_cmp_gt_i16_sdwa s[6:7], v6, s4 src0_sel:BYTE_0 src1_sel:DWORD
	s_mov_b64 s[4:5], 0
                                        ; implicit-def: $sgpr10
	s_and_saveexec_b64 s[8:9], s[6:7]
	s_xor_b64 s[6:7], exec, s[8:9]
	s_cbranch_execnz .LBB5_3369
; %bb.1321:
	s_or_saveexec_b64 s[6:7], s[6:7]
	v_mov_b32_e32 v2, s10
	s_xor_b64 exec, exec, s[6:7]
	s_cbranch_execnz .LBB5_3372
.LBB5_1322:
	s_or_b64 exec, exec, s[6:7]
	s_and_saveexec_b64 s[6:7], s[4:5]
	s_cbranch_execz .LBB5_1324
.LBB5_1323:
	v_bfe_u32 v2, v7, 8, 3
	v_ffbh_u32_e32 v13, v2
	v_min_u32_e32 v13, 32, v13
	v_lshrrev_b16_e32 v12, 3, v6
	v_subrev_u32_e32 v14, 28, v13
	v_and_b32_e32 v12, 15, v12
	v_lshlrev_b32_e32 v6, v14, v6
	v_sub_u32_e32 v13, 29, v13
	v_and_b32_e32 v6, 7, v6
	v_cmp_eq_u16_e32 vcc, 0, v12
	v_cndmask_b32_e32 v2, v2, v6, vcc
	v_cndmask_b32_e32 v6, v12, v13, vcc
	v_lshlrev_b32_e32 v12, 16, v7
	v_mov_b32_e32 v13, 0x3b800000
	v_lshlrev_b32_e32 v2, 20, v2
	v_and_b32_e32 v12, 0x80000000, v12
	v_lshl_add_u32 v6, v6, 23, v13
	v_or3_b32 v2, v12, v6, v2
.LBB5_1324:
	s_or_b64 exec, exec, s[6:7]
	v_lshrrev_b32_e32 v6, 8, v3
	s_movk_i32 s4, 0x7f
	v_cmp_gt_i16_sdwa s[6:7], v6, s4 src0_sel:BYTE_0 src1_sel:DWORD
	s_mov_b64 s[4:5], 0
                                        ; implicit-def: $sgpr10
	s_and_saveexec_b64 s[8:9], s[6:7]
	s_xor_b64 s[6:7], exec, s[8:9]
	s_cbranch_execnz .LBB5_3373
; %bb.1325:
	s_or_saveexec_b64 s[6:7], s[6:7]
	v_mov_b32_e32 v12, s10
	s_xor_b64 exec, exec, s[6:7]
	s_cbranch_execnz .LBB5_3376
.LBB5_1326:
	s_or_b64 exec, exec, s[6:7]
	s_and_saveexec_b64 s[6:7], s[4:5]
	s_cbranch_execz .LBB5_1328
.LBB5_1327:
	v_bfe_u32 v12, v3, 8, 3
	v_ffbh_u32_e32 v14, v12
	v_min_u32_e32 v14, 32, v14
	v_lshrrev_b16_e32 v13, 3, v6
	v_subrev_u32_e32 v15, 28, v14
	v_and_b32_e32 v13, 15, v13
	v_lshlrev_b32_e32 v6, v15, v6
	v_sub_u32_e32 v14, 29, v14
	v_and_b32_e32 v6, 7, v6
	v_cmp_eq_u16_e32 vcc, 0, v13
	v_cndmask_b32_e32 v6, v12, v6, vcc
	v_cndmask_b32_e32 v12, v13, v14, vcc
	v_lshlrev_b32_e32 v13, 16, v3
	v_mov_b32_e32 v14, 0x3b800000
	v_lshlrev_b32_e32 v6, 20, v6
	v_and_b32_e32 v13, 0x80000000, v13
	v_lshl_add_u32 v12, v12, 23, v14
	v_or3_b32 v12, v13, v12, v6
.LBB5_1328:
	s_or_b64 exec, exec, s[6:7]
	s_nop 0
	v_mfma_f32_16x16x4f32 a[0:3], v2, v12, a[0:3]
	s_movk_i32 s4, 0xff
	v_and_b32_sdwa v6, v7, s4 dst_sel:DWORD dst_unused:UNUSED_PAD src0_sel:WORD_1 src1_sel:DWORD
	s_movk_i32 s4, 0x7f
	v_cmp_lt_i16_e32 vcc, s4, v6
	s_mov_b64 s[4:5], 0
                                        ; implicit-def: $sgpr10
	s_and_saveexec_b64 s[6:7], vcc
	s_xor_b64 s[6:7], exec, s[6:7]
	s_cbranch_execnz .LBB5_3377
; %bb.1329:
	s_or_saveexec_b64 s[6:7], s[6:7]
	v_mov_b32_e32 v2, s10
	s_xor_b64 exec, exec, s[6:7]
	s_cbranch_execnz .LBB5_3380
.LBB5_1330:
	s_or_b64 exec, exec, s[6:7]
	s_and_saveexec_b64 s[6:7], s[4:5]
	s_cbranch_execz .LBB5_1332
.LBB5_1331:
	v_bfe_u32 v2, v7, 16, 3
	v_ffbh_u32_e32 v13, v2
	v_min_u32_e32 v13, 32, v13
	v_lshrrev_b32_e32 v6, 19, v7
	v_subrev_u32_e32 v14, 28, v13
	v_and_b32_e32 v6, 15, v6
	v_lshlrev_b32_sdwa v14, v14, v7 dst_sel:DWORD dst_unused:UNUSED_PAD src0_sel:DWORD src1_sel:WORD_1
	v_bfe_u32 v12, v7, 19, 4
	v_sub_u32_e32 v13, 29, v13
	v_and_b32_e32 v14, 7, v14
	v_cmp_eq_u16_e32 vcc, 0, v6
	v_cndmask_b32_e32 v2, v2, v14, vcc
	v_cndmask_b32_e32 v6, v12, v13, vcc
	v_lshlrev_b32_e32 v12, 8, v7
	v_mov_b32_e32 v13, 0x3b800000
	v_lshlrev_b32_e32 v2, 20, v2
	v_and_b32_e32 v12, 0x80000000, v12
	v_lshl_add_u32 v6, v6, 23, v13
	v_or3_b32 v2, v12, v6, v2
.LBB5_1332:
	s_or_b64 exec, exec, s[6:7]
	s_movk_i32 s4, 0xff
	v_and_b32_sdwa v6, v3, s4 dst_sel:DWORD dst_unused:UNUSED_PAD src0_sel:WORD_1 src1_sel:DWORD
	s_movk_i32 s4, 0x7f
	v_cmp_lt_i16_e32 vcc, s4, v6
	s_mov_b64 s[4:5], 0
                                        ; implicit-def: $sgpr10
	s_and_saveexec_b64 s[6:7], vcc
	s_xor_b64 s[6:7], exec, s[6:7]
	s_cbranch_execnz .LBB5_3381
; %bb.1333:
	s_or_saveexec_b64 s[6:7], s[6:7]
	v_mov_b32_e32 v12, s10
	s_xor_b64 exec, exec, s[6:7]
	s_cbranch_execnz .LBB5_3384
.LBB5_1334:
	s_or_b64 exec, exec, s[6:7]
	s_and_saveexec_b64 s[6:7], s[4:5]
	s_cbranch_execz .LBB5_1336
.LBB5_1335:
	v_bfe_u32 v6, v3, 16, 3
	v_ffbh_u32_e32 v14, v6
	v_min_u32_e32 v14, 32, v14
	v_lshrrev_b32_e32 v12, 19, v3
	v_subrev_u32_e32 v15, 28, v14
	v_and_b32_e32 v12, 15, v12
	v_lshlrev_b32_sdwa v15, v15, v3 dst_sel:DWORD dst_unused:UNUSED_PAD src0_sel:DWORD src1_sel:WORD_1
	v_bfe_u32 v13, v3, 19, 4
	v_sub_u32_e32 v14, 29, v14
	v_and_b32_e32 v15, 7, v15
	v_cmp_eq_u16_e32 vcc, 0, v12
	v_cndmask_b32_e32 v6, v6, v15, vcc
	v_cndmask_b32_e32 v12, v13, v14, vcc
	v_lshlrev_b32_e32 v13, 8, v3
	v_mov_b32_e32 v14, 0x3b800000
	v_lshlrev_b32_e32 v6, 20, v6
	v_and_b32_e32 v13, 0x80000000, v13
	v_lshl_add_u32 v12, v12, 23, v14
	v_or3_b32 v12, v13, v12, v6
.LBB5_1336:
	s_or_b64 exec, exec, s[6:7]
	s_nop 0
	v_mfma_f32_16x16x4f32 a[0:3], v2, v12, a[0:3]
	s_movk_i32 s4, 0x7f
	v_cmp_gt_i16_sdwa s[6:7], v7, s4 src0_sel:BYTE_3 src1_sel:DWORD
	s_mov_b64 s[4:5], 0
                                        ; implicit-def: $sgpr10
	s_and_saveexec_b64 s[8:9], s[6:7]
	s_xor_b64 s[6:7], exec, s[8:9]
	s_cbranch_execnz .LBB5_3385
; %bb.1337:
	s_or_saveexec_b64 s[6:7], s[6:7]
	v_mov_b32_e32 v2, s10
	s_xor_b64 exec, exec, s[6:7]
	s_cbranch_execnz .LBB5_3388
.LBB5_1338:
	s_or_b64 exec, exec, s[6:7]
	s_and_saveexec_b64 s[6:7], s[4:5]
	s_cbranch_execz .LBB5_1340
.LBB5_1339:
	v_bfe_u32 v2, v7, 24, 3
	v_ffbh_u32_e32 v14, v2
	v_min_u32_e32 v14, 32, v14
	v_lshrrev_b32_e32 v12, 27, v7
	v_subrev_u32_e32 v15, 28, v14
	v_and_b32_e32 v6, 0x80000000, v7
	v_and_b32_e32 v12, 15, v12
	v_bfe_u32 v13, v7, 27, 4
	v_lshlrev_b32_sdwa v7, v15, v7 dst_sel:DWORD dst_unused:UNUSED_PAD src0_sel:DWORD src1_sel:BYTE_3
	v_sub_u32_e32 v14, 29, v14
	v_and_b32_e32 v7, 7, v7
	v_cmp_eq_u16_e32 vcc, 0, v12
	v_cndmask_b32_e32 v2, v2, v7, vcc
	v_cndmask_b32_e32 v7, v13, v14, vcc
	v_mov_b32_e32 v12, 0x3b800000
	v_lshlrev_b32_e32 v2, 20, v2
	v_lshl_add_u32 v7, v7, 23, v12
	v_or3_b32 v2, v6, v7, v2
.LBB5_1340:
	s_or_b64 exec, exec, s[6:7]
	s_movk_i32 s4, 0x7f
	v_cmp_gt_i16_sdwa s[6:7], v3, s4 src0_sel:BYTE_3 src1_sel:DWORD
	s_mov_b64 s[4:5], 0
                                        ; implicit-def: $sgpr10
	s_and_saveexec_b64 s[8:9], s[6:7]
	s_xor_b64 s[6:7], exec, s[8:9]
	s_cbranch_execnz .LBB5_3389
; %bb.1341:
	s_or_saveexec_b64 s[6:7], s[6:7]
	v_mov_b32_e32 v6, s10
	s_xor_b64 exec, exec, s[6:7]
	s_cbranch_execnz .LBB5_3392
.LBB5_1342:
	s_or_b64 exec, exec, s[6:7]
	s_and_saveexec_b64 s[6:7], s[4:5]
	s_cbranch_execz .LBB5_1344
.LBB5_1343:
	v_bfe_u32 v6, v3, 24, 3
	v_ffbh_u32_e32 v14, v6
	v_min_u32_e32 v14, 32, v14
	v_lshrrev_b32_e32 v12, 27, v3
	v_subrev_u32_e32 v15, 28, v14
	v_and_b32_e32 v7, 0x80000000, v3
	v_and_b32_e32 v12, 15, v12
	v_bfe_u32 v13, v3, 27, 4
	v_lshlrev_b32_sdwa v3, v15, v3 dst_sel:DWORD dst_unused:UNUSED_PAD src0_sel:DWORD src1_sel:BYTE_3
	v_sub_u32_e32 v14, 29, v14
	v_and_b32_e32 v3, 7, v3
	v_cmp_eq_u16_e32 vcc, 0, v12
	v_cndmask_b32_e32 v3, v6, v3, vcc
	v_cndmask_b32_e32 v6, v13, v14, vcc
	v_mov_b32_e32 v12, 0x3b800000
	v_lshlrev_b32_e32 v3, 20, v3
	v_lshl_add_u32 v6, v6, 23, v12
	v_or3_b32 v6, v7, v6, v3
.LBB5_1344:
	s_or_b64 exec, exec, s[6:7]
	s_nop 0
	v_mfma_f32_16x16x4f32 a[0:3], v2, v6, a[0:3]
	s_movk_i32 s4, 0x7f
	v_cmp_gt_i16_sdwa s[6:7], v8, s4 src0_sel:BYTE_0 src1_sel:DWORD
	s_mov_b64 s[4:5], 0
                                        ; implicit-def: $sgpr10
	s_and_saveexec_b64 s[8:9], s[6:7]
	s_xor_b64 s[6:7], exec, s[8:9]
	s_cbranch_execnz .LBB5_3393
; %bb.1345:
	s_or_saveexec_b64 s[6:7], s[6:7]
	v_mov_b32_e32 v2, s10
	s_xor_b64 exec, exec, s[6:7]
	s_cbranch_execnz .LBB5_3396
.LBB5_1346:
	s_or_b64 exec, exec, s[6:7]
	s_and_saveexec_b64 s[6:7], s[4:5]
	s_cbranch_execz .LBB5_1348
.LBB5_1347:
	v_and_b32_e32 v2, 7, v8
	v_ffbh_u32_e32 v6, v2
	v_min_u32_e32 v6, 32, v6
	v_lshrrev_b16_e32 v3, 3, v8
	v_subrev_u32_e32 v7, 28, v6
	v_and_b32_e32 v3, 15, v3
	v_lshlrev_b32_e32 v7, v7, v8
	v_sub_u32_e32 v6, 29, v6
	v_and_b32_e32 v7, 7, v7
	v_cmp_eq_u16_e32 vcc, 0, v3
	v_cndmask_b32_e32 v2, v2, v7, vcc
	v_cndmask_b32_e32 v3, v3, v6, vcc
	v_lshlrev_b32_e32 v6, 24, v8
	v_mov_b32_e32 v7, 0x3b800000
	v_lshlrev_b32_e32 v2, 20, v2
	v_and_b32_e32 v6, 0x80000000, v6
	v_lshl_add_u32 v3, v3, 23, v7
	v_or3_b32 v2, v6, v3, v2
.LBB5_1348:
	s_or_b64 exec, exec, s[6:7]
	s_movk_i32 s4, 0x7f
	v_cmp_gt_i16_sdwa s[6:7], v4, s4 src0_sel:BYTE_0 src1_sel:DWORD
	s_mov_b64 s[4:5], 0
                                        ; implicit-def: $sgpr10
	s_and_saveexec_b64 s[8:9], s[6:7]
	s_xor_b64 s[6:7], exec, s[8:9]
	s_cbranch_execnz .LBB5_3397
; %bb.1349:
	s_or_saveexec_b64 s[6:7], s[6:7]
	v_mov_b32_e32 v3, s10
	s_xor_b64 exec, exec, s[6:7]
	s_cbranch_execnz .LBB5_3400
.LBB5_1350:
	s_or_b64 exec, exec, s[6:7]
	s_and_saveexec_b64 s[6:7], s[4:5]
	s_cbranch_execz .LBB5_1352
.LBB5_1351:
	v_and_b32_e32 v3, 7, v4
	v_ffbh_u32_e32 v7, v3
	v_min_u32_e32 v7, 32, v7
	v_lshrrev_b16_e32 v6, 3, v4
	v_subrev_u32_e32 v12, 28, v7
	v_and_b32_e32 v6, 15, v6
	v_lshlrev_b32_e32 v12, v12, v4
	v_sub_u32_e32 v7, 29, v7
	v_and_b32_e32 v12, 7, v12
	v_cmp_eq_u16_e32 vcc, 0, v6
	v_cndmask_b32_e32 v3, v3, v12, vcc
	v_cndmask_b32_e32 v6, v6, v7, vcc
	v_lshlrev_b32_e32 v7, 24, v4
	v_mov_b32_e32 v12, 0x3b800000
	v_lshlrev_b32_e32 v3, 20, v3
	v_and_b32_e32 v7, 0x80000000, v7
	v_lshl_add_u32 v6, v6, 23, v12
	v_or3_b32 v3, v7, v6, v3
.LBB5_1352:
	s_or_b64 exec, exec, s[6:7]
	s_nop 0
	v_mfma_f32_16x16x4f32 a[0:3], v2, v3, a[0:3]
	v_lshrrev_b32_e32 v3, 8, v8
	s_movk_i32 s4, 0x7f
	v_cmp_gt_i16_sdwa s[6:7], v3, s4 src0_sel:BYTE_0 src1_sel:DWORD
	s_mov_b64 s[4:5], 0
                                        ; implicit-def: $sgpr10
	s_and_saveexec_b64 s[8:9], s[6:7]
	s_xor_b64 s[6:7], exec, s[8:9]
	s_cbranch_execnz .LBB5_3401
; %bb.1353:
	s_or_saveexec_b64 s[6:7], s[6:7]
	v_mov_b32_e32 v2, s10
	s_xor_b64 exec, exec, s[6:7]
	s_cbranch_execnz .LBB5_3404
.LBB5_1354:
	s_or_b64 exec, exec, s[6:7]
	s_and_saveexec_b64 s[6:7], s[4:5]
	s_cbranch_execz .LBB5_1356
.LBB5_1355:
	v_bfe_u32 v2, v8, 8, 3
	v_ffbh_u32_e32 v7, v2
	v_min_u32_e32 v7, 32, v7
	v_lshrrev_b16_e32 v6, 3, v3
	v_subrev_u32_e32 v12, 28, v7
	v_and_b32_e32 v6, 15, v6
	v_lshlrev_b32_e32 v3, v12, v3
	v_sub_u32_e32 v7, 29, v7
	v_and_b32_e32 v3, 7, v3
	v_cmp_eq_u16_e32 vcc, 0, v6
	v_cndmask_b32_e32 v2, v2, v3, vcc
	v_cndmask_b32_e32 v3, v6, v7, vcc
	v_lshlrev_b32_e32 v6, 16, v8
	v_mov_b32_e32 v7, 0x3b800000
	v_lshlrev_b32_e32 v2, 20, v2
	v_and_b32_e32 v6, 0x80000000, v6
	v_lshl_add_u32 v3, v3, 23, v7
	v_or3_b32 v2, v6, v3, v2
.LBB5_1356:
	s_or_b64 exec, exec, s[6:7]
	v_lshrrev_b32_e32 v3, 8, v4
	s_movk_i32 s4, 0x7f
	v_cmp_gt_i16_sdwa s[6:7], v3, s4 src0_sel:BYTE_0 src1_sel:DWORD
	s_mov_b64 s[4:5], 0
                                        ; implicit-def: $sgpr10
	s_and_saveexec_b64 s[8:9], s[6:7]
	s_xor_b64 s[6:7], exec, s[8:9]
	s_cbranch_execnz .LBB5_3405
; %bb.1357:
	s_or_saveexec_b64 s[6:7], s[6:7]
	v_mov_b32_e32 v6, s10
	s_xor_b64 exec, exec, s[6:7]
	s_cbranch_execnz .LBB5_3408
.LBB5_1358:
	s_or_b64 exec, exec, s[6:7]
	s_and_saveexec_b64 s[6:7], s[4:5]
	s_cbranch_execz .LBB5_1360
.LBB5_1359:
	v_bfe_u32 v6, v4, 8, 3
	v_ffbh_u32_e32 v12, v6
	v_min_u32_e32 v12, 32, v12
	v_lshrrev_b16_e32 v7, 3, v3
	v_subrev_u32_e32 v13, 28, v12
	v_and_b32_e32 v7, 15, v7
	v_lshlrev_b32_e32 v3, v13, v3
	v_sub_u32_e32 v12, 29, v12
	v_and_b32_e32 v3, 7, v3
	v_cmp_eq_u16_e32 vcc, 0, v7
	v_cndmask_b32_e32 v3, v6, v3, vcc
	v_cndmask_b32_e32 v6, v7, v12, vcc
	v_lshlrev_b32_e32 v7, 16, v4
	v_mov_b32_e32 v12, 0x3b800000
	v_lshlrev_b32_e32 v3, 20, v3
	v_and_b32_e32 v7, 0x80000000, v7
	v_lshl_add_u32 v6, v6, 23, v12
	v_or3_b32 v6, v7, v6, v3
.LBB5_1360:
	s_or_b64 exec, exec, s[6:7]
	s_nop 0
	v_mfma_f32_16x16x4f32 a[0:3], v2, v6, a[0:3]
	s_movk_i32 s4, 0xff
	v_and_b32_sdwa v3, v8, s4 dst_sel:DWORD dst_unused:UNUSED_PAD src0_sel:WORD_1 src1_sel:DWORD
	s_movk_i32 s4, 0x7f
	v_cmp_lt_i16_e32 vcc, s4, v3
	s_mov_b64 s[4:5], 0
                                        ; implicit-def: $sgpr10
	s_and_saveexec_b64 s[6:7], vcc
	s_xor_b64 s[6:7], exec, s[6:7]
	s_cbranch_execnz .LBB5_3409
; %bb.1361:
	s_or_saveexec_b64 s[6:7], s[6:7]
	v_mov_b32_e32 v2, s10
	s_xor_b64 exec, exec, s[6:7]
	s_cbranch_execnz .LBB5_3412
.LBB5_1362:
	s_or_b64 exec, exec, s[6:7]
	s_and_saveexec_b64 s[6:7], s[4:5]
	s_cbranch_execz .LBB5_1364
.LBB5_1363:
	v_bfe_u32 v2, v8, 16, 3
	v_ffbh_u32_e32 v7, v2
	v_min_u32_e32 v7, 32, v7
	v_lshrrev_b32_e32 v3, 19, v8
	v_subrev_u32_e32 v12, 28, v7
	v_and_b32_e32 v3, 15, v3
	v_lshlrev_b32_sdwa v12, v12, v8 dst_sel:DWORD dst_unused:UNUSED_PAD src0_sel:DWORD src1_sel:WORD_1
	v_bfe_u32 v6, v8, 19, 4
	v_sub_u32_e32 v7, 29, v7
	v_and_b32_e32 v12, 7, v12
	v_cmp_eq_u16_e32 vcc, 0, v3
	v_cndmask_b32_e32 v2, v2, v12, vcc
	v_cndmask_b32_e32 v3, v6, v7, vcc
	v_lshlrev_b32_e32 v6, 8, v8
	v_mov_b32_e32 v7, 0x3b800000
	v_lshlrev_b32_e32 v2, 20, v2
	v_and_b32_e32 v6, 0x80000000, v6
	v_lshl_add_u32 v3, v3, 23, v7
	v_or3_b32 v2, v6, v3, v2
.LBB5_1364:
	s_or_b64 exec, exec, s[6:7]
	s_movk_i32 s4, 0xff
	v_and_b32_sdwa v3, v4, s4 dst_sel:DWORD dst_unused:UNUSED_PAD src0_sel:WORD_1 src1_sel:DWORD
	s_movk_i32 s4, 0x7f
	v_cmp_lt_i16_e32 vcc, s4, v3
	s_mov_b64 s[4:5], 0
                                        ; implicit-def: $sgpr10
	s_and_saveexec_b64 s[6:7], vcc
	s_xor_b64 s[6:7], exec, s[6:7]
	s_cbranch_execnz .LBB5_3413
; %bb.1365:
	s_or_saveexec_b64 s[6:7], s[6:7]
	v_mov_b32_e32 v6, s10
	s_xor_b64 exec, exec, s[6:7]
	s_cbranch_execnz .LBB5_3416
.LBB5_1366:
	s_or_b64 exec, exec, s[6:7]
	s_and_saveexec_b64 s[6:7], s[4:5]
	s_cbranch_execz .LBB5_1368
.LBB5_1367:
	v_bfe_u32 v3, v4, 16, 3
	v_ffbh_u32_e32 v12, v3
	v_min_u32_e32 v12, 32, v12
	v_lshrrev_b32_e32 v6, 19, v4
	v_subrev_u32_e32 v13, 28, v12
	v_and_b32_e32 v6, 15, v6
	v_lshlrev_b32_sdwa v13, v13, v4 dst_sel:DWORD dst_unused:UNUSED_PAD src0_sel:DWORD src1_sel:WORD_1
	v_bfe_u32 v7, v4, 19, 4
	v_sub_u32_e32 v12, 29, v12
	v_and_b32_e32 v13, 7, v13
	v_cmp_eq_u16_e32 vcc, 0, v6
	v_cndmask_b32_e32 v3, v3, v13, vcc
	v_cndmask_b32_e32 v6, v7, v12, vcc
	v_lshlrev_b32_e32 v7, 8, v4
	v_mov_b32_e32 v12, 0x3b800000
	v_lshlrev_b32_e32 v3, 20, v3
	v_and_b32_e32 v7, 0x80000000, v7
	v_lshl_add_u32 v6, v6, 23, v12
	v_or3_b32 v6, v7, v6, v3
.LBB5_1368:
	s_or_b64 exec, exec, s[6:7]
	s_nop 0
	v_mfma_f32_16x16x4f32 a[0:3], v2, v6, a[0:3]
	s_movk_i32 s4, 0x7f
	v_cmp_gt_i16_sdwa s[6:7], v8, s4 src0_sel:BYTE_3 src1_sel:DWORD
	s_mov_b64 s[4:5], 0
                                        ; implicit-def: $sgpr10
	s_and_saveexec_b64 s[8:9], s[6:7]
	s_xor_b64 s[6:7], exec, s[8:9]
	s_cbranch_execnz .LBB5_3417
; %bb.1369:
	s_or_saveexec_b64 s[6:7], s[6:7]
	v_mov_b32_e32 v2, s10
	s_xor_b64 exec, exec, s[6:7]
	s_cbranch_execnz .LBB5_3420
.LBB5_1370:
	s_or_b64 exec, exec, s[6:7]
	s_and_saveexec_b64 s[6:7], s[4:5]
	s_cbranch_execz .LBB5_1372
.LBB5_1371:
	v_bfe_u32 v2, v8, 24, 3
	v_ffbh_u32_e32 v12, v2
	v_min_u32_e32 v12, 32, v12
	v_lshrrev_b32_e32 v6, 27, v8
	v_subrev_u32_e32 v13, 28, v12
	v_and_b32_e32 v3, 0x80000000, v8
	v_and_b32_e32 v6, 15, v6
	v_bfe_u32 v7, v8, 27, 4
	v_lshlrev_b32_sdwa v8, v13, v8 dst_sel:DWORD dst_unused:UNUSED_PAD src0_sel:DWORD src1_sel:BYTE_3
	v_sub_u32_e32 v12, 29, v12
	v_and_b32_e32 v8, 7, v8
	v_cmp_eq_u16_e32 vcc, 0, v6
	v_cndmask_b32_e32 v2, v2, v8, vcc
	v_cndmask_b32_e32 v6, v7, v12, vcc
	v_mov_b32_e32 v7, 0x3b800000
	v_lshlrev_b32_e32 v2, 20, v2
	v_lshl_add_u32 v6, v6, 23, v7
	v_or3_b32 v2, v3, v6, v2
.LBB5_1372:
	s_or_b64 exec, exec, s[6:7]
	s_movk_i32 s4, 0x7f
	v_cmp_gt_i16_sdwa s[6:7], v4, s4 src0_sel:BYTE_3 src1_sel:DWORD
	s_mov_b64 s[4:5], 0
                                        ; implicit-def: $sgpr10
	s_and_saveexec_b64 s[8:9], s[6:7]
	s_xor_b64 s[6:7], exec, s[8:9]
	s_cbranch_execnz .LBB5_3421
; %bb.1373:
	s_or_saveexec_b64 s[6:7], s[6:7]
	v_mov_b32_e32 v3, s10
	s_xor_b64 exec, exec, s[6:7]
	s_cbranch_execnz .LBB5_3424
.LBB5_1374:
	s_or_b64 exec, exec, s[6:7]
	s_and_saveexec_b64 s[6:7], s[4:5]
	s_cbranch_execz .LBB5_1376
.LBB5_1375:
	v_bfe_u32 v3, v4, 24, 3
	v_ffbh_u32_e32 v12, v3
	v_min_u32_e32 v12, 32, v12
	v_lshrrev_b32_e32 v7, 27, v4
	v_subrev_u32_e32 v13, 28, v12
	v_and_b32_e32 v6, 0x80000000, v4
	v_and_b32_e32 v7, 15, v7
	v_bfe_u32 v8, v4, 27, 4
	v_lshlrev_b32_sdwa v4, v13, v4 dst_sel:DWORD dst_unused:UNUSED_PAD src0_sel:DWORD src1_sel:BYTE_3
	v_sub_u32_e32 v12, 29, v12
	v_and_b32_e32 v4, 7, v4
	v_cmp_eq_u16_e32 vcc, 0, v7
	v_cndmask_b32_e32 v3, v3, v4, vcc
	v_cndmask_b32_e32 v4, v8, v12, vcc
	v_mov_b32_e32 v7, 0x3b800000
	v_lshlrev_b32_e32 v3, 20, v3
	v_lshl_add_u32 v4, v4, 23, v7
	v_or3_b32 v3, v6, v4, v3
.LBB5_1376:
	s_or_b64 exec, exec, s[6:7]
	s_nop 0
	v_mfma_f32_16x16x4f32 a[0:3], v2, v3, a[0:3]
	s_movk_i32 s4, 0x7f
	v_cmp_gt_i16_sdwa s[6:7], v9, s4 src0_sel:BYTE_0 src1_sel:DWORD
	s_mov_b64 s[4:5], 0
                                        ; implicit-def: $sgpr10
	s_and_saveexec_b64 s[8:9], s[6:7]
	s_xor_b64 s[6:7], exec, s[8:9]
	s_cbranch_execnz .LBB5_3425
; %bb.1377:
	s_or_saveexec_b64 s[6:7], s[6:7]
	v_mov_b32_e32 v2, s10
	s_xor_b64 exec, exec, s[6:7]
	s_cbranch_execnz .LBB5_3428
.LBB5_1378:
	s_or_b64 exec, exec, s[6:7]
	s_and_saveexec_b64 s[6:7], s[4:5]
	s_cbranch_execz .LBB5_1380
.LBB5_1379:
	v_mov_b32_e32 v2, 8
	v_and_b32_e32 v3, 7, v9
	v_lshrrev_b32_sdwa v2, v2, v9 dst_sel:BYTE_1 dst_unused:UNUSED_PAD src0_sel:DWORD src1_sel:DWORD
	v_ffbh_u32_e32 v4, v3
	v_or_b32_sdwa v2, v9, v2 dst_sel:DWORD dst_unused:UNUSED_PAD src0_sel:BYTE_0 src1_sel:DWORD
	v_min_u32_e32 v4, 32, v4
	v_lshrrev_b16_e32 v2, 3, v2
	v_subrev_u32_e32 v6, 28, v4
	v_and_b32_e32 v2, 15, v2
	v_lshlrev_b32_e32 v6, v6, v9
	v_sub_u32_e32 v4, 29, v4
	v_and_b32_e32 v6, 7, v6
	v_cmp_eq_u16_e32 vcc, 0, v2
	v_cndmask_b32_e32 v3, v3, v6, vcc
	v_cndmask_b32_e32 v2, v2, v4, vcc
	v_lshlrev_b32_e32 v4, 24, v9
	v_mov_b32_e32 v6, 0x3b800000
	v_lshlrev_b32_e32 v3, 20, v3
	v_and_b32_e32 v4, 0x80000000, v4
	v_lshl_add_u32 v2, v2, 23, v6
	v_or3_b32 v2, v4, v2, v3
.LBB5_1380:
	s_or_b64 exec, exec, s[6:7]
	s_movk_i32 s4, 0x7f
	v_cmp_gt_i16_sdwa s[6:7], v5, s4 src0_sel:BYTE_0 src1_sel:DWORD
	s_mov_b64 s[4:5], 0
                                        ; implicit-def: $sgpr10
	s_and_saveexec_b64 s[8:9], s[6:7]
	s_xor_b64 s[6:7], exec, s[8:9]
	s_cbranch_execnz .LBB5_3429
; %bb.1381:
	s_or_saveexec_b64 s[6:7], s[6:7]
	v_mov_b32_e32 v3, s10
	s_xor_b64 exec, exec, s[6:7]
	s_cbranch_execnz .LBB5_3432
.LBB5_1382:
	s_or_b64 exec, exec, s[6:7]
	s_and_saveexec_b64 s[6:7], s[4:5]
	s_cbranch_execz .LBB5_1384
.LBB5_1383:
	v_mov_b32_e32 v3, 8
	v_and_b32_e32 v4, 7, v5
	v_lshrrev_b32_sdwa v3, v3, v5 dst_sel:BYTE_1 dst_unused:UNUSED_PAD src0_sel:DWORD src1_sel:DWORD
	v_ffbh_u32_e32 v6, v4
	v_or_b32_sdwa v3, v5, v3 dst_sel:DWORD dst_unused:UNUSED_PAD src0_sel:BYTE_0 src1_sel:DWORD
	v_min_u32_e32 v6, 32, v6
	v_lshrrev_b16_e32 v3, 3, v3
	v_subrev_u32_e32 v7, 28, v6
	v_and_b32_e32 v3, 15, v3
	v_lshlrev_b32_e32 v7, v7, v5
	v_sub_u32_e32 v6, 29, v6
	v_and_b32_e32 v7, 7, v7
	v_cmp_eq_u16_e32 vcc, 0, v3
	v_cndmask_b32_e32 v4, v4, v7, vcc
	v_cndmask_b32_e32 v3, v3, v6, vcc
	v_lshlrev_b32_e32 v6, 24, v5
	v_mov_b32_e32 v7, 0x3b800000
	v_lshlrev_b32_e32 v4, 20, v4
	v_and_b32_e32 v6, 0x80000000, v6
	v_lshl_add_u32 v3, v3, 23, v7
	v_or3_b32 v3, v6, v3, v4
.LBB5_1384:
	s_or_b64 exec, exec, s[6:7]
	s_nop 0
	v_mfma_f32_16x16x4f32 a[0:3], v2, v3, a[0:3]
	v_lshrrev_b32_e32 v3, 8, v9
	s_movk_i32 s4, 0x7f
	v_cmp_gt_i16_sdwa s[6:7], v3, s4 src0_sel:BYTE_0 src1_sel:DWORD
	s_mov_b64 s[4:5], 0
                                        ; implicit-def: $sgpr10
	s_and_saveexec_b64 s[8:9], s[6:7]
	s_xor_b64 s[6:7], exec, s[8:9]
	s_cbranch_execnz .LBB5_3433
; %bb.1385:
	s_or_saveexec_b64 s[6:7], s[6:7]
	v_mov_b32_e32 v2, s10
	s_xor_b64 exec, exec, s[6:7]
	s_cbranch_execnz .LBB5_3436
.LBB5_1386:
	s_or_b64 exec, exec, s[6:7]
	s_and_saveexec_b64 s[6:7], s[4:5]
	s_cbranch_execz .LBB5_1388
.LBB5_1387:
	v_bfe_u32 v2, v9, 8, 3
	v_ffbh_u32_e32 v6, v2
	v_min_u32_e32 v6, 32, v6
	v_lshrrev_b16_e32 v4, 3, v3
	v_subrev_u32_e32 v7, 28, v6
	v_and_b32_e32 v4, 15, v4
	v_lshlrev_b32_e32 v3, v7, v3
	v_sub_u32_e32 v6, 29, v6
	v_and_b32_e32 v3, 7, v3
	v_cmp_eq_u16_e32 vcc, 0, v4
	v_cndmask_b32_e32 v2, v2, v3, vcc
	v_cndmask_b32_e32 v3, v4, v6, vcc
	v_lshlrev_b32_e32 v4, 16, v9
	v_mov_b32_e32 v6, 0x3b800000
	v_lshlrev_b32_e32 v2, 20, v2
	v_and_b32_e32 v4, 0x80000000, v4
	v_lshl_add_u32 v3, v3, 23, v6
	v_or3_b32 v2, v4, v3, v2
.LBB5_1388:
	s_or_b64 exec, exec, s[6:7]
	v_lshrrev_b32_e32 v3, 8, v5
	s_movk_i32 s4, 0x7f
	v_cmp_gt_i16_sdwa s[6:7], v3, s4 src0_sel:BYTE_0 src1_sel:DWORD
	s_mov_b64 s[4:5], 0
                                        ; implicit-def: $sgpr10
	s_and_saveexec_b64 s[8:9], s[6:7]
	s_xor_b64 s[6:7], exec, s[8:9]
	s_cbranch_execnz .LBB5_3437
; %bb.1389:
	s_or_saveexec_b64 s[6:7], s[6:7]
	v_mov_b32_e32 v4, s10
	s_xor_b64 exec, exec, s[6:7]
	s_cbranch_execnz .LBB5_3440
.LBB5_1390:
	s_or_b64 exec, exec, s[6:7]
	s_and_saveexec_b64 s[6:7], s[4:5]
	s_cbranch_execz .LBB5_1392
.LBB5_1391:
	v_bfe_u32 v4, v5, 8, 3
	v_ffbh_u32_e32 v7, v4
	v_min_u32_e32 v7, 32, v7
	v_lshrrev_b16_e32 v6, 3, v3
	v_subrev_u32_e32 v8, 28, v7
	v_and_b32_e32 v6, 15, v6
	v_lshlrev_b32_e32 v3, v8, v3
	v_sub_u32_e32 v7, 29, v7
	v_and_b32_e32 v3, 7, v3
	v_cmp_eq_u16_e32 vcc, 0, v6
	v_cndmask_b32_e32 v3, v4, v3, vcc
	v_cndmask_b32_e32 v4, v6, v7, vcc
	v_lshlrev_b32_e32 v6, 16, v5
	v_mov_b32_e32 v7, 0x3b800000
	v_lshlrev_b32_e32 v3, 20, v3
	v_and_b32_e32 v6, 0x80000000, v6
	v_lshl_add_u32 v4, v4, 23, v7
	v_or3_b32 v4, v6, v4, v3
.LBB5_1392:
	s_or_b64 exec, exec, s[6:7]
	s_nop 0
	v_mfma_f32_16x16x4f32 a[0:3], v2, v4, a[0:3]
	s_movk_i32 s4, 0xff
	v_and_b32_sdwa v3, v9, s4 dst_sel:DWORD dst_unused:UNUSED_PAD src0_sel:WORD_1 src1_sel:DWORD
	s_movk_i32 s4, 0x7f
	v_cmp_lt_i16_e32 vcc, s4, v3
	s_mov_b64 s[4:5], 0
                                        ; implicit-def: $sgpr10
	s_and_saveexec_b64 s[6:7], vcc
	s_xor_b64 s[6:7], exec, s[6:7]
	s_cbranch_execnz .LBB5_3441
; %bb.1393:
	s_or_saveexec_b64 s[6:7], s[6:7]
	v_mov_b32_e32 v2, s10
	s_xor_b64 exec, exec, s[6:7]
	s_cbranch_execnz .LBB5_3444
.LBB5_1394:
	s_or_b64 exec, exec, s[6:7]
	s_and_saveexec_b64 s[6:7], s[4:5]
	s_cbranch_execz .LBB5_1396
.LBB5_1395:
	v_bfe_u32 v2, v9, 16, 3
	v_ffbh_u32_e32 v6, v2
	v_min_u32_e32 v6, 32, v6
	v_lshrrev_b32_e32 v3, 19, v9
	v_subrev_u32_e32 v7, 28, v6
	v_and_b32_e32 v3, 15, v3
	v_lshlrev_b32_sdwa v7, v7, v9 dst_sel:DWORD dst_unused:UNUSED_PAD src0_sel:DWORD src1_sel:WORD_1
	v_bfe_u32 v4, v9, 19, 4
	v_sub_u32_e32 v6, 29, v6
	v_and_b32_e32 v7, 7, v7
	v_cmp_eq_u16_e32 vcc, 0, v3
	v_cndmask_b32_e32 v2, v2, v7, vcc
	v_cndmask_b32_e32 v3, v4, v6, vcc
	v_lshlrev_b32_e32 v4, 8, v9
	v_mov_b32_e32 v6, 0x3b800000
	v_lshlrev_b32_e32 v2, 20, v2
	v_and_b32_e32 v4, 0x80000000, v4
	v_lshl_add_u32 v3, v3, 23, v6
	v_or3_b32 v2, v4, v3, v2
.LBB5_1396:
	s_or_b64 exec, exec, s[6:7]
	s_movk_i32 s4, 0xff
	v_and_b32_sdwa v3, v5, s4 dst_sel:DWORD dst_unused:UNUSED_PAD src0_sel:WORD_1 src1_sel:DWORD
	s_movk_i32 s4, 0x7f
	v_cmp_lt_i16_e32 vcc, s4, v3
	s_mov_b64 s[4:5], 0
                                        ; implicit-def: $sgpr10
	s_and_saveexec_b64 s[6:7], vcc
	s_xor_b64 s[6:7], exec, s[6:7]
	s_cbranch_execnz .LBB5_3445
; %bb.1397:
	s_or_saveexec_b64 s[6:7], s[6:7]
	v_mov_b32_e32 v4, s10
	s_xor_b64 exec, exec, s[6:7]
	s_cbranch_execnz .LBB5_3448
.LBB5_1398:
	s_or_b64 exec, exec, s[6:7]
	s_and_saveexec_b64 s[6:7], s[4:5]
	s_cbranch_execz .LBB5_1400
.LBB5_1399:
	v_bfe_u32 v3, v5, 16, 3
	v_ffbh_u32_e32 v7, v3
	v_min_u32_e32 v7, 32, v7
	v_lshrrev_b32_e32 v4, 19, v5
	v_subrev_u32_e32 v8, 28, v7
	v_and_b32_e32 v4, 15, v4
	v_lshlrev_b32_sdwa v8, v8, v5 dst_sel:DWORD dst_unused:UNUSED_PAD src0_sel:DWORD src1_sel:WORD_1
	v_bfe_u32 v6, v5, 19, 4
	v_sub_u32_e32 v7, 29, v7
	v_and_b32_e32 v8, 7, v8
	v_cmp_eq_u16_e32 vcc, 0, v4
	v_cndmask_b32_e32 v3, v3, v8, vcc
	v_cndmask_b32_e32 v4, v6, v7, vcc
	v_lshlrev_b32_e32 v6, 8, v5
	v_mov_b32_e32 v7, 0x3b800000
	v_lshlrev_b32_e32 v3, 20, v3
	v_and_b32_e32 v6, 0x80000000, v6
	v_lshl_add_u32 v4, v4, 23, v7
	v_or3_b32 v4, v6, v4, v3
.LBB5_1400:
	s_or_b64 exec, exec, s[6:7]
	s_nop 0
	v_mfma_f32_16x16x4f32 a[0:3], v2, v4, a[0:3]
	s_movk_i32 s4, 0x7f
	v_cmp_gt_i16_sdwa s[6:7], v9, s4 src0_sel:BYTE_3 src1_sel:DWORD
	s_mov_b64 s[4:5], 0
                                        ; implicit-def: $sgpr10
	s_and_saveexec_b64 s[8:9], s[6:7]
	s_xor_b64 s[6:7], exec, s[8:9]
	s_cbranch_execnz .LBB5_3449
; %bb.1401:
	s_or_saveexec_b64 s[6:7], s[6:7]
	v_mov_b32_e32 v2, s10
	s_xor_b64 exec, exec, s[6:7]
	s_cbranch_execnz .LBB5_3452
.LBB5_1402:
	s_or_b64 exec, exec, s[6:7]
	s_and_saveexec_b64 s[6:7], s[4:5]
	s_cbranch_execz .LBB5_1404
.LBB5_1403:
	v_bfe_u32 v2, v9, 24, 3
	v_ffbh_u32_e32 v7, v2
	v_min_u32_e32 v7, 32, v7
	v_lshrrev_b32_e32 v4, 27, v9
	v_subrev_u32_e32 v8, 28, v7
	v_and_b32_e32 v4, 15, v4
	v_lshlrev_b32_sdwa v8, v8, v9 dst_sel:DWORD dst_unused:UNUSED_PAD src0_sel:DWORD src1_sel:BYTE_3
	v_bfe_u32 v6, v9, 27, 4
	v_sub_u32_e32 v7, 29, v7
	v_and_b32_e32 v8, 7, v8
	v_cmp_eq_u16_e32 vcc, 0, v4
	v_cndmask_b32_e32 v2, v2, v8, vcc
	v_cndmask_b32_e32 v4, v6, v7, vcc
	v_mov_b32_e32 v6, 0x3b800000
	v_and_b32_e32 v3, 0x80000000, v9
	v_lshlrev_b32_e32 v2, 20, v2
	v_lshl_add_u32 v4, v4, 23, v6
	v_or3_b32 v2, v3, v4, v2
.LBB5_1404:
	s_or_b64 exec, exec, s[6:7]
	s_movk_i32 s4, 0x7f
	v_cmp_gt_i16_sdwa s[6:7], v5, s4 src0_sel:BYTE_3 src1_sel:DWORD
	s_mov_b64 s[4:5], 0
                                        ; implicit-def: $sgpr10
	s_and_saveexec_b64 s[8:9], s[6:7]
	s_xor_b64 s[6:7], exec, s[8:9]
	s_cbranch_execnz .LBB5_3453
; %bb.1405:
	s_or_saveexec_b64 s[6:7], s[6:7]
	v_mov_b32_e32 v3, s10
	s_xor_b64 exec, exec, s[6:7]
	s_cbranch_execnz .LBB5_3456
.LBB5_1406:
	s_or_b64 exec, exec, s[6:7]
	s_and_saveexec_b64 s[6:7], s[4:5]
	s_cbranch_execz .LBB5_1408
.LBB5_1407:
	v_bfe_u32 v3, v5, 24, 3
	v_ffbh_u32_e32 v8, v3
	v_min_u32_e32 v8, 32, v8
	v_lshrrev_b32_e32 v6, 27, v5
	v_subrev_u32_e32 v9, 28, v8
	v_and_b32_e32 v4, 0x80000000, v5
	v_and_b32_e32 v6, 15, v6
	v_bfe_u32 v7, v5, 27, 4
	v_lshlrev_b32_sdwa v5, v9, v5 dst_sel:DWORD dst_unused:UNUSED_PAD src0_sel:DWORD src1_sel:BYTE_3
	v_sub_u32_e32 v8, 29, v8
	v_and_b32_e32 v5, 7, v5
	v_cmp_eq_u16_e32 vcc, 0, v6
	v_cndmask_b32_e32 v3, v3, v5, vcc
	v_cndmask_b32_e32 v5, v7, v8, vcc
	v_mov_b32_e32 v6, 0x3b800000
	v_lshlrev_b32_e32 v3, 20, v3
	v_lshl_add_u32 v5, v5, 23, v6
	v_or3_b32 v3, v4, v5, v3
.LBB5_1408:
	s_or_b64 exec, exec, s[6:7]
	s_nop 0
	v_mfma_f32_16x16x4f32 a[0:3], v2, v3, a[0:3]
	s_movk_i32 s4, 0x7f
                                        ; implicit-def: $sgpr10
	s_nop 7
	s_nop 1
	flat_store_dwordx4 v[10:11], a[0:3] offset:160
	flat_load_dwordx4 v[12:15], v[0:1] offset:8
	s_nop 0
	flat_load_dwordx2 v[10:11], v[0:1] offset:32
	s_waitcnt vmcnt(0) lgkmcnt(0)
	flat_load_dwordx4 v[6:9], v[12:13] offset:64
	flat_load_dwordx4 v[2:5], v[14:15] offset:96
	s_waitcnt vmcnt(0) lgkmcnt(0)
	v_cmp_gt_i16_sdwa s[6:7], v6, s4 src0_sel:BYTE_0 src1_sel:DWORD
	s_mov_b64 s[4:5], 0
	s_and_saveexec_b64 s[8:9], s[6:7]
	s_xor_b64 s[6:7], exec, s[8:9]
	s_cbranch_execnz .LBB5_3457
; %bb.1409:
	s_or_saveexec_b64 s[6:7], s[6:7]
	v_mov_b32_e32 v12, s10
	s_xor_b64 exec, exec, s[6:7]
	s_cbranch_execnz .LBB5_3460
.LBB5_1410:
	s_or_b64 exec, exec, s[6:7]
	s_and_saveexec_b64 s[6:7], s[4:5]
	s_cbranch_execz .LBB5_1412
.LBB5_1411:
	v_and_b32_e32 v12, 7, v6
	v_ffbh_u32_e32 v14, v12
	v_min_u32_e32 v14, 32, v14
	v_lshrrev_b16_e32 v13, 3, v6
	v_subrev_u32_e32 v15, 28, v14
	v_and_b32_e32 v13, 15, v13
	v_lshlrev_b32_e32 v15, v15, v6
	v_sub_u32_e32 v14, 29, v14
	v_and_b32_e32 v15, 7, v15
	v_cmp_eq_u16_e32 vcc, 0, v13
	v_cndmask_b32_e32 v12, v12, v15, vcc
	v_cndmask_b32_e32 v13, v13, v14, vcc
	v_lshlrev_b32_e32 v14, 24, v6
	v_mov_b32_e32 v15, 0x3b800000
	v_lshlrev_b32_e32 v12, 20, v12
	v_and_b32_e32 v14, 0x80000000, v14
	v_lshl_add_u32 v13, v13, 23, v15
	v_or3_b32 v12, v14, v13, v12
.LBB5_1412:
	s_or_b64 exec, exec, s[6:7]
	s_movk_i32 s4, 0x7f
	v_cmp_gt_i16_sdwa s[6:7], v2, s4 src0_sel:BYTE_0 src1_sel:DWORD
	s_mov_b64 s[4:5], 0
                                        ; implicit-def: $sgpr10
	s_and_saveexec_b64 s[8:9], s[6:7]
	s_xor_b64 s[6:7], exec, s[8:9]
	s_cbranch_execnz .LBB5_3461
; %bb.1413:
	s_or_saveexec_b64 s[6:7], s[6:7]
	v_mov_b32_e32 v13, s10
	s_xor_b64 exec, exec, s[6:7]
	s_cbranch_execnz .LBB5_3464
.LBB5_1414:
	s_or_b64 exec, exec, s[6:7]
	s_and_saveexec_b64 s[6:7], s[4:5]
	s_cbranch_execz .LBB5_1416
.LBB5_1415:
	v_and_b32_e32 v13, 7, v2
	v_ffbh_u32_e32 v15, v13
	v_min_u32_e32 v15, 32, v15
	v_lshrrev_b16_e32 v14, 3, v2
	v_subrev_u32_e32 v16, 28, v15
	v_and_b32_e32 v14, 15, v14
	v_lshlrev_b32_e32 v16, v16, v2
	v_sub_u32_e32 v15, 29, v15
	v_and_b32_e32 v16, 7, v16
	v_cmp_eq_u16_e32 vcc, 0, v14
	v_cndmask_b32_e32 v13, v13, v16, vcc
	v_cndmask_b32_e32 v14, v14, v15, vcc
	v_lshlrev_b32_e32 v15, 24, v2
	v_mov_b32_e32 v16, 0x3b800000
	v_lshlrev_b32_e32 v13, 20, v13
	v_and_b32_e32 v15, 0x80000000, v15
	v_lshl_add_u32 v14, v14, 23, v16
	v_or3_b32 v13, v15, v14, v13
.LBB5_1416:
	s_or_b64 exec, exec, s[6:7]
	flat_load_dwordx4 a[0:3], v[10:11] offset:176
	s_movk_i32 s4, 0x7f
                                        ; implicit-def: $sgpr10
	s_waitcnt vmcnt(0) lgkmcnt(0)
	v_mfma_f32_16x16x4f32 a[0:3], v12, v13, a[0:3]
	v_lshrrev_b32_e32 v13, 8, v6
	v_cmp_gt_i16_sdwa s[6:7], v13, s4 src0_sel:BYTE_0 src1_sel:DWORD
	s_mov_b64 s[4:5], 0
	s_and_saveexec_b64 s[8:9], s[6:7]
	s_xor_b64 s[6:7], exec, s[8:9]
	s_cbranch_execnz .LBB5_3465
; %bb.1417:
	s_or_saveexec_b64 s[6:7], s[6:7]
	v_mov_b32_e32 v12, s10
	s_xor_b64 exec, exec, s[6:7]
	s_cbranch_execnz .LBB5_3468
.LBB5_1418:
	s_or_b64 exec, exec, s[6:7]
	s_and_saveexec_b64 s[6:7], s[4:5]
	s_cbranch_execz .LBB5_1420
.LBB5_1419:
	v_bfe_u32 v12, v6, 8, 3
	v_ffbh_u32_e32 v15, v12
	v_min_u32_e32 v15, 32, v15
	v_lshrrev_b16_e32 v14, 3, v13
	v_subrev_u32_e32 v16, 28, v15
	v_and_b32_e32 v14, 15, v14
	v_lshlrev_b32_e32 v13, v16, v13
	v_sub_u32_e32 v15, 29, v15
	v_and_b32_e32 v13, 7, v13
	v_cmp_eq_u16_e32 vcc, 0, v14
	v_cndmask_b32_e32 v12, v12, v13, vcc
	v_cndmask_b32_e32 v13, v14, v15, vcc
	v_lshlrev_b32_e32 v14, 16, v6
	v_mov_b32_e32 v15, 0x3b800000
	v_lshlrev_b32_e32 v12, 20, v12
	v_and_b32_e32 v14, 0x80000000, v14
	v_lshl_add_u32 v13, v13, 23, v15
	v_or3_b32 v12, v14, v13, v12
.LBB5_1420:
	s_or_b64 exec, exec, s[6:7]
	v_lshrrev_b32_e32 v13, 8, v2
	s_movk_i32 s4, 0x7f
	v_cmp_gt_i16_sdwa s[6:7], v13, s4 src0_sel:BYTE_0 src1_sel:DWORD
	s_mov_b64 s[4:5], 0
                                        ; implicit-def: $sgpr10
	s_and_saveexec_b64 s[8:9], s[6:7]
	s_xor_b64 s[6:7], exec, s[8:9]
	s_cbranch_execnz .LBB5_3469
; %bb.1421:
	s_or_saveexec_b64 s[6:7], s[6:7]
	v_mov_b32_e32 v14, s10
	s_xor_b64 exec, exec, s[6:7]
	s_cbranch_execnz .LBB5_3472
.LBB5_1422:
	s_or_b64 exec, exec, s[6:7]
	s_and_saveexec_b64 s[6:7], s[4:5]
	s_cbranch_execz .LBB5_1424
.LBB5_1423:
	v_bfe_u32 v14, v2, 8, 3
	v_ffbh_u32_e32 v16, v14
	v_min_u32_e32 v16, 32, v16
	v_lshrrev_b16_e32 v15, 3, v13
	v_subrev_u32_e32 v17, 28, v16
	v_and_b32_e32 v15, 15, v15
	v_lshlrev_b32_e32 v13, v17, v13
	v_sub_u32_e32 v16, 29, v16
	v_and_b32_e32 v13, 7, v13
	v_cmp_eq_u16_e32 vcc, 0, v15
	v_cndmask_b32_e32 v13, v14, v13, vcc
	v_cndmask_b32_e32 v14, v15, v16, vcc
	v_lshlrev_b32_e32 v15, 16, v2
	v_mov_b32_e32 v16, 0x3b800000
	v_lshlrev_b32_e32 v13, 20, v13
	v_and_b32_e32 v15, 0x80000000, v15
	v_lshl_add_u32 v14, v14, 23, v16
	v_or3_b32 v14, v15, v14, v13
.LBB5_1424:
	s_or_b64 exec, exec, s[6:7]
	s_nop 0
	v_mfma_f32_16x16x4f32 a[0:3], v12, v14, a[0:3]
	s_movk_i32 s4, 0xff
	v_and_b32_sdwa v13, v6, s4 dst_sel:DWORD dst_unused:UNUSED_PAD src0_sel:WORD_1 src1_sel:DWORD
	s_movk_i32 s4, 0x7f
	v_cmp_lt_i16_e32 vcc, s4, v13
	s_mov_b64 s[4:5], 0
                                        ; implicit-def: $sgpr10
	s_and_saveexec_b64 s[6:7], vcc
	s_xor_b64 s[6:7], exec, s[6:7]
	s_cbranch_execnz .LBB5_3473
; %bb.1425:
	s_or_saveexec_b64 s[6:7], s[6:7]
	v_mov_b32_e32 v12, s10
	s_xor_b64 exec, exec, s[6:7]
	s_cbranch_execnz .LBB5_3476
.LBB5_1426:
	s_or_b64 exec, exec, s[6:7]
	s_and_saveexec_b64 s[6:7], s[4:5]
	s_cbranch_execz .LBB5_1428
.LBB5_1427:
	v_bfe_u32 v12, v6, 16, 3
	v_ffbh_u32_e32 v15, v12
	v_min_u32_e32 v15, 32, v15
	v_lshrrev_b32_e32 v13, 19, v6
	v_subrev_u32_e32 v16, 28, v15
	v_and_b32_e32 v13, 15, v13
	v_lshlrev_b32_sdwa v16, v16, v6 dst_sel:DWORD dst_unused:UNUSED_PAD src0_sel:DWORD src1_sel:WORD_1
	v_bfe_u32 v14, v6, 19, 4
	v_sub_u32_e32 v15, 29, v15
	v_and_b32_e32 v16, 7, v16
	v_cmp_eq_u16_e32 vcc, 0, v13
	v_cndmask_b32_e32 v12, v12, v16, vcc
	v_cndmask_b32_e32 v13, v14, v15, vcc
	v_lshlrev_b32_e32 v14, 8, v6
	v_mov_b32_e32 v15, 0x3b800000
	v_lshlrev_b32_e32 v12, 20, v12
	v_and_b32_e32 v14, 0x80000000, v14
	v_lshl_add_u32 v13, v13, 23, v15
	v_or3_b32 v12, v14, v13, v12
.LBB5_1428:
	s_or_b64 exec, exec, s[6:7]
	s_movk_i32 s4, 0xff
	v_and_b32_sdwa v13, v2, s4 dst_sel:DWORD dst_unused:UNUSED_PAD src0_sel:WORD_1 src1_sel:DWORD
	s_movk_i32 s4, 0x7f
	v_cmp_lt_i16_e32 vcc, s4, v13
	s_mov_b64 s[4:5], 0
                                        ; implicit-def: $sgpr10
	s_and_saveexec_b64 s[6:7], vcc
	s_xor_b64 s[6:7], exec, s[6:7]
	s_cbranch_execnz .LBB5_3477
; %bb.1429:
	s_or_saveexec_b64 s[6:7], s[6:7]
	v_mov_b32_e32 v14, s10
	s_xor_b64 exec, exec, s[6:7]
	s_cbranch_execnz .LBB5_3480
.LBB5_1430:
	s_or_b64 exec, exec, s[6:7]
	s_and_saveexec_b64 s[6:7], s[4:5]
	s_cbranch_execz .LBB5_1432
.LBB5_1431:
	v_bfe_u32 v13, v2, 16, 3
	v_ffbh_u32_e32 v16, v13
	v_min_u32_e32 v16, 32, v16
	v_lshrrev_b32_e32 v14, 19, v2
	v_subrev_u32_e32 v17, 28, v16
	v_and_b32_e32 v14, 15, v14
	v_lshlrev_b32_sdwa v17, v17, v2 dst_sel:DWORD dst_unused:UNUSED_PAD src0_sel:DWORD src1_sel:WORD_1
	v_bfe_u32 v15, v2, 19, 4
	v_sub_u32_e32 v16, 29, v16
	v_and_b32_e32 v17, 7, v17
	v_cmp_eq_u16_e32 vcc, 0, v14
	v_cndmask_b32_e32 v13, v13, v17, vcc
	v_cndmask_b32_e32 v14, v15, v16, vcc
	v_lshlrev_b32_e32 v15, 8, v2
	v_mov_b32_e32 v16, 0x3b800000
	v_lshlrev_b32_e32 v13, 20, v13
	v_and_b32_e32 v15, 0x80000000, v15
	v_lshl_add_u32 v14, v14, 23, v16
	v_or3_b32 v14, v15, v14, v13
.LBB5_1432:
	s_or_b64 exec, exec, s[6:7]
	s_nop 0
	v_mfma_f32_16x16x4f32 a[0:3], v12, v14, a[0:3]
	s_movk_i32 s4, 0x7f
	v_cmp_gt_i16_sdwa s[6:7], v6, s4 src0_sel:BYTE_3 src1_sel:DWORD
	s_mov_b64 s[4:5], 0
                                        ; implicit-def: $sgpr10
	s_and_saveexec_b64 s[8:9], s[6:7]
	s_xor_b64 s[6:7], exec, s[8:9]
	s_cbranch_execnz .LBB5_3481
; %bb.1433:
	s_or_saveexec_b64 s[6:7], s[6:7]
	v_mov_b32_e32 v12, s10
	s_xor_b64 exec, exec, s[6:7]
	s_cbranch_execnz .LBB5_3484
.LBB5_1434:
	s_or_b64 exec, exec, s[6:7]
	s_and_saveexec_b64 s[6:7], s[4:5]
	s_cbranch_execz .LBB5_1436
.LBB5_1435:
	v_bfe_u32 v12, v6, 24, 3
	v_ffbh_u32_e32 v16, v12
	v_min_u32_e32 v16, 32, v16
	v_lshrrev_b32_e32 v14, 27, v6
	v_subrev_u32_e32 v17, 28, v16
	v_and_b32_e32 v13, 0x80000000, v6
	v_and_b32_e32 v14, 15, v14
	v_bfe_u32 v15, v6, 27, 4
	v_lshlrev_b32_sdwa v6, v17, v6 dst_sel:DWORD dst_unused:UNUSED_PAD src0_sel:DWORD src1_sel:BYTE_3
	v_sub_u32_e32 v16, 29, v16
	v_and_b32_e32 v6, 7, v6
	v_cmp_eq_u16_e32 vcc, 0, v14
	v_cndmask_b32_e32 v6, v12, v6, vcc
	v_cndmask_b32_e32 v12, v15, v16, vcc
	v_mov_b32_e32 v14, 0x3b800000
	v_lshlrev_b32_e32 v6, 20, v6
	v_lshl_add_u32 v12, v12, 23, v14
	v_or3_b32 v12, v13, v12, v6
.LBB5_1436:
	s_or_b64 exec, exec, s[6:7]
	s_movk_i32 s4, 0x7f
	v_cmp_gt_i16_sdwa s[6:7], v2, s4 src0_sel:BYTE_3 src1_sel:DWORD
	s_mov_b64 s[4:5], 0
                                        ; implicit-def: $sgpr10
	s_and_saveexec_b64 s[8:9], s[6:7]
	s_xor_b64 s[6:7], exec, s[8:9]
	s_cbranch_execnz .LBB5_3485
; %bb.1437:
	s_or_saveexec_b64 s[6:7], s[6:7]
	v_mov_b32_e32 v6, s10
	s_xor_b64 exec, exec, s[6:7]
	s_cbranch_execnz .LBB5_3488
.LBB5_1438:
	s_or_b64 exec, exec, s[6:7]
	s_and_saveexec_b64 s[6:7], s[4:5]
	s_cbranch_execz .LBB5_1440
.LBB5_1439:
	v_bfe_u32 v6, v2, 24, 3
	v_ffbh_u32_e32 v16, v6
	v_min_u32_e32 v16, 32, v16
	v_lshrrev_b32_e32 v14, 27, v2
	v_subrev_u32_e32 v17, 28, v16
	v_and_b32_e32 v13, 0x80000000, v2
	v_and_b32_e32 v14, 15, v14
	v_bfe_u32 v15, v2, 27, 4
	v_lshlrev_b32_sdwa v2, v17, v2 dst_sel:DWORD dst_unused:UNUSED_PAD src0_sel:DWORD src1_sel:BYTE_3
	v_sub_u32_e32 v16, 29, v16
	v_and_b32_e32 v2, 7, v2
	v_cmp_eq_u16_e32 vcc, 0, v14
	v_cndmask_b32_e32 v2, v6, v2, vcc
	v_cndmask_b32_e32 v6, v15, v16, vcc
	v_mov_b32_e32 v14, 0x3b800000
	v_lshlrev_b32_e32 v2, 20, v2
	v_lshl_add_u32 v6, v6, 23, v14
	v_or3_b32 v6, v13, v6, v2
.LBB5_1440:
	s_or_b64 exec, exec, s[6:7]
	s_nop 0
	v_mfma_f32_16x16x4f32 a[0:3], v12, v6, a[0:3]
	s_movk_i32 s4, 0x7f
	v_cmp_gt_i16_sdwa s[6:7], v7, s4 src0_sel:BYTE_0 src1_sel:DWORD
	s_mov_b64 s[4:5], 0
                                        ; implicit-def: $sgpr10
	s_and_saveexec_b64 s[8:9], s[6:7]
	s_xor_b64 s[6:7], exec, s[8:9]
	s_cbranch_execnz .LBB5_3489
; %bb.1441:
	s_or_saveexec_b64 s[6:7], s[6:7]
	v_mov_b32_e32 v2, s10
	s_xor_b64 exec, exec, s[6:7]
	s_cbranch_execnz .LBB5_3492
.LBB5_1442:
	s_or_b64 exec, exec, s[6:7]
	s_and_saveexec_b64 s[6:7], s[4:5]
	s_cbranch_execz .LBB5_1444
.LBB5_1443:
	v_and_b32_e32 v2, 7, v7
	v_ffbh_u32_e32 v12, v2
	v_min_u32_e32 v12, 32, v12
	v_lshrrev_b16_e32 v6, 3, v7
	v_subrev_u32_e32 v13, 28, v12
	v_and_b32_e32 v6, 15, v6
	v_lshlrev_b32_e32 v13, v13, v7
	v_sub_u32_e32 v12, 29, v12
	v_and_b32_e32 v13, 7, v13
	v_cmp_eq_u16_e32 vcc, 0, v6
	v_cndmask_b32_e32 v2, v2, v13, vcc
	v_cndmask_b32_e32 v6, v6, v12, vcc
	v_lshlrev_b32_e32 v12, 24, v7
	v_mov_b32_e32 v13, 0x3b800000
	v_lshlrev_b32_e32 v2, 20, v2
	v_and_b32_e32 v12, 0x80000000, v12
	v_lshl_add_u32 v6, v6, 23, v13
	v_or3_b32 v2, v12, v6, v2
.LBB5_1444:
	s_or_b64 exec, exec, s[6:7]
	s_movk_i32 s4, 0x7f
	v_cmp_gt_i16_sdwa s[6:7], v3, s4 src0_sel:BYTE_0 src1_sel:DWORD
	s_mov_b64 s[4:5], 0
                                        ; implicit-def: $sgpr10
	s_and_saveexec_b64 s[8:9], s[6:7]
	s_xor_b64 s[6:7], exec, s[8:9]
	s_cbranch_execnz .LBB5_3493
; %bb.1445:
	s_or_saveexec_b64 s[6:7], s[6:7]
	v_mov_b32_e32 v6, s10
	s_xor_b64 exec, exec, s[6:7]
	s_cbranch_execnz .LBB5_3496
.LBB5_1446:
	s_or_b64 exec, exec, s[6:7]
	s_and_saveexec_b64 s[6:7], s[4:5]
	s_cbranch_execz .LBB5_1448
.LBB5_1447:
	v_and_b32_e32 v6, 7, v3
	v_ffbh_u32_e32 v13, v6
	v_min_u32_e32 v13, 32, v13
	v_lshrrev_b16_e32 v12, 3, v3
	v_subrev_u32_e32 v14, 28, v13
	v_and_b32_e32 v12, 15, v12
	v_lshlrev_b32_e32 v14, v14, v3
	v_sub_u32_e32 v13, 29, v13
	v_and_b32_e32 v14, 7, v14
	v_cmp_eq_u16_e32 vcc, 0, v12
	v_cndmask_b32_e32 v6, v6, v14, vcc
	v_cndmask_b32_e32 v12, v12, v13, vcc
	v_lshlrev_b32_e32 v13, 24, v3
	v_mov_b32_e32 v14, 0x3b800000
	v_lshlrev_b32_e32 v6, 20, v6
	v_and_b32_e32 v13, 0x80000000, v13
	v_lshl_add_u32 v12, v12, 23, v14
	v_or3_b32 v6, v13, v12, v6
.LBB5_1448:
	s_or_b64 exec, exec, s[6:7]
	s_nop 0
	v_mfma_f32_16x16x4f32 a[0:3], v2, v6, a[0:3]
	v_lshrrev_b32_e32 v6, 8, v7
	s_movk_i32 s4, 0x7f
	v_cmp_gt_i16_sdwa s[6:7], v6, s4 src0_sel:BYTE_0 src1_sel:DWORD
	s_mov_b64 s[4:5], 0
                                        ; implicit-def: $sgpr10
	s_and_saveexec_b64 s[8:9], s[6:7]
	s_xor_b64 s[6:7], exec, s[8:9]
	s_cbranch_execnz .LBB5_3497
; %bb.1449:
	s_or_saveexec_b64 s[6:7], s[6:7]
	v_mov_b32_e32 v2, s10
	s_xor_b64 exec, exec, s[6:7]
	s_cbranch_execnz .LBB5_3500
.LBB5_1450:
	s_or_b64 exec, exec, s[6:7]
	s_and_saveexec_b64 s[6:7], s[4:5]
	s_cbranch_execz .LBB5_1452
.LBB5_1451:
	v_bfe_u32 v2, v7, 8, 3
	v_ffbh_u32_e32 v13, v2
	v_min_u32_e32 v13, 32, v13
	v_lshrrev_b16_e32 v12, 3, v6
	v_subrev_u32_e32 v14, 28, v13
	v_and_b32_e32 v12, 15, v12
	v_lshlrev_b32_e32 v6, v14, v6
	v_sub_u32_e32 v13, 29, v13
	v_and_b32_e32 v6, 7, v6
	v_cmp_eq_u16_e32 vcc, 0, v12
	v_cndmask_b32_e32 v2, v2, v6, vcc
	v_cndmask_b32_e32 v6, v12, v13, vcc
	v_lshlrev_b32_e32 v12, 16, v7
	v_mov_b32_e32 v13, 0x3b800000
	v_lshlrev_b32_e32 v2, 20, v2
	v_and_b32_e32 v12, 0x80000000, v12
	v_lshl_add_u32 v6, v6, 23, v13
	v_or3_b32 v2, v12, v6, v2
.LBB5_1452:
	s_or_b64 exec, exec, s[6:7]
	v_lshrrev_b32_e32 v6, 8, v3
	s_movk_i32 s4, 0x7f
	v_cmp_gt_i16_sdwa s[6:7], v6, s4 src0_sel:BYTE_0 src1_sel:DWORD
	s_mov_b64 s[4:5], 0
                                        ; implicit-def: $sgpr10
	s_and_saveexec_b64 s[8:9], s[6:7]
	s_xor_b64 s[6:7], exec, s[8:9]
	s_cbranch_execnz .LBB5_3501
; %bb.1453:
	s_or_saveexec_b64 s[6:7], s[6:7]
	v_mov_b32_e32 v12, s10
	s_xor_b64 exec, exec, s[6:7]
	s_cbranch_execnz .LBB5_3504
.LBB5_1454:
	s_or_b64 exec, exec, s[6:7]
	s_and_saveexec_b64 s[6:7], s[4:5]
	s_cbranch_execz .LBB5_1456
.LBB5_1455:
	v_bfe_u32 v12, v3, 8, 3
	v_ffbh_u32_e32 v14, v12
	v_min_u32_e32 v14, 32, v14
	v_lshrrev_b16_e32 v13, 3, v6
	v_subrev_u32_e32 v15, 28, v14
	v_and_b32_e32 v13, 15, v13
	v_lshlrev_b32_e32 v6, v15, v6
	v_sub_u32_e32 v14, 29, v14
	v_and_b32_e32 v6, 7, v6
	v_cmp_eq_u16_e32 vcc, 0, v13
	v_cndmask_b32_e32 v6, v12, v6, vcc
	v_cndmask_b32_e32 v12, v13, v14, vcc
	v_lshlrev_b32_e32 v13, 16, v3
	v_mov_b32_e32 v14, 0x3b800000
	v_lshlrev_b32_e32 v6, 20, v6
	v_and_b32_e32 v13, 0x80000000, v13
	v_lshl_add_u32 v12, v12, 23, v14
	v_or3_b32 v12, v13, v12, v6
.LBB5_1456:
	s_or_b64 exec, exec, s[6:7]
	s_nop 0
	v_mfma_f32_16x16x4f32 a[0:3], v2, v12, a[0:3]
	s_movk_i32 s4, 0xff
	v_and_b32_sdwa v6, v7, s4 dst_sel:DWORD dst_unused:UNUSED_PAD src0_sel:WORD_1 src1_sel:DWORD
	s_movk_i32 s4, 0x7f
	v_cmp_lt_i16_e32 vcc, s4, v6
	s_mov_b64 s[4:5], 0
                                        ; implicit-def: $sgpr10
	s_and_saveexec_b64 s[6:7], vcc
	s_xor_b64 s[6:7], exec, s[6:7]
	s_cbranch_execnz .LBB5_3505
; %bb.1457:
	s_or_saveexec_b64 s[6:7], s[6:7]
	v_mov_b32_e32 v2, s10
	s_xor_b64 exec, exec, s[6:7]
	s_cbranch_execnz .LBB5_3508
.LBB5_1458:
	s_or_b64 exec, exec, s[6:7]
	s_and_saveexec_b64 s[6:7], s[4:5]
	s_cbranch_execz .LBB5_1460
.LBB5_1459:
	v_bfe_u32 v2, v7, 16, 3
	v_ffbh_u32_e32 v13, v2
	v_min_u32_e32 v13, 32, v13
	v_lshrrev_b32_e32 v6, 19, v7
	v_subrev_u32_e32 v14, 28, v13
	v_and_b32_e32 v6, 15, v6
	v_lshlrev_b32_sdwa v14, v14, v7 dst_sel:DWORD dst_unused:UNUSED_PAD src0_sel:DWORD src1_sel:WORD_1
	v_bfe_u32 v12, v7, 19, 4
	v_sub_u32_e32 v13, 29, v13
	v_and_b32_e32 v14, 7, v14
	v_cmp_eq_u16_e32 vcc, 0, v6
	v_cndmask_b32_e32 v2, v2, v14, vcc
	v_cndmask_b32_e32 v6, v12, v13, vcc
	v_lshlrev_b32_e32 v12, 8, v7
	v_mov_b32_e32 v13, 0x3b800000
	v_lshlrev_b32_e32 v2, 20, v2
	v_and_b32_e32 v12, 0x80000000, v12
	v_lshl_add_u32 v6, v6, 23, v13
	v_or3_b32 v2, v12, v6, v2
.LBB5_1460:
	s_or_b64 exec, exec, s[6:7]
	s_movk_i32 s4, 0xff
	v_and_b32_sdwa v6, v3, s4 dst_sel:DWORD dst_unused:UNUSED_PAD src0_sel:WORD_1 src1_sel:DWORD
	s_movk_i32 s4, 0x7f
	v_cmp_lt_i16_e32 vcc, s4, v6
	s_mov_b64 s[4:5], 0
                                        ; implicit-def: $sgpr10
	s_and_saveexec_b64 s[6:7], vcc
	s_xor_b64 s[6:7], exec, s[6:7]
	s_cbranch_execnz .LBB5_3509
; %bb.1461:
	s_or_saveexec_b64 s[6:7], s[6:7]
	v_mov_b32_e32 v12, s10
	s_xor_b64 exec, exec, s[6:7]
	s_cbranch_execnz .LBB5_3512
.LBB5_1462:
	s_or_b64 exec, exec, s[6:7]
	s_and_saveexec_b64 s[6:7], s[4:5]
	s_cbranch_execz .LBB5_1464
.LBB5_1463:
	v_bfe_u32 v6, v3, 16, 3
	v_ffbh_u32_e32 v14, v6
	v_min_u32_e32 v14, 32, v14
	v_lshrrev_b32_e32 v12, 19, v3
	v_subrev_u32_e32 v15, 28, v14
	v_and_b32_e32 v12, 15, v12
	v_lshlrev_b32_sdwa v15, v15, v3 dst_sel:DWORD dst_unused:UNUSED_PAD src0_sel:DWORD src1_sel:WORD_1
	v_bfe_u32 v13, v3, 19, 4
	v_sub_u32_e32 v14, 29, v14
	v_and_b32_e32 v15, 7, v15
	v_cmp_eq_u16_e32 vcc, 0, v12
	v_cndmask_b32_e32 v6, v6, v15, vcc
	v_cndmask_b32_e32 v12, v13, v14, vcc
	v_lshlrev_b32_e32 v13, 8, v3
	v_mov_b32_e32 v14, 0x3b800000
	v_lshlrev_b32_e32 v6, 20, v6
	v_and_b32_e32 v13, 0x80000000, v13
	v_lshl_add_u32 v12, v12, 23, v14
	v_or3_b32 v12, v13, v12, v6
.LBB5_1464:
	s_or_b64 exec, exec, s[6:7]
	s_nop 0
	v_mfma_f32_16x16x4f32 a[0:3], v2, v12, a[0:3]
	s_movk_i32 s4, 0x7f
	v_cmp_gt_i16_sdwa s[6:7], v7, s4 src0_sel:BYTE_3 src1_sel:DWORD
	s_mov_b64 s[4:5], 0
                                        ; implicit-def: $sgpr10
	s_and_saveexec_b64 s[8:9], s[6:7]
	s_xor_b64 s[6:7], exec, s[8:9]
	s_cbranch_execnz .LBB5_3513
; %bb.1465:
	s_or_saveexec_b64 s[6:7], s[6:7]
	v_mov_b32_e32 v2, s10
	s_xor_b64 exec, exec, s[6:7]
	s_cbranch_execnz .LBB5_3516
.LBB5_1466:
	s_or_b64 exec, exec, s[6:7]
	s_and_saveexec_b64 s[6:7], s[4:5]
	s_cbranch_execz .LBB5_1468
.LBB5_1467:
	v_bfe_u32 v2, v7, 24, 3
	v_ffbh_u32_e32 v14, v2
	v_min_u32_e32 v14, 32, v14
	v_lshrrev_b32_e32 v12, 27, v7
	v_subrev_u32_e32 v15, 28, v14
	v_and_b32_e32 v6, 0x80000000, v7
	v_and_b32_e32 v12, 15, v12
	v_bfe_u32 v13, v7, 27, 4
	v_lshlrev_b32_sdwa v7, v15, v7 dst_sel:DWORD dst_unused:UNUSED_PAD src0_sel:DWORD src1_sel:BYTE_3
	v_sub_u32_e32 v14, 29, v14
	v_and_b32_e32 v7, 7, v7
	v_cmp_eq_u16_e32 vcc, 0, v12
	v_cndmask_b32_e32 v2, v2, v7, vcc
	v_cndmask_b32_e32 v7, v13, v14, vcc
	v_mov_b32_e32 v12, 0x3b800000
	v_lshlrev_b32_e32 v2, 20, v2
	v_lshl_add_u32 v7, v7, 23, v12
	v_or3_b32 v2, v6, v7, v2
.LBB5_1468:
	s_or_b64 exec, exec, s[6:7]
	s_movk_i32 s4, 0x7f
	v_cmp_gt_i16_sdwa s[6:7], v3, s4 src0_sel:BYTE_3 src1_sel:DWORD
	s_mov_b64 s[4:5], 0
                                        ; implicit-def: $sgpr10
	s_and_saveexec_b64 s[8:9], s[6:7]
	s_xor_b64 s[6:7], exec, s[8:9]
	s_cbranch_execnz .LBB5_3517
; %bb.1469:
	s_or_saveexec_b64 s[6:7], s[6:7]
	v_mov_b32_e32 v6, s10
	s_xor_b64 exec, exec, s[6:7]
	s_cbranch_execnz .LBB5_3520
.LBB5_1470:
	s_or_b64 exec, exec, s[6:7]
	s_and_saveexec_b64 s[6:7], s[4:5]
	s_cbranch_execz .LBB5_1472
.LBB5_1471:
	v_bfe_u32 v6, v3, 24, 3
	v_ffbh_u32_e32 v14, v6
	v_min_u32_e32 v14, 32, v14
	v_lshrrev_b32_e32 v12, 27, v3
	v_subrev_u32_e32 v15, 28, v14
	v_and_b32_e32 v7, 0x80000000, v3
	v_and_b32_e32 v12, 15, v12
	v_bfe_u32 v13, v3, 27, 4
	v_lshlrev_b32_sdwa v3, v15, v3 dst_sel:DWORD dst_unused:UNUSED_PAD src0_sel:DWORD src1_sel:BYTE_3
	v_sub_u32_e32 v14, 29, v14
	v_and_b32_e32 v3, 7, v3
	v_cmp_eq_u16_e32 vcc, 0, v12
	v_cndmask_b32_e32 v3, v6, v3, vcc
	v_cndmask_b32_e32 v6, v13, v14, vcc
	v_mov_b32_e32 v12, 0x3b800000
	v_lshlrev_b32_e32 v3, 20, v3
	v_lshl_add_u32 v6, v6, 23, v12
	v_or3_b32 v6, v7, v6, v3
.LBB5_1472:
	s_or_b64 exec, exec, s[6:7]
	s_nop 0
	v_mfma_f32_16x16x4f32 a[0:3], v2, v6, a[0:3]
	s_movk_i32 s4, 0x7f
	v_cmp_gt_i16_sdwa s[6:7], v8, s4 src0_sel:BYTE_0 src1_sel:DWORD
	s_mov_b64 s[4:5], 0
                                        ; implicit-def: $sgpr10
	s_and_saveexec_b64 s[8:9], s[6:7]
	s_xor_b64 s[6:7], exec, s[8:9]
	s_cbranch_execnz .LBB5_3521
; %bb.1473:
	s_or_saveexec_b64 s[6:7], s[6:7]
	v_mov_b32_e32 v2, s10
	s_xor_b64 exec, exec, s[6:7]
	s_cbranch_execnz .LBB5_3524
.LBB5_1474:
	s_or_b64 exec, exec, s[6:7]
	s_and_saveexec_b64 s[6:7], s[4:5]
	s_cbranch_execz .LBB5_1476
.LBB5_1475:
	v_and_b32_e32 v2, 7, v8
	v_ffbh_u32_e32 v6, v2
	v_min_u32_e32 v6, 32, v6
	v_lshrrev_b16_e32 v3, 3, v8
	v_subrev_u32_e32 v7, 28, v6
	v_and_b32_e32 v3, 15, v3
	v_lshlrev_b32_e32 v7, v7, v8
	v_sub_u32_e32 v6, 29, v6
	v_and_b32_e32 v7, 7, v7
	v_cmp_eq_u16_e32 vcc, 0, v3
	v_cndmask_b32_e32 v2, v2, v7, vcc
	v_cndmask_b32_e32 v3, v3, v6, vcc
	v_lshlrev_b32_e32 v6, 24, v8
	v_mov_b32_e32 v7, 0x3b800000
	v_lshlrev_b32_e32 v2, 20, v2
	v_and_b32_e32 v6, 0x80000000, v6
	v_lshl_add_u32 v3, v3, 23, v7
	v_or3_b32 v2, v6, v3, v2
.LBB5_1476:
	s_or_b64 exec, exec, s[6:7]
	s_movk_i32 s4, 0x7f
	v_cmp_gt_i16_sdwa s[6:7], v4, s4 src0_sel:BYTE_0 src1_sel:DWORD
	s_mov_b64 s[4:5], 0
                                        ; implicit-def: $sgpr10
	s_and_saveexec_b64 s[8:9], s[6:7]
	s_xor_b64 s[6:7], exec, s[8:9]
	s_cbranch_execnz .LBB5_3525
; %bb.1477:
	s_or_saveexec_b64 s[6:7], s[6:7]
	v_mov_b32_e32 v3, s10
	s_xor_b64 exec, exec, s[6:7]
	s_cbranch_execnz .LBB5_3528
.LBB5_1478:
	s_or_b64 exec, exec, s[6:7]
	s_and_saveexec_b64 s[6:7], s[4:5]
	s_cbranch_execz .LBB5_1480
.LBB5_1479:
	v_and_b32_e32 v3, 7, v4
	v_ffbh_u32_e32 v7, v3
	v_min_u32_e32 v7, 32, v7
	v_lshrrev_b16_e32 v6, 3, v4
	v_subrev_u32_e32 v12, 28, v7
	v_and_b32_e32 v6, 15, v6
	v_lshlrev_b32_e32 v12, v12, v4
	v_sub_u32_e32 v7, 29, v7
	v_and_b32_e32 v12, 7, v12
	v_cmp_eq_u16_e32 vcc, 0, v6
	v_cndmask_b32_e32 v3, v3, v12, vcc
	v_cndmask_b32_e32 v6, v6, v7, vcc
	v_lshlrev_b32_e32 v7, 24, v4
	v_mov_b32_e32 v12, 0x3b800000
	v_lshlrev_b32_e32 v3, 20, v3
	v_and_b32_e32 v7, 0x80000000, v7
	v_lshl_add_u32 v6, v6, 23, v12
	v_or3_b32 v3, v7, v6, v3
.LBB5_1480:
	s_or_b64 exec, exec, s[6:7]
	s_nop 0
	v_mfma_f32_16x16x4f32 a[0:3], v2, v3, a[0:3]
	v_lshrrev_b32_e32 v3, 8, v8
	s_movk_i32 s4, 0x7f
	v_cmp_gt_i16_sdwa s[6:7], v3, s4 src0_sel:BYTE_0 src1_sel:DWORD
	s_mov_b64 s[4:5], 0
                                        ; implicit-def: $sgpr10
	s_and_saveexec_b64 s[8:9], s[6:7]
	s_xor_b64 s[6:7], exec, s[8:9]
	s_cbranch_execnz .LBB5_3529
; %bb.1481:
	s_or_saveexec_b64 s[6:7], s[6:7]
	v_mov_b32_e32 v2, s10
	s_xor_b64 exec, exec, s[6:7]
	s_cbranch_execnz .LBB5_3532
.LBB5_1482:
	s_or_b64 exec, exec, s[6:7]
	s_and_saveexec_b64 s[6:7], s[4:5]
	s_cbranch_execz .LBB5_1484
.LBB5_1483:
	v_bfe_u32 v2, v8, 8, 3
	v_ffbh_u32_e32 v7, v2
	v_min_u32_e32 v7, 32, v7
	v_lshrrev_b16_e32 v6, 3, v3
	v_subrev_u32_e32 v12, 28, v7
	v_and_b32_e32 v6, 15, v6
	v_lshlrev_b32_e32 v3, v12, v3
	v_sub_u32_e32 v7, 29, v7
	v_and_b32_e32 v3, 7, v3
	v_cmp_eq_u16_e32 vcc, 0, v6
	v_cndmask_b32_e32 v2, v2, v3, vcc
	v_cndmask_b32_e32 v3, v6, v7, vcc
	v_lshlrev_b32_e32 v6, 16, v8
	v_mov_b32_e32 v7, 0x3b800000
	v_lshlrev_b32_e32 v2, 20, v2
	v_and_b32_e32 v6, 0x80000000, v6
	v_lshl_add_u32 v3, v3, 23, v7
	v_or3_b32 v2, v6, v3, v2
.LBB5_1484:
	s_or_b64 exec, exec, s[6:7]
	v_lshrrev_b32_e32 v3, 8, v4
	s_movk_i32 s4, 0x7f
	v_cmp_gt_i16_sdwa s[6:7], v3, s4 src0_sel:BYTE_0 src1_sel:DWORD
	s_mov_b64 s[4:5], 0
                                        ; implicit-def: $sgpr10
	s_and_saveexec_b64 s[8:9], s[6:7]
	s_xor_b64 s[6:7], exec, s[8:9]
	s_cbranch_execnz .LBB5_3533
; %bb.1485:
	s_or_saveexec_b64 s[6:7], s[6:7]
	v_mov_b32_e32 v6, s10
	s_xor_b64 exec, exec, s[6:7]
	s_cbranch_execnz .LBB5_3536
.LBB5_1486:
	s_or_b64 exec, exec, s[6:7]
	s_and_saveexec_b64 s[6:7], s[4:5]
	s_cbranch_execz .LBB5_1488
.LBB5_1487:
	v_bfe_u32 v6, v4, 8, 3
	v_ffbh_u32_e32 v12, v6
	v_min_u32_e32 v12, 32, v12
	v_lshrrev_b16_e32 v7, 3, v3
	v_subrev_u32_e32 v13, 28, v12
	v_and_b32_e32 v7, 15, v7
	v_lshlrev_b32_e32 v3, v13, v3
	v_sub_u32_e32 v12, 29, v12
	v_and_b32_e32 v3, 7, v3
	v_cmp_eq_u16_e32 vcc, 0, v7
	v_cndmask_b32_e32 v3, v6, v3, vcc
	v_cndmask_b32_e32 v6, v7, v12, vcc
	v_lshlrev_b32_e32 v7, 16, v4
	v_mov_b32_e32 v12, 0x3b800000
	v_lshlrev_b32_e32 v3, 20, v3
	v_and_b32_e32 v7, 0x80000000, v7
	v_lshl_add_u32 v6, v6, 23, v12
	v_or3_b32 v6, v7, v6, v3
.LBB5_1488:
	s_or_b64 exec, exec, s[6:7]
	s_nop 0
	v_mfma_f32_16x16x4f32 a[0:3], v2, v6, a[0:3]
	s_movk_i32 s4, 0xff
	v_and_b32_sdwa v3, v8, s4 dst_sel:DWORD dst_unused:UNUSED_PAD src0_sel:WORD_1 src1_sel:DWORD
	s_movk_i32 s4, 0x7f
	v_cmp_lt_i16_e32 vcc, s4, v3
	s_mov_b64 s[4:5], 0
                                        ; implicit-def: $sgpr10
	s_and_saveexec_b64 s[6:7], vcc
	s_xor_b64 s[6:7], exec, s[6:7]
	s_cbranch_execnz .LBB5_3537
; %bb.1489:
	s_or_saveexec_b64 s[6:7], s[6:7]
	v_mov_b32_e32 v2, s10
	s_xor_b64 exec, exec, s[6:7]
	s_cbranch_execnz .LBB5_3540
.LBB5_1490:
	s_or_b64 exec, exec, s[6:7]
	s_and_saveexec_b64 s[6:7], s[4:5]
	s_cbranch_execz .LBB5_1492
.LBB5_1491:
	v_bfe_u32 v2, v8, 16, 3
	v_ffbh_u32_e32 v7, v2
	v_min_u32_e32 v7, 32, v7
	v_lshrrev_b32_e32 v3, 19, v8
	v_subrev_u32_e32 v12, 28, v7
	v_and_b32_e32 v3, 15, v3
	v_lshlrev_b32_sdwa v12, v12, v8 dst_sel:DWORD dst_unused:UNUSED_PAD src0_sel:DWORD src1_sel:WORD_1
	v_bfe_u32 v6, v8, 19, 4
	v_sub_u32_e32 v7, 29, v7
	v_and_b32_e32 v12, 7, v12
	v_cmp_eq_u16_e32 vcc, 0, v3
	v_cndmask_b32_e32 v2, v2, v12, vcc
	v_cndmask_b32_e32 v3, v6, v7, vcc
	v_lshlrev_b32_e32 v6, 8, v8
	v_mov_b32_e32 v7, 0x3b800000
	v_lshlrev_b32_e32 v2, 20, v2
	v_and_b32_e32 v6, 0x80000000, v6
	v_lshl_add_u32 v3, v3, 23, v7
	v_or3_b32 v2, v6, v3, v2
.LBB5_1492:
	s_or_b64 exec, exec, s[6:7]
	s_movk_i32 s4, 0xff
	v_and_b32_sdwa v3, v4, s4 dst_sel:DWORD dst_unused:UNUSED_PAD src0_sel:WORD_1 src1_sel:DWORD
	s_movk_i32 s4, 0x7f
	v_cmp_lt_i16_e32 vcc, s4, v3
	s_mov_b64 s[4:5], 0
                                        ; implicit-def: $sgpr10
	s_and_saveexec_b64 s[6:7], vcc
	s_xor_b64 s[6:7], exec, s[6:7]
	s_cbranch_execnz .LBB5_3541
; %bb.1493:
	s_or_saveexec_b64 s[6:7], s[6:7]
	v_mov_b32_e32 v6, s10
	s_xor_b64 exec, exec, s[6:7]
	s_cbranch_execnz .LBB5_3544
.LBB5_1494:
	s_or_b64 exec, exec, s[6:7]
	s_and_saveexec_b64 s[6:7], s[4:5]
	s_cbranch_execz .LBB5_1496
.LBB5_1495:
	v_bfe_u32 v3, v4, 16, 3
	v_ffbh_u32_e32 v12, v3
	v_min_u32_e32 v12, 32, v12
	v_lshrrev_b32_e32 v6, 19, v4
	v_subrev_u32_e32 v13, 28, v12
	v_and_b32_e32 v6, 15, v6
	v_lshlrev_b32_sdwa v13, v13, v4 dst_sel:DWORD dst_unused:UNUSED_PAD src0_sel:DWORD src1_sel:WORD_1
	v_bfe_u32 v7, v4, 19, 4
	v_sub_u32_e32 v12, 29, v12
	v_and_b32_e32 v13, 7, v13
	v_cmp_eq_u16_e32 vcc, 0, v6
	v_cndmask_b32_e32 v3, v3, v13, vcc
	v_cndmask_b32_e32 v6, v7, v12, vcc
	v_lshlrev_b32_e32 v7, 8, v4
	v_mov_b32_e32 v12, 0x3b800000
	v_lshlrev_b32_e32 v3, 20, v3
	v_and_b32_e32 v7, 0x80000000, v7
	v_lshl_add_u32 v6, v6, 23, v12
	v_or3_b32 v6, v7, v6, v3
.LBB5_1496:
	s_or_b64 exec, exec, s[6:7]
	s_nop 0
	v_mfma_f32_16x16x4f32 a[0:3], v2, v6, a[0:3]
	s_movk_i32 s4, 0x7f
	v_cmp_gt_i16_sdwa s[6:7], v8, s4 src0_sel:BYTE_3 src1_sel:DWORD
	s_mov_b64 s[4:5], 0
                                        ; implicit-def: $sgpr10
	s_and_saveexec_b64 s[8:9], s[6:7]
	s_xor_b64 s[6:7], exec, s[8:9]
	s_cbranch_execnz .LBB5_3545
; %bb.1497:
	s_or_saveexec_b64 s[6:7], s[6:7]
	v_mov_b32_e32 v2, s10
	s_xor_b64 exec, exec, s[6:7]
	s_cbranch_execnz .LBB5_3548
.LBB5_1498:
	s_or_b64 exec, exec, s[6:7]
	s_and_saveexec_b64 s[6:7], s[4:5]
	s_cbranch_execz .LBB5_1500
.LBB5_1499:
	v_bfe_u32 v2, v8, 24, 3
	v_ffbh_u32_e32 v12, v2
	v_min_u32_e32 v12, 32, v12
	v_lshrrev_b32_e32 v6, 27, v8
	v_subrev_u32_e32 v13, 28, v12
	v_and_b32_e32 v3, 0x80000000, v8
	v_and_b32_e32 v6, 15, v6
	v_bfe_u32 v7, v8, 27, 4
	v_lshlrev_b32_sdwa v8, v13, v8 dst_sel:DWORD dst_unused:UNUSED_PAD src0_sel:DWORD src1_sel:BYTE_3
	v_sub_u32_e32 v12, 29, v12
	v_and_b32_e32 v8, 7, v8
	v_cmp_eq_u16_e32 vcc, 0, v6
	v_cndmask_b32_e32 v2, v2, v8, vcc
	v_cndmask_b32_e32 v6, v7, v12, vcc
	v_mov_b32_e32 v7, 0x3b800000
	v_lshlrev_b32_e32 v2, 20, v2
	v_lshl_add_u32 v6, v6, 23, v7
	v_or3_b32 v2, v3, v6, v2
.LBB5_1500:
	s_or_b64 exec, exec, s[6:7]
	s_movk_i32 s4, 0x7f
	v_cmp_gt_i16_sdwa s[6:7], v4, s4 src0_sel:BYTE_3 src1_sel:DWORD
	s_mov_b64 s[4:5], 0
                                        ; implicit-def: $sgpr10
	s_and_saveexec_b64 s[8:9], s[6:7]
	s_xor_b64 s[6:7], exec, s[8:9]
	s_cbranch_execnz .LBB5_3549
; %bb.1501:
	s_or_saveexec_b64 s[6:7], s[6:7]
	v_mov_b32_e32 v3, s10
	s_xor_b64 exec, exec, s[6:7]
	s_cbranch_execnz .LBB5_3552
.LBB5_1502:
	s_or_b64 exec, exec, s[6:7]
	s_and_saveexec_b64 s[6:7], s[4:5]
	s_cbranch_execz .LBB5_1504
.LBB5_1503:
	v_bfe_u32 v3, v4, 24, 3
	v_ffbh_u32_e32 v12, v3
	v_min_u32_e32 v12, 32, v12
	v_lshrrev_b32_e32 v7, 27, v4
	v_subrev_u32_e32 v13, 28, v12
	v_and_b32_e32 v6, 0x80000000, v4
	v_and_b32_e32 v7, 15, v7
	v_bfe_u32 v8, v4, 27, 4
	v_lshlrev_b32_sdwa v4, v13, v4 dst_sel:DWORD dst_unused:UNUSED_PAD src0_sel:DWORD src1_sel:BYTE_3
	v_sub_u32_e32 v12, 29, v12
	v_and_b32_e32 v4, 7, v4
	v_cmp_eq_u16_e32 vcc, 0, v7
	v_cndmask_b32_e32 v3, v3, v4, vcc
	v_cndmask_b32_e32 v4, v8, v12, vcc
	v_mov_b32_e32 v7, 0x3b800000
	v_lshlrev_b32_e32 v3, 20, v3
	v_lshl_add_u32 v4, v4, 23, v7
	v_or3_b32 v3, v6, v4, v3
.LBB5_1504:
	s_or_b64 exec, exec, s[6:7]
	s_nop 0
	v_mfma_f32_16x16x4f32 a[0:3], v2, v3, a[0:3]
	s_movk_i32 s4, 0x7f
	v_cmp_gt_i16_sdwa s[6:7], v9, s4 src0_sel:BYTE_0 src1_sel:DWORD
	s_mov_b64 s[4:5], 0
                                        ; implicit-def: $sgpr10
	s_and_saveexec_b64 s[8:9], s[6:7]
	s_xor_b64 s[6:7], exec, s[8:9]
	s_cbranch_execnz .LBB5_3553
; %bb.1505:
	s_or_saveexec_b64 s[6:7], s[6:7]
	v_mov_b32_e32 v2, s10
	s_xor_b64 exec, exec, s[6:7]
	s_cbranch_execnz .LBB5_3556
.LBB5_1506:
	s_or_b64 exec, exec, s[6:7]
	s_and_saveexec_b64 s[6:7], s[4:5]
	s_cbranch_execz .LBB5_1508
.LBB5_1507:
	v_mov_b32_e32 v2, 8
	v_and_b32_e32 v3, 7, v9
	v_lshrrev_b32_sdwa v2, v2, v9 dst_sel:BYTE_1 dst_unused:UNUSED_PAD src0_sel:DWORD src1_sel:DWORD
	v_ffbh_u32_e32 v4, v3
	v_or_b32_sdwa v2, v9, v2 dst_sel:DWORD dst_unused:UNUSED_PAD src0_sel:BYTE_0 src1_sel:DWORD
	v_min_u32_e32 v4, 32, v4
	v_lshrrev_b16_e32 v2, 3, v2
	v_subrev_u32_e32 v6, 28, v4
	v_and_b32_e32 v2, 15, v2
	v_lshlrev_b32_e32 v6, v6, v9
	v_sub_u32_e32 v4, 29, v4
	v_and_b32_e32 v6, 7, v6
	v_cmp_eq_u16_e32 vcc, 0, v2
	v_cndmask_b32_e32 v3, v3, v6, vcc
	v_cndmask_b32_e32 v2, v2, v4, vcc
	v_lshlrev_b32_e32 v4, 24, v9
	v_mov_b32_e32 v6, 0x3b800000
	v_lshlrev_b32_e32 v3, 20, v3
	v_and_b32_e32 v4, 0x80000000, v4
	v_lshl_add_u32 v2, v2, 23, v6
	v_or3_b32 v2, v4, v2, v3
.LBB5_1508:
	s_or_b64 exec, exec, s[6:7]
	s_movk_i32 s4, 0x7f
	v_cmp_gt_i16_sdwa s[6:7], v5, s4 src0_sel:BYTE_0 src1_sel:DWORD
	s_mov_b64 s[4:5], 0
                                        ; implicit-def: $sgpr10
	s_and_saveexec_b64 s[8:9], s[6:7]
	s_xor_b64 s[6:7], exec, s[8:9]
	s_cbranch_execnz .LBB5_3557
; %bb.1509:
	s_or_saveexec_b64 s[6:7], s[6:7]
	v_mov_b32_e32 v3, s10
	s_xor_b64 exec, exec, s[6:7]
	s_cbranch_execnz .LBB5_3560
.LBB5_1510:
	s_or_b64 exec, exec, s[6:7]
	s_and_saveexec_b64 s[6:7], s[4:5]
	s_cbranch_execz .LBB5_1512
.LBB5_1511:
	v_mov_b32_e32 v3, 8
	v_and_b32_e32 v4, 7, v5
	v_lshrrev_b32_sdwa v3, v3, v5 dst_sel:BYTE_1 dst_unused:UNUSED_PAD src0_sel:DWORD src1_sel:DWORD
	v_ffbh_u32_e32 v6, v4
	v_or_b32_sdwa v3, v5, v3 dst_sel:DWORD dst_unused:UNUSED_PAD src0_sel:BYTE_0 src1_sel:DWORD
	v_min_u32_e32 v6, 32, v6
	v_lshrrev_b16_e32 v3, 3, v3
	v_subrev_u32_e32 v7, 28, v6
	v_and_b32_e32 v3, 15, v3
	v_lshlrev_b32_e32 v7, v7, v5
	v_sub_u32_e32 v6, 29, v6
	v_and_b32_e32 v7, 7, v7
	v_cmp_eq_u16_e32 vcc, 0, v3
	v_cndmask_b32_e32 v4, v4, v7, vcc
	v_cndmask_b32_e32 v3, v3, v6, vcc
	v_lshlrev_b32_e32 v6, 24, v5
	v_mov_b32_e32 v7, 0x3b800000
	v_lshlrev_b32_e32 v4, 20, v4
	v_and_b32_e32 v6, 0x80000000, v6
	v_lshl_add_u32 v3, v3, 23, v7
	v_or3_b32 v3, v6, v3, v4
.LBB5_1512:
	s_or_b64 exec, exec, s[6:7]
	s_nop 0
	v_mfma_f32_16x16x4f32 a[0:3], v2, v3, a[0:3]
	v_lshrrev_b32_e32 v3, 8, v9
	s_movk_i32 s4, 0x7f
	v_cmp_gt_i16_sdwa s[6:7], v3, s4 src0_sel:BYTE_0 src1_sel:DWORD
	s_mov_b64 s[4:5], 0
                                        ; implicit-def: $sgpr10
	s_and_saveexec_b64 s[8:9], s[6:7]
	s_xor_b64 s[6:7], exec, s[8:9]
	s_cbranch_execnz .LBB5_3561
; %bb.1513:
	s_or_saveexec_b64 s[6:7], s[6:7]
	v_mov_b32_e32 v2, s10
	s_xor_b64 exec, exec, s[6:7]
	s_cbranch_execnz .LBB5_3564
.LBB5_1514:
	s_or_b64 exec, exec, s[6:7]
	s_and_saveexec_b64 s[6:7], s[4:5]
	s_cbranch_execz .LBB5_1516
.LBB5_1515:
	v_bfe_u32 v2, v9, 8, 3
	v_ffbh_u32_e32 v6, v2
	v_min_u32_e32 v6, 32, v6
	v_lshrrev_b16_e32 v4, 3, v3
	v_subrev_u32_e32 v7, 28, v6
	v_and_b32_e32 v4, 15, v4
	v_lshlrev_b32_e32 v3, v7, v3
	v_sub_u32_e32 v6, 29, v6
	v_and_b32_e32 v3, 7, v3
	v_cmp_eq_u16_e32 vcc, 0, v4
	v_cndmask_b32_e32 v2, v2, v3, vcc
	v_cndmask_b32_e32 v3, v4, v6, vcc
	v_lshlrev_b32_e32 v4, 16, v9
	v_mov_b32_e32 v6, 0x3b800000
	v_lshlrev_b32_e32 v2, 20, v2
	v_and_b32_e32 v4, 0x80000000, v4
	v_lshl_add_u32 v3, v3, 23, v6
	v_or3_b32 v2, v4, v3, v2
.LBB5_1516:
	s_or_b64 exec, exec, s[6:7]
	v_lshrrev_b32_e32 v3, 8, v5
	s_movk_i32 s4, 0x7f
	v_cmp_gt_i16_sdwa s[6:7], v3, s4 src0_sel:BYTE_0 src1_sel:DWORD
	s_mov_b64 s[4:5], 0
                                        ; implicit-def: $sgpr10
	s_and_saveexec_b64 s[8:9], s[6:7]
	s_xor_b64 s[6:7], exec, s[8:9]
	s_cbranch_execnz .LBB5_3565
; %bb.1517:
	s_or_saveexec_b64 s[6:7], s[6:7]
	v_mov_b32_e32 v4, s10
	s_xor_b64 exec, exec, s[6:7]
	s_cbranch_execnz .LBB5_3568
.LBB5_1518:
	s_or_b64 exec, exec, s[6:7]
	s_and_saveexec_b64 s[6:7], s[4:5]
	s_cbranch_execz .LBB5_1520
.LBB5_1519:
	v_bfe_u32 v4, v5, 8, 3
	v_ffbh_u32_e32 v7, v4
	v_min_u32_e32 v7, 32, v7
	v_lshrrev_b16_e32 v6, 3, v3
	v_subrev_u32_e32 v8, 28, v7
	v_and_b32_e32 v6, 15, v6
	v_lshlrev_b32_e32 v3, v8, v3
	v_sub_u32_e32 v7, 29, v7
	v_and_b32_e32 v3, 7, v3
	v_cmp_eq_u16_e32 vcc, 0, v6
	v_cndmask_b32_e32 v3, v4, v3, vcc
	v_cndmask_b32_e32 v4, v6, v7, vcc
	v_lshlrev_b32_e32 v6, 16, v5
	v_mov_b32_e32 v7, 0x3b800000
	v_lshlrev_b32_e32 v3, 20, v3
	v_and_b32_e32 v6, 0x80000000, v6
	v_lshl_add_u32 v4, v4, 23, v7
	v_or3_b32 v4, v6, v4, v3
.LBB5_1520:
	s_or_b64 exec, exec, s[6:7]
	s_nop 0
	v_mfma_f32_16x16x4f32 a[0:3], v2, v4, a[0:3]
	s_movk_i32 s4, 0xff
	v_and_b32_sdwa v3, v9, s4 dst_sel:DWORD dst_unused:UNUSED_PAD src0_sel:WORD_1 src1_sel:DWORD
	s_movk_i32 s4, 0x7f
	v_cmp_lt_i16_e32 vcc, s4, v3
	s_mov_b64 s[4:5], 0
                                        ; implicit-def: $sgpr10
	s_and_saveexec_b64 s[6:7], vcc
	s_xor_b64 s[6:7], exec, s[6:7]
	s_cbranch_execnz .LBB5_3569
; %bb.1521:
	s_or_saveexec_b64 s[6:7], s[6:7]
	v_mov_b32_e32 v2, s10
	s_xor_b64 exec, exec, s[6:7]
	s_cbranch_execnz .LBB5_3572
.LBB5_1522:
	s_or_b64 exec, exec, s[6:7]
	s_and_saveexec_b64 s[6:7], s[4:5]
	s_cbranch_execz .LBB5_1524
.LBB5_1523:
	v_bfe_u32 v2, v9, 16, 3
	v_ffbh_u32_e32 v6, v2
	v_min_u32_e32 v6, 32, v6
	v_lshrrev_b32_e32 v3, 19, v9
	v_subrev_u32_e32 v7, 28, v6
	v_and_b32_e32 v3, 15, v3
	v_lshlrev_b32_sdwa v7, v7, v9 dst_sel:DWORD dst_unused:UNUSED_PAD src0_sel:DWORD src1_sel:WORD_1
	v_bfe_u32 v4, v9, 19, 4
	v_sub_u32_e32 v6, 29, v6
	v_and_b32_e32 v7, 7, v7
	v_cmp_eq_u16_e32 vcc, 0, v3
	v_cndmask_b32_e32 v2, v2, v7, vcc
	v_cndmask_b32_e32 v3, v4, v6, vcc
	v_lshlrev_b32_e32 v4, 8, v9
	v_mov_b32_e32 v6, 0x3b800000
	v_lshlrev_b32_e32 v2, 20, v2
	v_and_b32_e32 v4, 0x80000000, v4
	v_lshl_add_u32 v3, v3, 23, v6
	v_or3_b32 v2, v4, v3, v2
.LBB5_1524:
	s_or_b64 exec, exec, s[6:7]
	s_movk_i32 s4, 0xff
	v_and_b32_sdwa v3, v5, s4 dst_sel:DWORD dst_unused:UNUSED_PAD src0_sel:WORD_1 src1_sel:DWORD
	s_movk_i32 s4, 0x7f
	v_cmp_lt_i16_e32 vcc, s4, v3
	s_mov_b64 s[4:5], 0
                                        ; implicit-def: $sgpr10
	s_and_saveexec_b64 s[6:7], vcc
	s_xor_b64 s[6:7], exec, s[6:7]
	s_cbranch_execnz .LBB5_3573
; %bb.1525:
	s_or_saveexec_b64 s[6:7], s[6:7]
	v_mov_b32_e32 v4, s10
	s_xor_b64 exec, exec, s[6:7]
	s_cbranch_execnz .LBB5_3576
.LBB5_1526:
	s_or_b64 exec, exec, s[6:7]
	s_and_saveexec_b64 s[6:7], s[4:5]
	s_cbranch_execz .LBB5_1528
.LBB5_1527:
	v_bfe_u32 v3, v5, 16, 3
	v_ffbh_u32_e32 v7, v3
	v_min_u32_e32 v7, 32, v7
	v_lshrrev_b32_e32 v4, 19, v5
	v_subrev_u32_e32 v8, 28, v7
	v_and_b32_e32 v4, 15, v4
	v_lshlrev_b32_sdwa v8, v8, v5 dst_sel:DWORD dst_unused:UNUSED_PAD src0_sel:DWORD src1_sel:WORD_1
	v_bfe_u32 v6, v5, 19, 4
	v_sub_u32_e32 v7, 29, v7
	v_and_b32_e32 v8, 7, v8
	v_cmp_eq_u16_e32 vcc, 0, v4
	v_cndmask_b32_e32 v3, v3, v8, vcc
	v_cndmask_b32_e32 v4, v6, v7, vcc
	v_lshlrev_b32_e32 v6, 8, v5
	v_mov_b32_e32 v7, 0x3b800000
	v_lshlrev_b32_e32 v3, 20, v3
	v_and_b32_e32 v6, 0x80000000, v6
	v_lshl_add_u32 v4, v4, 23, v7
	v_or3_b32 v4, v6, v4, v3
.LBB5_1528:
	s_or_b64 exec, exec, s[6:7]
	s_nop 0
	v_mfma_f32_16x16x4f32 a[0:3], v2, v4, a[0:3]
	s_movk_i32 s4, 0x7f
	v_cmp_gt_i16_sdwa s[6:7], v9, s4 src0_sel:BYTE_3 src1_sel:DWORD
	s_mov_b64 s[4:5], 0
                                        ; implicit-def: $sgpr10
	s_and_saveexec_b64 s[8:9], s[6:7]
	s_xor_b64 s[6:7], exec, s[8:9]
	s_cbranch_execnz .LBB5_3577
; %bb.1529:
	s_or_saveexec_b64 s[6:7], s[6:7]
	v_mov_b32_e32 v2, s10
	s_xor_b64 exec, exec, s[6:7]
	s_cbranch_execnz .LBB5_3580
.LBB5_1530:
	s_or_b64 exec, exec, s[6:7]
	s_and_saveexec_b64 s[6:7], s[4:5]
	s_cbranch_execz .LBB5_1532
.LBB5_1531:
	v_bfe_u32 v2, v9, 24, 3
	v_ffbh_u32_e32 v7, v2
	v_min_u32_e32 v7, 32, v7
	v_lshrrev_b32_e32 v4, 27, v9
	v_subrev_u32_e32 v8, 28, v7
	v_and_b32_e32 v4, 15, v4
	v_lshlrev_b32_sdwa v8, v8, v9 dst_sel:DWORD dst_unused:UNUSED_PAD src0_sel:DWORD src1_sel:BYTE_3
	v_bfe_u32 v6, v9, 27, 4
	v_sub_u32_e32 v7, 29, v7
	v_and_b32_e32 v8, 7, v8
	v_cmp_eq_u16_e32 vcc, 0, v4
	v_cndmask_b32_e32 v2, v2, v8, vcc
	v_cndmask_b32_e32 v4, v6, v7, vcc
	v_mov_b32_e32 v6, 0x3b800000
	v_and_b32_e32 v3, 0x80000000, v9
	v_lshlrev_b32_e32 v2, 20, v2
	v_lshl_add_u32 v4, v4, 23, v6
	v_or3_b32 v2, v3, v4, v2
.LBB5_1532:
	s_or_b64 exec, exec, s[6:7]
	s_movk_i32 s4, 0x7f
	v_cmp_gt_i16_sdwa s[6:7], v5, s4 src0_sel:BYTE_3 src1_sel:DWORD
	s_mov_b64 s[4:5], 0
                                        ; implicit-def: $sgpr10
	s_and_saveexec_b64 s[8:9], s[6:7]
	s_xor_b64 s[6:7], exec, s[8:9]
	s_cbranch_execnz .LBB5_3581
; %bb.1533:
	s_or_saveexec_b64 s[6:7], s[6:7]
	v_mov_b32_e32 v3, s10
	s_xor_b64 exec, exec, s[6:7]
	s_cbranch_execnz .LBB5_3584
.LBB5_1534:
	s_or_b64 exec, exec, s[6:7]
	s_and_saveexec_b64 s[6:7], s[4:5]
	s_cbranch_execz .LBB5_1536
.LBB5_1535:
	v_bfe_u32 v3, v5, 24, 3
	v_ffbh_u32_e32 v8, v3
	v_min_u32_e32 v8, 32, v8
	v_lshrrev_b32_e32 v6, 27, v5
	v_subrev_u32_e32 v9, 28, v8
	v_and_b32_e32 v4, 0x80000000, v5
	v_and_b32_e32 v6, 15, v6
	v_bfe_u32 v7, v5, 27, 4
	v_lshlrev_b32_sdwa v5, v9, v5 dst_sel:DWORD dst_unused:UNUSED_PAD src0_sel:DWORD src1_sel:BYTE_3
	v_sub_u32_e32 v8, 29, v8
	v_and_b32_e32 v5, 7, v5
	v_cmp_eq_u16_e32 vcc, 0, v6
	v_cndmask_b32_e32 v3, v3, v5, vcc
	v_cndmask_b32_e32 v5, v7, v8, vcc
	v_mov_b32_e32 v6, 0x3b800000
	v_lshlrev_b32_e32 v3, 20, v3
	v_lshl_add_u32 v5, v5, 23, v6
	v_or3_b32 v3, v4, v5, v3
.LBB5_1536:
	s_or_b64 exec, exec, s[6:7]
	s_nop 0
	v_mfma_f32_16x16x4f32 a[0:3], v2, v3, a[0:3]
	s_movk_i32 s4, 0x7f
                                        ; implicit-def: $sgpr10
	s_nop 7
	s_nop 1
	flat_store_dwordx4 v[10:11], a[0:3] offset:176
	flat_load_dwordx4 v[12:15], v[0:1] offset:8
	s_nop 0
	flat_load_dwordx2 v[10:11], v[0:1] offset:32
	s_waitcnt vmcnt(0) lgkmcnt(0)
	flat_load_dwordx4 v[6:9], v[12:13] offset:96
	flat_load_dwordx4 v[2:5], v[14:15]
	s_waitcnt vmcnt(0) lgkmcnt(0)
	v_cmp_gt_i16_sdwa s[6:7], v6, s4 src0_sel:BYTE_0 src1_sel:DWORD
	s_mov_b64 s[4:5], 0
	s_and_saveexec_b64 s[8:9], s[6:7]
	s_xor_b64 s[6:7], exec, s[8:9]
	s_cbranch_execnz .LBB5_3585
; %bb.1537:
	s_or_saveexec_b64 s[6:7], s[6:7]
	v_mov_b32_e32 v12, s10
	s_xor_b64 exec, exec, s[6:7]
	s_cbranch_execnz .LBB5_3588
.LBB5_1538:
	s_or_b64 exec, exec, s[6:7]
	s_and_saveexec_b64 s[6:7], s[4:5]
	s_cbranch_execz .LBB5_1540
.LBB5_1539:
	v_and_b32_e32 v12, 7, v6
	v_ffbh_u32_e32 v14, v12
	v_min_u32_e32 v14, 32, v14
	v_lshrrev_b16_e32 v13, 3, v6
	v_subrev_u32_e32 v15, 28, v14
	v_and_b32_e32 v13, 15, v13
	v_lshlrev_b32_e32 v15, v15, v6
	v_sub_u32_e32 v14, 29, v14
	v_and_b32_e32 v15, 7, v15
	v_cmp_eq_u16_e32 vcc, 0, v13
	v_cndmask_b32_e32 v12, v12, v15, vcc
	v_cndmask_b32_e32 v13, v13, v14, vcc
	v_lshlrev_b32_e32 v14, 24, v6
	v_mov_b32_e32 v15, 0x3b800000
	v_lshlrev_b32_e32 v12, 20, v12
	v_and_b32_e32 v14, 0x80000000, v14
	v_lshl_add_u32 v13, v13, 23, v15
	v_or3_b32 v12, v14, v13, v12
.LBB5_1540:
	s_or_b64 exec, exec, s[6:7]
	s_movk_i32 s4, 0x7f
	v_cmp_gt_i16_sdwa s[6:7], v2, s4 src0_sel:BYTE_0 src1_sel:DWORD
	s_mov_b64 s[4:5], 0
                                        ; implicit-def: $sgpr10
	s_and_saveexec_b64 s[8:9], s[6:7]
	s_xor_b64 s[6:7], exec, s[8:9]
	s_cbranch_execnz .LBB5_3589
; %bb.1541:
	s_or_saveexec_b64 s[6:7], s[6:7]
	v_mov_b32_e32 v13, s10
	s_xor_b64 exec, exec, s[6:7]
	s_cbranch_execnz .LBB5_3592
.LBB5_1542:
	s_or_b64 exec, exec, s[6:7]
	s_and_saveexec_b64 s[6:7], s[4:5]
	s_cbranch_execz .LBB5_1544
.LBB5_1543:
	v_and_b32_e32 v13, 7, v2
	v_ffbh_u32_e32 v15, v13
	v_min_u32_e32 v15, 32, v15
	v_lshrrev_b16_e32 v14, 3, v2
	v_subrev_u32_e32 v16, 28, v15
	v_and_b32_e32 v14, 15, v14
	v_lshlrev_b32_e32 v16, v16, v2
	v_sub_u32_e32 v15, 29, v15
	v_and_b32_e32 v16, 7, v16
	v_cmp_eq_u16_e32 vcc, 0, v14
	v_cndmask_b32_e32 v13, v13, v16, vcc
	v_cndmask_b32_e32 v14, v14, v15, vcc
	v_lshlrev_b32_e32 v15, 24, v2
	v_mov_b32_e32 v16, 0x3b800000
	v_lshlrev_b32_e32 v13, 20, v13
	v_and_b32_e32 v15, 0x80000000, v15
	v_lshl_add_u32 v14, v14, 23, v16
	v_or3_b32 v13, v15, v14, v13
.LBB5_1544:
	s_or_b64 exec, exec, s[6:7]
	flat_load_dwordx4 a[0:3], v[10:11] offset:192
	s_movk_i32 s4, 0x7f
                                        ; implicit-def: $sgpr10
	s_waitcnt vmcnt(0) lgkmcnt(0)
	v_mfma_f32_16x16x4f32 a[0:3], v12, v13, a[0:3]
	v_lshrrev_b32_e32 v13, 8, v6
	v_cmp_gt_i16_sdwa s[6:7], v13, s4 src0_sel:BYTE_0 src1_sel:DWORD
	s_mov_b64 s[4:5], 0
	s_and_saveexec_b64 s[8:9], s[6:7]
	s_xor_b64 s[6:7], exec, s[8:9]
	s_cbranch_execnz .LBB5_3593
; %bb.1545:
	s_or_saveexec_b64 s[6:7], s[6:7]
	v_mov_b32_e32 v12, s10
	s_xor_b64 exec, exec, s[6:7]
	s_cbranch_execnz .LBB5_3596
.LBB5_1546:
	s_or_b64 exec, exec, s[6:7]
	s_and_saveexec_b64 s[6:7], s[4:5]
	s_cbranch_execz .LBB5_1548
.LBB5_1547:
	v_bfe_u32 v12, v6, 8, 3
	v_ffbh_u32_e32 v15, v12
	v_min_u32_e32 v15, 32, v15
	v_lshrrev_b16_e32 v14, 3, v13
	v_subrev_u32_e32 v16, 28, v15
	v_and_b32_e32 v14, 15, v14
	v_lshlrev_b32_e32 v13, v16, v13
	v_sub_u32_e32 v15, 29, v15
	v_and_b32_e32 v13, 7, v13
	v_cmp_eq_u16_e32 vcc, 0, v14
	v_cndmask_b32_e32 v12, v12, v13, vcc
	v_cndmask_b32_e32 v13, v14, v15, vcc
	v_lshlrev_b32_e32 v14, 16, v6
	v_mov_b32_e32 v15, 0x3b800000
	v_lshlrev_b32_e32 v12, 20, v12
	v_and_b32_e32 v14, 0x80000000, v14
	v_lshl_add_u32 v13, v13, 23, v15
	v_or3_b32 v12, v14, v13, v12
.LBB5_1548:
	s_or_b64 exec, exec, s[6:7]
	v_lshrrev_b32_e32 v13, 8, v2
	s_movk_i32 s4, 0x7f
	v_cmp_gt_i16_sdwa s[6:7], v13, s4 src0_sel:BYTE_0 src1_sel:DWORD
	s_mov_b64 s[4:5], 0
                                        ; implicit-def: $sgpr10
	s_and_saveexec_b64 s[8:9], s[6:7]
	s_xor_b64 s[6:7], exec, s[8:9]
	s_cbranch_execnz .LBB5_3597
; %bb.1549:
	s_or_saveexec_b64 s[6:7], s[6:7]
	v_mov_b32_e32 v14, s10
	s_xor_b64 exec, exec, s[6:7]
	s_cbranch_execnz .LBB5_3600
.LBB5_1550:
	s_or_b64 exec, exec, s[6:7]
	s_and_saveexec_b64 s[6:7], s[4:5]
	s_cbranch_execz .LBB5_1552
.LBB5_1551:
	v_bfe_u32 v14, v2, 8, 3
	v_ffbh_u32_e32 v16, v14
	v_min_u32_e32 v16, 32, v16
	v_lshrrev_b16_e32 v15, 3, v13
	v_subrev_u32_e32 v17, 28, v16
	v_and_b32_e32 v15, 15, v15
	v_lshlrev_b32_e32 v13, v17, v13
	v_sub_u32_e32 v16, 29, v16
	v_and_b32_e32 v13, 7, v13
	v_cmp_eq_u16_e32 vcc, 0, v15
	v_cndmask_b32_e32 v13, v14, v13, vcc
	v_cndmask_b32_e32 v14, v15, v16, vcc
	v_lshlrev_b32_e32 v15, 16, v2
	v_mov_b32_e32 v16, 0x3b800000
	v_lshlrev_b32_e32 v13, 20, v13
	v_and_b32_e32 v15, 0x80000000, v15
	v_lshl_add_u32 v14, v14, 23, v16
	v_or3_b32 v14, v15, v14, v13
.LBB5_1552:
	s_or_b64 exec, exec, s[6:7]
	s_nop 0
	v_mfma_f32_16x16x4f32 a[0:3], v12, v14, a[0:3]
	s_movk_i32 s4, 0xff
	v_and_b32_sdwa v13, v6, s4 dst_sel:DWORD dst_unused:UNUSED_PAD src0_sel:WORD_1 src1_sel:DWORD
	s_movk_i32 s4, 0x7f
	v_cmp_lt_i16_e32 vcc, s4, v13
	s_mov_b64 s[4:5], 0
                                        ; implicit-def: $sgpr10
	s_and_saveexec_b64 s[6:7], vcc
	s_xor_b64 s[6:7], exec, s[6:7]
	s_cbranch_execnz .LBB5_3601
; %bb.1553:
	s_or_saveexec_b64 s[6:7], s[6:7]
	v_mov_b32_e32 v12, s10
	s_xor_b64 exec, exec, s[6:7]
	s_cbranch_execnz .LBB5_3604
.LBB5_1554:
	s_or_b64 exec, exec, s[6:7]
	s_and_saveexec_b64 s[6:7], s[4:5]
	s_cbranch_execz .LBB5_1556
.LBB5_1555:
	v_bfe_u32 v12, v6, 16, 3
	v_ffbh_u32_e32 v15, v12
	v_min_u32_e32 v15, 32, v15
	v_lshrrev_b32_e32 v13, 19, v6
	v_subrev_u32_e32 v16, 28, v15
	v_and_b32_e32 v13, 15, v13
	v_lshlrev_b32_sdwa v16, v16, v6 dst_sel:DWORD dst_unused:UNUSED_PAD src0_sel:DWORD src1_sel:WORD_1
	v_bfe_u32 v14, v6, 19, 4
	v_sub_u32_e32 v15, 29, v15
	v_and_b32_e32 v16, 7, v16
	v_cmp_eq_u16_e32 vcc, 0, v13
	v_cndmask_b32_e32 v12, v12, v16, vcc
	v_cndmask_b32_e32 v13, v14, v15, vcc
	v_lshlrev_b32_e32 v14, 8, v6
	v_mov_b32_e32 v15, 0x3b800000
	v_lshlrev_b32_e32 v12, 20, v12
	v_and_b32_e32 v14, 0x80000000, v14
	v_lshl_add_u32 v13, v13, 23, v15
	v_or3_b32 v12, v14, v13, v12
.LBB5_1556:
	s_or_b64 exec, exec, s[6:7]
	s_movk_i32 s4, 0xff
	v_and_b32_sdwa v13, v2, s4 dst_sel:DWORD dst_unused:UNUSED_PAD src0_sel:WORD_1 src1_sel:DWORD
	s_movk_i32 s4, 0x7f
	v_cmp_lt_i16_e32 vcc, s4, v13
	s_mov_b64 s[4:5], 0
                                        ; implicit-def: $sgpr10
	s_and_saveexec_b64 s[6:7], vcc
	s_xor_b64 s[6:7], exec, s[6:7]
	s_cbranch_execnz .LBB5_3605
; %bb.1557:
	s_or_saveexec_b64 s[6:7], s[6:7]
	v_mov_b32_e32 v14, s10
	s_xor_b64 exec, exec, s[6:7]
	s_cbranch_execnz .LBB5_3608
.LBB5_1558:
	s_or_b64 exec, exec, s[6:7]
	s_and_saveexec_b64 s[6:7], s[4:5]
	s_cbranch_execz .LBB5_1560
.LBB5_1559:
	v_bfe_u32 v13, v2, 16, 3
	v_ffbh_u32_e32 v16, v13
	v_min_u32_e32 v16, 32, v16
	v_lshrrev_b32_e32 v14, 19, v2
	v_subrev_u32_e32 v17, 28, v16
	v_and_b32_e32 v14, 15, v14
	v_lshlrev_b32_sdwa v17, v17, v2 dst_sel:DWORD dst_unused:UNUSED_PAD src0_sel:DWORD src1_sel:WORD_1
	v_bfe_u32 v15, v2, 19, 4
	v_sub_u32_e32 v16, 29, v16
	v_and_b32_e32 v17, 7, v17
	v_cmp_eq_u16_e32 vcc, 0, v14
	v_cndmask_b32_e32 v13, v13, v17, vcc
	v_cndmask_b32_e32 v14, v15, v16, vcc
	v_lshlrev_b32_e32 v15, 8, v2
	v_mov_b32_e32 v16, 0x3b800000
	v_lshlrev_b32_e32 v13, 20, v13
	v_and_b32_e32 v15, 0x80000000, v15
	v_lshl_add_u32 v14, v14, 23, v16
	v_or3_b32 v14, v15, v14, v13
.LBB5_1560:
	s_or_b64 exec, exec, s[6:7]
	s_nop 0
	v_mfma_f32_16x16x4f32 a[0:3], v12, v14, a[0:3]
	s_movk_i32 s4, 0x7f
	v_cmp_gt_i16_sdwa s[6:7], v6, s4 src0_sel:BYTE_3 src1_sel:DWORD
	s_mov_b64 s[4:5], 0
                                        ; implicit-def: $sgpr10
	s_and_saveexec_b64 s[8:9], s[6:7]
	s_xor_b64 s[6:7], exec, s[8:9]
	s_cbranch_execnz .LBB5_3609
; %bb.1561:
	s_or_saveexec_b64 s[6:7], s[6:7]
	v_mov_b32_e32 v12, s10
	s_xor_b64 exec, exec, s[6:7]
	s_cbranch_execnz .LBB5_3612
.LBB5_1562:
	s_or_b64 exec, exec, s[6:7]
	s_and_saveexec_b64 s[6:7], s[4:5]
	s_cbranch_execz .LBB5_1564
.LBB5_1563:
	v_bfe_u32 v12, v6, 24, 3
	v_ffbh_u32_e32 v16, v12
	v_min_u32_e32 v16, 32, v16
	v_lshrrev_b32_e32 v14, 27, v6
	v_subrev_u32_e32 v17, 28, v16
	v_and_b32_e32 v13, 0x80000000, v6
	v_and_b32_e32 v14, 15, v14
	v_bfe_u32 v15, v6, 27, 4
	v_lshlrev_b32_sdwa v6, v17, v6 dst_sel:DWORD dst_unused:UNUSED_PAD src0_sel:DWORD src1_sel:BYTE_3
	v_sub_u32_e32 v16, 29, v16
	v_and_b32_e32 v6, 7, v6
	v_cmp_eq_u16_e32 vcc, 0, v14
	v_cndmask_b32_e32 v6, v12, v6, vcc
	v_cndmask_b32_e32 v12, v15, v16, vcc
	v_mov_b32_e32 v14, 0x3b800000
	v_lshlrev_b32_e32 v6, 20, v6
	v_lshl_add_u32 v12, v12, 23, v14
	v_or3_b32 v12, v13, v12, v6
.LBB5_1564:
	s_or_b64 exec, exec, s[6:7]
	s_movk_i32 s4, 0x7f
	v_cmp_gt_i16_sdwa s[6:7], v2, s4 src0_sel:BYTE_3 src1_sel:DWORD
	s_mov_b64 s[4:5], 0
                                        ; implicit-def: $sgpr10
	s_and_saveexec_b64 s[8:9], s[6:7]
	s_xor_b64 s[6:7], exec, s[8:9]
	s_cbranch_execnz .LBB5_3613
; %bb.1565:
	s_or_saveexec_b64 s[6:7], s[6:7]
	v_mov_b32_e32 v6, s10
	s_xor_b64 exec, exec, s[6:7]
	s_cbranch_execnz .LBB5_3616
.LBB5_1566:
	s_or_b64 exec, exec, s[6:7]
	s_and_saveexec_b64 s[6:7], s[4:5]
	s_cbranch_execz .LBB5_1568
.LBB5_1567:
	v_bfe_u32 v6, v2, 24, 3
	v_ffbh_u32_e32 v16, v6
	v_min_u32_e32 v16, 32, v16
	v_lshrrev_b32_e32 v14, 27, v2
	v_subrev_u32_e32 v17, 28, v16
	v_and_b32_e32 v13, 0x80000000, v2
	v_and_b32_e32 v14, 15, v14
	v_bfe_u32 v15, v2, 27, 4
	v_lshlrev_b32_sdwa v2, v17, v2 dst_sel:DWORD dst_unused:UNUSED_PAD src0_sel:DWORD src1_sel:BYTE_3
	v_sub_u32_e32 v16, 29, v16
	v_and_b32_e32 v2, 7, v2
	v_cmp_eq_u16_e32 vcc, 0, v14
	v_cndmask_b32_e32 v2, v6, v2, vcc
	v_cndmask_b32_e32 v6, v15, v16, vcc
	v_mov_b32_e32 v14, 0x3b800000
	v_lshlrev_b32_e32 v2, 20, v2
	v_lshl_add_u32 v6, v6, 23, v14
	v_or3_b32 v6, v13, v6, v2
.LBB5_1568:
	s_or_b64 exec, exec, s[6:7]
	s_nop 0
	v_mfma_f32_16x16x4f32 a[0:3], v12, v6, a[0:3]
	s_movk_i32 s4, 0x7f
	v_cmp_gt_i16_sdwa s[6:7], v7, s4 src0_sel:BYTE_0 src1_sel:DWORD
	s_mov_b64 s[4:5], 0
                                        ; implicit-def: $sgpr10
	s_and_saveexec_b64 s[8:9], s[6:7]
	s_xor_b64 s[6:7], exec, s[8:9]
	s_cbranch_execnz .LBB5_3617
; %bb.1569:
	s_or_saveexec_b64 s[6:7], s[6:7]
	v_mov_b32_e32 v2, s10
	s_xor_b64 exec, exec, s[6:7]
	s_cbranch_execnz .LBB5_3620
.LBB5_1570:
	s_or_b64 exec, exec, s[6:7]
	s_and_saveexec_b64 s[6:7], s[4:5]
	s_cbranch_execz .LBB5_1572
.LBB5_1571:
	v_and_b32_e32 v2, 7, v7
	v_ffbh_u32_e32 v12, v2
	v_min_u32_e32 v12, 32, v12
	v_lshrrev_b16_e32 v6, 3, v7
	v_subrev_u32_e32 v13, 28, v12
	v_and_b32_e32 v6, 15, v6
	v_lshlrev_b32_e32 v13, v13, v7
	v_sub_u32_e32 v12, 29, v12
	v_and_b32_e32 v13, 7, v13
	v_cmp_eq_u16_e32 vcc, 0, v6
	v_cndmask_b32_e32 v2, v2, v13, vcc
	v_cndmask_b32_e32 v6, v6, v12, vcc
	v_lshlrev_b32_e32 v12, 24, v7
	v_mov_b32_e32 v13, 0x3b800000
	v_lshlrev_b32_e32 v2, 20, v2
	v_and_b32_e32 v12, 0x80000000, v12
	v_lshl_add_u32 v6, v6, 23, v13
	v_or3_b32 v2, v12, v6, v2
.LBB5_1572:
	s_or_b64 exec, exec, s[6:7]
	s_movk_i32 s4, 0x7f
	v_cmp_gt_i16_sdwa s[6:7], v3, s4 src0_sel:BYTE_0 src1_sel:DWORD
	s_mov_b64 s[4:5], 0
                                        ; implicit-def: $sgpr10
	s_and_saveexec_b64 s[8:9], s[6:7]
	s_xor_b64 s[6:7], exec, s[8:9]
	s_cbranch_execnz .LBB5_3621
; %bb.1573:
	s_or_saveexec_b64 s[6:7], s[6:7]
	v_mov_b32_e32 v6, s10
	s_xor_b64 exec, exec, s[6:7]
	s_cbranch_execnz .LBB5_3624
.LBB5_1574:
	s_or_b64 exec, exec, s[6:7]
	s_and_saveexec_b64 s[6:7], s[4:5]
	s_cbranch_execz .LBB5_1576
.LBB5_1575:
	v_and_b32_e32 v6, 7, v3
	v_ffbh_u32_e32 v13, v6
	v_min_u32_e32 v13, 32, v13
	v_lshrrev_b16_e32 v12, 3, v3
	v_subrev_u32_e32 v14, 28, v13
	v_and_b32_e32 v12, 15, v12
	v_lshlrev_b32_e32 v14, v14, v3
	v_sub_u32_e32 v13, 29, v13
	v_and_b32_e32 v14, 7, v14
	v_cmp_eq_u16_e32 vcc, 0, v12
	v_cndmask_b32_e32 v6, v6, v14, vcc
	v_cndmask_b32_e32 v12, v12, v13, vcc
	v_lshlrev_b32_e32 v13, 24, v3
	v_mov_b32_e32 v14, 0x3b800000
	v_lshlrev_b32_e32 v6, 20, v6
	v_and_b32_e32 v13, 0x80000000, v13
	v_lshl_add_u32 v12, v12, 23, v14
	v_or3_b32 v6, v13, v12, v6
.LBB5_1576:
	s_or_b64 exec, exec, s[6:7]
	s_nop 0
	v_mfma_f32_16x16x4f32 a[0:3], v2, v6, a[0:3]
	v_lshrrev_b32_e32 v6, 8, v7
	s_movk_i32 s4, 0x7f
	v_cmp_gt_i16_sdwa s[6:7], v6, s4 src0_sel:BYTE_0 src1_sel:DWORD
	s_mov_b64 s[4:5], 0
                                        ; implicit-def: $sgpr10
	s_and_saveexec_b64 s[8:9], s[6:7]
	s_xor_b64 s[6:7], exec, s[8:9]
	s_cbranch_execnz .LBB5_3625
; %bb.1577:
	s_or_saveexec_b64 s[6:7], s[6:7]
	v_mov_b32_e32 v2, s10
	s_xor_b64 exec, exec, s[6:7]
	s_cbranch_execnz .LBB5_3628
.LBB5_1578:
	s_or_b64 exec, exec, s[6:7]
	s_and_saveexec_b64 s[6:7], s[4:5]
	s_cbranch_execz .LBB5_1580
.LBB5_1579:
	v_bfe_u32 v2, v7, 8, 3
	v_ffbh_u32_e32 v13, v2
	v_min_u32_e32 v13, 32, v13
	v_lshrrev_b16_e32 v12, 3, v6
	v_subrev_u32_e32 v14, 28, v13
	v_and_b32_e32 v12, 15, v12
	v_lshlrev_b32_e32 v6, v14, v6
	v_sub_u32_e32 v13, 29, v13
	v_and_b32_e32 v6, 7, v6
	v_cmp_eq_u16_e32 vcc, 0, v12
	v_cndmask_b32_e32 v2, v2, v6, vcc
	v_cndmask_b32_e32 v6, v12, v13, vcc
	v_lshlrev_b32_e32 v12, 16, v7
	v_mov_b32_e32 v13, 0x3b800000
	v_lshlrev_b32_e32 v2, 20, v2
	v_and_b32_e32 v12, 0x80000000, v12
	v_lshl_add_u32 v6, v6, 23, v13
	v_or3_b32 v2, v12, v6, v2
.LBB5_1580:
	s_or_b64 exec, exec, s[6:7]
	v_lshrrev_b32_e32 v6, 8, v3
	s_movk_i32 s4, 0x7f
	v_cmp_gt_i16_sdwa s[6:7], v6, s4 src0_sel:BYTE_0 src1_sel:DWORD
	s_mov_b64 s[4:5], 0
                                        ; implicit-def: $sgpr10
	s_and_saveexec_b64 s[8:9], s[6:7]
	s_xor_b64 s[6:7], exec, s[8:9]
	s_cbranch_execnz .LBB5_3629
; %bb.1581:
	s_or_saveexec_b64 s[6:7], s[6:7]
	v_mov_b32_e32 v12, s10
	s_xor_b64 exec, exec, s[6:7]
	s_cbranch_execnz .LBB5_3632
.LBB5_1582:
	s_or_b64 exec, exec, s[6:7]
	s_and_saveexec_b64 s[6:7], s[4:5]
	s_cbranch_execz .LBB5_1584
.LBB5_1583:
	v_bfe_u32 v12, v3, 8, 3
	v_ffbh_u32_e32 v14, v12
	v_min_u32_e32 v14, 32, v14
	v_lshrrev_b16_e32 v13, 3, v6
	v_subrev_u32_e32 v15, 28, v14
	v_and_b32_e32 v13, 15, v13
	v_lshlrev_b32_e32 v6, v15, v6
	v_sub_u32_e32 v14, 29, v14
	v_and_b32_e32 v6, 7, v6
	v_cmp_eq_u16_e32 vcc, 0, v13
	v_cndmask_b32_e32 v6, v12, v6, vcc
	v_cndmask_b32_e32 v12, v13, v14, vcc
	v_lshlrev_b32_e32 v13, 16, v3
	v_mov_b32_e32 v14, 0x3b800000
	v_lshlrev_b32_e32 v6, 20, v6
	v_and_b32_e32 v13, 0x80000000, v13
	v_lshl_add_u32 v12, v12, 23, v14
	v_or3_b32 v12, v13, v12, v6
.LBB5_1584:
	s_or_b64 exec, exec, s[6:7]
	s_nop 0
	v_mfma_f32_16x16x4f32 a[0:3], v2, v12, a[0:3]
	s_movk_i32 s4, 0xff
	v_and_b32_sdwa v6, v7, s4 dst_sel:DWORD dst_unused:UNUSED_PAD src0_sel:WORD_1 src1_sel:DWORD
	s_movk_i32 s4, 0x7f
	v_cmp_lt_i16_e32 vcc, s4, v6
	s_mov_b64 s[4:5], 0
                                        ; implicit-def: $sgpr10
	s_and_saveexec_b64 s[6:7], vcc
	s_xor_b64 s[6:7], exec, s[6:7]
	s_cbranch_execnz .LBB5_3633
; %bb.1585:
	s_or_saveexec_b64 s[6:7], s[6:7]
	v_mov_b32_e32 v2, s10
	s_xor_b64 exec, exec, s[6:7]
	s_cbranch_execnz .LBB5_3636
.LBB5_1586:
	s_or_b64 exec, exec, s[6:7]
	s_and_saveexec_b64 s[6:7], s[4:5]
	s_cbranch_execz .LBB5_1588
.LBB5_1587:
	v_bfe_u32 v2, v7, 16, 3
	v_ffbh_u32_e32 v13, v2
	v_min_u32_e32 v13, 32, v13
	v_lshrrev_b32_e32 v6, 19, v7
	v_subrev_u32_e32 v14, 28, v13
	v_and_b32_e32 v6, 15, v6
	v_lshlrev_b32_sdwa v14, v14, v7 dst_sel:DWORD dst_unused:UNUSED_PAD src0_sel:DWORD src1_sel:WORD_1
	v_bfe_u32 v12, v7, 19, 4
	v_sub_u32_e32 v13, 29, v13
	v_and_b32_e32 v14, 7, v14
	v_cmp_eq_u16_e32 vcc, 0, v6
	v_cndmask_b32_e32 v2, v2, v14, vcc
	v_cndmask_b32_e32 v6, v12, v13, vcc
	v_lshlrev_b32_e32 v12, 8, v7
	v_mov_b32_e32 v13, 0x3b800000
	v_lshlrev_b32_e32 v2, 20, v2
	v_and_b32_e32 v12, 0x80000000, v12
	v_lshl_add_u32 v6, v6, 23, v13
	v_or3_b32 v2, v12, v6, v2
.LBB5_1588:
	s_or_b64 exec, exec, s[6:7]
	s_movk_i32 s4, 0xff
	v_and_b32_sdwa v6, v3, s4 dst_sel:DWORD dst_unused:UNUSED_PAD src0_sel:WORD_1 src1_sel:DWORD
	s_movk_i32 s4, 0x7f
	v_cmp_lt_i16_e32 vcc, s4, v6
	s_mov_b64 s[4:5], 0
                                        ; implicit-def: $sgpr10
	s_and_saveexec_b64 s[6:7], vcc
	s_xor_b64 s[6:7], exec, s[6:7]
	s_cbranch_execnz .LBB5_3637
; %bb.1589:
	s_or_saveexec_b64 s[6:7], s[6:7]
	v_mov_b32_e32 v12, s10
	s_xor_b64 exec, exec, s[6:7]
	s_cbranch_execnz .LBB5_3640
.LBB5_1590:
	s_or_b64 exec, exec, s[6:7]
	s_and_saveexec_b64 s[6:7], s[4:5]
	s_cbranch_execz .LBB5_1592
.LBB5_1591:
	v_bfe_u32 v6, v3, 16, 3
	v_ffbh_u32_e32 v14, v6
	v_min_u32_e32 v14, 32, v14
	v_lshrrev_b32_e32 v12, 19, v3
	v_subrev_u32_e32 v15, 28, v14
	v_and_b32_e32 v12, 15, v12
	v_lshlrev_b32_sdwa v15, v15, v3 dst_sel:DWORD dst_unused:UNUSED_PAD src0_sel:DWORD src1_sel:WORD_1
	v_bfe_u32 v13, v3, 19, 4
	v_sub_u32_e32 v14, 29, v14
	v_and_b32_e32 v15, 7, v15
	v_cmp_eq_u16_e32 vcc, 0, v12
	v_cndmask_b32_e32 v6, v6, v15, vcc
	v_cndmask_b32_e32 v12, v13, v14, vcc
	v_lshlrev_b32_e32 v13, 8, v3
	v_mov_b32_e32 v14, 0x3b800000
	v_lshlrev_b32_e32 v6, 20, v6
	v_and_b32_e32 v13, 0x80000000, v13
	v_lshl_add_u32 v12, v12, 23, v14
	v_or3_b32 v12, v13, v12, v6
.LBB5_1592:
	s_or_b64 exec, exec, s[6:7]
	s_nop 0
	v_mfma_f32_16x16x4f32 a[0:3], v2, v12, a[0:3]
	s_movk_i32 s4, 0x7f
	v_cmp_gt_i16_sdwa s[6:7], v7, s4 src0_sel:BYTE_3 src1_sel:DWORD
	s_mov_b64 s[4:5], 0
                                        ; implicit-def: $sgpr10
	s_and_saveexec_b64 s[8:9], s[6:7]
	s_xor_b64 s[6:7], exec, s[8:9]
	s_cbranch_execnz .LBB5_3641
; %bb.1593:
	s_or_saveexec_b64 s[6:7], s[6:7]
	v_mov_b32_e32 v2, s10
	s_xor_b64 exec, exec, s[6:7]
	s_cbranch_execnz .LBB5_3644
.LBB5_1594:
	s_or_b64 exec, exec, s[6:7]
	s_and_saveexec_b64 s[6:7], s[4:5]
	s_cbranch_execz .LBB5_1596
.LBB5_1595:
	v_bfe_u32 v2, v7, 24, 3
	v_ffbh_u32_e32 v14, v2
	v_min_u32_e32 v14, 32, v14
	v_lshrrev_b32_e32 v12, 27, v7
	v_subrev_u32_e32 v15, 28, v14
	v_and_b32_e32 v6, 0x80000000, v7
	v_and_b32_e32 v12, 15, v12
	v_bfe_u32 v13, v7, 27, 4
	v_lshlrev_b32_sdwa v7, v15, v7 dst_sel:DWORD dst_unused:UNUSED_PAD src0_sel:DWORD src1_sel:BYTE_3
	v_sub_u32_e32 v14, 29, v14
	v_and_b32_e32 v7, 7, v7
	v_cmp_eq_u16_e32 vcc, 0, v12
	v_cndmask_b32_e32 v2, v2, v7, vcc
	v_cndmask_b32_e32 v7, v13, v14, vcc
	v_mov_b32_e32 v12, 0x3b800000
	v_lshlrev_b32_e32 v2, 20, v2
	v_lshl_add_u32 v7, v7, 23, v12
	v_or3_b32 v2, v6, v7, v2
.LBB5_1596:
	s_or_b64 exec, exec, s[6:7]
	s_movk_i32 s4, 0x7f
	v_cmp_gt_i16_sdwa s[6:7], v3, s4 src0_sel:BYTE_3 src1_sel:DWORD
	s_mov_b64 s[4:5], 0
                                        ; implicit-def: $sgpr10
	s_and_saveexec_b64 s[8:9], s[6:7]
	s_xor_b64 s[6:7], exec, s[8:9]
	s_cbranch_execnz .LBB5_3645
; %bb.1597:
	s_or_saveexec_b64 s[6:7], s[6:7]
	v_mov_b32_e32 v6, s10
	s_xor_b64 exec, exec, s[6:7]
	s_cbranch_execnz .LBB5_3648
.LBB5_1598:
	s_or_b64 exec, exec, s[6:7]
	s_and_saveexec_b64 s[6:7], s[4:5]
	s_cbranch_execz .LBB5_1600
.LBB5_1599:
	v_bfe_u32 v6, v3, 24, 3
	v_ffbh_u32_e32 v14, v6
	v_min_u32_e32 v14, 32, v14
	v_lshrrev_b32_e32 v12, 27, v3
	v_subrev_u32_e32 v15, 28, v14
	v_and_b32_e32 v7, 0x80000000, v3
	v_and_b32_e32 v12, 15, v12
	v_bfe_u32 v13, v3, 27, 4
	v_lshlrev_b32_sdwa v3, v15, v3 dst_sel:DWORD dst_unused:UNUSED_PAD src0_sel:DWORD src1_sel:BYTE_3
	v_sub_u32_e32 v14, 29, v14
	v_and_b32_e32 v3, 7, v3
	v_cmp_eq_u16_e32 vcc, 0, v12
	v_cndmask_b32_e32 v3, v6, v3, vcc
	v_cndmask_b32_e32 v6, v13, v14, vcc
	v_mov_b32_e32 v12, 0x3b800000
	v_lshlrev_b32_e32 v3, 20, v3
	v_lshl_add_u32 v6, v6, 23, v12
	v_or3_b32 v6, v7, v6, v3
.LBB5_1600:
	s_or_b64 exec, exec, s[6:7]
	s_nop 0
	v_mfma_f32_16x16x4f32 a[0:3], v2, v6, a[0:3]
	s_movk_i32 s4, 0x7f
	v_cmp_gt_i16_sdwa s[6:7], v8, s4 src0_sel:BYTE_0 src1_sel:DWORD
	s_mov_b64 s[4:5], 0
                                        ; implicit-def: $sgpr10
	s_and_saveexec_b64 s[8:9], s[6:7]
	s_xor_b64 s[6:7], exec, s[8:9]
	s_cbranch_execnz .LBB5_3649
; %bb.1601:
	s_or_saveexec_b64 s[6:7], s[6:7]
	v_mov_b32_e32 v2, s10
	s_xor_b64 exec, exec, s[6:7]
	s_cbranch_execnz .LBB5_3652
.LBB5_1602:
	s_or_b64 exec, exec, s[6:7]
	s_and_saveexec_b64 s[6:7], s[4:5]
	s_cbranch_execz .LBB5_1604
.LBB5_1603:
	v_and_b32_e32 v2, 7, v8
	v_ffbh_u32_e32 v6, v2
	v_min_u32_e32 v6, 32, v6
	v_lshrrev_b16_e32 v3, 3, v8
	v_subrev_u32_e32 v7, 28, v6
	v_and_b32_e32 v3, 15, v3
	v_lshlrev_b32_e32 v7, v7, v8
	v_sub_u32_e32 v6, 29, v6
	v_and_b32_e32 v7, 7, v7
	v_cmp_eq_u16_e32 vcc, 0, v3
	v_cndmask_b32_e32 v2, v2, v7, vcc
	v_cndmask_b32_e32 v3, v3, v6, vcc
	v_lshlrev_b32_e32 v6, 24, v8
	v_mov_b32_e32 v7, 0x3b800000
	v_lshlrev_b32_e32 v2, 20, v2
	v_and_b32_e32 v6, 0x80000000, v6
	v_lshl_add_u32 v3, v3, 23, v7
	v_or3_b32 v2, v6, v3, v2
.LBB5_1604:
	s_or_b64 exec, exec, s[6:7]
	s_movk_i32 s4, 0x7f
	v_cmp_gt_i16_sdwa s[6:7], v4, s4 src0_sel:BYTE_0 src1_sel:DWORD
	s_mov_b64 s[4:5], 0
                                        ; implicit-def: $sgpr10
	s_and_saveexec_b64 s[8:9], s[6:7]
	s_xor_b64 s[6:7], exec, s[8:9]
	s_cbranch_execnz .LBB5_3653
; %bb.1605:
	s_or_saveexec_b64 s[6:7], s[6:7]
	v_mov_b32_e32 v3, s10
	s_xor_b64 exec, exec, s[6:7]
	s_cbranch_execnz .LBB5_3656
.LBB5_1606:
	s_or_b64 exec, exec, s[6:7]
	s_and_saveexec_b64 s[6:7], s[4:5]
	s_cbranch_execz .LBB5_1608
.LBB5_1607:
	v_and_b32_e32 v3, 7, v4
	v_ffbh_u32_e32 v7, v3
	v_min_u32_e32 v7, 32, v7
	v_lshrrev_b16_e32 v6, 3, v4
	v_subrev_u32_e32 v12, 28, v7
	v_and_b32_e32 v6, 15, v6
	v_lshlrev_b32_e32 v12, v12, v4
	v_sub_u32_e32 v7, 29, v7
	v_and_b32_e32 v12, 7, v12
	v_cmp_eq_u16_e32 vcc, 0, v6
	v_cndmask_b32_e32 v3, v3, v12, vcc
	v_cndmask_b32_e32 v6, v6, v7, vcc
	v_lshlrev_b32_e32 v7, 24, v4
	v_mov_b32_e32 v12, 0x3b800000
	v_lshlrev_b32_e32 v3, 20, v3
	v_and_b32_e32 v7, 0x80000000, v7
	v_lshl_add_u32 v6, v6, 23, v12
	v_or3_b32 v3, v7, v6, v3
.LBB5_1608:
	s_or_b64 exec, exec, s[6:7]
	s_nop 0
	v_mfma_f32_16x16x4f32 a[0:3], v2, v3, a[0:3]
	v_lshrrev_b32_e32 v3, 8, v8
	s_movk_i32 s4, 0x7f
	v_cmp_gt_i16_sdwa s[6:7], v3, s4 src0_sel:BYTE_0 src1_sel:DWORD
	s_mov_b64 s[4:5], 0
                                        ; implicit-def: $sgpr10
	s_and_saveexec_b64 s[8:9], s[6:7]
	s_xor_b64 s[6:7], exec, s[8:9]
	s_cbranch_execnz .LBB5_3657
; %bb.1609:
	s_or_saveexec_b64 s[6:7], s[6:7]
	v_mov_b32_e32 v2, s10
	s_xor_b64 exec, exec, s[6:7]
	s_cbranch_execnz .LBB5_3660
.LBB5_1610:
	s_or_b64 exec, exec, s[6:7]
	s_and_saveexec_b64 s[6:7], s[4:5]
	s_cbranch_execz .LBB5_1612
.LBB5_1611:
	v_bfe_u32 v2, v8, 8, 3
	v_ffbh_u32_e32 v7, v2
	v_min_u32_e32 v7, 32, v7
	v_lshrrev_b16_e32 v6, 3, v3
	v_subrev_u32_e32 v12, 28, v7
	v_and_b32_e32 v6, 15, v6
	v_lshlrev_b32_e32 v3, v12, v3
	v_sub_u32_e32 v7, 29, v7
	v_and_b32_e32 v3, 7, v3
	v_cmp_eq_u16_e32 vcc, 0, v6
	v_cndmask_b32_e32 v2, v2, v3, vcc
	v_cndmask_b32_e32 v3, v6, v7, vcc
	v_lshlrev_b32_e32 v6, 16, v8
	v_mov_b32_e32 v7, 0x3b800000
	v_lshlrev_b32_e32 v2, 20, v2
	v_and_b32_e32 v6, 0x80000000, v6
	v_lshl_add_u32 v3, v3, 23, v7
	v_or3_b32 v2, v6, v3, v2
.LBB5_1612:
	s_or_b64 exec, exec, s[6:7]
	v_lshrrev_b32_e32 v3, 8, v4
	s_movk_i32 s4, 0x7f
	v_cmp_gt_i16_sdwa s[6:7], v3, s4 src0_sel:BYTE_0 src1_sel:DWORD
	s_mov_b64 s[4:5], 0
                                        ; implicit-def: $sgpr10
	s_and_saveexec_b64 s[8:9], s[6:7]
	s_xor_b64 s[6:7], exec, s[8:9]
	s_cbranch_execnz .LBB5_3661
; %bb.1613:
	s_or_saveexec_b64 s[6:7], s[6:7]
	v_mov_b32_e32 v6, s10
	s_xor_b64 exec, exec, s[6:7]
	s_cbranch_execnz .LBB5_3664
.LBB5_1614:
	s_or_b64 exec, exec, s[6:7]
	s_and_saveexec_b64 s[6:7], s[4:5]
	s_cbranch_execz .LBB5_1616
.LBB5_1615:
	v_bfe_u32 v6, v4, 8, 3
	v_ffbh_u32_e32 v12, v6
	v_min_u32_e32 v12, 32, v12
	v_lshrrev_b16_e32 v7, 3, v3
	v_subrev_u32_e32 v13, 28, v12
	v_and_b32_e32 v7, 15, v7
	v_lshlrev_b32_e32 v3, v13, v3
	v_sub_u32_e32 v12, 29, v12
	v_and_b32_e32 v3, 7, v3
	v_cmp_eq_u16_e32 vcc, 0, v7
	v_cndmask_b32_e32 v3, v6, v3, vcc
	v_cndmask_b32_e32 v6, v7, v12, vcc
	v_lshlrev_b32_e32 v7, 16, v4
	v_mov_b32_e32 v12, 0x3b800000
	v_lshlrev_b32_e32 v3, 20, v3
	v_and_b32_e32 v7, 0x80000000, v7
	v_lshl_add_u32 v6, v6, 23, v12
	v_or3_b32 v6, v7, v6, v3
.LBB5_1616:
	s_or_b64 exec, exec, s[6:7]
	s_nop 0
	v_mfma_f32_16x16x4f32 a[0:3], v2, v6, a[0:3]
	s_movk_i32 s4, 0xff
	v_and_b32_sdwa v3, v8, s4 dst_sel:DWORD dst_unused:UNUSED_PAD src0_sel:WORD_1 src1_sel:DWORD
	s_movk_i32 s4, 0x7f
	v_cmp_lt_i16_e32 vcc, s4, v3
	s_mov_b64 s[4:5], 0
                                        ; implicit-def: $sgpr10
	s_and_saveexec_b64 s[6:7], vcc
	s_xor_b64 s[6:7], exec, s[6:7]
	s_cbranch_execnz .LBB5_3665
; %bb.1617:
	s_or_saveexec_b64 s[6:7], s[6:7]
	v_mov_b32_e32 v2, s10
	s_xor_b64 exec, exec, s[6:7]
	s_cbranch_execnz .LBB5_3668
.LBB5_1618:
	s_or_b64 exec, exec, s[6:7]
	s_and_saveexec_b64 s[6:7], s[4:5]
	s_cbranch_execz .LBB5_1620
.LBB5_1619:
	v_bfe_u32 v2, v8, 16, 3
	v_ffbh_u32_e32 v7, v2
	v_min_u32_e32 v7, 32, v7
	v_lshrrev_b32_e32 v3, 19, v8
	v_subrev_u32_e32 v12, 28, v7
	v_and_b32_e32 v3, 15, v3
	v_lshlrev_b32_sdwa v12, v12, v8 dst_sel:DWORD dst_unused:UNUSED_PAD src0_sel:DWORD src1_sel:WORD_1
	v_bfe_u32 v6, v8, 19, 4
	v_sub_u32_e32 v7, 29, v7
	v_and_b32_e32 v12, 7, v12
	v_cmp_eq_u16_e32 vcc, 0, v3
	v_cndmask_b32_e32 v2, v2, v12, vcc
	v_cndmask_b32_e32 v3, v6, v7, vcc
	v_lshlrev_b32_e32 v6, 8, v8
	v_mov_b32_e32 v7, 0x3b800000
	v_lshlrev_b32_e32 v2, 20, v2
	v_and_b32_e32 v6, 0x80000000, v6
	v_lshl_add_u32 v3, v3, 23, v7
	v_or3_b32 v2, v6, v3, v2
.LBB5_1620:
	s_or_b64 exec, exec, s[6:7]
	s_movk_i32 s4, 0xff
	v_and_b32_sdwa v3, v4, s4 dst_sel:DWORD dst_unused:UNUSED_PAD src0_sel:WORD_1 src1_sel:DWORD
	s_movk_i32 s4, 0x7f
	v_cmp_lt_i16_e32 vcc, s4, v3
	s_mov_b64 s[4:5], 0
                                        ; implicit-def: $sgpr10
	s_and_saveexec_b64 s[6:7], vcc
	s_xor_b64 s[6:7], exec, s[6:7]
	s_cbranch_execnz .LBB5_3669
; %bb.1621:
	s_or_saveexec_b64 s[6:7], s[6:7]
	v_mov_b32_e32 v6, s10
	s_xor_b64 exec, exec, s[6:7]
	s_cbranch_execnz .LBB5_3672
.LBB5_1622:
	s_or_b64 exec, exec, s[6:7]
	s_and_saveexec_b64 s[6:7], s[4:5]
	s_cbranch_execz .LBB5_1624
.LBB5_1623:
	v_bfe_u32 v3, v4, 16, 3
	v_ffbh_u32_e32 v12, v3
	v_min_u32_e32 v12, 32, v12
	v_lshrrev_b32_e32 v6, 19, v4
	v_subrev_u32_e32 v13, 28, v12
	v_and_b32_e32 v6, 15, v6
	v_lshlrev_b32_sdwa v13, v13, v4 dst_sel:DWORD dst_unused:UNUSED_PAD src0_sel:DWORD src1_sel:WORD_1
	v_bfe_u32 v7, v4, 19, 4
	v_sub_u32_e32 v12, 29, v12
	v_and_b32_e32 v13, 7, v13
	v_cmp_eq_u16_e32 vcc, 0, v6
	v_cndmask_b32_e32 v3, v3, v13, vcc
	v_cndmask_b32_e32 v6, v7, v12, vcc
	v_lshlrev_b32_e32 v7, 8, v4
	v_mov_b32_e32 v12, 0x3b800000
	v_lshlrev_b32_e32 v3, 20, v3
	v_and_b32_e32 v7, 0x80000000, v7
	v_lshl_add_u32 v6, v6, 23, v12
	v_or3_b32 v6, v7, v6, v3
.LBB5_1624:
	s_or_b64 exec, exec, s[6:7]
	s_nop 0
	v_mfma_f32_16x16x4f32 a[0:3], v2, v6, a[0:3]
	s_movk_i32 s4, 0x7f
	v_cmp_gt_i16_sdwa s[6:7], v8, s4 src0_sel:BYTE_3 src1_sel:DWORD
	s_mov_b64 s[4:5], 0
                                        ; implicit-def: $sgpr10
	s_and_saveexec_b64 s[8:9], s[6:7]
	s_xor_b64 s[6:7], exec, s[8:9]
	s_cbranch_execnz .LBB5_3673
; %bb.1625:
	s_or_saveexec_b64 s[6:7], s[6:7]
	v_mov_b32_e32 v2, s10
	s_xor_b64 exec, exec, s[6:7]
	s_cbranch_execnz .LBB5_3676
.LBB5_1626:
	s_or_b64 exec, exec, s[6:7]
	s_and_saveexec_b64 s[6:7], s[4:5]
	s_cbranch_execz .LBB5_1628
.LBB5_1627:
	v_bfe_u32 v2, v8, 24, 3
	v_ffbh_u32_e32 v12, v2
	v_min_u32_e32 v12, 32, v12
	v_lshrrev_b32_e32 v6, 27, v8
	v_subrev_u32_e32 v13, 28, v12
	v_and_b32_e32 v3, 0x80000000, v8
	v_and_b32_e32 v6, 15, v6
	v_bfe_u32 v7, v8, 27, 4
	v_lshlrev_b32_sdwa v8, v13, v8 dst_sel:DWORD dst_unused:UNUSED_PAD src0_sel:DWORD src1_sel:BYTE_3
	v_sub_u32_e32 v12, 29, v12
	v_and_b32_e32 v8, 7, v8
	v_cmp_eq_u16_e32 vcc, 0, v6
	v_cndmask_b32_e32 v2, v2, v8, vcc
	v_cndmask_b32_e32 v6, v7, v12, vcc
	v_mov_b32_e32 v7, 0x3b800000
	v_lshlrev_b32_e32 v2, 20, v2
	v_lshl_add_u32 v6, v6, 23, v7
	v_or3_b32 v2, v3, v6, v2
.LBB5_1628:
	s_or_b64 exec, exec, s[6:7]
	s_movk_i32 s4, 0x7f
	v_cmp_gt_i16_sdwa s[6:7], v4, s4 src0_sel:BYTE_3 src1_sel:DWORD
	s_mov_b64 s[4:5], 0
                                        ; implicit-def: $sgpr10
	s_and_saveexec_b64 s[8:9], s[6:7]
	s_xor_b64 s[6:7], exec, s[8:9]
	s_cbranch_execnz .LBB5_3677
; %bb.1629:
	s_or_saveexec_b64 s[6:7], s[6:7]
	v_mov_b32_e32 v3, s10
	s_xor_b64 exec, exec, s[6:7]
	s_cbranch_execnz .LBB5_3680
.LBB5_1630:
	s_or_b64 exec, exec, s[6:7]
	s_and_saveexec_b64 s[6:7], s[4:5]
	s_cbranch_execz .LBB5_1632
.LBB5_1631:
	v_bfe_u32 v3, v4, 24, 3
	v_ffbh_u32_e32 v12, v3
	v_min_u32_e32 v12, 32, v12
	v_lshrrev_b32_e32 v7, 27, v4
	v_subrev_u32_e32 v13, 28, v12
	v_and_b32_e32 v6, 0x80000000, v4
	v_and_b32_e32 v7, 15, v7
	v_bfe_u32 v8, v4, 27, 4
	v_lshlrev_b32_sdwa v4, v13, v4 dst_sel:DWORD dst_unused:UNUSED_PAD src0_sel:DWORD src1_sel:BYTE_3
	v_sub_u32_e32 v12, 29, v12
	v_and_b32_e32 v4, 7, v4
	v_cmp_eq_u16_e32 vcc, 0, v7
	v_cndmask_b32_e32 v3, v3, v4, vcc
	v_cndmask_b32_e32 v4, v8, v12, vcc
	v_mov_b32_e32 v7, 0x3b800000
	v_lshlrev_b32_e32 v3, 20, v3
	v_lshl_add_u32 v4, v4, 23, v7
	v_or3_b32 v3, v6, v4, v3
.LBB5_1632:
	s_or_b64 exec, exec, s[6:7]
	s_nop 0
	v_mfma_f32_16x16x4f32 a[0:3], v2, v3, a[0:3]
	s_movk_i32 s4, 0x7f
	v_cmp_gt_i16_sdwa s[6:7], v9, s4 src0_sel:BYTE_0 src1_sel:DWORD
	s_mov_b64 s[4:5], 0
                                        ; implicit-def: $sgpr10
	s_and_saveexec_b64 s[8:9], s[6:7]
	s_xor_b64 s[6:7], exec, s[8:9]
	s_cbranch_execnz .LBB5_3681
; %bb.1633:
	s_or_saveexec_b64 s[6:7], s[6:7]
	v_mov_b32_e32 v2, s10
	s_xor_b64 exec, exec, s[6:7]
	s_cbranch_execnz .LBB5_3684
.LBB5_1634:
	s_or_b64 exec, exec, s[6:7]
	s_and_saveexec_b64 s[6:7], s[4:5]
	s_cbranch_execz .LBB5_1636
.LBB5_1635:
	v_mov_b32_e32 v2, 8
	v_and_b32_e32 v3, 7, v9
	v_lshrrev_b32_sdwa v2, v2, v9 dst_sel:BYTE_1 dst_unused:UNUSED_PAD src0_sel:DWORD src1_sel:DWORD
	v_ffbh_u32_e32 v4, v3
	v_or_b32_sdwa v2, v9, v2 dst_sel:DWORD dst_unused:UNUSED_PAD src0_sel:BYTE_0 src1_sel:DWORD
	v_min_u32_e32 v4, 32, v4
	v_lshrrev_b16_e32 v2, 3, v2
	v_subrev_u32_e32 v6, 28, v4
	v_and_b32_e32 v2, 15, v2
	v_lshlrev_b32_e32 v6, v6, v9
	v_sub_u32_e32 v4, 29, v4
	v_and_b32_e32 v6, 7, v6
	v_cmp_eq_u16_e32 vcc, 0, v2
	v_cndmask_b32_e32 v3, v3, v6, vcc
	v_cndmask_b32_e32 v2, v2, v4, vcc
	v_lshlrev_b32_e32 v4, 24, v9
	v_mov_b32_e32 v6, 0x3b800000
	v_lshlrev_b32_e32 v3, 20, v3
	v_and_b32_e32 v4, 0x80000000, v4
	v_lshl_add_u32 v2, v2, 23, v6
	v_or3_b32 v2, v4, v2, v3
.LBB5_1636:
	s_or_b64 exec, exec, s[6:7]
	s_movk_i32 s4, 0x7f
	v_cmp_gt_i16_sdwa s[6:7], v5, s4 src0_sel:BYTE_0 src1_sel:DWORD
	s_mov_b64 s[4:5], 0
                                        ; implicit-def: $sgpr10
	s_and_saveexec_b64 s[8:9], s[6:7]
	s_xor_b64 s[6:7], exec, s[8:9]
	s_cbranch_execnz .LBB5_3685
; %bb.1637:
	s_or_saveexec_b64 s[6:7], s[6:7]
	v_mov_b32_e32 v3, s10
	s_xor_b64 exec, exec, s[6:7]
	s_cbranch_execnz .LBB5_3688
.LBB5_1638:
	s_or_b64 exec, exec, s[6:7]
	s_and_saveexec_b64 s[6:7], s[4:5]
	s_cbranch_execz .LBB5_1640
.LBB5_1639:
	v_mov_b32_e32 v3, 8
	v_and_b32_e32 v4, 7, v5
	v_lshrrev_b32_sdwa v3, v3, v5 dst_sel:BYTE_1 dst_unused:UNUSED_PAD src0_sel:DWORD src1_sel:DWORD
	v_ffbh_u32_e32 v6, v4
	v_or_b32_sdwa v3, v5, v3 dst_sel:DWORD dst_unused:UNUSED_PAD src0_sel:BYTE_0 src1_sel:DWORD
	v_min_u32_e32 v6, 32, v6
	v_lshrrev_b16_e32 v3, 3, v3
	v_subrev_u32_e32 v7, 28, v6
	v_and_b32_e32 v3, 15, v3
	v_lshlrev_b32_e32 v7, v7, v5
	v_sub_u32_e32 v6, 29, v6
	v_and_b32_e32 v7, 7, v7
	v_cmp_eq_u16_e32 vcc, 0, v3
	v_cndmask_b32_e32 v4, v4, v7, vcc
	v_cndmask_b32_e32 v3, v3, v6, vcc
	v_lshlrev_b32_e32 v6, 24, v5
	v_mov_b32_e32 v7, 0x3b800000
	v_lshlrev_b32_e32 v4, 20, v4
	v_and_b32_e32 v6, 0x80000000, v6
	v_lshl_add_u32 v3, v3, 23, v7
	v_or3_b32 v3, v6, v3, v4
.LBB5_1640:
	s_or_b64 exec, exec, s[6:7]
	s_nop 0
	v_mfma_f32_16x16x4f32 a[0:3], v2, v3, a[0:3]
	v_lshrrev_b32_e32 v3, 8, v9
	s_movk_i32 s4, 0x7f
	v_cmp_gt_i16_sdwa s[6:7], v3, s4 src0_sel:BYTE_0 src1_sel:DWORD
	s_mov_b64 s[4:5], 0
                                        ; implicit-def: $sgpr10
	s_and_saveexec_b64 s[8:9], s[6:7]
	s_xor_b64 s[6:7], exec, s[8:9]
	s_cbranch_execnz .LBB5_3689
; %bb.1641:
	s_or_saveexec_b64 s[6:7], s[6:7]
	v_mov_b32_e32 v2, s10
	s_xor_b64 exec, exec, s[6:7]
	s_cbranch_execnz .LBB5_3692
.LBB5_1642:
	s_or_b64 exec, exec, s[6:7]
	s_and_saveexec_b64 s[6:7], s[4:5]
	s_cbranch_execz .LBB5_1644
.LBB5_1643:
	v_bfe_u32 v2, v9, 8, 3
	v_ffbh_u32_e32 v6, v2
	v_min_u32_e32 v6, 32, v6
	v_lshrrev_b16_e32 v4, 3, v3
	v_subrev_u32_e32 v7, 28, v6
	v_and_b32_e32 v4, 15, v4
	v_lshlrev_b32_e32 v3, v7, v3
	v_sub_u32_e32 v6, 29, v6
	v_and_b32_e32 v3, 7, v3
	v_cmp_eq_u16_e32 vcc, 0, v4
	v_cndmask_b32_e32 v2, v2, v3, vcc
	v_cndmask_b32_e32 v3, v4, v6, vcc
	v_lshlrev_b32_e32 v4, 16, v9
	v_mov_b32_e32 v6, 0x3b800000
	v_lshlrev_b32_e32 v2, 20, v2
	v_and_b32_e32 v4, 0x80000000, v4
	v_lshl_add_u32 v3, v3, 23, v6
	v_or3_b32 v2, v4, v3, v2
.LBB5_1644:
	s_or_b64 exec, exec, s[6:7]
	v_lshrrev_b32_e32 v3, 8, v5
	s_movk_i32 s4, 0x7f
	v_cmp_gt_i16_sdwa s[6:7], v3, s4 src0_sel:BYTE_0 src1_sel:DWORD
	s_mov_b64 s[4:5], 0
                                        ; implicit-def: $sgpr10
	s_and_saveexec_b64 s[8:9], s[6:7]
	s_xor_b64 s[6:7], exec, s[8:9]
	s_cbranch_execnz .LBB5_3693
; %bb.1645:
	s_or_saveexec_b64 s[6:7], s[6:7]
	v_mov_b32_e32 v4, s10
	s_xor_b64 exec, exec, s[6:7]
	s_cbranch_execnz .LBB5_3696
.LBB5_1646:
	s_or_b64 exec, exec, s[6:7]
	s_and_saveexec_b64 s[6:7], s[4:5]
	s_cbranch_execz .LBB5_1648
.LBB5_1647:
	v_bfe_u32 v4, v5, 8, 3
	v_ffbh_u32_e32 v7, v4
	v_min_u32_e32 v7, 32, v7
	v_lshrrev_b16_e32 v6, 3, v3
	v_subrev_u32_e32 v8, 28, v7
	v_and_b32_e32 v6, 15, v6
	v_lshlrev_b32_e32 v3, v8, v3
	v_sub_u32_e32 v7, 29, v7
	v_and_b32_e32 v3, 7, v3
	v_cmp_eq_u16_e32 vcc, 0, v6
	v_cndmask_b32_e32 v3, v4, v3, vcc
	v_cndmask_b32_e32 v4, v6, v7, vcc
	v_lshlrev_b32_e32 v6, 16, v5
	v_mov_b32_e32 v7, 0x3b800000
	v_lshlrev_b32_e32 v3, 20, v3
	v_and_b32_e32 v6, 0x80000000, v6
	v_lshl_add_u32 v4, v4, 23, v7
	v_or3_b32 v4, v6, v4, v3
.LBB5_1648:
	s_or_b64 exec, exec, s[6:7]
	s_nop 0
	v_mfma_f32_16x16x4f32 a[0:3], v2, v4, a[0:3]
	s_movk_i32 s4, 0xff
	v_and_b32_sdwa v3, v9, s4 dst_sel:DWORD dst_unused:UNUSED_PAD src0_sel:WORD_1 src1_sel:DWORD
	s_movk_i32 s4, 0x7f
	v_cmp_lt_i16_e32 vcc, s4, v3
	s_mov_b64 s[4:5], 0
                                        ; implicit-def: $sgpr10
	s_and_saveexec_b64 s[6:7], vcc
	s_xor_b64 s[6:7], exec, s[6:7]
	s_cbranch_execnz .LBB5_3697
; %bb.1649:
	s_or_saveexec_b64 s[6:7], s[6:7]
	v_mov_b32_e32 v2, s10
	s_xor_b64 exec, exec, s[6:7]
	s_cbranch_execnz .LBB5_3700
.LBB5_1650:
	s_or_b64 exec, exec, s[6:7]
	s_and_saveexec_b64 s[6:7], s[4:5]
	s_cbranch_execz .LBB5_1652
.LBB5_1651:
	v_bfe_u32 v2, v9, 16, 3
	v_ffbh_u32_e32 v6, v2
	v_min_u32_e32 v6, 32, v6
	v_lshrrev_b32_e32 v3, 19, v9
	v_subrev_u32_e32 v7, 28, v6
	v_and_b32_e32 v3, 15, v3
	v_lshlrev_b32_sdwa v7, v7, v9 dst_sel:DWORD dst_unused:UNUSED_PAD src0_sel:DWORD src1_sel:WORD_1
	v_bfe_u32 v4, v9, 19, 4
	v_sub_u32_e32 v6, 29, v6
	v_and_b32_e32 v7, 7, v7
	v_cmp_eq_u16_e32 vcc, 0, v3
	v_cndmask_b32_e32 v2, v2, v7, vcc
	v_cndmask_b32_e32 v3, v4, v6, vcc
	v_lshlrev_b32_e32 v4, 8, v9
	v_mov_b32_e32 v6, 0x3b800000
	v_lshlrev_b32_e32 v2, 20, v2
	v_and_b32_e32 v4, 0x80000000, v4
	v_lshl_add_u32 v3, v3, 23, v6
	v_or3_b32 v2, v4, v3, v2
.LBB5_1652:
	s_or_b64 exec, exec, s[6:7]
	s_movk_i32 s4, 0xff
	v_and_b32_sdwa v3, v5, s4 dst_sel:DWORD dst_unused:UNUSED_PAD src0_sel:WORD_1 src1_sel:DWORD
	s_movk_i32 s4, 0x7f
	v_cmp_lt_i16_e32 vcc, s4, v3
	s_mov_b64 s[4:5], 0
                                        ; implicit-def: $sgpr10
	s_and_saveexec_b64 s[6:7], vcc
	s_xor_b64 s[6:7], exec, s[6:7]
	s_cbranch_execnz .LBB5_3701
; %bb.1653:
	s_or_saveexec_b64 s[6:7], s[6:7]
	v_mov_b32_e32 v4, s10
	s_xor_b64 exec, exec, s[6:7]
	s_cbranch_execnz .LBB5_3704
.LBB5_1654:
	s_or_b64 exec, exec, s[6:7]
	s_and_saveexec_b64 s[6:7], s[4:5]
	s_cbranch_execz .LBB5_1656
.LBB5_1655:
	v_bfe_u32 v3, v5, 16, 3
	v_ffbh_u32_e32 v7, v3
	v_min_u32_e32 v7, 32, v7
	v_lshrrev_b32_e32 v4, 19, v5
	v_subrev_u32_e32 v8, 28, v7
	v_and_b32_e32 v4, 15, v4
	v_lshlrev_b32_sdwa v8, v8, v5 dst_sel:DWORD dst_unused:UNUSED_PAD src0_sel:DWORD src1_sel:WORD_1
	v_bfe_u32 v6, v5, 19, 4
	v_sub_u32_e32 v7, 29, v7
	v_and_b32_e32 v8, 7, v8
	v_cmp_eq_u16_e32 vcc, 0, v4
	v_cndmask_b32_e32 v3, v3, v8, vcc
	v_cndmask_b32_e32 v4, v6, v7, vcc
	v_lshlrev_b32_e32 v6, 8, v5
	v_mov_b32_e32 v7, 0x3b800000
	v_lshlrev_b32_e32 v3, 20, v3
	v_and_b32_e32 v6, 0x80000000, v6
	v_lshl_add_u32 v4, v4, 23, v7
	v_or3_b32 v4, v6, v4, v3
.LBB5_1656:
	s_or_b64 exec, exec, s[6:7]
	s_nop 0
	v_mfma_f32_16x16x4f32 a[0:3], v2, v4, a[0:3]
	s_movk_i32 s4, 0x7f
	v_cmp_gt_i16_sdwa s[6:7], v9, s4 src0_sel:BYTE_3 src1_sel:DWORD
	s_mov_b64 s[4:5], 0
                                        ; implicit-def: $sgpr10
	s_and_saveexec_b64 s[8:9], s[6:7]
	s_xor_b64 s[6:7], exec, s[8:9]
	s_cbranch_execnz .LBB5_3705
; %bb.1657:
	s_or_saveexec_b64 s[6:7], s[6:7]
	v_mov_b32_e32 v2, s10
	s_xor_b64 exec, exec, s[6:7]
	s_cbranch_execnz .LBB5_3708
.LBB5_1658:
	s_or_b64 exec, exec, s[6:7]
	s_and_saveexec_b64 s[6:7], s[4:5]
	s_cbranch_execz .LBB5_1660
.LBB5_1659:
	v_bfe_u32 v2, v9, 24, 3
	v_ffbh_u32_e32 v7, v2
	v_min_u32_e32 v7, 32, v7
	v_lshrrev_b32_e32 v4, 27, v9
	v_subrev_u32_e32 v8, 28, v7
	v_and_b32_e32 v4, 15, v4
	v_lshlrev_b32_sdwa v8, v8, v9 dst_sel:DWORD dst_unused:UNUSED_PAD src0_sel:DWORD src1_sel:BYTE_3
	v_bfe_u32 v6, v9, 27, 4
	v_sub_u32_e32 v7, 29, v7
	v_and_b32_e32 v8, 7, v8
	v_cmp_eq_u16_e32 vcc, 0, v4
	v_cndmask_b32_e32 v2, v2, v8, vcc
	v_cndmask_b32_e32 v4, v6, v7, vcc
	v_mov_b32_e32 v6, 0x3b800000
	v_and_b32_e32 v3, 0x80000000, v9
	v_lshlrev_b32_e32 v2, 20, v2
	v_lshl_add_u32 v4, v4, 23, v6
	v_or3_b32 v2, v3, v4, v2
.LBB5_1660:
	s_or_b64 exec, exec, s[6:7]
	s_movk_i32 s4, 0x7f
	v_cmp_gt_i16_sdwa s[6:7], v5, s4 src0_sel:BYTE_3 src1_sel:DWORD
	s_mov_b64 s[4:5], 0
                                        ; implicit-def: $sgpr10
	s_and_saveexec_b64 s[8:9], s[6:7]
	s_xor_b64 s[6:7], exec, s[8:9]
	s_cbranch_execnz .LBB5_3709
; %bb.1661:
	s_or_saveexec_b64 s[6:7], s[6:7]
	v_mov_b32_e32 v3, s10
	s_xor_b64 exec, exec, s[6:7]
	s_cbranch_execnz .LBB5_3712
.LBB5_1662:
	s_or_b64 exec, exec, s[6:7]
	s_and_saveexec_b64 s[6:7], s[4:5]
	s_cbranch_execz .LBB5_1664
.LBB5_1663:
	v_bfe_u32 v3, v5, 24, 3
	v_ffbh_u32_e32 v8, v3
	v_min_u32_e32 v8, 32, v8
	v_lshrrev_b32_e32 v6, 27, v5
	v_subrev_u32_e32 v9, 28, v8
	v_and_b32_e32 v4, 0x80000000, v5
	v_and_b32_e32 v6, 15, v6
	v_bfe_u32 v7, v5, 27, 4
	v_lshlrev_b32_sdwa v5, v9, v5 dst_sel:DWORD dst_unused:UNUSED_PAD src0_sel:DWORD src1_sel:BYTE_3
	v_sub_u32_e32 v8, 29, v8
	v_and_b32_e32 v5, 7, v5
	v_cmp_eq_u16_e32 vcc, 0, v6
	v_cndmask_b32_e32 v3, v3, v5, vcc
	v_cndmask_b32_e32 v5, v7, v8, vcc
	v_mov_b32_e32 v6, 0x3b800000
	v_lshlrev_b32_e32 v3, 20, v3
	v_lshl_add_u32 v5, v5, 23, v6
	v_or3_b32 v3, v4, v5, v3
.LBB5_1664:
	s_or_b64 exec, exec, s[6:7]
	s_nop 0
	v_mfma_f32_16x16x4f32 a[0:3], v2, v3, a[0:3]
	s_movk_i32 s4, 0x7f
                                        ; implicit-def: $sgpr10
	s_nop 7
	s_nop 1
	flat_store_dwordx4 v[10:11], a[0:3] offset:192
	flat_load_dwordx4 v[12:15], v[0:1] offset:8
	s_nop 0
	flat_load_dwordx2 v[10:11], v[0:1] offset:32
	s_waitcnt vmcnt(0) lgkmcnt(0)
	flat_load_dwordx4 v[6:9], v[12:13] offset:96
	flat_load_dwordx4 v[2:5], v[14:15] offset:32
	s_waitcnt vmcnt(0) lgkmcnt(0)
	v_cmp_gt_i16_sdwa s[6:7], v6, s4 src0_sel:BYTE_0 src1_sel:DWORD
	s_mov_b64 s[4:5], 0
	s_and_saveexec_b64 s[8:9], s[6:7]
	s_xor_b64 s[6:7], exec, s[8:9]
	s_cbranch_execnz .LBB5_3713
; %bb.1665:
	s_or_saveexec_b64 s[6:7], s[6:7]
	v_mov_b32_e32 v12, s10
	s_xor_b64 exec, exec, s[6:7]
	s_cbranch_execnz .LBB5_3716
.LBB5_1666:
	s_or_b64 exec, exec, s[6:7]
	s_and_saveexec_b64 s[6:7], s[4:5]
	s_cbranch_execz .LBB5_1668
.LBB5_1667:
	v_and_b32_e32 v12, 7, v6
	v_ffbh_u32_e32 v14, v12
	v_min_u32_e32 v14, 32, v14
	v_lshrrev_b16_e32 v13, 3, v6
	v_subrev_u32_e32 v15, 28, v14
	v_and_b32_e32 v13, 15, v13
	v_lshlrev_b32_e32 v15, v15, v6
	v_sub_u32_e32 v14, 29, v14
	v_and_b32_e32 v15, 7, v15
	v_cmp_eq_u16_e32 vcc, 0, v13
	v_cndmask_b32_e32 v12, v12, v15, vcc
	v_cndmask_b32_e32 v13, v13, v14, vcc
	v_lshlrev_b32_e32 v14, 24, v6
	v_mov_b32_e32 v15, 0x3b800000
	v_lshlrev_b32_e32 v12, 20, v12
	v_and_b32_e32 v14, 0x80000000, v14
	v_lshl_add_u32 v13, v13, 23, v15
	v_or3_b32 v12, v14, v13, v12
.LBB5_1668:
	s_or_b64 exec, exec, s[6:7]
	s_movk_i32 s4, 0x7f
	v_cmp_gt_i16_sdwa s[6:7], v2, s4 src0_sel:BYTE_0 src1_sel:DWORD
	s_mov_b64 s[4:5], 0
                                        ; implicit-def: $sgpr10
	s_and_saveexec_b64 s[8:9], s[6:7]
	s_xor_b64 s[6:7], exec, s[8:9]
	s_cbranch_execnz .LBB5_3717
; %bb.1669:
	s_or_saveexec_b64 s[6:7], s[6:7]
	v_mov_b32_e32 v13, s10
	s_xor_b64 exec, exec, s[6:7]
	s_cbranch_execnz .LBB5_3720
.LBB5_1670:
	s_or_b64 exec, exec, s[6:7]
	s_and_saveexec_b64 s[6:7], s[4:5]
	s_cbranch_execz .LBB5_1672
.LBB5_1671:
	v_and_b32_e32 v13, 7, v2
	v_ffbh_u32_e32 v15, v13
	v_min_u32_e32 v15, 32, v15
	v_lshrrev_b16_e32 v14, 3, v2
	v_subrev_u32_e32 v16, 28, v15
	v_and_b32_e32 v14, 15, v14
	v_lshlrev_b32_e32 v16, v16, v2
	v_sub_u32_e32 v15, 29, v15
	v_and_b32_e32 v16, 7, v16
	v_cmp_eq_u16_e32 vcc, 0, v14
	v_cndmask_b32_e32 v13, v13, v16, vcc
	v_cndmask_b32_e32 v14, v14, v15, vcc
	v_lshlrev_b32_e32 v15, 24, v2
	v_mov_b32_e32 v16, 0x3b800000
	v_lshlrev_b32_e32 v13, 20, v13
	v_and_b32_e32 v15, 0x80000000, v15
	v_lshl_add_u32 v14, v14, 23, v16
	v_or3_b32 v13, v15, v14, v13
.LBB5_1672:
	s_or_b64 exec, exec, s[6:7]
	flat_load_dwordx4 a[0:3], v[10:11] offset:208
	s_movk_i32 s4, 0x7f
                                        ; implicit-def: $sgpr10
	s_waitcnt vmcnt(0) lgkmcnt(0)
	v_mfma_f32_16x16x4f32 a[0:3], v12, v13, a[0:3]
	v_lshrrev_b32_e32 v13, 8, v6
	v_cmp_gt_i16_sdwa s[6:7], v13, s4 src0_sel:BYTE_0 src1_sel:DWORD
	s_mov_b64 s[4:5], 0
	s_and_saveexec_b64 s[8:9], s[6:7]
	s_xor_b64 s[6:7], exec, s[8:9]
	s_cbranch_execnz .LBB5_3721
; %bb.1673:
	s_or_saveexec_b64 s[6:7], s[6:7]
	v_mov_b32_e32 v12, s10
	s_xor_b64 exec, exec, s[6:7]
	s_cbranch_execnz .LBB5_3724
.LBB5_1674:
	s_or_b64 exec, exec, s[6:7]
	s_and_saveexec_b64 s[6:7], s[4:5]
	s_cbranch_execz .LBB5_1676
.LBB5_1675:
	v_bfe_u32 v12, v6, 8, 3
	v_ffbh_u32_e32 v15, v12
	v_min_u32_e32 v15, 32, v15
	v_lshrrev_b16_e32 v14, 3, v13
	v_subrev_u32_e32 v16, 28, v15
	v_and_b32_e32 v14, 15, v14
	v_lshlrev_b32_e32 v13, v16, v13
	v_sub_u32_e32 v15, 29, v15
	v_and_b32_e32 v13, 7, v13
	v_cmp_eq_u16_e32 vcc, 0, v14
	v_cndmask_b32_e32 v12, v12, v13, vcc
	v_cndmask_b32_e32 v13, v14, v15, vcc
	v_lshlrev_b32_e32 v14, 16, v6
	v_mov_b32_e32 v15, 0x3b800000
	v_lshlrev_b32_e32 v12, 20, v12
	v_and_b32_e32 v14, 0x80000000, v14
	v_lshl_add_u32 v13, v13, 23, v15
	v_or3_b32 v12, v14, v13, v12
.LBB5_1676:
	s_or_b64 exec, exec, s[6:7]
	v_lshrrev_b32_e32 v13, 8, v2
	s_movk_i32 s4, 0x7f
	v_cmp_gt_i16_sdwa s[6:7], v13, s4 src0_sel:BYTE_0 src1_sel:DWORD
	s_mov_b64 s[4:5], 0
                                        ; implicit-def: $sgpr10
	s_and_saveexec_b64 s[8:9], s[6:7]
	s_xor_b64 s[6:7], exec, s[8:9]
	s_cbranch_execnz .LBB5_3725
; %bb.1677:
	s_or_saveexec_b64 s[6:7], s[6:7]
	v_mov_b32_e32 v14, s10
	s_xor_b64 exec, exec, s[6:7]
	s_cbranch_execnz .LBB5_3728
.LBB5_1678:
	s_or_b64 exec, exec, s[6:7]
	s_and_saveexec_b64 s[6:7], s[4:5]
	s_cbranch_execz .LBB5_1680
.LBB5_1679:
	v_bfe_u32 v14, v2, 8, 3
	v_ffbh_u32_e32 v16, v14
	v_min_u32_e32 v16, 32, v16
	v_lshrrev_b16_e32 v15, 3, v13
	v_subrev_u32_e32 v17, 28, v16
	v_and_b32_e32 v15, 15, v15
	v_lshlrev_b32_e32 v13, v17, v13
	v_sub_u32_e32 v16, 29, v16
	v_and_b32_e32 v13, 7, v13
	v_cmp_eq_u16_e32 vcc, 0, v15
	v_cndmask_b32_e32 v13, v14, v13, vcc
	v_cndmask_b32_e32 v14, v15, v16, vcc
	v_lshlrev_b32_e32 v15, 16, v2
	v_mov_b32_e32 v16, 0x3b800000
	v_lshlrev_b32_e32 v13, 20, v13
	v_and_b32_e32 v15, 0x80000000, v15
	v_lshl_add_u32 v14, v14, 23, v16
	v_or3_b32 v14, v15, v14, v13
.LBB5_1680:
	s_or_b64 exec, exec, s[6:7]
	s_nop 0
	v_mfma_f32_16x16x4f32 a[0:3], v12, v14, a[0:3]
	s_movk_i32 s4, 0xff
	v_and_b32_sdwa v13, v6, s4 dst_sel:DWORD dst_unused:UNUSED_PAD src0_sel:WORD_1 src1_sel:DWORD
	s_movk_i32 s4, 0x7f
	v_cmp_lt_i16_e32 vcc, s4, v13
	s_mov_b64 s[4:5], 0
                                        ; implicit-def: $sgpr10
	s_and_saveexec_b64 s[6:7], vcc
	s_xor_b64 s[6:7], exec, s[6:7]
	s_cbranch_execnz .LBB5_3729
; %bb.1681:
	s_or_saveexec_b64 s[6:7], s[6:7]
	v_mov_b32_e32 v12, s10
	s_xor_b64 exec, exec, s[6:7]
	s_cbranch_execnz .LBB5_3732
.LBB5_1682:
	s_or_b64 exec, exec, s[6:7]
	s_and_saveexec_b64 s[6:7], s[4:5]
	s_cbranch_execz .LBB5_1684
.LBB5_1683:
	v_bfe_u32 v12, v6, 16, 3
	v_ffbh_u32_e32 v15, v12
	v_min_u32_e32 v15, 32, v15
	v_lshrrev_b32_e32 v13, 19, v6
	v_subrev_u32_e32 v16, 28, v15
	v_and_b32_e32 v13, 15, v13
	v_lshlrev_b32_sdwa v16, v16, v6 dst_sel:DWORD dst_unused:UNUSED_PAD src0_sel:DWORD src1_sel:WORD_1
	v_bfe_u32 v14, v6, 19, 4
	v_sub_u32_e32 v15, 29, v15
	v_and_b32_e32 v16, 7, v16
	v_cmp_eq_u16_e32 vcc, 0, v13
	v_cndmask_b32_e32 v12, v12, v16, vcc
	v_cndmask_b32_e32 v13, v14, v15, vcc
	v_lshlrev_b32_e32 v14, 8, v6
	v_mov_b32_e32 v15, 0x3b800000
	v_lshlrev_b32_e32 v12, 20, v12
	v_and_b32_e32 v14, 0x80000000, v14
	v_lshl_add_u32 v13, v13, 23, v15
	v_or3_b32 v12, v14, v13, v12
.LBB5_1684:
	s_or_b64 exec, exec, s[6:7]
	s_movk_i32 s4, 0xff
	v_and_b32_sdwa v13, v2, s4 dst_sel:DWORD dst_unused:UNUSED_PAD src0_sel:WORD_1 src1_sel:DWORD
	s_movk_i32 s4, 0x7f
	v_cmp_lt_i16_e32 vcc, s4, v13
	s_mov_b64 s[4:5], 0
                                        ; implicit-def: $sgpr10
	s_and_saveexec_b64 s[6:7], vcc
	s_xor_b64 s[6:7], exec, s[6:7]
	s_cbranch_execnz .LBB5_3733
; %bb.1685:
	s_or_saveexec_b64 s[6:7], s[6:7]
	v_mov_b32_e32 v14, s10
	s_xor_b64 exec, exec, s[6:7]
	s_cbranch_execnz .LBB5_3736
.LBB5_1686:
	s_or_b64 exec, exec, s[6:7]
	s_and_saveexec_b64 s[6:7], s[4:5]
	s_cbranch_execz .LBB5_1688
.LBB5_1687:
	v_bfe_u32 v13, v2, 16, 3
	v_ffbh_u32_e32 v16, v13
	v_min_u32_e32 v16, 32, v16
	v_lshrrev_b32_e32 v14, 19, v2
	v_subrev_u32_e32 v17, 28, v16
	v_and_b32_e32 v14, 15, v14
	v_lshlrev_b32_sdwa v17, v17, v2 dst_sel:DWORD dst_unused:UNUSED_PAD src0_sel:DWORD src1_sel:WORD_1
	v_bfe_u32 v15, v2, 19, 4
	v_sub_u32_e32 v16, 29, v16
	v_and_b32_e32 v17, 7, v17
	v_cmp_eq_u16_e32 vcc, 0, v14
	v_cndmask_b32_e32 v13, v13, v17, vcc
	v_cndmask_b32_e32 v14, v15, v16, vcc
	v_lshlrev_b32_e32 v15, 8, v2
	v_mov_b32_e32 v16, 0x3b800000
	v_lshlrev_b32_e32 v13, 20, v13
	v_and_b32_e32 v15, 0x80000000, v15
	v_lshl_add_u32 v14, v14, 23, v16
	v_or3_b32 v14, v15, v14, v13
.LBB5_1688:
	s_or_b64 exec, exec, s[6:7]
	s_nop 0
	v_mfma_f32_16x16x4f32 a[0:3], v12, v14, a[0:3]
	s_movk_i32 s4, 0x7f
	v_cmp_gt_i16_sdwa s[6:7], v6, s4 src0_sel:BYTE_3 src1_sel:DWORD
	s_mov_b64 s[4:5], 0
                                        ; implicit-def: $sgpr10
	s_and_saveexec_b64 s[8:9], s[6:7]
	s_xor_b64 s[6:7], exec, s[8:9]
	s_cbranch_execnz .LBB5_3737
; %bb.1689:
	s_or_saveexec_b64 s[6:7], s[6:7]
	v_mov_b32_e32 v12, s10
	s_xor_b64 exec, exec, s[6:7]
	s_cbranch_execnz .LBB5_3740
.LBB5_1690:
	s_or_b64 exec, exec, s[6:7]
	s_and_saveexec_b64 s[6:7], s[4:5]
	s_cbranch_execz .LBB5_1692
.LBB5_1691:
	v_bfe_u32 v12, v6, 24, 3
	v_ffbh_u32_e32 v16, v12
	v_min_u32_e32 v16, 32, v16
	v_lshrrev_b32_e32 v14, 27, v6
	v_subrev_u32_e32 v17, 28, v16
	v_and_b32_e32 v13, 0x80000000, v6
	v_and_b32_e32 v14, 15, v14
	v_bfe_u32 v15, v6, 27, 4
	v_lshlrev_b32_sdwa v6, v17, v6 dst_sel:DWORD dst_unused:UNUSED_PAD src0_sel:DWORD src1_sel:BYTE_3
	v_sub_u32_e32 v16, 29, v16
	v_and_b32_e32 v6, 7, v6
	v_cmp_eq_u16_e32 vcc, 0, v14
	v_cndmask_b32_e32 v6, v12, v6, vcc
	v_cndmask_b32_e32 v12, v15, v16, vcc
	v_mov_b32_e32 v14, 0x3b800000
	v_lshlrev_b32_e32 v6, 20, v6
	v_lshl_add_u32 v12, v12, 23, v14
	v_or3_b32 v12, v13, v12, v6
.LBB5_1692:
	s_or_b64 exec, exec, s[6:7]
	s_movk_i32 s4, 0x7f
	v_cmp_gt_i16_sdwa s[6:7], v2, s4 src0_sel:BYTE_3 src1_sel:DWORD
	s_mov_b64 s[4:5], 0
                                        ; implicit-def: $sgpr10
	s_and_saveexec_b64 s[8:9], s[6:7]
	s_xor_b64 s[6:7], exec, s[8:9]
	s_cbranch_execnz .LBB5_3741
; %bb.1693:
	s_or_saveexec_b64 s[6:7], s[6:7]
	v_mov_b32_e32 v6, s10
	s_xor_b64 exec, exec, s[6:7]
	s_cbranch_execnz .LBB5_3744
.LBB5_1694:
	s_or_b64 exec, exec, s[6:7]
	s_and_saveexec_b64 s[6:7], s[4:5]
	s_cbranch_execz .LBB5_1696
.LBB5_1695:
	v_bfe_u32 v6, v2, 24, 3
	v_ffbh_u32_e32 v16, v6
	v_min_u32_e32 v16, 32, v16
	v_lshrrev_b32_e32 v14, 27, v2
	v_subrev_u32_e32 v17, 28, v16
	v_and_b32_e32 v13, 0x80000000, v2
	v_and_b32_e32 v14, 15, v14
	v_bfe_u32 v15, v2, 27, 4
	v_lshlrev_b32_sdwa v2, v17, v2 dst_sel:DWORD dst_unused:UNUSED_PAD src0_sel:DWORD src1_sel:BYTE_3
	v_sub_u32_e32 v16, 29, v16
	v_and_b32_e32 v2, 7, v2
	v_cmp_eq_u16_e32 vcc, 0, v14
	v_cndmask_b32_e32 v2, v6, v2, vcc
	v_cndmask_b32_e32 v6, v15, v16, vcc
	v_mov_b32_e32 v14, 0x3b800000
	v_lshlrev_b32_e32 v2, 20, v2
	v_lshl_add_u32 v6, v6, 23, v14
	v_or3_b32 v6, v13, v6, v2
.LBB5_1696:
	s_or_b64 exec, exec, s[6:7]
	s_nop 0
	v_mfma_f32_16x16x4f32 a[0:3], v12, v6, a[0:3]
	s_movk_i32 s4, 0x7f
	v_cmp_gt_i16_sdwa s[6:7], v7, s4 src0_sel:BYTE_0 src1_sel:DWORD
	s_mov_b64 s[4:5], 0
                                        ; implicit-def: $sgpr10
	s_and_saveexec_b64 s[8:9], s[6:7]
	s_xor_b64 s[6:7], exec, s[8:9]
	s_cbranch_execnz .LBB5_3745
; %bb.1697:
	s_or_saveexec_b64 s[6:7], s[6:7]
	v_mov_b32_e32 v2, s10
	s_xor_b64 exec, exec, s[6:7]
	s_cbranch_execnz .LBB5_3748
.LBB5_1698:
	s_or_b64 exec, exec, s[6:7]
	s_and_saveexec_b64 s[6:7], s[4:5]
	s_cbranch_execz .LBB5_1700
.LBB5_1699:
	v_and_b32_e32 v2, 7, v7
	v_ffbh_u32_e32 v12, v2
	v_min_u32_e32 v12, 32, v12
	v_lshrrev_b16_e32 v6, 3, v7
	v_subrev_u32_e32 v13, 28, v12
	v_and_b32_e32 v6, 15, v6
	v_lshlrev_b32_e32 v13, v13, v7
	v_sub_u32_e32 v12, 29, v12
	v_and_b32_e32 v13, 7, v13
	v_cmp_eq_u16_e32 vcc, 0, v6
	v_cndmask_b32_e32 v2, v2, v13, vcc
	v_cndmask_b32_e32 v6, v6, v12, vcc
	v_lshlrev_b32_e32 v12, 24, v7
	v_mov_b32_e32 v13, 0x3b800000
	v_lshlrev_b32_e32 v2, 20, v2
	v_and_b32_e32 v12, 0x80000000, v12
	v_lshl_add_u32 v6, v6, 23, v13
	v_or3_b32 v2, v12, v6, v2
.LBB5_1700:
	s_or_b64 exec, exec, s[6:7]
	s_movk_i32 s4, 0x7f
	v_cmp_gt_i16_sdwa s[6:7], v3, s4 src0_sel:BYTE_0 src1_sel:DWORD
	s_mov_b64 s[4:5], 0
                                        ; implicit-def: $sgpr10
	s_and_saveexec_b64 s[8:9], s[6:7]
	s_xor_b64 s[6:7], exec, s[8:9]
	s_cbranch_execnz .LBB5_3749
; %bb.1701:
	s_or_saveexec_b64 s[6:7], s[6:7]
	v_mov_b32_e32 v6, s10
	s_xor_b64 exec, exec, s[6:7]
	s_cbranch_execnz .LBB5_3752
.LBB5_1702:
	s_or_b64 exec, exec, s[6:7]
	s_and_saveexec_b64 s[6:7], s[4:5]
	s_cbranch_execz .LBB5_1704
.LBB5_1703:
	v_and_b32_e32 v6, 7, v3
	v_ffbh_u32_e32 v13, v6
	v_min_u32_e32 v13, 32, v13
	v_lshrrev_b16_e32 v12, 3, v3
	v_subrev_u32_e32 v14, 28, v13
	v_and_b32_e32 v12, 15, v12
	v_lshlrev_b32_e32 v14, v14, v3
	v_sub_u32_e32 v13, 29, v13
	v_and_b32_e32 v14, 7, v14
	v_cmp_eq_u16_e32 vcc, 0, v12
	v_cndmask_b32_e32 v6, v6, v14, vcc
	v_cndmask_b32_e32 v12, v12, v13, vcc
	v_lshlrev_b32_e32 v13, 24, v3
	v_mov_b32_e32 v14, 0x3b800000
	v_lshlrev_b32_e32 v6, 20, v6
	v_and_b32_e32 v13, 0x80000000, v13
	v_lshl_add_u32 v12, v12, 23, v14
	v_or3_b32 v6, v13, v12, v6
.LBB5_1704:
	s_or_b64 exec, exec, s[6:7]
	s_nop 0
	v_mfma_f32_16x16x4f32 a[0:3], v2, v6, a[0:3]
	v_lshrrev_b32_e32 v6, 8, v7
	s_movk_i32 s4, 0x7f
	v_cmp_gt_i16_sdwa s[6:7], v6, s4 src0_sel:BYTE_0 src1_sel:DWORD
	s_mov_b64 s[4:5], 0
                                        ; implicit-def: $sgpr10
	s_and_saveexec_b64 s[8:9], s[6:7]
	s_xor_b64 s[6:7], exec, s[8:9]
	s_cbranch_execnz .LBB5_3753
; %bb.1705:
	s_or_saveexec_b64 s[6:7], s[6:7]
	v_mov_b32_e32 v2, s10
	s_xor_b64 exec, exec, s[6:7]
	s_cbranch_execnz .LBB5_3756
.LBB5_1706:
	s_or_b64 exec, exec, s[6:7]
	s_and_saveexec_b64 s[6:7], s[4:5]
	s_cbranch_execz .LBB5_1708
.LBB5_1707:
	v_bfe_u32 v2, v7, 8, 3
	v_ffbh_u32_e32 v13, v2
	v_min_u32_e32 v13, 32, v13
	v_lshrrev_b16_e32 v12, 3, v6
	v_subrev_u32_e32 v14, 28, v13
	v_and_b32_e32 v12, 15, v12
	v_lshlrev_b32_e32 v6, v14, v6
	v_sub_u32_e32 v13, 29, v13
	v_and_b32_e32 v6, 7, v6
	v_cmp_eq_u16_e32 vcc, 0, v12
	v_cndmask_b32_e32 v2, v2, v6, vcc
	v_cndmask_b32_e32 v6, v12, v13, vcc
	v_lshlrev_b32_e32 v12, 16, v7
	v_mov_b32_e32 v13, 0x3b800000
	v_lshlrev_b32_e32 v2, 20, v2
	v_and_b32_e32 v12, 0x80000000, v12
	v_lshl_add_u32 v6, v6, 23, v13
	v_or3_b32 v2, v12, v6, v2
.LBB5_1708:
	s_or_b64 exec, exec, s[6:7]
	v_lshrrev_b32_e32 v6, 8, v3
	s_movk_i32 s4, 0x7f
	v_cmp_gt_i16_sdwa s[6:7], v6, s4 src0_sel:BYTE_0 src1_sel:DWORD
	s_mov_b64 s[4:5], 0
                                        ; implicit-def: $sgpr10
	s_and_saveexec_b64 s[8:9], s[6:7]
	s_xor_b64 s[6:7], exec, s[8:9]
	s_cbranch_execnz .LBB5_3757
; %bb.1709:
	s_or_saveexec_b64 s[6:7], s[6:7]
	v_mov_b32_e32 v12, s10
	s_xor_b64 exec, exec, s[6:7]
	s_cbranch_execnz .LBB5_3760
.LBB5_1710:
	s_or_b64 exec, exec, s[6:7]
	s_and_saveexec_b64 s[6:7], s[4:5]
	s_cbranch_execz .LBB5_1712
.LBB5_1711:
	v_bfe_u32 v12, v3, 8, 3
	v_ffbh_u32_e32 v14, v12
	v_min_u32_e32 v14, 32, v14
	v_lshrrev_b16_e32 v13, 3, v6
	v_subrev_u32_e32 v15, 28, v14
	v_and_b32_e32 v13, 15, v13
	v_lshlrev_b32_e32 v6, v15, v6
	v_sub_u32_e32 v14, 29, v14
	v_and_b32_e32 v6, 7, v6
	v_cmp_eq_u16_e32 vcc, 0, v13
	v_cndmask_b32_e32 v6, v12, v6, vcc
	v_cndmask_b32_e32 v12, v13, v14, vcc
	v_lshlrev_b32_e32 v13, 16, v3
	v_mov_b32_e32 v14, 0x3b800000
	v_lshlrev_b32_e32 v6, 20, v6
	v_and_b32_e32 v13, 0x80000000, v13
	v_lshl_add_u32 v12, v12, 23, v14
	v_or3_b32 v12, v13, v12, v6
.LBB5_1712:
	s_or_b64 exec, exec, s[6:7]
	s_nop 0
	v_mfma_f32_16x16x4f32 a[0:3], v2, v12, a[0:3]
	s_movk_i32 s4, 0xff
	v_and_b32_sdwa v6, v7, s4 dst_sel:DWORD dst_unused:UNUSED_PAD src0_sel:WORD_1 src1_sel:DWORD
	s_movk_i32 s4, 0x7f
	v_cmp_lt_i16_e32 vcc, s4, v6
	s_mov_b64 s[4:5], 0
                                        ; implicit-def: $sgpr10
	s_and_saveexec_b64 s[6:7], vcc
	s_xor_b64 s[6:7], exec, s[6:7]
	s_cbranch_execnz .LBB5_3761
; %bb.1713:
	s_or_saveexec_b64 s[6:7], s[6:7]
	v_mov_b32_e32 v2, s10
	s_xor_b64 exec, exec, s[6:7]
	s_cbranch_execnz .LBB5_3764
.LBB5_1714:
	s_or_b64 exec, exec, s[6:7]
	s_and_saveexec_b64 s[6:7], s[4:5]
	s_cbranch_execz .LBB5_1716
.LBB5_1715:
	v_bfe_u32 v2, v7, 16, 3
	v_ffbh_u32_e32 v13, v2
	v_min_u32_e32 v13, 32, v13
	v_lshrrev_b32_e32 v6, 19, v7
	v_subrev_u32_e32 v14, 28, v13
	v_and_b32_e32 v6, 15, v6
	v_lshlrev_b32_sdwa v14, v14, v7 dst_sel:DWORD dst_unused:UNUSED_PAD src0_sel:DWORD src1_sel:WORD_1
	v_bfe_u32 v12, v7, 19, 4
	v_sub_u32_e32 v13, 29, v13
	v_and_b32_e32 v14, 7, v14
	v_cmp_eq_u16_e32 vcc, 0, v6
	v_cndmask_b32_e32 v2, v2, v14, vcc
	v_cndmask_b32_e32 v6, v12, v13, vcc
	v_lshlrev_b32_e32 v12, 8, v7
	v_mov_b32_e32 v13, 0x3b800000
	v_lshlrev_b32_e32 v2, 20, v2
	v_and_b32_e32 v12, 0x80000000, v12
	v_lshl_add_u32 v6, v6, 23, v13
	v_or3_b32 v2, v12, v6, v2
.LBB5_1716:
	s_or_b64 exec, exec, s[6:7]
	s_movk_i32 s4, 0xff
	v_and_b32_sdwa v6, v3, s4 dst_sel:DWORD dst_unused:UNUSED_PAD src0_sel:WORD_1 src1_sel:DWORD
	s_movk_i32 s4, 0x7f
	v_cmp_lt_i16_e32 vcc, s4, v6
	s_mov_b64 s[4:5], 0
                                        ; implicit-def: $sgpr10
	s_and_saveexec_b64 s[6:7], vcc
	s_xor_b64 s[6:7], exec, s[6:7]
	s_cbranch_execnz .LBB5_3765
; %bb.1717:
	s_or_saveexec_b64 s[6:7], s[6:7]
	v_mov_b32_e32 v12, s10
	s_xor_b64 exec, exec, s[6:7]
	s_cbranch_execnz .LBB5_3768
.LBB5_1718:
	s_or_b64 exec, exec, s[6:7]
	s_and_saveexec_b64 s[6:7], s[4:5]
	s_cbranch_execz .LBB5_1720
.LBB5_1719:
	v_bfe_u32 v6, v3, 16, 3
	v_ffbh_u32_e32 v14, v6
	v_min_u32_e32 v14, 32, v14
	v_lshrrev_b32_e32 v12, 19, v3
	v_subrev_u32_e32 v15, 28, v14
	v_and_b32_e32 v12, 15, v12
	v_lshlrev_b32_sdwa v15, v15, v3 dst_sel:DWORD dst_unused:UNUSED_PAD src0_sel:DWORD src1_sel:WORD_1
	v_bfe_u32 v13, v3, 19, 4
	v_sub_u32_e32 v14, 29, v14
	v_and_b32_e32 v15, 7, v15
	v_cmp_eq_u16_e32 vcc, 0, v12
	v_cndmask_b32_e32 v6, v6, v15, vcc
	v_cndmask_b32_e32 v12, v13, v14, vcc
	v_lshlrev_b32_e32 v13, 8, v3
	v_mov_b32_e32 v14, 0x3b800000
	v_lshlrev_b32_e32 v6, 20, v6
	v_and_b32_e32 v13, 0x80000000, v13
	v_lshl_add_u32 v12, v12, 23, v14
	v_or3_b32 v12, v13, v12, v6
.LBB5_1720:
	s_or_b64 exec, exec, s[6:7]
	s_nop 0
	v_mfma_f32_16x16x4f32 a[0:3], v2, v12, a[0:3]
	s_movk_i32 s4, 0x7f
	v_cmp_gt_i16_sdwa s[6:7], v7, s4 src0_sel:BYTE_3 src1_sel:DWORD
	s_mov_b64 s[4:5], 0
                                        ; implicit-def: $sgpr10
	s_and_saveexec_b64 s[8:9], s[6:7]
	s_xor_b64 s[6:7], exec, s[8:9]
	s_cbranch_execnz .LBB5_3769
; %bb.1721:
	s_or_saveexec_b64 s[6:7], s[6:7]
	v_mov_b32_e32 v2, s10
	s_xor_b64 exec, exec, s[6:7]
	s_cbranch_execnz .LBB5_3772
.LBB5_1722:
	s_or_b64 exec, exec, s[6:7]
	s_and_saveexec_b64 s[6:7], s[4:5]
	s_cbranch_execz .LBB5_1724
.LBB5_1723:
	v_bfe_u32 v2, v7, 24, 3
	v_ffbh_u32_e32 v14, v2
	v_min_u32_e32 v14, 32, v14
	v_lshrrev_b32_e32 v12, 27, v7
	v_subrev_u32_e32 v15, 28, v14
	v_and_b32_e32 v6, 0x80000000, v7
	v_and_b32_e32 v12, 15, v12
	v_bfe_u32 v13, v7, 27, 4
	v_lshlrev_b32_sdwa v7, v15, v7 dst_sel:DWORD dst_unused:UNUSED_PAD src0_sel:DWORD src1_sel:BYTE_3
	v_sub_u32_e32 v14, 29, v14
	v_and_b32_e32 v7, 7, v7
	v_cmp_eq_u16_e32 vcc, 0, v12
	v_cndmask_b32_e32 v2, v2, v7, vcc
	v_cndmask_b32_e32 v7, v13, v14, vcc
	v_mov_b32_e32 v12, 0x3b800000
	v_lshlrev_b32_e32 v2, 20, v2
	v_lshl_add_u32 v7, v7, 23, v12
	v_or3_b32 v2, v6, v7, v2
.LBB5_1724:
	s_or_b64 exec, exec, s[6:7]
	s_movk_i32 s4, 0x7f
	v_cmp_gt_i16_sdwa s[6:7], v3, s4 src0_sel:BYTE_3 src1_sel:DWORD
	s_mov_b64 s[4:5], 0
                                        ; implicit-def: $sgpr10
	s_and_saveexec_b64 s[8:9], s[6:7]
	s_xor_b64 s[6:7], exec, s[8:9]
	s_cbranch_execnz .LBB5_3773
; %bb.1725:
	s_or_saveexec_b64 s[6:7], s[6:7]
	v_mov_b32_e32 v6, s10
	s_xor_b64 exec, exec, s[6:7]
	s_cbranch_execnz .LBB5_3776
.LBB5_1726:
	s_or_b64 exec, exec, s[6:7]
	s_and_saveexec_b64 s[6:7], s[4:5]
	s_cbranch_execz .LBB5_1728
.LBB5_1727:
	v_bfe_u32 v6, v3, 24, 3
	v_ffbh_u32_e32 v14, v6
	v_min_u32_e32 v14, 32, v14
	v_lshrrev_b32_e32 v12, 27, v3
	v_subrev_u32_e32 v15, 28, v14
	v_and_b32_e32 v7, 0x80000000, v3
	v_and_b32_e32 v12, 15, v12
	v_bfe_u32 v13, v3, 27, 4
	v_lshlrev_b32_sdwa v3, v15, v3 dst_sel:DWORD dst_unused:UNUSED_PAD src0_sel:DWORD src1_sel:BYTE_3
	v_sub_u32_e32 v14, 29, v14
	v_and_b32_e32 v3, 7, v3
	v_cmp_eq_u16_e32 vcc, 0, v12
	v_cndmask_b32_e32 v3, v6, v3, vcc
	v_cndmask_b32_e32 v6, v13, v14, vcc
	v_mov_b32_e32 v12, 0x3b800000
	v_lshlrev_b32_e32 v3, 20, v3
	v_lshl_add_u32 v6, v6, 23, v12
	v_or3_b32 v6, v7, v6, v3
.LBB5_1728:
	s_or_b64 exec, exec, s[6:7]
	s_nop 0
	v_mfma_f32_16x16x4f32 a[0:3], v2, v6, a[0:3]
	s_movk_i32 s4, 0x7f
	v_cmp_gt_i16_sdwa s[6:7], v8, s4 src0_sel:BYTE_0 src1_sel:DWORD
	s_mov_b64 s[4:5], 0
                                        ; implicit-def: $sgpr10
	s_and_saveexec_b64 s[8:9], s[6:7]
	s_xor_b64 s[6:7], exec, s[8:9]
	s_cbranch_execnz .LBB5_3777
; %bb.1729:
	s_or_saveexec_b64 s[6:7], s[6:7]
	v_mov_b32_e32 v2, s10
	s_xor_b64 exec, exec, s[6:7]
	s_cbranch_execnz .LBB5_3780
.LBB5_1730:
	s_or_b64 exec, exec, s[6:7]
	s_and_saveexec_b64 s[6:7], s[4:5]
	s_cbranch_execz .LBB5_1732
.LBB5_1731:
	v_and_b32_e32 v2, 7, v8
	v_ffbh_u32_e32 v6, v2
	v_min_u32_e32 v6, 32, v6
	v_lshrrev_b16_e32 v3, 3, v8
	v_subrev_u32_e32 v7, 28, v6
	v_and_b32_e32 v3, 15, v3
	v_lshlrev_b32_e32 v7, v7, v8
	v_sub_u32_e32 v6, 29, v6
	v_and_b32_e32 v7, 7, v7
	v_cmp_eq_u16_e32 vcc, 0, v3
	v_cndmask_b32_e32 v2, v2, v7, vcc
	v_cndmask_b32_e32 v3, v3, v6, vcc
	v_lshlrev_b32_e32 v6, 24, v8
	v_mov_b32_e32 v7, 0x3b800000
	v_lshlrev_b32_e32 v2, 20, v2
	v_and_b32_e32 v6, 0x80000000, v6
	v_lshl_add_u32 v3, v3, 23, v7
	v_or3_b32 v2, v6, v3, v2
.LBB5_1732:
	s_or_b64 exec, exec, s[6:7]
	s_movk_i32 s4, 0x7f
	v_cmp_gt_i16_sdwa s[6:7], v4, s4 src0_sel:BYTE_0 src1_sel:DWORD
	s_mov_b64 s[4:5], 0
                                        ; implicit-def: $sgpr10
	s_and_saveexec_b64 s[8:9], s[6:7]
	s_xor_b64 s[6:7], exec, s[8:9]
	s_cbranch_execnz .LBB5_3781
; %bb.1733:
	s_or_saveexec_b64 s[6:7], s[6:7]
	v_mov_b32_e32 v3, s10
	s_xor_b64 exec, exec, s[6:7]
	s_cbranch_execnz .LBB5_3784
.LBB5_1734:
	s_or_b64 exec, exec, s[6:7]
	s_and_saveexec_b64 s[6:7], s[4:5]
	s_cbranch_execz .LBB5_1736
.LBB5_1735:
	v_and_b32_e32 v3, 7, v4
	v_ffbh_u32_e32 v7, v3
	v_min_u32_e32 v7, 32, v7
	v_lshrrev_b16_e32 v6, 3, v4
	v_subrev_u32_e32 v12, 28, v7
	v_and_b32_e32 v6, 15, v6
	v_lshlrev_b32_e32 v12, v12, v4
	v_sub_u32_e32 v7, 29, v7
	v_and_b32_e32 v12, 7, v12
	v_cmp_eq_u16_e32 vcc, 0, v6
	v_cndmask_b32_e32 v3, v3, v12, vcc
	v_cndmask_b32_e32 v6, v6, v7, vcc
	v_lshlrev_b32_e32 v7, 24, v4
	v_mov_b32_e32 v12, 0x3b800000
	v_lshlrev_b32_e32 v3, 20, v3
	v_and_b32_e32 v7, 0x80000000, v7
	v_lshl_add_u32 v6, v6, 23, v12
	v_or3_b32 v3, v7, v6, v3
.LBB5_1736:
	s_or_b64 exec, exec, s[6:7]
	s_nop 0
	v_mfma_f32_16x16x4f32 a[0:3], v2, v3, a[0:3]
	v_lshrrev_b32_e32 v3, 8, v8
	s_movk_i32 s4, 0x7f
	v_cmp_gt_i16_sdwa s[6:7], v3, s4 src0_sel:BYTE_0 src1_sel:DWORD
	s_mov_b64 s[4:5], 0
                                        ; implicit-def: $sgpr10
	s_and_saveexec_b64 s[8:9], s[6:7]
	s_xor_b64 s[6:7], exec, s[8:9]
	s_cbranch_execnz .LBB5_3785
; %bb.1737:
	s_or_saveexec_b64 s[6:7], s[6:7]
	v_mov_b32_e32 v2, s10
	s_xor_b64 exec, exec, s[6:7]
	s_cbranch_execnz .LBB5_3788
.LBB5_1738:
	s_or_b64 exec, exec, s[6:7]
	s_and_saveexec_b64 s[6:7], s[4:5]
	s_cbranch_execz .LBB5_1740
.LBB5_1739:
	v_bfe_u32 v2, v8, 8, 3
	v_ffbh_u32_e32 v7, v2
	v_min_u32_e32 v7, 32, v7
	v_lshrrev_b16_e32 v6, 3, v3
	v_subrev_u32_e32 v12, 28, v7
	v_and_b32_e32 v6, 15, v6
	v_lshlrev_b32_e32 v3, v12, v3
	v_sub_u32_e32 v7, 29, v7
	v_and_b32_e32 v3, 7, v3
	v_cmp_eq_u16_e32 vcc, 0, v6
	v_cndmask_b32_e32 v2, v2, v3, vcc
	v_cndmask_b32_e32 v3, v6, v7, vcc
	v_lshlrev_b32_e32 v6, 16, v8
	v_mov_b32_e32 v7, 0x3b800000
	v_lshlrev_b32_e32 v2, 20, v2
	v_and_b32_e32 v6, 0x80000000, v6
	v_lshl_add_u32 v3, v3, 23, v7
	v_or3_b32 v2, v6, v3, v2
.LBB5_1740:
	s_or_b64 exec, exec, s[6:7]
	v_lshrrev_b32_e32 v3, 8, v4
	s_movk_i32 s4, 0x7f
	v_cmp_gt_i16_sdwa s[6:7], v3, s4 src0_sel:BYTE_0 src1_sel:DWORD
	s_mov_b64 s[4:5], 0
                                        ; implicit-def: $sgpr10
	s_and_saveexec_b64 s[8:9], s[6:7]
	s_xor_b64 s[6:7], exec, s[8:9]
	s_cbranch_execnz .LBB5_3789
; %bb.1741:
	s_or_saveexec_b64 s[6:7], s[6:7]
	v_mov_b32_e32 v6, s10
	s_xor_b64 exec, exec, s[6:7]
	s_cbranch_execnz .LBB5_3792
.LBB5_1742:
	s_or_b64 exec, exec, s[6:7]
	s_and_saveexec_b64 s[6:7], s[4:5]
	s_cbranch_execz .LBB5_1744
.LBB5_1743:
	v_bfe_u32 v6, v4, 8, 3
	v_ffbh_u32_e32 v12, v6
	v_min_u32_e32 v12, 32, v12
	v_lshrrev_b16_e32 v7, 3, v3
	v_subrev_u32_e32 v13, 28, v12
	v_and_b32_e32 v7, 15, v7
	v_lshlrev_b32_e32 v3, v13, v3
	v_sub_u32_e32 v12, 29, v12
	v_and_b32_e32 v3, 7, v3
	v_cmp_eq_u16_e32 vcc, 0, v7
	v_cndmask_b32_e32 v3, v6, v3, vcc
	v_cndmask_b32_e32 v6, v7, v12, vcc
	v_lshlrev_b32_e32 v7, 16, v4
	v_mov_b32_e32 v12, 0x3b800000
	v_lshlrev_b32_e32 v3, 20, v3
	v_and_b32_e32 v7, 0x80000000, v7
	v_lshl_add_u32 v6, v6, 23, v12
	v_or3_b32 v6, v7, v6, v3
.LBB5_1744:
	s_or_b64 exec, exec, s[6:7]
	s_nop 0
	v_mfma_f32_16x16x4f32 a[0:3], v2, v6, a[0:3]
	s_movk_i32 s4, 0xff
	v_and_b32_sdwa v3, v8, s4 dst_sel:DWORD dst_unused:UNUSED_PAD src0_sel:WORD_1 src1_sel:DWORD
	s_movk_i32 s4, 0x7f
	v_cmp_lt_i16_e32 vcc, s4, v3
	s_mov_b64 s[4:5], 0
                                        ; implicit-def: $sgpr10
	s_and_saveexec_b64 s[6:7], vcc
	s_xor_b64 s[6:7], exec, s[6:7]
	s_cbranch_execnz .LBB5_3793
; %bb.1745:
	s_or_saveexec_b64 s[6:7], s[6:7]
	v_mov_b32_e32 v2, s10
	s_xor_b64 exec, exec, s[6:7]
	s_cbranch_execnz .LBB5_3796
.LBB5_1746:
	s_or_b64 exec, exec, s[6:7]
	s_and_saveexec_b64 s[6:7], s[4:5]
	s_cbranch_execz .LBB5_1748
.LBB5_1747:
	v_bfe_u32 v2, v8, 16, 3
	v_ffbh_u32_e32 v7, v2
	v_min_u32_e32 v7, 32, v7
	v_lshrrev_b32_e32 v3, 19, v8
	v_subrev_u32_e32 v12, 28, v7
	v_and_b32_e32 v3, 15, v3
	v_lshlrev_b32_sdwa v12, v12, v8 dst_sel:DWORD dst_unused:UNUSED_PAD src0_sel:DWORD src1_sel:WORD_1
	v_bfe_u32 v6, v8, 19, 4
	v_sub_u32_e32 v7, 29, v7
	v_and_b32_e32 v12, 7, v12
	v_cmp_eq_u16_e32 vcc, 0, v3
	v_cndmask_b32_e32 v2, v2, v12, vcc
	v_cndmask_b32_e32 v3, v6, v7, vcc
	v_lshlrev_b32_e32 v6, 8, v8
	v_mov_b32_e32 v7, 0x3b800000
	v_lshlrev_b32_e32 v2, 20, v2
	v_and_b32_e32 v6, 0x80000000, v6
	v_lshl_add_u32 v3, v3, 23, v7
	v_or3_b32 v2, v6, v3, v2
.LBB5_1748:
	s_or_b64 exec, exec, s[6:7]
	s_movk_i32 s4, 0xff
	v_and_b32_sdwa v3, v4, s4 dst_sel:DWORD dst_unused:UNUSED_PAD src0_sel:WORD_1 src1_sel:DWORD
	s_movk_i32 s4, 0x7f
	v_cmp_lt_i16_e32 vcc, s4, v3
	s_mov_b64 s[4:5], 0
                                        ; implicit-def: $sgpr10
	s_and_saveexec_b64 s[6:7], vcc
	s_xor_b64 s[6:7], exec, s[6:7]
	s_cbranch_execnz .LBB5_3797
; %bb.1749:
	s_or_saveexec_b64 s[6:7], s[6:7]
	v_mov_b32_e32 v6, s10
	s_xor_b64 exec, exec, s[6:7]
	s_cbranch_execnz .LBB5_3800
.LBB5_1750:
	s_or_b64 exec, exec, s[6:7]
	s_and_saveexec_b64 s[6:7], s[4:5]
	s_cbranch_execz .LBB5_1752
.LBB5_1751:
	v_bfe_u32 v3, v4, 16, 3
	v_ffbh_u32_e32 v12, v3
	v_min_u32_e32 v12, 32, v12
	v_lshrrev_b32_e32 v6, 19, v4
	v_subrev_u32_e32 v13, 28, v12
	v_and_b32_e32 v6, 15, v6
	v_lshlrev_b32_sdwa v13, v13, v4 dst_sel:DWORD dst_unused:UNUSED_PAD src0_sel:DWORD src1_sel:WORD_1
	v_bfe_u32 v7, v4, 19, 4
	v_sub_u32_e32 v12, 29, v12
	v_and_b32_e32 v13, 7, v13
	v_cmp_eq_u16_e32 vcc, 0, v6
	v_cndmask_b32_e32 v3, v3, v13, vcc
	v_cndmask_b32_e32 v6, v7, v12, vcc
	v_lshlrev_b32_e32 v7, 8, v4
	v_mov_b32_e32 v12, 0x3b800000
	v_lshlrev_b32_e32 v3, 20, v3
	v_and_b32_e32 v7, 0x80000000, v7
	v_lshl_add_u32 v6, v6, 23, v12
	v_or3_b32 v6, v7, v6, v3
.LBB5_1752:
	s_or_b64 exec, exec, s[6:7]
	s_nop 0
	v_mfma_f32_16x16x4f32 a[0:3], v2, v6, a[0:3]
	s_movk_i32 s4, 0x7f
	v_cmp_gt_i16_sdwa s[6:7], v8, s4 src0_sel:BYTE_3 src1_sel:DWORD
	s_mov_b64 s[4:5], 0
                                        ; implicit-def: $sgpr10
	s_and_saveexec_b64 s[8:9], s[6:7]
	s_xor_b64 s[6:7], exec, s[8:9]
	s_cbranch_execnz .LBB5_3801
; %bb.1753:
	s_or_saveexec_b64 s[6:7], s[6:7]
	v_mov_b32_e32 v2, s10
	s_xor_b64 exec, exec, s[6:7]
	s_cbranch_execnz .LBB5_3804
.LBB5_1754:
	s_or_b64 exec, exec, s[6:7]
	s_and_saveexec_b64 s[6:7], s[4:5]
	s_cbranch_execz .LBB5_1756
.LBB5_1755:
	v_bfe_u32 v2, v8, 24, 3
	v_ffbh_u32_e32 v12, v2
	v_min_u32_e32 v12, 32, v12
	v_lshrrev_b32_e32 v6, 27, v8
	v_subrev_u32_e32 v13, 28, v12
	v_and_b32_e32 v3, 0x80000000, v8
	v_and_b32_e32 v6, 15, v6
	v_bfe_u32 v7, v8, 27, 4
	v_lshlrev_b32_sdwa v8, v13, v8 dst_sel:DWORD dst_unused:UNUSED_PAD src0_sel:DWORD src1_sel:BYTE_3
	v_sub_u32_e32 v12, 29, v12
	v_and_b32_e32 v8, 7, v8
	v_cmp_eq_u16_e32 vcc, 0, v6
	v_cndmask_b32_e32 v2, v2, v8, vcc
	v_cndmask_b32_e32 v6, v7, v12, vcc
	v_mov_b32_e32 v7, 0x3b800000
	v_lshlrev_b32_e32 v2, 20, v2
	v_lshl_add_u32 v6, v6, 23, v7
	v_or3_b32 v2, v3, v6, v2
.LBB5_1756:
	s_or_b64 exec, exec, s[6:7]
	s_movk_i32 s4, 0x7f
	v_cmp_gt_i16_sdwa s[6:7], v4, s4 src0_sel:BYTE_3 src1_sel:DWORD
	s_mov_b64 s[4:5], 0
                                        ; implicit-def: $sgpr10
	s_and_saveexec_b64 s[8:9], s[6:7]
	s_xor_b64 s[6:7], exec, s[8:9]
	s_cbranch_execnz .LBB5_3805
; %bb.1757:
	s_or_saveexec_b64 s[6:7], s[6:7]
	v_mov_b32_e32 v3, s10
	s_xor_b64 exec, exec, s[6:7]
	s_cbranch_execnz .LBB5_3808
.LBB5_1758:
	s_or_b64 exec, exec, s[6:7]
	s_and_saveexec_b64 s[6:7], s[4:5]
	s_cbranch_execz .LBB5_1760
.LBB5_1759:
	v_bfe_u32 v3, v4, 24, 3
	v_ffbh_u32_e32 v12, v3
	v_min_u32_e32 v12, 32, v12
	v_lshrrev_b32_e32 v7, 27, v4
	v_subrev_u32_e32 v13, 28, v12
	v_and_b32_e32 v6, 0x80000000, v4
	v_and_b32_e32 v7, 15, v7
	v_bfe_u32 v8, v4, 27, 4
	v_lshlrev_b32_sdwa v4, v13, v4 dst_sel:DWORD dst_unused:UNUSED_PAD src0_sel:DWORD src1_sel:BYTE_3
	v_sub_u32_e32 v12, 29, v12
	v_and_b32_e32 v4, 7, v4
	v_cmp_eq_u16_e32 vcc, 0, v7
	v_cndmask_b32_e32 v3, v3, v4, vcc
	v_cndmask_b32_e32 v4, v8, v12, vcc
	v_mov_b32_e32 v7, 0x3b800000
	v_lshlrev_b32_e32 v3, 20, v3
	v_lshl_add_u32 v4, v4, 23, v7
	v_or3_b32 v3, v6, v4, v3
.LBB5_1760:
	s_or_b64 exec, exec, s[6:7]
	s_nop 0
	v_mfma_f32_16x16x4f32 a[0:3], v2, v3, a[0:3]
	s_movk_i32 s4, 0x7f
	v_cmp_gt_i16_sdwa s[6:7], v9, s4 src0_sel:BYTE_0 src1_sel:DWORD
	s_mov_b64 s[4:5], 0
                                        ; implicit-def: $sgpr10
	s_and_saveexec_b64 s[8:9], s[6:7]
	s_xor_b64 s[6:7], exec, s[8:9]
	s_cbranch_execnz .LBB5_3809
; %bb.1761:
	s_or_saveexec_b64 s[6:7], s[6:7]
	v_mov_b32_e32 v2, s10
	s_xor_b64 exec, exec, s[6:7]
	s_cbranch_execnz .LBB5_3812
.LBB5_1762:
	s_or_b64 exec, exec, s[6:7]
	s_and_saveexec_b64 s[6:7], s[4:5]
	s_cbranch_execz .LBB5_1764
.LBB5_1763:
	v_mov_b32_e32 v2, 8
	v_and_b32_e32 v3, 7, v9
	v_lshrrev_b32_sdwa v2, v2, v9 dst_sel:BYTE_1 dst_unused:UNUSED_PAD src0_sel:DWORD src1_sel:DWORD
	v_ffbh_u32_e32 v4, v3
	v_or_b32_sdwa v2, v9, v2 dst_sel:DWORD dst_unused:UNUSED_PAD src0_sel:BYTE_0 src1_sel:DWORD
	v_min_u32_e32 v4, 32, v4
	v_lshrrev_b16_e32 v2, 3, v2
	v_subrev_u32_e32 v6, 28, v4
	v_and_b32_e32 v2, 15, v2
	v_lshlrev_b32_e32 v6, v6, v9
	v_sub_u32_e32 v4, 29, v4
	v_and_b32_e32 v6, 7, v6
	v_cmp_eq_u16_e32 vcc, 0, v2
	v_cndmask_b32_e32 v3, v3, v6, vcc
	v_cndmask_b32_e32 v2, v2, v4, vcc
	v_lshlrev_b32_e32 v4, 24, v9
	v_mov_b32_e32 v6, 0x3b800000
	v_lshlrev_b32_e32 v3, 20, v3
	v_and_b32_e32 v4, 0x80000000, v4
	v_lshl_add_u32 v2, v2, 23, v6
	v_or3_b32 v2, v4, v2, v3
.LBB5_1764:
	s_or_b64 exec, exec, s[6:7]
	s_movk_i32 s4, 0x7f
	v_cmp_gt_i16_sdwa s[6:7], v5, s4 src0_sel:BYTE_0 src1_sel:DWORD
	s_mov_b64 s[4:5], 0
                                        ; implicit-def: $sgpr10
	s_and_saveexec_b64 s[8:9], s[6:7]
	s_xor_b64 s[6:7], exec, s[8:9]
	s_cbranch_execnz .LBB5_3813
; %bb.1765:
	s_or_saveexec_b64 s[6:7], s[6:7]
	v_mov_b32_e32 v3, s10
	s_xor_b64 exec, exec, s[6:7]
	s_cbranch_execnz .LBB5_3816
.LBB5_1766:
	s_or_b64 exec, exec, s[6:7]
	s_and_saveexec_b64 s[6:7], s[4:5]
	s_cbranch_execz .LBB5_1768
.LBB5_1767:
	v_mov_b32_e32 v3, 8
	v_and_b32_e32 v4, 7, v5
	v_lshrrev_b32_sdwa v3, v3, v5 dst_sel:BYTE_1 dst_unused:UNUSED_PAD src0_sel:DWORD src1_sel:DWORD
	v_ffbh_u32_e32 v6, v4
	v_or_b32_sdwa v3, v5, v3 dst_sel:DWORD dst_unused:UNUSED_PAD src0_sel:BYTE_0 src1_sel:DWORD
	v_min_u32_e32 v6, 32, v6
	v_lshrrev_b16_e32 v3, 3, v3
	v_subrev_u32_e32 v7, 28, v6
	v_and_b32_e32 v3, 15, v3
	v_lshlrev_b32_e32 v7, v7, v5
	v_sub_u32_e32 v6, 29, v6
	v_and_b32_e32 v7, 7, v7
	v_cmp_eq_u16_e32 vcc, 0, v3
	v_cndmask_b32_e32 v4, v4, v7, vcc
	v_cndmask_b32_e32 v3, v3, v6, vcc
	v_lshlrev_b32_e32 v6, 24, v5
	v_mov_b32_e32 v7, 0x3b800000
	v_lshlrev_b32_e32 v4, 20, v4
	v_and_b32_e32 v6, 0x80000000, v6
	v_lshl_add_u32 v3, v3, 23, v7
	v_or3_b32 v3, v6, v3, v4
.LBB5_1768:
	s_or_b64 exec, exec, s[6:7]
	s_nop 0
	v_mfma_f32_16x16x4f32 a[0:3], v2, v3, a[0:3]
	v_lshrrev_b32_e32 v3, 8, v9
	s_movk_i32 s4, 0x7f
	v_cmp_gt_i16_sdwa s[6:7], v3, s4 src0_sel:BYTE_0 src1_sel:DWORD
	s_mov_b64 s[4:5], 0
                                        ; implicit-def: $sgpr10
	s_and_saveexec_b64 s[8:9], s[6:7]
	s_xor_b64 s[6:7], exec, s[8:9]
	s_cbranch_execnz .LBB5_3817
; %bb.1769:
	s_or_saveexec_b64 s[6:7], s[6:7]
	v_mov_b32_e32 v2, s10
	s_xor_b64 exec, exec, s[6:7]
	s_cbranch_execnz .LBB5_3820
.LBB5_1770:
	s_or_b64 exec, exec, s[6:7]
	s_and_saveexec_b64 s[6:7], s[4:5]
	s_cbranch_execz .LBB5_1772
.LBB5_1771:
	v_bfe_u32 v2, v9, 8, 3
	v_ffbh_u32_e32 v6, v2
	v_min_u32_e32 v6, 32, v6
	v_lshrrev_b16_e32 v4, 3, v3
	v_subrev_u32_e32 v7, 28, v6
	v_and_b32_e32 v4, 15, v4
	v_lshlrev_b32_e32 v3, v7, v3
	v_sub_u32_e32 v6, 29, v6
	v_and_b32_e32 v3, 7, v3
	v_cmp_eq_u16_e32 vcc, 0, v4
	v_cndmask_b32_e32 v2, v2, v3, vcc
	v_cndmask_b32_e32 v3, v4, v6, vcc
	v_lshlrev_b32_e32 v4, 16, v9
	v_mov_b32_e32 v6, 0x3b800000
	v_lshlrev_b32_e32 v2, 20, v2
	v_and_b32_e32 v4, 0x80000000, v4
	v_lshl_add_u32 v3, v3, 23, v6
	v_or3_b32 v2, v4, v3, v2
.LBB5_1772:
	s_or_b64 exec, exec, s[6:7]
	v_lshrrev_b32_e32 v3, 8, v5
	s_movk_i32 s4, 0x7f
	v_cmp_gt_i16_sdwa s[6:7], v3, s4 src0_sel:BYTE_0 src1_sel:DWORD
	s_mov_b64 s[4:5], 0
                                        ; implicit-def: $sgpr10
	s_and_saveexec_b64 s[8:9], s[6:7]
	s_xor_b64 s[6:7], exec, s[8:9]
	s_cbranch_execnz .LBB5_3821
; %bb.1773:
	s_or_saveexec_b64 s[6:7], s[6:7]
	v_mov_b32_e32 v4, s10
	s_xor_b64 exec, exec, s[6:7]
	s_cbranch_execnz .LBB5_3824
.LBB5_1774:
	s_or_b64 exec, exec, s[6:7]
	s_and_saveexec_b64 s[6:7], s[4:5]
	s_cbranch_execz .LBB5_1776
.LBB5_1775:
	v_bfe_u32 v4, v5, 8, 3
	v_ffbh_u32_e32 v7, v4
	v_min_u32_e32 v7, 32, v7
	v_lshrrev_b16_e32 v6, 3, v3
	v_subrev_u32_e32 v8, 28, v7
	v_and_b32_e32 v6, 15, v6
	v_lshlrev_b32_e32 v3, v8, v3
	v_sub_u32_e32 v7, 29, v7
	v_and_b32_e32 v3, 7, v3
	v_cmp_eq_u16_e32 vcc, 0, v6
	v_cndmask_b32_e32 v3, v4, v3, vcc
	v_cndmask_b32_e32 v4, v6, v7, vcc
	v_lshlrev_b32_e32 v6, 16, v5
	v_mov_b32_e32 v7, 0x3b800000
	v_lshlrev_b32_e32 v3, 20, v3
	v_and_b32_e32 v6, 0x80000000, v6
	v_lshl_add_u32 v4, v4, 23, v7
	v_or3_b32 v4, v6, v4, v3
.LBB5_1776:
	s_or_b64 exec, exec, s[6:7]
	s_nop 0
	v_mfma_f32_16x16x4f32 a[0:3], v2, v4, a[0:3]
	s_movk_i32 s4, 0xff
	v_and_b32_sdwa v3, v9, s4 dst_sel:DWORD dst_unused:UNUSED_PAD src0_sel:WORD_1 src1_sel:DWORD
	s_movk_i32 s4, 0x7f
	v_cmp_lt_i16_e32 vcc, s4, v3
	s_mov_b64 s[4:5], 0
                                        ; implicit-def: $sgpr10
	s_and_saveexec_b64 s[6:7], vcc
	s_xor_b64 s[6:7], exec, s[6:7]
	s_cbranch_execnz .LBB5_3825
; %bb.1777:
	s_or_saveexec_b64 s[6:7], s[6:7]
	v_mov_b32_e32 v2, s10
	s_xor_b64 exec, exec, s[6:7]
	s_cbranch_execnz .LBB5_3828
.LBB5_1778:
	s_or_b64 exec, exec, s[6:7]
	s_and_saveexec_b64 s[6:7], s[4:5]
	s_cbranch_execz .LBB5_1780
.LBB5_1779:
	v_bfe_u32 v2, v9, 16, 3
	v_ffbh_u32_e32 v6, v2
	v_min_u32_e32 v6, 32, v6
	v_lshrrev_b32_e32 v3, 19, v9
	v_subrev_u32_e32 v7, 28, v6
	v_and_b32_e32 v3, 15, v3
	v_lshlrev_b32_sdwa v7, v7, v9 dst_sel:DWORD dst_unused:UNUSED_PAD src0_sel:DWORD src1_sel:WORD_1
	v_bfe_u32 v4, v9, 19, 4
	v_sub_u32_e32 v6, 29, v6
	v_and_b32_e32 v7, 7, v7
	v_cmp_eq_u16_e32 vcc, 0, v3
	v_cndmask_b32_e32 v2, v2, v7, vcc
	v_cndmask_b32_e32 v3, v4, v6, vcc
	v_lshlrev_b32_e32 v4, 8, v9
	v_mov_b32_e32 v6, 0x3b800000
	v_lshlrev_b32_e32 v2, 20, v2
	v_and_b32_e32 v4, 0x80000000, v4
	v_lshl_add_u32 v3, v3, 23, v6
	v_or3_b32 v2, v4, v3, v2
.LBB5_1780:
	s_or_b64 exec, exec, s[6:7]
	s_movk_i32 s4, 0xff
	v_and_b32_sdwa v3, v5, s4 dst_sel:DWORD dst_unused:UNUSED_PAD src0_sel:WORD_1 src1_sel:DWORD
	s_movk_i32 s4, 0x7f
	v_cmp_lt_i16_e32 vcc, s4, v3
	s_mov_b64 s[4:5], 0
                                        ; implicit-def: $sgpr10
	s_and_saveexec_b64 s[6:7], vcc
	s_xor_b64 s[6:7], exec, s[6:7]
	s_cbranch_execnz .LBB5_3829
; %bb.1781:
	s_or_saveexec_b64 s[6:7], s[6:7]
	v_mov_b32_e32 v4, s10
	s_xor_b64 exec, exec, s[6:7]
	s_cbranch_execnz .LBB5_3832
.LBB5_1782:
	s_or_b64 exec, exec, s[6:7]
	s_and_saveexec_b64 s[6:7], s[4:5]
	s_cbranch_execz .LBB5_1784
.LBB5_1783:
	v_bfe_u32 v3, v5, 16, 3
	v_ffbh_u32_e32 v7, v3
	v_min_u32_e32 v7, 32, v7
	v_lshrrev_b32_e32 v4, 19, v5
	v_subrev_u32_e32 v8, 28, v7
	v_and_b32_e32 v4, 15, v4
	v_lshlrev_b32_sdwa v8, v8, v5 dst_sel:DWORD dst_unused:UNUSED_PAD src0_sel:DWORD src1_sel:WORD_1
	v_bfe_u32 v6, v5, 19, 4
	v_sub_u32_e32 v7, 29, v7
	v_and_b32_e32 v8, 7, v8
	v_cmp_eq_u16_e32 vcc, 0, v4
	v_cndmask_b32_e32 v3, v3, v8, vcc
	v_cndmask_b32_e32 v4, v6, v7, vcc
	v_lshlrev_b32_e32 v6, 8, v5
	v_mov_b32_e32 v7, 0x3b800000
	v_lshlrev_b32_e32 v3, 20, v3
	v_and_b32_e32 v6, 0x80000000, v6
	v_lshl_add_u32 v4, v4, 23, v7
	v_or3_b32 v4, v6, v4, v3
.LBB5_1784:
	s_or_b64 exec, exec, s[6:7]
	s_nop 0
	v_mfma_f32_16x16x4f32 a[0:3], v2, v4, a[0:3]
	s_movk_i32 s4, 0x7f
	v_cmp_gt_i16_sdwa s[6:7], v9, s4 src0_sel:BYTE_3 src1_sel:DWORD
	s_mov_b64 s[4:5], 0
                                        ; implicit-def: $sgpr10
	s_and_saveexec_b64 s[8:9], s[6:7]
	s_xor_b64 s[6:7], exec, s[8:9]
	s_cbranch_execnz .LBB5_3833
; %bb.1785:
	s_or_saveexec_b64 s[6:7], s[6:7]
	v_mov_b32_e32 v2, s10
	s_xor_b64 exec, exec, s[6:7]
	s_cbranch_execnz .LBB5_3836
.LBB5_1786:
	s_or_b64 exec, exec, s[6:7]
	s_and_saveexec_b64 s[6:7], s[4:5]
	s_cbranch_execz .LBB5_1788
.LBB5_1787:
	v_bfe_u32 v2, v9, 24, 3
	v_ffbh_u32_e32 v7, v2
	v_min_u32_e32 v7, 32, v7
	v_lshrrev_b32_e32 v4, 27, v9
	v_subrev_u32_e32 v8, 28, v7
	v_and_b32_e32 v4, 15, v4
	v_lshlrev_b32_sdwa v8, v8, v9 dst_sel:DWORD dst_unused:UNUSED_PAD src0_sel:DWORD src1_sel:BYTE_3
	v_bfe_u32 v6, v9, 27, 4
	v_sub_u32_e32 v7, 29, v7
	v_and_b32_e32 v8, 7, v8
	v_cmp_eq_u16_e32 vcc, 0, v4
	v_cndmask_b32_e32 v2, v2, v8, vcc
	v_cndmask_b32_e32 v4, v6, v7, vcc
	v_mov_b32_e32 v6, 0x3b800000
	v_and_b32_e32 v3, 0x80000000, v9
	v_lshlrev_b32_e32 v2, 20, v2
	v_lshl_add_u32 v4, v4, 23, v6
	v_or3_b32 v2, v3, v4, v2
.LBB5_1788:
	s_or_b64 exec, exec, s[6:7]
	s_movk_i32 s4, 0x7f
	v_cmp_gt_i16_sdwa s[6:7], v5, s4 src0_sel:BYTE_3 src1_sel:DWORD
	s_mov_b64 s[4:5], 0
                                        ; implicit-def: $sgpr10
	s_and_saveexec_b64 s[8:9], s[6:7]
	s_xor_b64 s[6:7], exec, s[8:9]
	s_cbranch_execnz .LBB5_3837
; %bb.1789:
	s_or_saveexec_b64 s[6:7], s[6:7]
	v_mov_b32_e32 v3, s10
	s_xor_b64 exec, exec, s[6:7]
	s_cbranch_execnz .LBB5_3840
.LBB5_1790:
	s_or_b64 exec, exec, s[6:7]
	s_and_saveexec_b64 s[6:7], s[4:5]
	s_cbranch_execz .LBB5_1792
.LBB5_1791:
	v_bfe_u32 v3, v5, 24, 3
	v_ffbh_u32_e32 v8, v3
	v_min_u32_e32 v8, 32, v8
	v_lshrrev_b32_e32 v6, 27, v5
	v_subrev_u32_e32 v9, 28, v8
	v_and_b32_e32 v4, 0x80000000, v5
	v_and_b32_e32 v6, 15, v6
	v_bfe_u32 v7, v5, 27, 4
	v_lshlrev_b32_sdwa v5, v9, v5 dst_sel:DWORD dst_unused:UNUSED_PAD src0_sel:DWORD src1_sel:BYTE_3
	v_sub_u32_e32 v8, 29, v8
	v_and_b32_e32 v5, 7, v5
	v_cmp_eq_u16_e32 vcc, 0, v6
	v_cndmask_b32_e32 v3, v3, v5, vcc
	v_cndmask_b32_e32 v5, v7, v8, vcc
	v_mov_b32_e32 v6, 0x3b800000
	v_lshlrev_b32_e32 v3, 20, v3
	v_lshl_add_u32 v5, v5, 23, v6
	v_or3_b32 v3, v4, v5, v3
.LBB5_1792:
	s_or_b64 exec, exec, s[6:7]
	s_nop 0
	v_mfma_f32_16x16x4f32 a[0:3], v2, v3, a[0:3]
	s_movk_i32 s4, 0x7f
                                        ; implicit-def: $sgpr10
	s_nop 7
	s_nop 1
	flat_store_dwordx4 v[10:11], a[0:3] offset:208
	flat_load_dwordx4 v[12:15], v[0:1] offset:8
	s_nop 0
	flat_load_dwordx2 v[10:11], v[0:1] offset:32
	s_waitcnt vmcnt(0) lgkmcnt(0)
	flat_load_dwordx4 v[6:9], v[12:13] offset:96
	flat_load_dwordx4 v[2:5], v[14:15] offset:64
	s_waitcnt vmcnt(0) lgkmcnt(0)
	v_cmp_gt_i16_sdwa s[6:7], v6, s4 src0_sel:BYTE_0 src1_sel:DWORD
	s_mov_b64 s[4:5], 0
	s_and_saveexec_b64 s[8:9], s[6:7]
	s_xor_b64 s[6:7], exec, s[8:9]
	s_cbranch_execnz .LBB5_3841
; %bb.1793:
	s_or_saveexec_b64 s[6:7], s[6:7]
	v_mov_b32_e32 v12, s10
	s_xor_b64 exec, exec, s[6:7]
	s_cbranch_execnz .LBB5_3844
.LBB5_1794:
	s_or_b64 exec, exec, s[6:7]
	s_and_saveexec_b64 s[6:7], s[4:5]
	s_cbranch_execz .LBB5_1796
.LBB5_1795:
	v_and_b32_e32 v12, 7, v6
	v_ffbh_u32_e32 v14, v12
	v_min_u32_e32 v14, 32, v14
	v_lshrrev_b16_e32 v13, 3, v6
	v_subrev_u32_e32 v15, 28, v14
	v_and_b32_e32 v13, 15, v13
	v_lshlrev_b32_e32 v15, v15, v6
	v_sub_u32_e32 v14, 29, v14
	v_and_b32_e32 v15, 7, v15
	v_cmp_eq_u16_e32 vcc, 0, v13
	v_cndmask_b32_e32 v12, v12, v15, vcc
	v_cndmask_b32_e32 v13, v13, v14, vcc
	v_lshlrev_b32_e32 v14, 24, v6
	v_mov_b32_e32 v15, 0x3b800000
	v_lshlrev_b32_e32 v12, 20, v12
	v_and_b32_e32 v14, 0x80000000, v14
	v_lshl_add_u32 v13, v13, 23, v15
	v_or3_b32 v12, v14, v13, v12
.LBB5_1796:
	s_or_b64 exec, exec, s[6:7]
	s_movk_i32 s4, 0x7f
	v_cmp_gt_i16_sdwa s[6:7], v2, s4 src0_sel:BYTE_0 src1_sel:DWORD
	s_mov_b64 s[4:5], 0
                                        ; implicit-def: $sgpr10
	s_and_saveexec_b64 s[8:9], s[6:7]
	s_xor_b64 s[6:7], exec, s[8:9]
	s_cbranch_execnz .LBB5_3845
; %bb.1797:
	s_or_saveexec_b64 s[6:7], s[6:7]
	v_mov_b32_e32 v13, s10
	s_xor_b64 exec, exec, s[6:7]
	s_cbranch_execnz .LBB5_3848
.LBB5_1798:
	s_or_b64 exec, exec, s[6:7]
	s_and_saveexec_b64 s[6:7], s[4:5]
	s_cbranch_execz .LBB5_1800
.LBB5_1799:
	v_and_b32_e32 v13, 7, v2
	v_ffbh_u32_e32 v15, v13
	v_min_u32_e32 v15, 32, v15
	v_lshrrev_b16_e32 v14, 3, v2
	v_subrev_u32_e32 v16, 28, v15
	v_and_b32_e32 v14, 15, v14
	v_lshlrev_b32_e32 v16, v16, v2
	v_sub_u32_e32 v15, 29, v15
	v_and_b32_e32 v16, 7, v16
	v_cmp_eq_u16_e32 vcc, 0, v14
	v_cndmask_b32_e32 v13, v13, v16, vcc
	v_cndmask_b32_e32 v14, v14, v15, vcc
	v_lshlrev_b32_e32 v15, 24, v2
	v_mov_b32_e32 v16, 0x3b800000
	v_lshlrev_b32_e32 v13, 20, v13
	v_and_b32_e32 v15, 0x80000000, v15
	v_lshl_add_u32 v14, v14, 23, v16
	v_or3_b32 v13, v15, v14, v13
.LBB5_1800:
	s_or_b64 exec, exec, s[6:7]
	flat_load_dwordx4 a[0:3], v[10:11] offset:224
	s_movk_i32 s4, 0x7f
                                        ; implicit-def: $sgpr10
	s_waitcnt vmcnt(0) lgkmcnt(0)
	v_mfma_f32_16x16x4f32 a[0:3], v12, v13, a[0:3]
	v_lshrrev_b32_e32 v13, 8, v6
	v_cmp_gt_i16_sdwa s[6:7], v13, s4 src0_sel:BYTE_0 src1_sel:DWORD
	s_mov_b64 s[4:5], 0
	s_and_saveexec_b64 s[8:9], s[6:7]
	s_xor_b64 s[6:7], exec, s[8:9]
	s_cbranch_execnz .LBB5_3849
; %bb.1801:
	s_or_saveexec_b64 s[6:7], s[6:7]
	v_mov_b32_e32 v12, s10
	s_xor_b64 exec, exec, s[6:7]
	s_cbranch_execnz .LBB5_3852
.LBB5_1802:
	s_or_b64 exec, exec, s[6:7]
	s_and_saveexec_b64 s[6:7], s[4:5]
	s_cbranch_execz .LBB5_1804
.LBB5_1803:
	v_bfe_u32 v12, v6, 8, 3
	v_ffbh_u32_e32 v15, v12
	v_min_u32_e32 v15, 32, v15
	v_lshrrev_b16_e32 v14, 3, v13
	v_subrev_u32_e32 v16, 28, v15
	v_and_b32_e32 v14, 15, v14
	v_lshlrev_b32_e32 v13, v16, v13
	v_sub_u32_e32 v15, 29, v15
	v_and_b32_e32 v13, 7, v13
	v_cmp_eq_u16_e32 vcc, 0, v14
	v_cndmask_b32_e32 v12, v12, v13, vcc
	v_cndmask_b32_e32 v13, v14, v15, vcc
	v_lshlrev_b32_e32 v14, 16, v6
	v_mov_b32_e32 v15, 0x3b800000
	v_lshlrev_b32_e32 v12, 20, v12
	v_and_b32_e32 v14, 0x80000000, v14
	v_lshl_add_u32 v13, v13, 23, v15
	v_or3_b32 v12, v14, v13, v12
.LBB5_1804:
	s_or_b64 exec, exec, s[6:7]
	v_lshrrev_b32_e32 v13, 8, v2
	s_movk_i32 s4, 0x7f
	v_cmp_gt_i16_sdwa s[6:7], v13, s4 src0_sel:BYTE_0 src1_sel:DWORD
	s_mov_b64 s[4:5], 0
                                        ; implicit-def: $sgpr10
	s_and_saveexec_b64 s[8:9], s[6:7]
	s_xor_b64 s[6:7], exec, s[8:9]
	s_cbranch_execnz .LBB5_3853
; %bb.1805:
	s_or_saveexec_b64 s[6:7], s[6:7]
	v_mov_b32_e32 v14, s10
	s_xor_b64 exec, exec, s[6:7]
	s_cbranch_execnz .LBB5_3856
.LBB5_1806:
	s_or_b64 exec, exec, s[6:7]
	s_and_saveexec_b64 s[6:7], s[4:5]
	s_cbranch_execz .LBB5_1808
.LBB5_1807:
	v_bfe_u32 v14, v2, 8, 3
	v_ffbh_u32_e32 v16, v14
	v_min_u32_e32 v16, 32, v16
	v_lshrrev_b16_e32 v15, 3, v13
	v_subrev_u32_e32 v17, 28, v16
	v_and_b32_e32 v15, 15, v15
	v_lshlrev_b32_e32 v13, v17, v13
	v_sub_u32_e32 v16, 29, v16
	v_and_b32_e32 v13, 7, v13
	v_cmp_eq_u16_e32 vcc, 0, v15
	v_cndmask_b32_e32 v13, v14, v13, vcc
	v_cndmask_b32_e32 v14, v15, v16, vcc
	v_lshlrev_b32_e32 v15, 16, v2
	v_mov_b32_e32 v16, 0x3b800000
	v_lshlrev_b32_e32 v13, 20, v13
	v_and_b32_e32 v15, 0x80000000, v15
	v_lshl_add_u32 v14, v14, 23, v16
	v_or3_b32 v14, v15, v14, v13
.LBB5_1808:
	s_or_b64 exec, exec, s[6:7]
	s_nop 0
	v_mfma_f32_16x16x4f32 a[0:3], v12, v14, a[0:3]
	s_movk_i32 s4, 0xff
	v_and_b32_sdwa v13, v6, s4 dst_sel:DWORD dst_unused:UNUSED_PAD src0_sel:WORD_1 src1_sel:DWORD
	s_movk_i32 s4, 0x7f
	v_cmp_lt_i16_e32 vcc, s4, v13
	s_mov_b64 s[4:5], 0
                                        ; implicit-def: $sgpr10
	s_and_saveexec_b64 s[6:7], vcc
	s_xor_b64 s[6:7], exec, s[6:7]
	s_cbranch_execnz .LBB5_3857
; %bb.1809:
	s_or_saveexec_b64 s[6:7], s[6:7]
	v_mov_b32_e32 v12, s10
	s_xor_b64 exec, exec, s[6:7]
	s_cbranch_execnz .LBB5_3860
.LBB5_1810:
	s_or_b64 exec, exec, s[6:7]
	s_and_saveexec_b64 s[6:7], s[4:5]
	s_cbranch_execz .LBB5_1812
.LBB5_1811:
	v_bfe_u32 v12, v6, 16, 3
	v_ffbh_u32_e32 v15, v12
	v_min_u32_e32 v15, 32, v15
	v_lshrrev_b32_e32 v13, 19, v6
	v_subrev_u32_e32 v16, 28, v15
	v_and_b32_e32 v13, 15, v13
	v_lshlrev_b32_sdwa v16, v16, v6 dst_sel:DWORD dst_unused:UNUSED_PAD src0_sel:DWORD src1_sel:WORD_1
	v_bfe_u32 v14, v6, 19, 4
	v_sub_u32_e32 v15, 29, v15
	v_and_b32_e32 v16, 7, v16
	v_cmp_eq_u16_e32 vcc, 0, v13
	v_cndmask_b32_e32 v12, v12, v16, vcc
	v_cndmask_b32_e32 v13, v14, v15, vcc
	v_lshlrev_b32_e32 v14, 8, v6
	v_mov_b32_e32 v15, 0x3b800000
	v_lshlrev_b32_e32 v12, 20, v12
	v_and_b32_e32 v14, 0x80000000, v14
	v_lshl_add_u32 v13, v13, 23, v15
	v_or3_b32 v12, v14, v13, v12
.LBB5_1812:
	s_or_b64 exec, exec, s[6:7]
	s_movk_i32 s4, 0xff
	v_and_b32_sdwa v13, v2, s4 dst_sel:DWORD dst_unused:UNUSED_PAD src0_sel:WORD_1 src1_sel:DWORD
	s_movk_i32 s4, 0x7f
	v_cmp_lt_i16_e32 vcc, s4, v13
	s_mov_b64 s[4:5], 0
                                        ; implicit-def: $sgpr10
	s_and_saveexec_b64 s[6:7], vcc
	s_xor_b64 s[6:7], exec, s[6:7]
	s_cbranch_execnz .LBB5_3861
; %bb.1813:
	s_or_saveexec_b64 s[6:7], s[6:7]
	v_mov_b32_e32 v14, s10
	s_xor_b64 exec, exec, s[6:7]
	s_cbranch_execnz .LBB5_3864
.LBB5_1814:
	s_or_b64 exec, exec, s[6:7]
	s_and_saveexec_b64 s[6:7], s[4:5]
	s_cbranch_execz .LBB5_1816
.LBB5_1815:
	v_bfe_u32 v13, v2, 16, 3
	v_ffbh_u32_e32 v16, v13
	v_min_u32_e32 v16, 32, v16
	v_lshrrev_b32_e32 v14, 19, v2
	v_subrev_u32_e32 v17, 28, v16
	v_and_b32_e32 v14, 15, v14
	v_lshlrev_b32_sdwa v17, v17, v2 dst_sel:DWORD dst_unused:UNUSED_PAD src0_sel:DWORD src1_sel:WORD_1
	v_bfe_u32 v15, v2, 19, 4
	v_sub_u32_e32 v16, 29, v16
	v_and_b32_e32 v17, 7, v17
	v_cmp_eq_u16_e32 vcc, 0, v14
	v_cndmask_b32_e32 v13, v13, v17, vcc
	v_cndmask_b32_e32 v14, v15, v16, vcc
	v_lshlrev_b32_e32 v15, 8, v2
	v_mov_b32_e32 v16, 0x3b800000
	v_lshlrev_b32_e32 v13, 20, v13
	v_and_b32_e32 v15, 0x80000000, v15
	v_lshl_add_u32 v14, v14, 23, v16
	v_or3_b32 v14, v15, v14, v13
.LBB5_1816:
	s_or_b64 exec, exec, s[6:7]
	s_nop 0
	v_mfma_f32_16x16x4f32 a[0:3], v12, v14, a[0:3]
	s_movk_i32 s4, 0x7f
	v_cmp_gt_i16_sdwa s[6:7], v6, s4 src0_sel:BYTE_3 src1_sel:DWORD
	s_mov_b64 s[4:5], 0
                                        ; implicit-def: $sgpr10
	s_and_saveexec_b64 s[8:9], s[6:7]
	s_xor_b64 s[6:7], exec, s[8:9]
	s_cbranch_execnz .LBB5_3865
; %bb.1817:
	s_or_saveexec_b64 s[6:7], s[6:7]
	v_mov_b32_e32 v12, s10
	s_xor_b64 exec, exec, s[6:7]
	s_cbranch_execnz .LBB5_3868
.LBB5_1818:
	s_or_b64 exec, exec, s[6:7]
	s_and_saveexec_b64 s[6:7], s[4:5]
	s_cbranch_execz .LBB5_1820
.LBB5_1819:
	v_bfe_u32 v12, v6, 24, 3
	v_ffbh_u32_e32 v16, v12
	v_min_u32_e32 v16, 32, v16
	v_lshrrev_b32_e32 v14, 27, v6
	v_subrev_u32_e32 v17, 28, v16
	v_and_b32_e32 v13, 0x80000000, v6
	v_and_b32_e32 v14, 15, v14
	v_bfe_u32 v15, v6, 27, 4
	v_lshlrev_b32_sdwa v6, v17, v6 dst_sel:DWORD dst_unused:UNUSED_PAD src0_sel:DWORD src1_sel:BYTE_3
	v_sub_u32_e32 v16, 29, v16
	v_and_b32_e32 v6, 7, v6
	v_cmp_eq_u16_e32 vcc, 0, v14
	v_cndmask_b32_e32 v6, v12, v6, vcc
	v_cndmask_b32_e32 v12, v15, v16, vcc
	v_mov_b32_e32 v14, 0x3b800000
	v_lshlrev_b32_e32 v6, 20, v6
	v_lshl_add_u32 v12, v12, 23, v14
	v_or3_b32 v12, v13, v12, v6
.LBB5_1820:
	s_or_b64 exec, exec, s[6:7]
	s_movk_i32 s4, 0x7f
	v_cmp_gt_i16_sdwa s[6:7], v2, s4 src0_sel:BYTE_3 src1_sel:DWORD
	s_mov_b64 s[4:5], 0
                                        ; implicit-def: $sgpr10
	s_and_saveexec_b64 s[8:9], s[6:7]
	s_xor_b64 s[6:7], exec, s[8:9]
	s_cbranch_execnz .LBB5_3869
; %bb.1821:
	s_or_saveexec_b64 s[6:7], s[6:7]
	v_mov_b32_e32 v6, s10
	s_xor_b64 exec, exec, s[6:7]
	s_cbranch_execnz .LBB5_3872
.LBB5_1822:
	s_or_b64 exec, exec, s[6:7]
	s_and_saveexec_b64 s[6:7], s[4:5]
	s_cbranch_execz .LBB5_1824
.LBB5_1823:
	v_bfe_u32 v6, v2, 24, 3
	v_ffbh_u32_e32 v16, v6
	v_min_u32_e32 v16, 32, v16
	v_lshrrev_b32_e32 v14, 27, v2
	v_subrev_u32_e32 v17, 28, v16
	v_and_b32_e32 v13, 0x80000000, v2
	v_and_b32_e32 v14, 15, v14
	v_bfe_u32 v15, v2, 27, 4
	v_lshlrev_b32_sdwa v2, v17, v2 dst_sel:DWORD dst_unused:UNUSED_PAD src0_sel:DWORD src1_sel:BYTE_3
	v_sub_u32_e32 v16, 29, v16
	v_and_b32_e32 v2, 7, v2
	v_cmp_eq_u16_e32 vcc, 0, v14
	v_cndmask_b32_e32 v2, v6, v2, vcc
	v_cndmask_b32_e32 v6, v15, v16, vcc
	v_mov_b32_e32 v14, 0x3b800000
	v_lshlrev_b32_e32 v2, 20, v2
	v_lshl_add_u32 v6, v6, 23, v14
	v_or3_b32 v6, v13, v6, v2
.LBB5_1824:
	s_or_b64 exec, exec, s[6:7]
	s_nop 0
	v_mfma_f32_16x16x4f32 a[0:3], v12, v6, a[0:3]
	s_movk_i32 s4, 0x7f
	v_cmp_gt_i16_sdwa s[6:7], v7, s4 src0_sel:BYTE_0 src1_sel:DWORD
	s_mov_b64 s[4:5], 0
                                        ; implicit-def: $sgpr10
	s_and_saveexec_b64 s[8:9], s[6:7]
	s_xor_b64 s[6:7], exec, s[8:9]
	s_cbranch_execnz .LBB5_3873
; %bb.1825:
	s_or_saveexec_b64 s[6:7], s[6:7]
	v_mov_b32_e32 v2, s10
	s_xor_b64 exec, exec, s[6:7]
	s_cbranch_execnz .LBB5_3876
.LBB5_1826:
	s_or_b64 exec, exec, s[6:7]
	s_and_saveexec_b64 s[6:7], s[4:5]
	s_cbranch_execz .LBB5_1828
.LBB5_1827:
	v_and_b32_e32 v2, 7, v7
	v_ffbh_u32_e32 v12, v2
	v_min_u32_e32 v12, 32, v12
	v_lshrrev_b16_e32 v6, 3, v7
	v_subrev_u32_e32 v13, 28, v12
	v_and_b32_e32 v6, 15, v6
	v_lshlrev_b32_e32 v13, v13, v7
	v_sub_u32_e32 v12, 29, v12
	v_and_b32_e32 v13, 7, v13
	v_cmp_eq_u16_e32 vcc, 0, v6
	v_cndmask_b32_e32 v2, v2, v13, vcc
	v_cndmask_b32_e32 v6, v6, v12, vcc
	v_lshlrev_b32_e32 v12, 24, v7
	v_mov_b32_e32 v13, 0x3b800000
	v_lshlrev_b32_e32 v2, 20, v2
	v_and_b32_e32 v12, 0x80000000, v12
	v_lshl_add_u32 v6, v6, 23, v13
	v_or3_b32 v2, v12, v6, v2
.LBB5_1828:
	s_or_b64 exec, exec, s[6:7]
	s_movk_i32 s4, 0x7f
	v_cmp_gt_i16_sdwa s[6:7], v3, s4 src0_sel:BYTE_0 src1_sel:DWORD
	s_mov_b64 s[4:5], 0
                                        ; implicit-def: $sgpr10
	s_and_saveexec_b64 s[8:9], s[6:7]
	s_xor_b64 s[6:7], exec, s[8:9]
	s_cbranch_execnz .LBB5_3877
; %bb.1829:
	s_or_saveexec_b64 s[6:7], s[6:7]
	v_mov_b32_e32 v6, s10
	s_xor_b64 exec, exec, s[6:7]
	s_cbranch_execnz .LBB5_3880
.LBB5_1830:
	s_or_b64 exec, exec, s[6:7]
	s_and_saveexec_b64 s[6:7], s[4:5]
	s_cbranch_execz .LBB5_1832
.LBB5_1831:
	v_and_b32_e32 v6, 7, v3
	v_ffbh_u32_e32 v13, v6
	v_min_u32_e32 v13, 32, v13
	v_lshrrev_b16_e32 v12, 3, v3
	v_subrev_u32_e32 v14, 28, v13
	v_and_b32_e32 v12, 15, v12
	v_lshlrev_b32_e32 v14, v14, v3
	v_sub_u32_e32 v13, 29, v13
	v_and_b32_e32 v14, 7, v14
	v_cmp_eq_u16_e32 vcc, 0, v12
	v_cndmask_b32_e32 v6, v6, v14, vcc
	v_cndmask_b32_e32 v12, v12, v13, vcc
	v_lshlrev_b32_e32 v13, 24, v3
	v_mov_b32_e32 v14, 0x3b800000
	v_lshlrev_b32_e32 v6, 20, v6
	v_and_b32_e32 v13, 0x80000000, v13
	v_lshl_add_u32 v12, v12, 23, v14
	v_or3_b32 v6, v13, v12, v6
.LBB5_1832:
	s_or_b64 exec, exec, s[6:7]
	s_nop 0
	v_mfma_f32_16x16x4f32 a[0:3], v2, v6, a[0:3]
	v_lshrrev_b32_e32 v6, 8, v7
	s_movk_i32 s4, 0x7f
	v_cmp_gt_i16_sdwa s[6:7], v6, s4 src0_sel:BYTE_0 src1_sel:DWORD
	s_mov_b64 s[4:5], 0
                                        ; implicit-def: $sgpr10
	s_and_saveexec_b64 s[8:9], s[6:7]
	s_xor_b64 s[6:7], exec, s[8:9]
	s_cbranch_execnz .LBB5_3881
; %bb.1833:
	s_or_saveexec_b64 s[6:7], s[6:7]
	v_mov_b32_e32 v2, s10
	s_xor_b64 exec, exec, s[6:7]
	s_cbranch_execnz .LBB5_3884
.LBB5_1834:
	s_or_b64 exec, exec, s[6:7]
	s_and_saveexec_b64 s[6:7], s[4:5]
	s_cbranch_execz .LBB5_1836
.LBB5_1835:
	v_bfe_u32 v2, v7, 8, 3
	v_ffbh_u32_e32 v13, v2
	v_min_u32_e32 v13, 32, v13
	v_lshrrev_b16_e32 v12, 3, v6
	v_subrev_u32_e32 v14, 28, v13
	v_and_b32_e32 v12, 15, v12
	v_lshlrev_b32_e32 v6, v14, v6
	v_sub_u32_e32 v13, 29, v13
	v_and_b32_e32 v6, 7, v6
	v_cmp_eq_u16_e32 vcc, 0, v12
	v_cndmask_b32_e32 v2, v2, v6, vcc
	v_cndmask_b32_e32 v6, v12, v13, vcc
	v_lshlrev_b32_e32 v12, 16, v7
	v_mov_b32_e32 v13, 0x3b800000
	v_lshlrev_b32_e32 v2, 20, v2
	v_and_b32_e32 v12, 0x80000000, v12
	v_lshl_add_u32 v6, v6, 23, v13
	v_or3_b32 v2, v12, v6, v2
.LBB5_1836:
	s_or_b64 exec, exec, s[6:7]
	v_lshrrev_b32_e32 v6, 8, v3
	s_movk_i32 s4, 0x7f
	v_cmp_gt_i16_sdwa s[6:7], v6, s4 src0_sel:BYTE_0 src1_sel:DWORD
	s_mov_b64 s[4:5], 0
                                        ; implicit-def: $sgpr10
	s_and_saveexec_b64 s[8:9], s[6:7]
	s_xor_b64 s[6:7], exec, s[8:9]
	s_cbranch_execnz .LBB5_3885
; %bb.1837:
	s_or_saveexec_b64 s[6:7], s[6:7]
	v_mov_b32_e32 v12, s10
	s_xor_b64 exec, exec, s[6:7]
	s_cbranch_execnz .LBB5_3888
.LBB5_1838:
	s_or_b64 exec, exec, s[6:7]
	s_and_saveexec_b64 s[6:7], s[4:5]
	s_cbranch_execz .LBB5_1840
.LBB5_1839:
	v_bfe_u32 v12, v3, 8, 3
	v_ffbh_u32_e32 v14, v12
	v_min_u32_e32 v14, 32, v14
	v_lshrrev_b16_e32 v13, 3, v6
	v_subrev_u32_e32 v15, 28, v14
	v_and_b32_e32 v13, 15, v13
	v_lshlrev_b32_e32 v6, v15, v6
	v_sub_u32_e32 v14, 29, v14
	v_and_b32_e32 v6, 7, v6
	v_cmp_eq_u16_e32 vcc, 0, v13
	v_cndmask_b32_e32 v6, v12, v6, vcc
	v_cndmask_b32_e32 v12, v13, v14, vcc
	v_lshlrev_b32_e32 v13, 16, v3
	v_mov_b32_e32 v14, 0x3b800000
	v_lshlrev_b32_e32 v6, 20, v6
	v_and_b32_e32 v13, 0x80000000, v13
	v_lshl_add_u32 v12, v12, 23, v14
	v_or3_b32 v12, v13, v12, v6
.LBB5_1840:
	s_or_b64 exec, exec, s[6:7]
	s_nop 0
	v_mfma_f32_16x16x4f32 a[0:3], v2, v12, a[0:3]
	s_movk_i32 s4, 0xff
	v_and_b32_sdwa v6, v7, s4 dst_sel:DWORD dst_unused:UNUSED_PAD src0_sel:WORD_1 src1_sel:DWORD
	s_movk_i32 s4, 0x7f
	v_cmp_lt_i16_e32 vcc, s4, v6
	s_mov_b64 s[4:5], 0
                                        ; implicit-def: $sgpr10
	s_and_saveexec_b64 s[6:7], vcc
	s_xor_b64 s[6:7], exec, s[6:7]
	s_cbranch_execnz .LBB5_3889
; %bb.1841:
	s_or_saveexec_b64 s[6:7], s[6:7]
	v_mov_b32_e32 v2, s10
	s_xor_b64 exec, exec, s[6:7]
	s_cbranch_execnz .LBB5_3892
.LBB5_1842:
	s_or_b64 exec, exec, s[6:7]
	s_and_saveexec_b64 s[6:7], s[4:5]
	s_cbranch_execz .LBB5_1844
.LBB5_1843:
	v_bfe_u32 v2, v7, 16, 3
	v_ffbh_u32_e32 v13, v2
	v_min_u32_e32 v13, 32, v13
	v_lshrrev_b32_e32 v6, 19, v7
	v_subrev_u32_e32 v14, 28, v13
	v_and_b32_e32 v6, 15, v6
	v_lshlrev_b32_sdwa v14, v14, v7 dst_sel:DWORD dst_unused:UNUSED_PAD src0_sel:DWORD src1_sel:WORD_1
	v_bfe_u32 v12, v7, 19, 4
	v_sub_u32_e32 v13, 29, v13
	v_and_b32_e32 v14, 7, v14
	v_cmp_eq_u16_e32 vcc, 0, v6
	v_cndmask_b32_e32 v2, v2, v14, vcc
	v_cndmask_b32_e32 v6, v12, v13, vcc
	v_lshlrev_b32_e32 v12, 8, v7
	v_mov_b32_e32 v13, 0x3b800000
	v_lshlrev_b32_e32 v2, 20, v2
	v_and_b32_e32 v12, 0x80000000, v12
	v_lshl_add_u32 v6, v6, 23, v13
	v_or3_b32 v2, v12, v6, v2
.LBB5_1844:
	s_or_b64 exec, exec, s[6:7]
	s_movk_i32 s4, 0xff
	v_and_b32_sdwa v6, v3, s4 dst_sel:DWORD dst_unused:UNUSED_PAD src0_sel:WORD_1 src1_sel:DWORD
	s_movk_i32 s4, 0x7f
	v_cmp_lt_i16_e32 vcc, s4, v6
	s_mov_b64 s[4:5], 0
                                        ; implicit-def: $sgpr10
	s_and_saveexec_b64 s[6:7], vcc
	s_xor_b64 s[6:7], exec, s[6:7]
	s_cbranch_execnz .LBB5_3893
; %bb.1845:
	s_or_saveexec_b64 s[6:7], s[6:7]
	v_mov_b32_e32 v12, s10
	s_xor_b64 exec, exec, s[6:7]
	s_cbranch_execnz .LBB5_3896
.LBB5_1846:
	s_or_b64 exec, exec, s[6:7]
	s_and_saveexec_b64 s[6:7], s[4:5]
	s_cbranch_execz .LBB5_1848
.LBB5_1847:
	v_bfe_u32 v6, v3, 16, 3
	v_ffbh_u32_e32 v14, v6
	v_min_u32_e32 v14, 32, v14
	v_lshrrev_b32_e32 v12, 19, v3
	v_subrev_u32_e32 v15, 28, v14
	v_and_b32_e32 v12, 15, v12
	v_lshlrev_b32_sdwa v15, v15, v3 dst_sel:DWORD dst_unused:UNUSED_PAD src0_sel:DWORD src1_sel:WORD_1
	v_bfe_u32 v13, v3, 19, 4
	v_sub_u32_e32 v14, 29, v14
	v_and_b32_e32 v15, 7, v15
	v_cmp_eq_u16_e32 vcc, 0, v12
	v_cndmask_b32_e32 v6, v6, v15, vcc
	v_cndmask_b32_e32 v12, v13, v14, vcc
	v_lshlrev_b32_e32 v13, 8, v3
	v_mov_b32_e32 v14, 0x3b800000
	v_lshlrev_b32_e32 v6, 20, v6
	v_and_b32_e32 v13, 0x80000000, v13
	v_lshl_add_u32 v12, v12, 23, v14
	v_or3_b32 v12, v13, v12, v6
.LBB5_1848:
	s_or_b64 exec, exec, s[6:7]
	s_nop 0
	v_mfma_f32_16x16x4f32 a[0:3], v2, v12, a[0:3]
	s_movk_i32 s4, 0x7f
	v_cmp_gt_i16_sdwa s[6:7], v7, s4 src0_sel:BYTE_3 src1_sel:DWORD
	s_mov_b64 s[4:5], 0
                                        ; implicit-def: $sgpr10
	s_and_saveexec_b64 s[8:9], s[6:7]
	s_xor_b64 s[6:7], exec, s[8:9]
	s_cbranch_execnz .LBB5_3897
; %bb.1849:
	s_or_saveexec_b64 s[6:7], s[6:7]
	v_mov_b32_e32 v2, s10
	s_xor_b64 exec, exec, s[6:7]
	s_cbranch_execnz .LBB5_3900
.LBB5_1850:
	s_or_b64 exec, exec, s[6:7]
	s_and_saveexec_b64 s[6:7], s[4:5]
	s_cbranch_execz .LBB5_1852
.LBB5_1851:
	v_bfe_u32 v2, v7, 24, 3
	v_ffbh_u32_e32 v14, v2
	v_min_u32_e32 v14, 32, v14
	v_lshrrev_b32_e32 v12, 27, v7
	v_subrev_u32_e32 v15, 28, v14
	v_and_b32_e32 v6, 0x80000000, v7
	v_and_b32_e32 v12, 15, v12
	v_bfe_u32 v13, v7, 27, 4
	v_lshlrev_b32_sdwa v7, v15, v7 dst_sel:DWORD dst_unused:UNUSED_PAD src0_sel:DWORD src1_sel:BYTE_3
	v_sub_u32_e32 v14, 29, v14
	v_and_b32_e32 v7, 7, v7
	v_cmp_eq_u16_e32 vcc, 0, v12
	v_cndmask_b32_e32 v2, v2, v7, vcc
	v_cndmask_b32_e32 v7, v13, v14, vcc
	v_mov_b32_e32 v12, 0x3b800000
	v_lshlrev_b32_e32 v2, 20, v2
	v_lshl_add_u32 v7, v7, 23, v12
	v_or3_b32 v2, v6, v7, v2
.LBB5_1852:
	s_or_b64 exec, exec, s[6:7]
	s_movk_i32 s4, 0x7f
	v_cmp_gt_i16_sdwa s[6:7], v3, s4 src0_sel:BYTE_3 src1_sel:DWORD
	s_mov_b64 s[4:5], 0
                                        ; implicit-def: $sgpr10
	s_and_saveexec_b64 s[8:9], s[6:7]
	s_xor_b64 s[6:7], exec, s[8:9]
	s_cbranch_execnz .LBB5_3901
; %bb.1853:
	s_or_saveexec_b64 s[6:7], s[6:7]
	v_mov_b32_e32 v6, s10
	s_xor_b64 exec, exec, s[6:7]
	s_cbranch_execnz .LBB5_3904
.LBB5_1854:
	s_or_b64 exec, exec, s[6:7]
	s_and_saveexec_b64 s[6:7], s[4:5]
	s_cbranch_execz .LBB5_1856
.LBB5_1855:
	v_bfe_u32 v6, v3, 24, 3
	v_ffbh_u32_e32 v14, v6
	v_min_u32_e32 v14, 32, v14
	v_lshrrev_b32_e32 v12, 27, v3
	v_subrev_u32_e32 v15, 28, v14
	v_and_b32_e32 v7, 0x80000000, v3
	v_and_b32_e32 v12, 15, v12
	v_bfe_u32 v13, v3, 27, 4
	v_lshlrev_b32_sdwa v3, v15, v3 dst_sel:DWORD dst_unused:UNUSED_PAD src0_sel:DWORD src1_sel:BYTE_3
	v_sub_u32_e32 v14, 29, v14
	v_and_b32_e32 v3, 7, v3
	v_cmp_eq_u16_e32 vcc, 0, v12
	v_cndmask_b32_e32 v3, v6, v3, vcc
	v_cndmask_b32_e32 v6, v13, v14, vcc
	v_mov_b32_e32 v12, 0x3b800000
	v_lshlrev_b32_e32 v3, 20, v3
	v_lshl_add_u32 v6, v6, 23, v12
	v_or3_b32 v6, v7, v6, v3
.LBB5_1856:
	s_or_b64 exec, exec, s[6:7]
	s_nop 0
	v_mfma_f32_16x16x4f32 a[0:3], v2, v6, a[0:3]
	s_movk_i32 s4, 0x7f
	v_cmp_gt_i16_sdwa s[6:7], v8, s4 src0_sel:BYTE_0 src1_sel:DWORD
	s_mov_b64 s[4:5], 0
                                        ; implicit-def: $sgpr10
	s_and_saveexec_b64 s[8:9], s[6:7]
	s_xor_b64 s[6:7], exec, s[8:9]
	s_cbranch_execnz .LBB5_3905
; %bb.1857:
	s_or_saveexec_b64 s[6:7], s[6:7]
	v_mov_b32_e32 v2, s10
	s_xor_b64 exec, exec, s[6:7]
	s_cbranch_execnz .LBB5_3908
.LBB5_1858:
	s_or_b64 exec, exec, s[6:7]
	s_and_saveexec_b64 s[6:7], s[4:5]
	s_cbranch_execz .LBB5_1860
.LBB5_1859:
	v_and_b32_e32 v2, 7, v8
	v_ffbh_u32_e32 v6, v2
	v_min_u32_e32 v6, 32, v6
	v_lshrrev_b16_e32 v3, 3, v8
	v_subrev_u32_e32 v7, 28, v6
	v_and_b32_e32 v3, 15, v3
	v_lshlrev_b32_e32 v7, v7, v8
	v_sub_u32_e32 v6, 29, v6
	v_and_b32_e32 v7, 7, v7
	v_cmp_eq_u16_e32 vcc, 0, v3
	v_cndmask_b32_e32 v2, v2, v7, vcc
	v_cndmask_b32_e32 v3, v3, v6, vcc
	v_lshlrev_b32_e32 v6, 24, v8
	v_mov_b32_e32 v7, 0x3b800000
	v_lshlrev_b32_e32 v2, 20, v2
	v_and_b32_e32 v6, 0x80000000, v6
	v_lshl_add_u32 v3, v3, 23, v7
	v_or3_b32 v2, v6, v3, v2
.LBB5_1860:
	s_or_b64 exec, exec, s[6:7]
	s_movk_i32 s4, 0x7f
	v_cmp_gt_i16_sdwa s[6:7], v4, s4 src0_sel:BYTE_0 src1_sel:DWORD
	s_mov_b64 s[4:5], 0
                                        ; implicit-def: $sgpr10
	s_and_saveexec_b64 s[8:9], s[6:7]
	s_xor_b64 s[6:7], exec, s[8:9]
	s_cbranch_execnz .LBB5_3909
; %bb.1861:
	s_or_saveexec_b64 s[6:7], s[6:7]
	v_mov_b32_e32 v3, s10
	s_xor_b64 exec, exec, s[6:7]
	s_cbranch_execnz .LBB5_3912
.LBB5_1862:
	s_or_b64 exec, exec, s[6:7]
	s_and_saveexec_b64 s[6:7], s[4:5]
	s_cbranch_execz .LBB5_1864
.LBB5_1863:
	v_and_b32_e32 v3, 7, v4
	v_ffbh_u32_e32 v7, v3
	v_min_u32_e32 v7, 32, v7
	v_lshrrev_b16_e32 v6, 3, v4
	v_subrev_u32_e32 v12, 28, v7
	v_and_b32_e32 v6, 15, v6
	v_lshlrev_b32_e32 v12, v12, v4
	v_sub_u32_e32 v7, 29, v7
	v_and_b32_e32 v12, 7, v12
	v_cmp_eq_u16_e32 vcc, 0, v6
	v_cndmask_b32_e32 v3, v3, v12, vcc
	v_cndmask_b32_e32 v6, v6, v7, vcc
	v_lshlrev_b32_e32 v7, 24, v4
	v_mov_b32_e32 v12, 0x3b800000
	v_lshlrev_b32_e32 v3, 20, v3
	v_and_b32_e32 v7, 0x80000000, v7
	v_lshl_add_u32 v6, v6, 23, v12
	v_or3_b32 v3, v7, v6, v3
.LBB5_1864:
	s_or_b64 exec, exec, s[6:7]
	s_nop 0
	v_mfma_f32_16x16x4f32 a[0:3], v2, v3, a[0:3]
	v_lshrrev_b32_e32 v3, 8, v8
	s_movk_i32 s4, 0x7f
	v_cmp_gt_i16_sdwa s[6:7], v3, s4 src0_sel:BYTE_0 src1_sel:DWORD
	s_mov_b64 s[4:5], 0
                                        ; implicit-def: $sgpr10
	s_and_saveexec_b64 s[8:9], s[6:7]
	s_xor_b64 s[6:7], exec, s[8:9]
	s_cbranch_execnz .LBB5_3913
; %bb.1865:
	s_or_saveexec_b64 s[6:7], s[6:7]
	v_mov_b32_e32 v2, s10
	s_xor_b64 exec, exec, s[6:7]
	s_cbranch_execnz .LBB5_3916
.LBB5_1866:
	s_or_b64 exec, exec, s[6:7]
	s_and_saveexec_b64 s[6:7], s[4:5]
	s_cbranch_execz .LBB5_1868
.LBB5_1867:
	v_bfe_u32 v2, v8, 8, 3
	v_ffbh_u32_e32 v7, v2
	v_min_u32_e32 v7, 32, v7
	v_lshrrev_b16_e32 v6, 3, v3
	v_subrev_u32_e32 v12, 28, v7
	v_and_b32_e32 v6, 15, v6
	v_lshlrev_b32_e32 v3, v12, v3
	v_sub_u32_e32 v7, 29, v7
	v_and_b32_e32 v3, 7, v3
	v_cmp_eq_u16_e32 vcc, 0, v6
	v_cndmask_b32_e32 v2, v2, v3, vcc
	v_cndmask_b32_e32 v3, v6, v7, vcc
	v_lshlrev_b32_e32 v6, 16, v8
	v_mov_b32_e32 v7, 0x3b800000
	v_lshlrev_b32_e32 v2, 20, v2
	v_and_b32_e32 v6, 0x80000000, v6
	v_lshl_add_u32 v3, v3, 23, v7
	v_or3_b32 v2, v6, v3, v2
.LBB5_1868:
	s_or_b64 exec, exec, s[6:7]
	v_lshrrev_b32_e32 v3, 8, v4
	s_movk_i32 s4, 0x7f
	v_cmp_gt_i16_sdwa s[6:7], v3, s4 src0_sel:BYTE_0 src1_sel:DWORD
	s_mov_b64 s[4:5], 0
                                        ; implicit-def: $sgpr10
	s_and_saveexec_b64 s[8:9], s[6:7]
	s_xor_b64 s[6:7], exec, s[8:9]
	s_cbranch_execnz .LBB5_3917
; %bb.1869:
	s_or_saveexec_b64 s[6:7], s[6:7]
	v_mov_b32_e32 v6, s10
	s_xor_b64 exec, exec, s[6:7]
	s_cbranch_execnz .LBB5_3920
.LBB5_1870:
	s_or_b64 exec, exec, s[6:7]
	s_and_saveexec_b64 s[6:7], s[4:5]
	s_cbranch_execz .LBB5_1872
.LBB5_1871:
	v_bfe_u32 v6, v4, 8, 3
	v_ffbh_u32_e32 v12, v6
	v_min_u32_e32 v12, 32, v12
	v_lshrrev_b16_e32 v7, 3, v3
	v_subrev_u32_e32 v13, 28, v12
	v_and_b32_e32 v7, 15, v7
	v_lshlrev_b32_e32 v3, v13, v3
	v_sub_u32_e32 v12, 29, v12
	v_and_b32_e32 v3, 7, v3
	v_cmp_eq_u16_e32 vcc, 0, v7
	v_cndmask_b32_e32 v3, v6, v3, vcc
	v_cndmask_b32_e32 v6, v7, v12, vcc
	v_lshlrev_b32_e32 v7, 16, v4
	v_mov_b32_e32 v12, 0x3b800000
	v_lshlrev_b32_e32 v3, 20, v3
	v_and_b32_e32 v7, 0x80000000, v7
	v_lshl_add_u32 v6, v6, 23, v12
	v_or3_b32 v6, v7, v6, v3
.LBB5_1872:
	s_or_b64 exec, exec, s[6:7]
	s_nop 0
	v_mfma_f32_16x16x4f32 a[0:3], v2, v6, a[0:3]
	s_movk_i32 s4, 0xff
	v_and_b32_sdwa v3, v8, s4 dst_sel:DWORD dst_unused:UNUSED_PAD src0_sel:WORD_1 src1_sel:DWORD
	s_movk_i32 s4, 0x7f
	v_cmp_lt_i16_e32 vcc, s4, v3
	s_mov_b64 s[4:5], 0
                                        ; implicit-def: $sgpr10
	s_and_saveexec_b64 s[6:7], vcc
	s_xor_b64 s[6:7], exec, s[6:7]
	s_cbranch_execnz .LBB5_3921
; %bb.1873:
	s_or_saveexec_b64 s[6:7], s[6:7]
	v_mov_b32_e32 v2, s10
	s_xor_b64 exec, exec, s[6:7]
	s_cbranch_execnz .LBB5_3924
.LBB5_1874:
	s_or_b64 exec, exec, s[6:7]
	s_and_saveexec_b64 s[6:7], s[4:5]
	s_cbranch_execz .LBB5_1876
.LBB5_1875:
	v_bfe_u32 v2, v8, 16, 3
	v_ffbh_u32_e32 v7, v2
	v_min_u32_e32 v7, 32, v7
	v_lshrrev_b32_e32 v3, 19, v8
	v_subrev_u32_e32 v12, 28, v7
	v_and_b32_e32 v3, 15, v3
	v_lshlrev_b32_sdwa v12, v12, v8 dst_sel:DWORD dst_unused:UNUSED_PAD src0_sel:DWORD src1_sel:WORD_1
	v_bfe_u32 v6, v8, 19, 4
	v_sub_u32_e32 v7, 29, v7
	v_and_b32_e32 v12, 7, v12
	v_cmp_eq_u16_e32 vcc, 0, v3
	v_cndmask_b32_e32 v2, v2, v12, vcc
	v_cndmask_b32_e32 v3, v6, v7, vcc
	v_lshlrev_b32_e32 v6, 8, v8
	v_mov_b32_e32 v7, 0x3b800000
	v_lshlrev_b32_e32 v2, 20, v2
	v_and_b32_e32 v6, 0x80000000, v6
	v_lshl_add_u32 v3, v3, 23, v7
	v_or3_b32 v2, v6, v3, v2
.LBB5_1876:
	s_or_b64 exec, exec, s[6:7]
	s_movk_i32 s4, 0xff
	v_and_b32_sdwa v3, v4, s4 dst_sel:DWORD dst_unused:UNUSED_PAD src0_sel:WORD_1 src1_sel:DWORD
	s_movk_i32 s4, 0x7f
	v_cmp_lt_i16_e32 vcc, s4, v3
	s_mov_b64 s[4:5], 0
                                        ; implicit-def: $sgpr10
	s_and_saveexec_b64 s[6:7], vcc
	s_xor_b64 s[6:7], exec, s[6:7]
	s_cbranch_execnz .LBB5_3925
; %bb.1877:
	s_or_saveexec_b64 s[6:7], s[6:7]
	v_mov_b32_e32 v6, s10
	s_xor_b64 exec, exec, s[6:7]
	s_cbranch_execnz .LBB5_3928
.LBB5_1878:
	s_or_b64 exec, exec, s[6:7]
	s_and_saveexec_b64 s[6:7], s[4:5]
	s_cbranch_execz .LBB5_1880
.LBB5_1879:
	v_bfe_u32 v3, v4, 16, 3
	v_ffbh_u32_e32 v12, v3
	v_min_u32_e32 v12, 32, v12
	v_lshrrev_b32_e32 v6, 19, v4
	v_subrev_u32_e32 v13, 28, v12
	v_and_b32_e32 v6, 15, v6
	v_lshlrev_b32_sdwa v13, v13, v4 dst_sel:DWORD dst_unused:UNUSED_PAD src0_sel:DWORD src1_sel:WORD_1
	v_bfe_u32 v7, v4, 19, 4
	v_sub_u32_e32 v12, 29, v12
	v_and_b32_e32 v13, 7, v13
	v_cmp_eq_u16_e32 vcc, 0, v6
	v_cndmask_b32_e32 v3, v3, v13, vcc
	v_cndmask_b32_e32 v6, v7, v12, vcc
	v_lshlrev_b32_e32 v7, 8, v4
	v_mov_b32_e32 v12, 0x3b800000
	v_lshlrev_b32_e32 v3, 20, v3
	v_and_b32_e32 v7, 0x80000000, v7
	v_lshl_add_u32 v6, v6, 23, v12
	v_or3_b32 v6, v7, v6, v3
.LBB5_1880:
	s_or_b64 exec, exec, s[6:7]
	s_nop 0
	v_mfma_f32_16x16x4f32 a[0:3], v2, v6, a[0:3]
	s_movk_i32 s4, 0x7f
	v_cmp_gt_i16_sdwa s[6:7], v8, s4 src0_sel:BYTE_3 src1_sel:DWORD
	s_mov_b64 s[4:5], 0
                                        ; implicit-def: $sgpr10
	s_and_saveexec_b64 s[8:9], s[6:7]
	s_xor_b64 s[6:7], exec, s[8:9]
	s_cbranch_execnz .LBB5_3929
; %bb.1881:
	s_or_saveexec_b64 s[6:7], s[6:7]
	v_mov_b32_e32 v2, s10
	s_xor_b64 exec, exec, s[6:7]
	s_cbranch_execnz .LBB5_3932
.LBB5_1882:
	s_or_b64 exec, exec, s[6:7]
	s_and_saveexec_b64 s[6:7], s[4:5]
	s_cbranch_execz .LBB5_1884
.LBB5_1883:
	v_bfe_u32 v2, v8, 24, 3
	v_ffbh_u32_e32 v12, v2
	v_min_u32_e32 v12, 32, v12
	v_lshrrev_b32_e32 v6, 27, v8
	v_subrev_u32_e32 v13, 28, v12
	v_and_b32_e32 v3, 0x80000000, v8
	v_and_b32_e32 v6, 15, v6
	v_bfe_u32 v7, v8, 27, 4
	v_lshlrev_b32_sdwa v8, v13, v8 dst_sel:DWORD dst_unused:UNUSED_PAD src0_sel:DWORD src1_sel:BYTE_3
	v_sub_u32_e32 v12, 29, v12
	v_and_b32_e32 v8, 7, v8
	v_cmp_eq_u16_e32 vcc, 0, v6
	v_cndmask_b32_e32 v2, v2, v8, vcc
	v_cndmask_b32_e32 v6, v7, v12, vcc
	v_mov_b32_e32 v7, 0x3b800000
	v_lshlrev_b32_e32 v2, 20, v2
	v_lshl_add_u32 v6, v6, 23, v7
	v_or3_b32 v2, v3, v6, v2
.LBB5_1884:
	s_or_b64 exec, exec, s[6:7]
	s_movk_i32 s4, 0x7f
	v_cmp_gt_i16_sdwa s[6:7], v4, s4 src0_sel:BYTE_3 src1_sel:DWORD
	s_mov_b64 s[4:5], 0
                                        ; implicit-def: $sgpr10
	s_and_saveexec_b64 s[8:9], s[6:7]
	s_xor_b64 s[6:7], exec, s[8:9]
	s_cbranch_execnz .LBB5_3933
; %bb.1885:
	s_or_saveexec_b64 s[6:7], s[6:7]
	v_mov_b32_e32 v3, s10
	s_xor_b64 exec, exec, s[6:7]
	s_cbranch_execnz .LBB5_3936
.LBB5_1886:
	s_or_b64 exec, exec, s[6:7]
	s_and_saveexec_b64 s[6:7], s[4:5]
	s_cbranch_execz .LBB5_1888
.LBB5_1887:
	v_bfe_u32 v3, v4, 24, 3
	v_ffbh_u32_e32 v12, v3
	v_min_u32_e32 v12, 32, v12
	v_lshrrev_b32_e32 v7, 27, v4
	v_subrev_u32_e32 v13, 28, v12
	v_and_b32_e32 v6, 0x80000000, v4
	v_and_b32_e32 v7, 15, v7
	v_bfe_u32 v8, v4, 27, 4
	v_lshlrev_b32_sdwa v4, v13, v4 dst_sel:DWORD dst_unused:UNUSED_PAD src0_sel:DWORD src1_sel:BYTE_3
	v_sub_u32_e32 v12, 29, v12
	v_and_b32_e32 v4, 7, v4
	v_cmp_eq_u16_e32 vcc, 0, v7
	v_cndmask_b32_e32 v3, v3, v4, vcc
	v_cndmask_b32_e32 v4, v8, v12, vcc
	v_mov_b32_e32 v7, 0x3b800000
	v_lshlrev_b32_e32 v3, 20, v3
	v_lshl_add_u32 v4, v4, 23, v7
	v_or3_b32 v3, v6, v4, v3
.LBB5_1888:
	s_or_b64 exec, exec, s[6:7]
	s_nop 0
	v_mfma_f32_16x16x4f32 a[0:3], v2, v3, a[0:3]
	s_movk_i32 s4, 0x7f
	v_cmp_gt_i16_sdwa s[6:7], v9, s4 src0_sel:BYTE_0 src1_sel:DWORD
	s_mov_b64 s[4:5], 0
                                        ; implicit-def: $sgpr10
	s_and_saveexec_b64 s[8:9], s[6:7]
	s_xor_b64 s[6:7], exec, s[8:9]
	s_cbranch_execnz .LBB5_3937
; %bb.1889:
	s_or_saveexec_b64 s[6:7], s[6:7]
	v_mov_b32_e32 v2, s10
	s_xor_b64 exec, exec, s[6:7]
	s_cbranch_execnz .LBB5_3940
.LBB5_1890:
	s_or_b64 exec, exec, s[6:7]
	s_and_saveexec_b64 s[6:7], s[4:5]
	s_cbranch_execz .LBB5_1892
.LBB5_1891:
	v_mov_b32_e32 v2, 8
	v_and_b32_e32 v3, 7, v9
	v_lshrrev_b32_sdwa v2, v2, v9 dst_sel:BYTE_1 dst_unused:UNUSED_PAD src0_sel:DWORD src1_sel:DWORD
	v_ffbh_u32_e32 v4, v3
	v_or_b32_sdwa v2, v9, v2 dst_sel:DWORD dst_unused:UNUSED_PAD src0_sel:BYTE_0 src1_sel:DWORD
	v_min_u32_e32 v4, 32, v4
	v_lshrrev_b16_e32 v2, 3, v2
	v_subrev_u32_e32 v6, 28, v4
	v_and_b32_e32 v2, 15, v2
	v_lshlrev_b32_e32 v6, v6, v9
	v_sub_u32_e32 v4, 29, v4
	v_and_b32_e32 v6, 7, v6
	v_cmp_eq_u16_e32 vcc, 0, v2
	v_cndmask_b32_e32 v3, v3, v6, vcc
	v_cndmask_b32_e32 v2, v2, v4, vcc
	v_lshlrev_b32_e32 v4, 24, v9
	v_mov_b32_e32 v6, 0x3b800000
	v_lshlrev_b32_e32 v3, 20, v3
	v_and_b32_e32 v4, 0x80000000, v4
	v_lshl_add_u32 v2, v2, 23, v6
	v_or3_b32 v2, v4, v2, v3
.LBB5_1892:
	s_or_b64 exec, exec, s[6:7]
	s_movk_i32 s4, 0x7f
	v_cmp_gt_i16_sdwa s[6:7], v5, s4 src0_sel:BYTE_0 src1_sel:DWORD
	s_mov_b64 s[4:5], 0
                                        ; implicit-def: $sgpr10
	s_and_saveexec_b64 s[8:9], s[6:7]
	s_xor_b64 s[6:7], exec, s[8:9]
	s_cbranch_execnz .LBB5_3941
; %bb.1893:
	s_or_saveexec_b64 s[6:7], s[6:7]
	v_mov_b32_e32 v3, s10
	s_xor_b64 exec, exec, s[6:7]
	s_cbranch_execnz .LBB5_3944
.LBB5_1894:
	s_or_b64 exec, exec, s[6:7]
	s_and_saveexec_b64 s[6:7], s[4:5]
	s_cbranch_execz .LBB5_1896
.LBB5_1895:
	v_mov_b32_e32 v3, 8
	v_and_b32_e32 v4, 7, v5
	v_lshrrev_b32_sdwa v3, v3, v5 dst_sel:BYTE_1 dst_unused:UNUSED_PAD src0_sel:DWORD src1_sel:DWORD
	v_ffbh_u32_e32 v6, v4
	v_or_b32_sdwa v3, v5, v3 dst_sel:DWORD dst_unused:UNUSED_PAD src0_sel:BYTE_0 src1_sel:DWORD
	v_min_u32_e32 v6, 32, v6
	v_lshrrev_b16_e32 v3, 3, v3
	v_subrev_u32_e32 v7, 28, v6
	v_and_b32_e32 v3, 15, v3
	v_lshlrev_b32_e32 v7, v7, v5
	v_sub_u32_e32 v6, 29, v6
	v_and_b32_e32 v7, 7, v7
	v_cmp_eq_u16_e32 vcc, 0, v3
	v_cndmask_b32_e32 v4, v4, v7, vcc
	v_cndmask_b32_e32 v3, v3, v6, vcc
	v_lshlrev_b32_e32 v6, 24, v5
	v_mov_b32_e32 v7, 0x3b800000
	v_lshlrev_b32_e32 v4, 20, v4
	v_and_b32_e32 v6, 0x80000000, v6
	v_lshl_add_u32 v3, v3, 23, v7
	v_or3_b32 v3, v6, v3, v4
.LBB5_1896:
	s_or_b64 exec, exec, s[6:7]
	s_nop 0
	v_mfma_f32_16x16x4f32 a[0:3], v2, v3, a[0:3]
	v_lshrrev_b32_e32 v3, 8, v9
	s_movk_i32 s4, 0x7f
	v_cmp_gt_i16_sdwa s[6:7], v3, s4 src0_sel:BYTE_0 src1_sel:DWORD
	s_mov_b64 s[4:5], 0
                                        ; implicit-def: $sgpr10
	s_and_saveexec_b64 s[8:9], s[6:7]
	s_xor_b64 s[6:7], exec, s[8:9]
	s_cbranch_execnz .LBB5_3945
; %bb.1897:
	s_or_saveexec_b64 s[6:7], s[6:7]
	v_mov_b32_e32 v2, s10
	s_xor_b64 exec, exec, s[6:7]
	s_cbranch_execnz .LBB5_3948
.LBB5_1898:
	s_or_b64 exec, exec, s[6:7]
	s_and_saveexec_b64 s[6:7], s[4:5]
	s_cbranch_execz .LBB5_1900
.LBB5_1899:
	v_bfe_u32 v2, v9, 8, 3
	v_ffbh_u32_e32 v6, v2
	v_min_u32_e32 v6, 32, v6
	v_lshrrev_b16_e32 v4, 3, v3
	v_subrev_u32_e32 v7, 28, v6
	v_and_b32_e32 v4, 15, v4
	v_lshlrev_b32_e32 v3, v7, v3
	v_sub_u32_e32 v6, 29, v6
	v_and_b32_e32 v3, 7, v3
	v_cmp_eq_u16_e32 vcc, 0, v4
	v_cndmask_b32_e32 v2, v2, v3, vcc
	v_cndmask_b32_e32 v3, v4, v6, vcc
	v_lshlrev_b32_e32 v4, 16, v9
	v_mov_b32_e32 v6, 0x3b800000
	v_lshlrev_b32_e32 v2, 20, v2
	v_and_b32_e32 v4, 0x80000000, v4
	v_lshl_add_u32 v3, v3, 23, v6
	v_or3_b32 v2, v4, v3, v2
.LBB5_1900:
	s_or_b64 exec, exec, s[6:7]
	v_lshrrev_b32_e32 v3, 8, v5
	s_movk_i32 s4, 0x7f
	v_cmp_gt_i16_sdwa s[6:7], v3, s4 src0_sel:BYTE_0 src1_sel:DWORD
	s_mov_b64 s[4:5], 0
                                        ; implicit-def: $sgpr10
	s_and_saveexec_b64 s[8:9], s[6:7]
	s_xor_b64 s[6:7], exec, s[8:9]
	s_cbranch_execnz .LBB5_3949
; %bb.1901:
	s_or_saveexec_b64 s[6:7], s[6:7]
	v_mov_b32_e32 v4, s10
	s_xor_b64 exec, exec, s[6:7]
	s_cbranch_execnz .LBB5_3952
.LBB5_1902:
	s_or_b64 exec, exec, s[6:7]
	s_and_saveexec_b64 s[6:7], s[4:5]
	s_cbranch_execz .LBB5_1904
.LBB5_1903:
	v_bfe_u32 v4, v5, 8, 3
	v_ffbh_u32_e32 v7, v4
	v_min_u32_e32 v7, 32, v7
	v_lshrrev_b16_e32 v6, 3, v3
	v_subrev_u32_e32 v8, 28, v7
	v_and_b32_e32 v6, 15, v6
	v_lshlrev_b32_e32 v3, v8, v3
	v_sub_u32_e32 v7, 29, v7
	v_and_b32_e32 v3, 7, v3
	v_cmp_eq_u16_e32 vcc, 0, v6
	v_cndmask_b32_e32 v3, v4, v3, vcc
	v_cndmask_b32_e32 v4, v6, v7, vcc
	v_lshlrev_b32_e32 v6, 16, v5
	v_mov_b32_e32 v7, 0x3b800000
	v_lshlrev_b32_e32 v3, 20, v3
	v_and_b32_e32 v6, 0x80000000, v6
	v_lshl_add_u32 v4, v4, 23, v7
	v_or3_b32 v4, v6, v4, v3
.LBB5_1904:
	s_or_b64 exec, exec, s[6:7]
	s_nop 0
	v_mfma_f32_16x16x4f32 a[0:3], v2, v4, a[0:3]
	s_movk_i32 s4, 0xff
	v_and_b32_sdwa v3, v9, s4 dst_sel:DWORD dst_unused:UNUSED_PAD src0_sel:WORD_1 src1_sel:DWORD
	s_movk_i32 s4, 0x7f
	v_cmp_lt_i16_e32 vcc, s4, v3
	s_mov_b64 s[4:5], 0
                                        ; implicit-def: $sgpr10
	s_and_saveexec_b64 s[6:7], vcc
	s_xor_b64 s[6:7], exec, s[6:7]
	s_cbranch_execnz .LBB5_3953
; %bb.1905:
	s_or_saveexec_b64 s[6:7], s[6:7]
	v_mov_b32_e32 v2, s10
	s_xor_b64 exec, exec, s[6:7]
	s_cbranch_execnz .LBB5_3956
.LBB5_1906:
	s_or_b64 exec, exec, s[6:7]
	s_and_saveexec_b64 s[6:7], s[4:5]
	s_cbranch_execz .LBB5_1908
.LBB5_1907:
	v_bfe_u32 v2, v9, 16, 3
	v_ffbh_u32_e32 v6, v2
	v_min_u32_e32 v6, 32, v6
	v_lshrrev_b32_e32 v3, 19, v9
	v_subrev_u32_e32 v7, 28, v6
	v_and_b32_e32 v3, 15, v3
	v_lshlrev_b32_sdwa v7, v7, v9 dst_sel:DWORD dst_unused:UNUSED_PAD src0_sel:DWORD src1_sel:WORD_1
	v_bfe_u32 v4, v9, 19, 4
	v_sub_u32_e32 v6, 29, v6
	v_and_b32_e32 v7, 7, v7
	v_cmp_eq_u16_e32 vcc, 0, v3
	v_cndmask_b32_e32 v2, v2, v7, vcc
	v_cndmask_b32_e32 v3, v4, v6, vcc
	v_lshlrev_b32_e32 v4, 8, v9
	v_mov_b32_e32 v6, 0x3b800000
	v_lshlrev_b32_e32 v2, 20, v2
	v_and_b32_e32 v4, 0x80000000, v4
	v_lshl_add_u32 v3, v3, 23, v6
	v_or3_b32 v2, v4, v3, v2
.LBB5_1908:
	s_or_b64 exec, exec, s[6:7]
	s_movk_i32 s4, 0xff
	v_and_b32_sdwa v3, v5, s4 dst_sel:DWORD dst_unused:UNUSED_PAD src0_sel:WORD_1 src1_sel:DWORD
	s_movk_i32 s4, 0x7f
	v_cmp_lt_i16_e32 vcc, s4, v3
	s_mov_b64 s[4:5], 0
                                        ; implicit-def: $sgpr10
	s_and_saveexec_b64 s[6:7], vcc
	s_xor_b64 s[6:7], exec, s[6:7]
	s_cbranch_execnz .LBB5_3957
; %bb.1909:
	s_or_saveexec_b64 s[6:7], s[6:7]
	v_mov_b32_e32 v4, s10
	s_xor_b64 exec, exec, s[6:7]
	s_cbranch_execnz .LBB5_3960
.LBB5_1910:
	s_or_b64 exec, exec, s[6:7]
	s_and_saveexec_b64 s[6:7], s[4:5]
	s_cbranch_execz .LBB5_1912
.LBB5_1911:
	v_bfe_u32 v3, v5, 16, 3
	v_ffbh_u32_e32 v7, v3
	v_min_u32_e32 v7, 32, v7
	v_lshrrev_b32_e32 v4, 19, v5
	v_subrev_u32_e32 v8, 28, v7
	v_and_b32_e32 v4, 15, v4
	v_lshlrev_b32_sdwa v8, v8, v5 dst_sel:DWORD dst_unused:UNUSED_PAD src0_sel:DWORD src1_sel:WORD_1
	v_bfe_u32 v6, v5, 19, 4
	v_sub_u32_e32 v7, 29, v7
	v_and_b32_e32 v8, 7, v8
	v_cmp_eq_u16_e32 vcc, 0, v4
	v_cndmask_b32_e32 v3, v3, v8, vcc
	v_cndmask_b32_e32 v4, v6, v7, vcc
	v_lshlrev_b32_e32 v6, 8, v5
	v_mov_b32_e32 v7, 0x3b800000
	v_lshlrev_b32_e32 v3, 20, v3
	v_and_b32_e32 v6, 0x80000000, v6
	v_lshl_add_u32 v4, v4, 23, v7
	v_or3_b32 v4, v6, v4, v3
.LBB5_1912:
	s_or_b64 exec, exec, s[6:7]
	s_nop 0
	v_mfma_f32_16x16x4f32 a[0:3], v2, v4, a[0:3]
	s_movk_i32 s4, 0x7f
	v_cmp_gt_i16_sdwa s[6:7], v9, s4 src0_sel:BYTE_3 src1_sel:DWORD
	s_mov_b64 s[4:5], 0
                                        ; implicit-def: $sgpr10
	s_and_saveexec_b64 s[8:9], s[6:7]
	s_xor_b64 s[6:7], exec, s[8:9]
	s_cbranch_execnz .LBB5_3961
; %bb.1913:
	s_or_saveexec_b64 s[6:7], s[6:7]
	v_mov_b32_e32 v2, s10
	s_xor_b64 exec, exec, s[6:7]
	s_cbranch_execnz .LBB5_3964
.LBB5_1914:
	s_or_b64 exec, exec, s[6:7]
	s_and_saveexec_b64 s[6:7], s[4:5]
	s_cbranch_execz .LBB5_1916
.LBB5_1915:
	v_bfe_u32 v2, v9, 24, 3
	v_ffbh_u32_e32 v7, v2
	v_min_u32_e32 v7, 32, v7
	v_lshrrev_b32_e32 v4, 27, v9
	v_subrev_u32_e32 v8, 28, v7
	v_and_b32_e32 v4, 15, v4
	v_lshlrev_b32_sdwa v8, v8, v9 dst_sel:DWORD dst_unused:UNUSED_PAD src0_sel:DWORD src1_sel:BYTE_3
	v_bfe_u32 v6, v9, 27, 4
	v_sub_u32_e32 v7, 29, v7
	v_and_b32_e32 v8, 7, v8
	v_cmp_eq_u16_e32 vcc, 0, v4
	v_cndmask_b32_e32 v2, v2, v8, vcc
	v_cndmask_b32_e32 v4, v6, v7, vcc
	v_mov_b32_e32 v6, 0x3b800000
	v_and_b32_e32 v3, 0x80000000, v9
	v_lshlrev_b32_e32 v2, 20, v2
	v_lshl_add_u32 v4, v4, 23, v6
	v_or3_b32 v2, v3, v4, v2
.LBB5_1916:
	s_or_b64 exec, exec, s[6:7]
	s_movk_i32 s4, 0x7f
	v_cmp_gt_i16_sdwa s[6:7], v5, s4 src0_sel:BYTE_3 src1_sel:DWORD
	s_mov_b64 s[4:5], 0
                                        ; implicit-def: $sgpr10
	s_and_saveexec_b64 s[8:9], s[6:7]
	s_xor_b64 s[6:7], exec, s[8:9]
	s_cbranch_execnz .LBB5_3965
; %bb.1917:
	s_or_saveexec_b64 s[6:7], s[6:7]
	v_mov_b32_e32 v3, s10
	s_xor_b64 exec, exec, s[6:7]
	s_cbranch_execnz .LBB5_3968
.LBB5_1918:
	s_or_b64 exec, exec, s[6:7]
	s_and_saveexec_b64 s[6:7], s[4:5]
	s_cbranch_execz .LBB5_1920
.LBB5_1919:
	v_bfe_u32 v3, v5, 24, 3
	v_ffbh_u32_e32 v8, v3
	v_min_u32_e32 v8, 32, v8
	v_lshrrev_b32_e32 v6, 27, v5
	v_subrev_u32_e32 v9, 28, v8
	v_and_b32_e32 v4, 0x80000000, v5
	v_and_b32_e32 v6, 15, v6
	v_bfe_u32 v7, v5, 27, 4
	v_lshlrev_b32_sdwa v5, v9, v5 dst_sel:DWORD dst_unused:UNUSED_PAD src0_sel:DWORD src1_sel:BYTE_3
	v_sub_u32_e32 v8, 29, v8
	v_and_b32_e32 v5, 7, v5
	v_cmp_eq_u16_e32 vcc, 0, v6
	v_cndmask_b32_e32 v3, v3, v5, vcc
	v_cndmask_b32_e32 v5, v7, v8, vcc
	v_mov_b32_e32 v6, 0x3b800000
	v_lshlrev_b32_e32 v3, 20, v3
	v_lshl_add_u32 v5, v5, 23, v6
	v_or3_b32 v3, v4, v5, v3
.LBB5_1920:
	s_or_b64 exec, exec, s[6:7]
	s_nop 0
	v_mfma_f32_16x16x4f32 a[0:3], v2, v3, a[0:3]
	s_movk_i32 s4, 0x7f
                                        ; implicit-def: $sgpr10
	s_nop 7
	s_nop 1
	flat_store_dwordx4 v[10:11], a[0:3] offset:224
	flat_load_dwordx4 v[10:13], v[0:1] offset:8
	s_nop 0
	flat_load_dwordx2 v[8:9], v[0:1] offset:32
	s_waitcnt vmcnt(0) lgkmcnt(0)
	flat_load_dwordx4 v[4:7], v[10:11] offset:96
	flat_load_dwordx4 v[0:3], v[12:13] offset:96
	s_waitcnt vmcnt(0) lgkmcnt(0)
	v_cmp_gt_i16_sdwa s[6:7], v4, s4 src0_sel:BYTE_0 src1_sel:DWORD
	s_mov_b64 s[4:5], 0
	s_and_saveexec_b64 s[8:9], s[6:7]
	s_xor_b64 s[6:7], exec, s[8:9]
	s_cbranch_execnz .LBB5_3969
; %bb.1921:
	s_or_saveexec_b64 s[6:7], s[6:7]
	v_mov_b32_e32 v10, s10
	s_xor_b64 exec, exec, s[6:7]
	s_cbranch_execnz .LBB5_3972
.LBB5_1922:
	s_or_b64 exec, exec, s[6:7]
	s_and_saveexec_b64 s[6:7], s[4:5]
	s_cbranch_execz .LBB5_1924
.LBB5_1923:
	v_and_b32_e32 v10, 7, v4
	v_ffbh_u32_e32 v12, v10
	v_min_u32_e32 v12, 32, v12
	v_lshrrev_b16_e32 v11, 3, v4
	v_subrev_u32_e32 v13, 28, v12
	v_and_b32_e32 v11, 15, v11
	v_lshlrev_b32_e32 v13, v13, v4
	v_sub_u32_e32 v12, 29, v12
	v_and_b32_e32 v13, 7, v13
	v_cmp_eq_u16_e32 vcc, 0, v11
	v_cndmask_b32_e32 v10, v10, v13, vcc
	v_cndmask_b32_e32 v11, v11, v12, vcc
	v_lshlrev_b32_e32 v12, 24, v4
	v_mov_b32_e32 v13, 0x3b800000
	v_lshlrev_b32_e32 v10, 20, v10
	v_and_b32_e32 v12, 0x80000000, v12
	v_lshl_add_u32 v11, v11, 23, v13
	v_or3_b32 v10, v12, v11, v10
.LBB5_1924:
	s_or_b64 exec, exec, s[6:7]
	s_movk_i32 s4, 0x7f
	v_cmp_gt_i16_sdwa s[6:7], v0, s4 src0_sel:BYTE_0 src1_sel:DWORD
	s_mov_b64 s[4:5], 0
                                        ; implicit-def: $sgpr10
	s_and_saveexec_b64 s[8:9], s[6:7]
	s_xor_b64 s[6:7], exec, s[8:9]
	s_cbranch_execnz .LBB5_3973
; %bb.1925:
	s_or_saveexec_b64 s[6:7], s[6:7]
	v_mov_b32_e32 v11, s10
	s_xor_b64 exec, exec, s[6:7]
	s_cbranch_execnz .LBB5_3976
.LBB5_1926:
	s_or_b64 exec, exec, s[6:7]
	s_and_saveexec_b64 s[6:7], s[4:5]
	s_cbranch_execz .LBB5_1928
.LBB5_1927:
	v_and_b32_e32 v11, 7, v0
	v_ffbh_u32_e32 v13, v11
	v_min_u32_e32 v13, 32, v13
	v_lshrrev_b16_e32 v12, 3, v0
	v_subrev_u32_e32 v14, 28, v13
	v_and_b32_e32 v12, 15, v12
	v_lshlrev_b32_e32 v14, v14, v0
	v_sub_u32_e32 v13, 29, v13
	v_and_b32_e32 v14, 7, v14
	v_cmp_eq_u16_e32 vcc, 0, v12
	v_cndmask_b32_e32 v11, v11, v14, vcc
	v_cndmask_b32_e32 v12, v12, v13, vcc
	v_lshlrev_b32_e32 v13, 24, v0
	v_mov_b32_e32 v14, 0x3b800000
	v_lshlrev_b32_e32 v11, 20, v11
	v_and_b32_e32 v13, 0x80000000, v13
	v_lshl_add_u32 v12, v12, 23, v14
	v_or3_b32 v11, v13, v12, v11
.LBB5_1928:
	s_or_b64 exec, exec, s[6:7]
	flat_load_dwordx4 a[0:3], v[8:9] offset:240
	s_movk_i32 s4, 0x7f
                                        ; implicit-def: $sgpr10
	s_waitcnt vmcnt(0) lgkmcnt(0)
	v_mfma_f32_16x16x4f32 a[0:3], v10, v11, a[0:3]
	v_lshrrev_b32_e32 v11, 8, v4
	v_cmp_gt_i16_sdwa s[6:7], v11, s4 src0_sel:BYTE_0 src1_sel:DWORD
	s_mov_b64 s[4:5], 0
	s_and_saveexec_b64 s[8:9], s[6:7]
	s_xor_b64 s[6:7], exec, s[8:9]
	s_cbranch_execnz .LBB5_3977
; %bb.1929:
	s_or_saveexec_b64 s[6:7], s[6:7]
	v_mov_b32_e32 v10, s10
	s_xor_b64 exec, exec, s[6:7]
	s_cbranch_execnz .LBB5_3980
.LBB5_1930:
	s_or_b64 exec, exec, s[6:7]
	s_and_saveexec_b64 s[6:7], s[4:5]
	s_cbranch_execz .LBB5_1932
.LBB5_1931:
	v_bfe_u32 v10, v4, 8, 3
	v_ffbh_u32_e32 v13, v10
	v_min_u32_e32 v13, 32, v13
	v_lshrrev_b16_e32 v12, 3, v11
	v_subrev_u32_e32 v14, 28, v13
	v_and_b32_e32 v12, 15, v12
	v_lshlrev_b32_e32 v11, v14, v11
	v_sub_u32_e32 v13, 29, v13
	v_and_b32_e32 v11, 7, v11
	v_cmp_eq_u16_e32 vcc, 0, v12
	v_cndmask_b32_e32 v10, v10, v11, vcc
	v_cndmask_b32_e32 v11, v12, v13, vcc
	v_lshlrev_b32_e32 v12, 16, v4
	v_mov_b32_e32 v13, 0x3b800000
	v_lshlrev_b32_e32 v10, 20, v10
	v_and_b32_e32 v12, 0x80000000, v12
	v_lshl_add_u32 v11, v11, 23, v13
	v_or3_b32 v10, v12, v11, v10
.LBB5_1932:
	s_or_b64 exec, exec, s[6:7]
	v_lshrrev_b32_e32 v11, 8, v0
	s_movk_i32 s4, 0x7f
	v_cmp_gt_i16_sdwa s[6:7], v11, s4 src0_sel:BYTE_0 src1_sel:DWORD
	s_mov_b64 s[4:5], 0
                                        ; implicit-def: $sgpr10
	s_and_saveexec_b64 s[8:9], s[6:7]
	s_xor_b64 s[6:7], exec, s[8:9]
	s_cbranch_execnz .LBB5_3981
; %bb.1933:
	s_or_saveexec_b64 s[6:7], s[6:7]
	v_mov_b32_e32 v12, s10
	s_xor_b64 exec, exec, s[6:7]
	s_cbranch_execnz .LBB5_3984
.LBB5_1934:
	s_or_b64 exec, exec, s[6:7]
	s_and_saveexec_b64 s[6:7], s[4:5]
	s_cbranch_execz .LBB5_1936
.LBB5_1935:
	v_bfe_u32 v12, v0, 8, 3
	v_ffbh_u32_e32 v14, v12
	v_min_u32_e32 v14, 32, v14
	v_lshrrev_b16_e32 v13, 3, v11
	v_subrev_u32_e32 v15, 28, v14
	v_and_b32_e32 v13, 15, v13
	v_lshlrev_b32_e32 v11, v15, v11
	v_sub_u32_e32 v14, 29, v14
	v_and_b32_e32 v11, 7, v11
	v_cmp_eq_u16_e32 vcc, 0, v13
	v_cndmask_b32_e32 v11, v12, v11, vcc
	v_cndmask_b32_e32 v12, v13, v14, vcc
	v_lshlrev_b32_e32 v13, 16, v0
	v_mov_b32_e32 v14, 0x3b800000
	v_lshlrev_b32_e32 v11, 20, v11
	v_and_b32_e32 v13, 0x80000000, v13
	v_lshl_add_u32 v12, v12, 23, v14
	v_or3_b32 v12, v13, v12, v11
.LBB5_1936:
	s_or_b64 exec, exec, s[6:7]
	s_nop 0
	v_mfma_f32_16x16x4f32 a[0:3], v10, v12, a[0:3]
	s_movk_i32 s4, 0xff
	v_and_b32_sdwa v11, v4, s4 dst_sel:DWORD dst_unused:UNUSED_PAD src0_sel:WORD_1 src1_sel:DWORD
	s_movk_i32 s4, 0x7f
	v_cmp_lt_i16_e32 vcc, s4, v11
	s_mov_b64 s[4:5], 0
                                        ; implicit-def: $sgpr10
	s_and_saveexec_b64 s[6:7], vcc
	s_xor_b64 s[6:7], exec, s[6:7]
	s_cbranch_execnz .LBB5_3985
; %bb.1937:
	s_or_saveexec_b64 s[6:7], s[6:7]
	v_mov_b32_e32 v10, s10
	s_xor_b64 exec, exec, s[6:7]
	s_cbranch_execnz .LBB5_3988
.LBB5_1938:
	s_or_b64 exec, exec, s[6:7]
	s_and_saveexec_b64 s[6:7], s[4:5]
	s_cbranch_execz .LBB5_1940
.LBB5_1939:
	v_bfe_u32 v10, v4, 16, 3
	v_ffbh_u32_e32 v13, v10
	v_min_u32_e32 v13, 32, v13
	v_lshrrev_b32_e32 v11, 19, v4
	v_subrev_u32_e32 v14, 28, v13
	v_and_b32_e32 v11, 15, v11
	v_lshlrev_b32_sdwa v14, v14, v4 dst_sel:DWORD dst_unused:UNUSED_PAD src0_sel:DWORD src1_sel:WORD_1
	v_bfe_u32 v12, v4, 19, 4
	v_sub_u32_e32 v13, 29, v13
	v_and_b32_e32 v14, 7, v14
	v_cmp_eq_u16_e32 vcc, 0, v11
	v_cndmask_b32_e32 v10, v10, v14, vcc
	v_cndmask_b32_e32 v11, v12, v13, vcc
	v_lshlrev_b32_e32 v12, 8, v4
	v_mov_b32_e32 v13, 0x3b800000
	v_lshlrev_b32_e32 v10, 20, v10
	v_and_b32_e32 v12, 0x80000000, v12
	v_lshl_add_u32 v11, v11, 23, v13
	v_or3_b32 v10, v12, v11, v10
.LBB5_1940:
	s_or_b64 exec, exec, s[6:7]
	s_movk_i32 s4, 0xff
	v_and_b32_sdwa v11, v0, s4 dst_sel:DWORD dst_unused:UNUSED_PAD src0_sel:WORD_1 src1_sel:DWORD
	s_movk_i32 s4, 0x7f
	v_cmp_lt_i16_e32 vcc, s4, v11
	s_mov_b64 s[4:5], 0
                                        ; implicit-def: $sgpr10
	s_and_saveexec_b64 s[6:7], vcc
	s_xor_b64 s[6:7], exec, s[6:7]
	s_cbranch_execnz .LBB5_3989
; %bb.1941:
	s_or_saveexec_b64 s[6:7], s[6:7]
	v_mov_b32_e32 v12, s10
	s_xor_b64 exec, exec, s[6:7]
	s_cbranch_execnz .LBB5_3992
.LBB5_1942:
	s_or_b64 exec, exec, s[6:7]
	s_and_saveexec_b64 s[6:7], s[4:5]
	s_cbranch_execz .LBB5_1944
.LBB5_1943:
	v_bfe_u32 v11, v0, 16, 3
	v_ffbh_u32_e32 v14, v11
	v_min_u32_e32 v14, 32, v14
	v_lshrrev_b32_e32 v12, 19, v0
	v_subrev_u32_e32 v15, 28, v14
	v_and_b32_e32 v12, 15, v12
	v_lshlrev_b32_sdwa v15, v15, v0 dst_sel:DWORD dst_unused:UNUSED_PAD src0_sel:DWORD src1_sel:WORD_1
	v_bfe_u32 v13, v0, 19, 4
	v_sub_u32_e32 v14, 29, v14
	v_and_b32_e32 v15, 7, v15
	v_cmp_eq_u16_e32 vcc, 0, v12
	v_cndmask_b32_e32 v11, v11, v15, vcc
	v_cndmask_b32_e32 v12, v13, v14, vcc
	v_lshlrev_b32_e32 v13, 8, v0
	v_mov_b32_e32 v14, 0x3b800000
	v_lshlrev_b32_e32 v11, 20, v11
	v_and_b32_e32 v13, 0x80000000, v13
	v_lshl_add_u32 v12, v12, 23, v14
	v_or3_b32 v12, v13, v12, v11
.LBB5_1944:
	s_or_b64 exec, exec, s[6:7]
	s_nop 0
	v_mfma_f32_16x16x4f32 a[0:3], v10, v12, a[0:3]
	s_movk_i32 s4, 0x7f
	v_cmp_gt_i16_sdwa s[6:7], v4, s4 src0_sel:BYTE_3 src1_sel:DWORD
	s_mov_b64 s[4:5], 0
                                        ; implicit-def: $sgpr10
	s_and_saveexec_b64 s[8:9], s[6:7]
	s_xor_b64 s[6:7], exec, s[8:9]
	s_cbranch_execnz .LBB5_3993
; %bb.1945:
	s_or_saveexec_b64 s[6:7], s[6:7]
	v_mov_b32_e32 v10, s10
	s_xor_b64 exec, exec, s[6:7]
	s_cbranch_execnz .LBB5_3996
.LBB5_1946:
	s_or_b64 exec, exec, s[6:7]
	s_and_saveexec_b64 s[6:7], s[4:5]
	s_cbranch_execz .LBB5_1948
.LBB5_1947:
	v_bfe_u32 v10, v4, 24, 3
	v_ffbh_u32_e32 v14, v10
	v_min_u32_e32 v14, 32, v14
	v_lshrrev_b32_e32 v12, 27, v4
	v_subrev_u32_e32 v15, 28, v14
	v_and_b32_e32 v11, 0x80000000, v4
	v_and_b32_e32 v12, 15, v12
	v_bfe_u32 v13, v4, 27, 4
	v_lshlrev_b32_sdwa v4, v15, v4 dst_sel:DWORD dst_unused:UNUSED_PAD src0_sel:DWORD src1_sel:BYTE_3
	v_sub_u32_e32 v14, 29, v14
	v_and_b32_e32 v4, 7, v4
	v_cmp_eq_u16_e32 vcc, 0, v12
	v_cndmask_b32_e32 v4, v10, v4, vcc
	v_cndmask_b32_e32 v10, v13, v14, vcc
	v_mov_b32_e32 v12, 0x3b800000
	v_lshlrev_b32_e32 v4, 20, v4
	v_lshl_add_u32 v10, v10, 23, v12
	v_or3_b32 v10, v11, v10, v4
.LBB5_1948:
	s_or_b64 exec, exec, s[6:7]
	s_movk_i32 s4, 0x7f
	v_cmp_gt_i16_sdwa s[6:7], v0, s4 src0_sel:BYTE_3 src1_sel:DWORD
	s_mov_b64 s[4:5], 0
                                        ; implicit-def: $sgpr10
	s_and_saveexec_b64 s[8:9], s[6:7]
	s_xor_b64 s[6:7], exec, s[8:9]
	s_cbranch_execnz .LBB5_3997
; %bb.1949:
	s_or_saveexec_b64 s[6:7], s[6:7]
	v_mov_b32_e32 v4, s10
	s_xor_b64 exec, exec, s[6:7]
	s_cbranch_execnz .LBB5_4000
.LBB5_1950:
	s_or_b64 exec, exec, s[6:7]
	s_and_saveexec_b64 s[6:7], s[4:5]
	s_cbranch_execz .LBB5_1952
.LBB5_1951:
	v_bfe_u32 v4, v0, 24, 3
	v_ffbh_u32_e32 v14, v4
	v_min_u32_e32 v14, 32, v14
	v_lshrrev_b32_e32 v12, 27, v0
	v_subrev_u32_e32 v15, 28, v14
	v_and_b32_e32 v11, 0x80000000, v0
	v_and_b32_e32 v12, 15, v12
	v_bfe_u32 v13, v0, 27, 4
	v_lshlrev_b32_sdwa v0, v15, v0 dst_sel:DWORD dst_unused:UNUSED_PAD src0_sel:DWORD src1_sel:BYTE_3
	v_sub_u32_e32 v14, 29, v14
	v_and_b32_e32 v0, 7, v0
	v_cmp_eq_u16_e32 vcc, 0, v12
	v_cndmask_b32_e32 v0, v4, v0, vcc
	v_cndmask_b32_e32 v4, v13, v14, vcc
	v_mov_b32_e32 v12, 0x3b800000
	v_lshlrev_b32_e32 v0, 20, v0
	v_lshl_add_u32 v4, v4, 23, v12
	v_or3_b32 v4, v11, v4, v0
.LBB5_1952:
	s_or_b64 exec, exec, s[6:7]
	s_nop 0
	v_mfma_f32_16x16x4f32 a[0:3], v10, v4, a[0:3]
	s_movk_i32 s4, 0x7f
	v_cmp_gt_i16_sdwa s[6:7], v5, s4 src0_sel:BYTE_0 src1_sel:DWORD
	s_mov_b64 s[4:5], 0
                                        ; implicit-def: $sgpr10
	s_and_saveexec_b64 s[8:9], s[6:7]
	s_xor_b64 s[6:7], exec, s[8:9]
	s_cbranch_execnz .LBB5_4001
; %bb.1953:
	s_or_saveexec_b64 s[6:7], s[6:7]
	v_mov_b32_e32 v0, s10
	s_xor_b64 exec, exec, s[6:7]
	s_cbranch_execnz .LBB5_4004
.LBB5_1954:
	s_or_b64 exec, exec, s[6:7]
	s_and_saveexec_b64 s[6:7], s[4:5]
	s_cbranch_execz .LBB5_1956
.LBB5_1955:
	v_and_b32_e32 v0, 7, v5
	v_ffbh_u32_e32 v10, v0
	v_min_u32_e32 v10, 32, v10
	v_lshrrev_b16_e32 v4, 3, v5
	v_subrev_u32_e32 v11, 28, v10
	v_and_b32_e32 v4, 15, v4
	v_lshlrev_b32_e32 v11, v11, v5
	v_sub_u32_e32 v10, 29, v10
	v_and_b32_e32 v11, 7, v11
	v_cmp_eq_u16_e32 vcc, 0, v4
	v_cndmask_b32_e32 v0, v0, v11, vcc
	v_cndmask_b32_e32 v4, v4, v10, vcc
	v_lshlrev_b32_e32 v10, 24, v5
	v_mov_b32_e32 v11, 0x3b800000
	v_lshlrev_b32_e32 v0, 20, v0
	v_and_b32_e32 v10, 0x80000000, v10
	v_lshl_add_u32 v4, v4, 23, v11
	v_or3_b32 v0, v10, v4, v0
.LBB5_1956:
	s_or_b64 exec, exec, s[6:7]
	s_movk_i32 s4, 0x7f
	v_cmp_gt_i16_sdwa s[6:7], v1, s4 src0_sel:BYTE_0 src1_sel:DWORD
	s_mov_b64 s[4:5], 0
                                        ; implicit-def: $sgpr10
	s_and_saveexec_b64 s[8:9], s[6:7]
	s_xor_b64 s[6:7], exec, s[8:9]
	s_cbranch_execnz .LBB5_4005
; %bb.1957:
	s_or_saveexec_b64 s[6:7], s[6:7]
	v_mov_b32_e32 v4, s10
	s_xor_b64 exec, exec, s[6:7]
	s_cbranch_execnz .LBB5_4008
.LBB5_1958:
	s_or_b64 exec, exec, s[6:7]
	s_and_saveexec_b64 s[6:7], s[4:5]
	s_cbranch_execz .LBB5_1960
.LBB5_1959:
	v_and_b32_e32 v4, 7, v1
	v_ffbh_u32_e32 v11, v4
	v_min_u32_e32 v11, 32, v11
	v_lshrrev_b16_e32 v10, 3, v1
	v_subrev_u32_e32 v12, 28, v11
	v_and_b32_e32 v10, 15, v10
	v_lshlrev_b32_e32 v12, v12, v1
	v_sub_u32_e32 v11, 29, v11
	v_and_b32_e32 v12, 7, v12
	v_cmp_eq_u16_e32 vcc, 0, v10
	v_cndmask_b32_e32 v4, v4, v12, vcc
	v_cndmask_b32_e32 v10, v10, v11, vcc
	v_lshlrev_b32_e32 v11, 24, v1
	v_mov_b32_e32 v12, 0x3b800000
	v_lshlrev_b32_e32 v4, 20, v4
	v_and_b32_e32 v11, 0x80000000, v11
	v_lshl_add_u32 v10, v10, 23, v12
	v_or3_b32 v4, v11, v10, v4
.LBB5_1960:
	s_or_b64 exec, exec, s[6:7]
	s_nop 0
	v_mfma_f32_16x16x4f32 a[0:3], v0, v4, a[0:3]
	v_lshrrev_b32_e32 v4, 8, v5
	s_movk_i32 s4, 0x7f
	v_cmp_gt_i16_sdwa s[6:7], v4, s4 src0_sel:BYTE_0 src1_sel:DWORD
	s_mov_b64 s[4:5], 0
                                        ; implicit-def: $sgpr10
	s_and_saveexec_b64 s[8:9], s[6:7]
	s_xor_b64 s[6:7], exec, s[8:9]
	s_cbranch_execnz .LBB5_4009
; %bb.1961:
	s_or_saveexec_b64 s[6:7], s[6:7]
	v_mov_b32_e32 v0, s10
	s_xor_b64 exec, exec, s[6:7]
	s_cbranch_execnz .LBB5_4012
.LBB5_1962:
	s_or_b64 exec, exec, s[6:7]
	s_and_saveexec_b64 s[6:7], s[4:5]
	s_cbranch_execz .LBB5_1964
.LBB5_1963:
	v_bfe_u32 v0, v5, 8, 3
	v_ffbh_u32_e32 v11, v0
	v_min_u32_e32 v11, 32, v11
	v_lshrrev_b16_e32 v10, 3, v4
	v_subrev_u32_e32 v12, 28, v11
	v_and_b32_e32 v10, 15, v10
	v_lshlrev_b32_e32 v4, v12, v4
	v_sub_u32_e32 v11, 29, v11
	v_and_b32_e32 v4, 7, v4
	v_cmp_eq_u16_e32 vcc, 0, v10
	v_cndmask_b32_e32 v0, v0, v4, vcc
	v_cndmask_b32_e32 v4, v10, v11, vcc
	v_lshlrev_b32_e32 v10, 16, v5
	v_mov_b32_e32 v11, 0x3b800000
	v_lshlrev_b32_e32 v0, 20, v0
	v_and_b32_e32 v10, 0x80000000, v10
	v_lshl_add_u32 v4, v4, 23, v11
	v_or3_b32 v0, v10, v4, v0
.LBB5_1964:
	s_or_b64 exec, exec, s[6:7]
	v_lshrrev_b32_e32 v4, 8, v1
	s_movk_i32 s4, 0x7f
	v_cmp_gt_i16_sdwa s[6:7], v4, s4 src0_sel:BYTE_0 src1_sel:DWORD
	s_mov_b64 s[4:5], 0
                                        ; implicit-def: $sgpr10
	s_and_saveexec_b64 s[8:9], s[6:7]
	s_xor_b64 s[6:7], exec, s[8:9]
	s_cbranch_execnz .LBB5_4013
; %bb.1965:
	s_or_saveexec_b64 s[6:7], s[6:7]
	v_mov_b32_e32 v10, s10
	s_xor_b64 exec, exec, s[6:7]
	s_cbranch_execnz .LBB5_4016
.LBB5_1966:
	s_or_b64 exec, exec, s[6:7]
	s_and_saveexec_b64 s[6:7], s[4:5]
	s_cbranch_execz .LBB5_1968
.LBB5_1967:
	v_bfe_u32 v10, v1, 8, 3
	v_ffbh_u32_e32 v12, v10
	v_min_u32_e32 v12, 32, v12
	v_lshrrev_b16_e32 v11, 3, v4
	v_subrev_u32_e32 v13, 28, v12
	v_and_b32_e32 v11, 15, v11
	v_lshlrev_b32_e32 v4, v13, v4
	v_sub_u32_e32 v12, 29, v12
	v_and_b32_e32 v4, 7, v4
	v_cmp_eq_u16_e32 vcc, 0, v11
	v_cndmask_b32_e32 v4, v10, v4, vcc
	v_cndmask_b32_e32 v10, v11, v12, vcc
	v_lshlrev_b32_e32 v11, 16, v1
	v_mov_b32_e32 v12, 0x3b800000
	v_lshlrev_b32_e32 v4, 20, v4
	v_and_b32_e32 v11, 0x80000000, v11
	v_lshl_add_u32 v10, v10, 23, v12
	v_or3_b32 v10, v11, v10, v4
.LBB5_1968:
	s_or_b64 exec, exec, s[6:7]
	s_nop 0
	v_mfma_f32_16x16x4f32 a[0:3], v0, v10, a[0:3]
	s_movk_i32 s4, 0xff
	v_and_b32_sdwa v4, v5, s4 dst_sel:DWORD dst_unused:UNUSED_PAD src0_sel:WORD_1 src1_sel:DWORD
	s_movk_i32 s4, 0x7f
	v_cmp_lt_i16_e32 vcc, s4, v4
	s_mov_b64 s[4:5], 0
                                        ; implicit-def: $sgpr10
	s_and_saveexec_b64 s[6:7], vcc
	s_xor_b64 s[6:7], exec, s[6:7]
	s_cbranch_execnz .LBB5_4017
; %bb.1969:
	s_or_saveexec_b64 s[6:7], s[6:7]
	v_mov_b32_e32 v0, s10
	s_xor_b64 exec, exec, s[6:7]
	s_cbranch_execnz .LBB5_4020
.LBB5_1970:
	s_or_b64 exec, exec, s[6:7]
	s_and_saveexec_b64 s[6:7], s[4:5]
	s_cbranch_execz .LBB5_1972
.LBB5_1971:
	v_bfe_u32 v0, v5, 16, 3
	v_ffbh_u32_e32 v11, v0
	v_min_u32_e32 v11, 32, v11
	v_lshrrev_b32_e32 v4, 19, v5
	v_subrev_u32_e32 v12, 28, v11
	v_and_b32_e32 v4, 15, v4
	v_lshlrev_b32_sdwa v12, v12, v5 dst_sel:DWORD dst_unused:UNUSED_PAD src0_sel:DWORD src1_sel:WORD_1
	v_bfe_u32 v10, v5, 19, 4
	v_sub_u32_e32 v11, 29, v11
	v_and_b32_e32 v12, 7, v12
	v_cmp_eq_u16_e32 vcc, 0, v4
	v_cndmask_b32_e32 v0, v0, v12, vcc
	v_cndmask_b32_e32 v4, v10, v11, vcc
	v_lshlrev_b32_e32 v10, 8, v5
	v_mov_b32_e32 v11, 0x3b800000
	v_lshlrev_b32_e32 v0, 20, v0
	v_and_b32_e32 v10, 0x80000000, v10
	v_lshl_add_u32 v4, v4, 23, v11
	v_or3_b32 v0, v10, v4, v0
.LBB5_1972:
	s_or_b64 exec, exec, s[6:7]
	s_movk_i32 s4, 0xff
	v_and_b32_sdwa v4, v1, s4 dst_sel:DWORD dst_unused:UNUSED_PAD src0_sel:WORD_1 src1_sel:DWORD
	s_movk_i32 s4, 0x7f
	v_cmp_lt_i16_e32 vcc, s4, v4
	s_mov_b64 s[4:5], 0
                                        ; implicit-def: $sgpr10
	s_and_saveexec_b64 s[6:7], vcc
	s_xor_b64 s[6:7], exec, s[6:7]
	s_cbranch_execnz .LBB5_4021
; %bb.1973:
	s_or_saveexec_b64 s[6:7], s[6:7]
	v_mov_b32_e32 v10, s10
	s_xor_b64 exec, exec, s[6:7]
	s_cbranch_execnz .LBB5_4024
.LBB5_1974:
	s_or_b64 exec, exec, s[6:7]
	s_and_saveexec_b64 s[6:7], s[4:5]
	s_cbranch_execz .LBB5_1976
.LBB5_1975:
	v_bfe_u32 v4, v1, 16, 3
	v_ffbh_u32_e32 v12, v4
	v_min_u32_e32 v12, 32, v12
	v_lshrrev_b32_e32 v10, 19, v1
	v_subrev_u32_e32 v13, 28, v12
	v_and_b32_e32 v10, 15, v10
	v_lshlrev_b32_sdwa v13, v13, v1 dst_sel:DWORD dst_unused:UNUSED_PAD src0_sel:DWORD src1_sel:WORD_1
	v_bfe_u32 v11, v1, 19, 4
	v_sub_u32_e32 v12, 29, v12
	v_and_b32_e32 v13, 7, v13
	v_cmp_eq_u16_e32 vcc, 0, v10
	v_cndmask_b32_e32 v4, v4, v13, vcc
	v_cndmask_b32_e32 v10, v11, v12, vcc
	v_lshlrev_b32_e32 v11, 8, v1
	v_mov_b32_e32 v12, 0x3b800000
	v_lshlrev_b32_e32 v4, 20, v4
	v_and_b32_e32 v11, 0x80000000, v11
	v_lshl_add_u32 v10, v10, 23, v12
	v_or3_b32 v10, v11, v10, v4
.LBB5_1976:
	s_or_b64 exec, exec, s[6:7]
	s_nop 0
	v_mfma_f32_16x16x4f32 a[0:3], v0, v10, a[0:3]
	s_movk_i32 s4, 0x7f
	v_cmp_gt_i16_sdwa s[6:7], v5, s4 src0_sel:BYTE_3 src1_sel:DWORD
	s_mov_b64 s[4:5], 0
                                        ; implicit-def: $sgpr10
	s_and_saveexec_b64 s[8:9], s[6:7]
	s_xor_b64 s[6:7], exec, s[8:9]
	s_cbranch_execnz .LBB5_4025
; %bb.1977:
	s_or_saveexec_b64 s[6:7], s[6:7]
	v_mov_b32_e32 v0, s10
	s_xor_b64 exec, exec, s[6:7]
	s_cbranch_execnz .LBB5_4028
.LBB5_1978:
	s_or_b64 exec, exec, s[6:7]
	s_and_saveexec_b64 s[6:7], s[4:5]
	s_cbranch_execz .LBB5_1980
.LBB5_1979:
	v_bfe_u32 v0, v5, 24, 3
	v_ffbh_u32_e32 v12, v0
	v_min_u32_e32 v12, 32, v12
	v_lshrrev_b32_e32 v10, 27, v5
	v_subrev_u32_e32 v13, 28, v12
	v_and_b32_e32 v4, 0x80000000, v5
	v_and_b32_e32 v10, 15, v10
	v_bfe_u32 v11, v5, 27, 4
	v_lshlrev_b32_sdwa v5, v13, v5 dst_sel:DWORD dst_unused:UNUSED_PAD src0_sel:DWORD src1_sel:BYTE_3
	v_sub_u32_e32 v12, 29, v12
	v_and_b32_e32 v5, 7, v5
	v_cmp_eq_u16_e32 vcc, 0, v10
	v_cndmask_b32_e32 v0, v0, v5, vcc
	v_cndmask_b32_e32 v5, v11, v12, vcc
	v_mov_b32_e32 v10, 0x3b800000
	v_lshlrev_b32_e32 v0, 20, v0
	v_lshl_add_u32 v5, v5, 23, v10
	v_or3_b32 v0, v4, v5, v0
.LBB5_1980:
	s_or_b64 exec, exec, s[6:7]
	s_movk_i32 s4, 0x7f
	v_cmp_gt_i16_sdwa s[6:7], v1, s4 src0_sel:BYTE_3 src1_sel:DWORD
	s_mov_b64 s[4:5], 0
                                        ; implicit-def: $sgpr10
	s_and_saveexec_b64 s[8:9], s[6:7]
	s_xor_b64 s[6:7], exec, s[8:9]
	s_cbranch_execnz .LBB5_4029
; %bb.1981:
	s_or_saveexec_b64 s[6:7], s[6:7]
	v_mov_b32_e32 v4, s10
	s_xor_b64 exec, exec, s[6:7]
	s_cbranch_execnz .LBB5_4032
.LBB5_1982:
	s_or_b64 exec, exec, s[6:7]
	s_and_saveexec_b64 s[6:7], s[4:5]
	s_cbranch_execz .LBB5_1984
.LBB5_1983:
	v_bfe_u32 v4, v1, 24, 3
	v_ffbh_u32_e32 v12, v4
	v_min_u32_e32 v12, 32, v12
	v_lshrrev_b32_e32 v10, 27, v1
	v_subrev_u32_e32 v13, 28, v12
	v_and_b32_e32 v5, 0x80000000, v1
	v_and_b32_e32 v10, 15, v10
	v_bfe_u32 v11, v1, 27, 4
	v_lshlrev_b32_sdwa v1, v13, v1 dst_sel:DWORD dst_unused:UNUSED_PAD src0_sel:DWORD src1_sel:BYTE_3
	v_sub_u32_e32 v12, 29, v12
	v_and_b32_e32 v1, 7, v1
	v_cmp_eq_u16_e32 vcc, 0, v10
	v_cndmask_b32_e32 v1, v4, v1, vcc
	v_cndmask_b32_e32 v4, v11, v12, vcc
	v_mov_b32_e32 v10, 0x3b800000
	v_lshlrev_b32_e32 v1, 20, v1
	v_lshl_add_u32 v4, v4, 23, v10
	v_or3_b32 v4, v5, v4, v1
.LBB5_1984:
	s_or_b64 exec, exec, s[6:7]
	s_nop 0
	v_mfma_f32_16x16x4f32 a[0:3], v0, v4, a[0:3]
	s_movk_i32 s4, 0x7f
	v_cmp_gt_i16_sdwa s[6:7], v6, s4 src0_sel:BYTE_0 src1_sel:DWORD
	s_mov_b64 s[4:5], 0
                                        ; implicit-def: $sgpr10
	s_and_saveexec_b64 s[8:9], s[6:7]
	s_xor_b64 s[6:7], exec, s[8:9]
	s_cbranch_execnz .LBB5_4033
; %bb.1985:
	s_or_saveexec_b64 s[6:7], s[6:7]
	v_mov_b32_e32 v0, s10
	s_xor_b64 exec, exec, s[6:7]
	s_cbranch_execnz .LBB5_4036
.LBB5_1986:
	s_or_b64 exec, exec, s[6:7]
	s_and_saveexec_b64 s[6:7], s[4:5]
	s_cbranch_execz .LBB5_1988
.LBB5_1987:
	v_and_b32_e32 v0, 7, v6
	v_ffbh_u32_e32 v4, v0
	v_min_u32_e32 v4, 32, v4
	v_lshrrev_b16_e32 v1, 3, v6
	v_subrev_u32_e32 v5, 28, v4
	v_and_b32_e32 v1, 15, v1
	v_lshlrev_b32_e32 v5, v5, v6
	v_sub_u32_e32 v4, 29, v4
	v_and_b32_e32 v5, 7, v5
	v_cmp_eq_u16_e32 vcc, 0, v1
	v_cndmask_b32_e32 v0, v0, v5, vcc
	v_cndmask_b32_e32 v1, v1, v4, vcc
	v_lshlrev_b32_e32 v4, 24, v6
	v_mov_b32_e32 v5, 0x3b800000
	v_lshlrev_b32_e32 v0, 20, v0
	v_and_b32_e32 v4, 0x80000000, v4
	v_lshl_add_u32 v1, v1, 23, v5
	v_or3_b32 v0, v4, v1, v0
.LBB5_1988:
	s_or_b64 exec, exec, s[6:7]
	s_movk_i32 s4, 0x7f
	v_cmp_gt_i16_sdwa s[6:7], v2, s4 src0_sel:BYTE_0 src1_sel:DWORD
	s_mov_b64 s[4:5], 0
                                        ; implicit-def: $sgpr10
	s_and_saveexec_b64 s[8:9], s[6:7]
	s_xor_b64 s[6:7], exec, s[8:9]
	s_cbranch_execnz .LBB5_4037
; %bb.1989:
	s_or_saveexec_b64 s[6:7], s[6:7]
	v_mov_b32_e32 v1, s10
	s_xor_b64 exec, exec, s[6:7]
	s_cbranch_execnz .LBB5_4040
.LBB5_1990:
	s_or_b64 exec, exec, s[6:7]
	s_and_saveexec_b64 s[6:7], s[4:5]
	s_cbranch_execz .LBB5_1992
.LBB5_1991:
	v_and_b32_e32 v1, 7, v2
	v_ffbh_u32_e32 v5, v1
	v_min_u32_e32 v5, 32, v5
	v_lshrrev_b16_e32 v4, 3, v2
	v_subrev_u32_e32 v10, 28, v5
	v_and_b32_e32 v4, 15, v4
	v_lshlrev_b32_e32 v10, v10, v2
	v_sub_u32_e32 v5, 29, v5
	v_and_b32_e32 v10, 7, v10
	v_cmp_eq_u16_e32 vcc, 0, v4
	v_cndmask_b32_e32 v1, v1, v10, vcc
	v_cndmask_b32_e32 v4, v4, v5, vcc
	v_lshlrev_b32_e32 v5, 24, v2
	v_mov_b32_e32 v10, 0x3b800000
	v_lshlrev_b32_e32 v1, 20, v1
	v_and_b32_e32 v5, 0x80000000, v5
	v_lshl_add_u32 v4, v4, 23, v10
	v_or3_b32 v1, v5, v4, v1
.LBB5_1992:
	s_or_b64 exec, exec, s[6:7]
	s_nop 0
	v_mfma_f32_16x16x4f32 a[0:3], v0, v1, a[0:3]
	v_lshrrev_b32_e32 v1, 8, v6
	s_movk_i32 s4, 0x7f
	v_cmp_gt_i16_sdwa s[6:7], v1, s4 src0_sel:BYTE_0 src1_sel:DWORD
	s_mov_b64 s[4:5], 0
                                        ; implicit-def: $sgpr10
	s_and_saveexec_b64 s[8:9], s[6:7]
	s_xor_b64 s[6:7], exec, s[8:9]
	s_cbranch_execnz .LBB5_4041
; %bb.1993:
	s_or_saveexec_b64 s[6:7], s[6:7]
	v_mov_b32_e32 v0, s10
	s_xor_b64 exec, exec, s[6:7]
	s_cbranch_execnz .LBB5_4044
.LBB5_1994:
	s_or_b64 exec, exec, s[6:7]
	s_and_saveexec_b64 s[6:7], s[4:5]
	s_cbranch_execz .LBB5_1996
.LBB5_1995:
	v_bfe_u32 v0, v6, 8, 3
	v_ffbh_u32_e32 v5, v0
	v_min_u32_e32 v5, 32, v5
	v_lshrrev_b16_e32 v4, 3, v1
	v_subrev_u32_e32 v10, 28, v5
	v_and_b32_e32 v4, 15, v4
	v_lshlrev_b32_e32 v1, v10, v1
	v_sub_u32_e32 v5, 29, v5
	v_and_b32_e32 v1, 7, v1
	v_cmp_eq_u16_e32 vcc, 0, v4
	v_cndmask_b32_e32 v0, v0, v1, vcc
	v_cndmask_b32_e32 v1, v4, v5, vcc
	v_lshlrev_b32_e32 v4, 16, v6
	v_mov_b32_e32 v5, 0x3b800000
	v_lshlrev_b32_e32 v0, 20, v0
	v_and_b32_e32 v4, 0x80000000, v4
	v_lshl_add_u32 v1, v1, 23, v5
	v_or3_b32 v0, v4, v1, v0
.LBB5_1996:
	s_or_b64 exec, exec, s[6:7]
	v_lshrrev_b32_e32 v1, 8, v2
	s_movk_i32 s4, 0x7f
	v_cmp_gt_i16_sdwa s[6:7], v1, s4 src0_sel:BYTE_0 src1_sel:DWORD
	s_mov_b64 s[4:5], 0
                                        ; implicit-def: $sgpr10
	s_and_saveexec_b64 s[8:9], s[6:7]
	s_xor_b64 s[6:7], exec, s[8:9]
	s_cbranch_execnz .LBB5_4045
; %bb.1997:
	s_or_saveexec_b64 s[6:7], s[6:7]
	v_mov_b32_e32 v4, s10
	s_xor_b64 exec, exec, s[6:7]
	s_cbranch_execnz .LBB5_4048
.LBB5_1998:
	s_or_b64 exec, exec, s[6:7]
	s_and_saveexec_b64 s[6:7], s[4:5]
	s_cbranch_execz .LBB5_2000
.LBB5_1999:
	v_bfe_u32 v4, v2, 8, 3
	v_ffbh_u32_e32 v10, v4
	v_min_u32_e32 v10, 32, v10
	v_lshrrev_b16_e32 v5, 3, v1
	v_subrev_u32_e32 v11, 28, v10
	v_and_b32_e32 v5, 15, v5
	v_lshlrev_b32_e32 v1, v11, v1
	v_sub_u32_e32 v10, 29, v10
	v_and_b32_e32 v1, 7, v1
	v_cmp_eq_u16_e32 vcc, 0, v5
	v_cndmask_b32_e32 v1, v4, v1, vcc
	v_cndmask_b32_e32 v4, v5, v10, vcc
	v_lshlrev_b32_e32 v5, 16, v2
	v_mov_b32_e32 v10, 0x3b800000
	v_lshlrev_b32_e32 v1, 20, v1
	v_and_b32_e32 v5, 0x80000000, v5
	v_lshl_add_u32 v4, v4, 23, v10
	v_or3_b32 v4, v5, v4, v1
.LBB5_2000:
	s_or_b64 exec, exec, s[6:7]
	s_nop 0
	v_mfma_f32_16x16x4f32 a[0:3], v0, v4, a[0:3]
	s_movk_i32 s4, 0xff
	v_and_b32_sdwa v1, v6, s4 dst_sel:DWORD dst_unused:UNUSED_PAD src0_sel:WORD_1 src1_sel:DWORD
	s_movk_i32 s4, 0x7f
	v_cmp_lt_i16_e32 vcc, s4, v1
	s_mov_b64 s[4:5], 0
                                        ; implicit-def: $sgpr10
	s_and_saveexec_b64 s[6:7], vcc
	s_xor_b64 s[6:7], exec, s[6:7]
	s_cbranch_execnz .LBB5_4049
; %bb.2001:
	s_or_saveexec_b64 s[6:7], s[6:7]
	v_mov_b32_e32 v0, s10
	s_xor_b64 exec, exec, s[6:7]
	s_cbranch_execnz .LBB5_4052
.LBB5_2002:
	s_or_b64 exec, exec, s[6:7]
	s_and_saveexec_b64 s[6:7], s[4:5]
	s_cbranch_execz .LBB5_2004
.LBB5_2003:
	v_bfe_u32 v0, v6, 16, 3
	v_ffbh_u32_e32 v5, v0
	v_min_u32_e32 v5, 32, v5
	v_lshrrev_b32_e32 v1, 19, v6
	v_subrev_u32_e32 v10, 28, v5
	v_and_b32_e32 v1, 15, v1
	v_lshlrev_b32_sdwa v10, v10, v6 dst_sel:DWORD dst_unused:UNUSED_PAD src0_sel:DWORD src1_sel:WORD_1
	v_bfe_u32 v4, v6, 19, 4
	v_sub_u32_e32 v5, 29, v5
	v_and_b32_e32 v10, 7, v10
	v_cmp_eq_u16_e32 vcc, 0, v1
	v_cndmask_b32_e32 v0, v0, v10, vcc
	v_cndmask_b32_e32 v1, v4, v5, vcc
	v_lshlrev_b32_e32 v4, 8, v6
	v_mov_b32_e32 v5, 0x3b800000
	v_lshlrev_b32_e32 v0, 20, v0
	v_and_b32_e32 v4, 0x80000000, v4
	v_lshl_add_u32 v1, v1, 23, v5
	v_or3_b32 v0, v4, v1, v0
.LBB5_2004:
	s_or_b64 exec, exec, s[6:7]
	s_movk_i32 s4, 0xff
	v_and_b32_sdwa v1, v2, s4 dst_sel:DWORD dst_unused:UNUSED_PAD src0_sel:WORD_1 src1_sel:DWORD
	s_movk_i32 s4, 0x7f
	v_cmp_lt_i16_e32 vcc, s4, v1
	s_mov_b64 s[4:5], 0
                                        ; implicit-def: $sgpr10
	s_and_saveexec_b64 s[6:7], vcc
	s_xor_b64 s[6:7], exec, s[6:7]
	s_cbranch_execnz .LBB5_4053
; %bb.2005:
	s_or_saveexec_b64 s[6:7], s[6:7]
	v_mov_b32_e32 v4, s10
	s_xor_b64 exec, exec, s[6:7]
	s_cbranch_execnz .LBB5_4056
.LBB5_2006:
	s_or_b64 exec, exec, s[6:7]
	s_and_saveexec_b64 s[6:7], s[4:5]
	s_cbranch_execz .LBB5_2008
.LBB5_2007:
	v_bfe_u32 v1, v2, 16, 3
	v_ffbh_u32_e32 v10, v1
	v_min_u32_e32 v10, 32, v10
	v_lshrrev_b32_e32 v4, 19, v2
	v_subrev_u32_e32 v11, 28, v10
	v_and_b32_e32 v4, 15, v4
	v_lshlrev_b32_sdwa v11, v11, v2 dst_sel:DWORD dst_unused:UNUSED_PAD src0_sel:DWORD src1_sel:WORD_1
	v_bfe_u32 v5, v2, 19, 4
	v_sub_u32_e32 v10, 29, v10
	v_and_b32_e32 v11, 7, v11
	v_cmp_eq_u16_e32 vcc, 0, v4
	v_cndmask_b32_e32 v1, v1, v11, vcc
	v_cndmask_b32_e32 v4, v5, v10, vcc
	v_lshlrev_b32_e32 v5, 8, v2
	v_mov_b32_e32 v10, 0x3b800000
	v_lshlrev_b32_e32 v1, 20, v1
	v_and_b32_e32 v5, 0x80000000, v5
	v_lshl_add_u32 v4, v4, 23, v10
	v_or3_b32 v4, v5, v4, v1
.LBB5_2008:
	s_or_b64 exec, exec, s[6:7]
	s_nop 0
	v_mfma_f32_16x16x4f32 a[0:3], v0, v4, a[0:3]
	s_movk_i32 s4, 0x7f
	v_cmp_gt_i16_sdwa s[6:7], v6, s4 src0_sel:BYTE_3 src1_sel:DWORD
	s_mov_b64 s[4:5], 0
                                        ; implicit-def: $sgpr10
	s_and_saveexec_b64 s[8:9], s[6:7]
	s_xor_b64 s[6:7], exec, s[8:9]
	s_cbranch_execnz .LBB5_4057
; %bb.2009:
	s_or_saveexec_b64 s[6:7], s[6:7]
	v_mov_b32_e32 v0, s10
	s_xor_b64 exec, exec, s[6:7]
	s_cbranch_execnz .LBB5_4060
.LBB5_2010:
	s_or_b64 exec, exec, s[6:7]
	s_and_saveexec_b64 s[6:7], s[4:5]
	s_cbranch_execz .LBB5_2012
.LBB5_2011:
	v_bfe_u32 v0, v6, 24, 3
	v_ffbh_u32_e32 v10, v0
	v_min_u32_e32 v10, 32, v10
	v_lshrrev_b32_e32 v4, 27, v6
	v_subrev_u32_e32 v11, 28, v10
	v_and_b32_e32 v1, 0x80000000, v6
	v_and_b32_e32 v4, 15, v4
	v_bfe_u32 v5, v6, 27, 4
	v_lshlrev_b32_sdwa v6, v11, v6 dst_sel:DWORD dst_unused:UNUSED_PAD src0_sel:DWORD src1_sel:BYTE_3
	v_sub_u32_e32 v10, 29, v10
	v_and_b32_e32 v6, 7, v6
	v_cmp_eq_u16_e32 vcc, 0, v4
	v_cndmask_b32_e32 v0, v0, v6, vcc
	v_cndmask_b32_e32 v4, v5, v10, vcc
	v_mov_b32_e32 v5, 0x3b800000
	v_lshlrev_b32_e32 v0, 20, v0
	v_lshl_add_u32 v4, v4, 23, v5
	v_or3_b32 v0, v1, v4, v0
.LBB5_2012:
	s_or_b64 exec, exec, s[6:7]
	s_movk_i32 s4, 0x7f
	v_cmp_gt_i16_sdwa s[6:7], v2, s4 src0_sel:BYTE_3 src1_sel:DWORD
	s_mov_b64 s[4:5], 0
                                        ; implicit-def: $sgpr10
	s_and_saveexec_b64 s[8:9], s[6:7]
	s_xor_b64 s[6:7], exec, s[8:9]
	s_cbranch_execnz .LBB5_4061
; %bb.2013:
	s_or_saveexec_b64 s[6:7], s[6:7]
	v_mov_b32_e32 v1, s10
	s_xor_b64 exec, exec, s[6:7]
	s_cbranch_execnz .LBB5_4064
.LBB5_2014:
	s_or_b64 exec, exec, s[6:7]
	s_and_saveexec_b64 s[6:7], s[4:5]
	s_cbranch_execz .LBB5_2016
.LBB5_2015:
	v_bfe_u32 v1, v2, 24, 3
	v_ffbh_u32_e32 v10, v1
	v_min_u32_e32 v10, 32, v10
	v_lshrrev_b32_e32 v5, 27, v2
	v_subrev_u32_e32 v11, 28, v10
	v_and_b32_e32 v4, 0x80000000, v2
	v_and_b32_e32 v5, 15, v5
	v_bfe_u32 v6, v2, 27, 4
	v_lshlrev_b32_sdwa v2, v11, v2 dst_sel:DWORD dst_unused:UNUSED_PAD src0_sel:DWORD src1_sel:BYTE_3
	v_sub_u32_e32 v10, 29, v10
	v_and_b32_e32 v2, 7, v2
	v_cmp_eq_u16_e32 vcc, 0, v5
	v_cndmask_b32_e32 v1, v1, v2, vcc
	v_cndmask_b32_e32 v2, v6, v10, vcc
	v_mov_b32_e32 v5, 0x3b800000
	v_lshlrev_b32_e32 v1, 20, v1
	v_lshl_add_u32 v2, v2, 23, v5
	v_or3_b32 v1, v4, v2, v1
.LBB5_2016:
	s_or_b64 exec, exec, s[6:7]
	s_nop 0
	v_mfma_f32_16x16x4f32 a[0:3], v0, v1, a[0:3]
	s_movk_i32 s4, 0x7f
	v_cmp_gt_i16_sdwa s[6:7], v7, s4 src0_sel:BYTE_0 src1_sel:DWORD
	s_mov_b64 s[4:5], 0
                                        ; implicit-def: $sgpr10
	s_and_saveexec_b64 s[8:9], s[6:7]
	s_xor_b64 s[6:7], exec, s[8:9]
	s_cbranch_execnz .LBB5_4065
; %bb.2017:
	s_or_saveexec_b64 s[6:7], s[6:7]
	v_mov_b32_e32 v0, s10
	s_xor_b64 exec, exec, s[6:7]
	s_cbranch_execnz .LBB5_4068
.LBB5_2018:
	s_or_b64 exec, exec, s[6:7]
	s_and_saveexec_b64 s[6:7], s[4:5]
	s_cbranch_execz .LBB5_2020
.LBB5_2019:
	v_mov_b32_e32 v0, 8
	v_and_b32_e32 v1, 7, v7
	v_lshrrev_b32_sdwa v0, v0, v7 dst_sel:BYTE_1 dst_unused:UNUSED_PAD src0_sel:DWORD src1_sel:DWORD
	v_ffbh_u32_e32 v2, v1
	v_or_b32_sdwa v0, v7, v0 dst_sel:DWORD dst_unused:UNUSED_PAD src0_sel:BYTE_0 src1_sel:DWORD
	v_min_u32_e32 v2, 32, v2
	v_lshrrev_b16_e32 v0, 3, v0
	v_subrev_u32_e32 v4, 28, v2
	v_and_b32_e32 v0, 15, v0
	v_lshlrev_b32_e32 v4, v4, v7
	v_sub_u32_e32 v2, 29, v2
	v_and_b32_e32 v4, 7, v4
	v_cmp_eq_u16_e32 vcc, 0, v0
	v_cndmask_b32_e32 v1, v1, v4, vcc
	v_cndmask_b32_e32 v0, v0, v2, vcc
	v_lshlrev_b32_e32 v2, 24, v7
	v_mov_b32_e32 v4, 0x3b800000
	v_lshlrev_b32_e32 v1, 20, v1
	v_and_b32_e32 v2, 0x80000000, v2
	v_lshl_add_u32 v0, v0, 23, v4
	v_or3_b32 v0, v2, v0, v1
.LBB5_2020:
	s_or_b64 exec, exec, s[6:7]
	s_movk_i32 s4, 0x7f
	v_cmp_gt_i16_sdwa s[6:7], v3, s4 src0_sel:BYTE_0 src1_sel:DWORD
	s_mov_b64 s[4:5], 0
                                        ; implicit-def: $sgpr10
	s_and_saveexec_b64 s[8:9], s[6:7]
	s_xor_b64 s[6:7], exec, s[8:9]
	s_cbranch_execnz .LBB5_4069
; %bb.2021:
	s_or_saveexec_b64 s[6:7], s[6:7]
	v_mov_b32_e32 v1, s10
	s_xor_b64 exec, exec, s[6:7]
	s_cbranch_execnz .LBB5_4072
.LBB5_2022:
	s_or_b64 exec, exec, s[6:7]
	s_and_saveexec_b64 s[6:7], s[4:5]
	s_cbranch_execz .LBB5_2024
.LBB5_2023:
	v_mov_b32_e32 v1, 8
	v_and_b32_e32 v2, 7, v3
	v_lshrrev_b32_sdwa v1, v1, v3 dst_sel:BYTE_1 dst_unused:UNUSED_PAD src0_sel:DWORD src1_sel:DWORD
	v_ffbh_u32_e32 v4, v2
	v_or_b32_sdwa v1, v3, v1 dst_sel:DWORD dst_unused:UNUSED_PAD src0_sel:BYTE_0 src1_sel:DWORD
	v_min_u32_e32 v4, 32, v4
	v_lshrrev_b16_e32 v1, 3, v1
	v_subrev_u32_e32 v5, 28, v4
	v_and_b32_e32 v1, 15, v1
	v_lshlrev_b32_e32 v5, v5, v3
	v_sub_u32_e32 v4, 29, v4
	v_and_b32_e32 v5, 7, v5
	v_cmp_eq_u16_e32 vcc, 0, v1
	v_cndmask_b32_e32 v2, v2, v5, vcc
	v_cndmask_b32_e32 v1, v1, v4, vcc
	v_lshlrev_b32_e32 v4, 24, v3
	v_mov_b32_e32 v5, 0x3b800000
	v_lshlrev_b32_e32 v2, 20, v2
	v_and_b32_e32 v4, 0x80000000, v4
	v_lshl_add_u32 v1, v1, 23, v5
	v_or3_b32 v1, v4, v1, v2
.LBB5_2024:
	s_or_b64 exec, exec, s[6:7]
	s_nop 0
	v_mfma_f32_16x16x4f32 a[0:3], v0, v1, a[0:3]
	v_lshrrev_b32_e32 v1, 8, v7
	s_movk_i32 s4, 0x7f
	v_cmp_gt_i16_sdwa s[6:7], v1, s4 src0_sel:BYTE_0 src1_sel:DWORD
	s_mov_b64 s[4:5], 0
                                        ; implicit-def: $sgpr10
	s_and_saveexec_b64 s[8:9], s[6:7]
	s_xor_b64 s[6:7], exec, s[8:9]
	s_cbranch_execnz .LBB5_4073
; %bb.2025:
	s_or_saveexec_b64 s[6:7], s[6:7]
	v_mov_b32_e32 v0, s10
	s_xor_b64 exec, exec, s[6:7]
	s_cbranch_execnz .LBB5_4076
.LBB5_2026:
	s_or_b64 exec, exec, s[6:7]
	s_and_saveexec_b64 s[6:7], s[4:5]
	s_cbranch_execz .LBB5_2028
.LBB5_2027:
	v_bfe_u32 v0, v7, 8, 3
	v_ffbh_u32_e32 v4, v0
	v_min_u32_e32 v4, 32, v4
	v_lshrrev_b16_e32 v2, 3, v1
	v_subrev_u32_e32 v5, 28, v4
	v_and_b32_e32 v2, 15, v2
	v_lshlrev_b32_e32 v1, v5, v1
	v_sub_u32_e32 v4, 29, v4
	v_and_b32_e32 v1, 7, v1
	v_cmp_eq_u16_e32 vcc, 0, v2
	v_cndmask_b32_e32 v0, v0, v1, vcc
	v_cndmask_b32_e32 v1, v2, v4, vcc
	v_lshlrev_b32_e32 v2, 16, v7
	v_mov_b32_e32 v4, 0x3b800000
	v_lshlrev_b32_e32 v0, 20, v0
	v_and_b32_e32 v2, 0x80000000, v2
	v_lshl_add_u32 v1, v1, 23, v4
	v_or3_b32 v0, v2, v1, v0
.LBB5_2028:
	s_or_b64 exec, exec, s[6:7]
	v_lshrrev_b32_e32 v1, 8, v3
	s_movk_i32 s4, 0x7f
	v_cmp_gt_i16_sdwa s[6:7], v1, s4 src0_sel:BYTE_0 src1_sel:DWORD
	s_mov_b64 s[4:5], 0
                                        ; implicit-def: $sgpr10
	s_and_saveexec_b64 s[8:9], s[6:7]
	s_xor_b64 s[6:7], exec, s[8:9]
	s_cbranch_execnz .LBB5_4077
; %bb.2029:
	s_or_saveexec_b64 s[6:7], s[6:7]
	v_mov_b32_e32 v2, s10
	s_xor_b64 exec, exec, s[6:7]
	s_cbranch_execnz .LBB5_4080
.LBB5_2030:
	s_or_b64 exec, exec, s[6:7]
	s_and_saveexec_b64 s[6:7], s[4:5]
	s_cbranch_execz .LBB5_2032
.LBB5_2031:
	v_bfe_u32 v2, v3, 8, 3
	v_ffbh_u32_e32 v5, v2
	v_min_u32_e32 v5, 32, v5
	v_lshrrev_b16_e32 v4, 3, v1
	v_subrev_u32_e32 v6, 28, v5
	v_and_b32_e32 v4, 15, v4
	v_lshlrev_b32_e32 v1, v6, v1
	v_sub_u32_e32 v5, 29, v5
	v_and_b32_e32 v1, 7, v1
	v_cmp_eq_u16_e32 vcc, 0, v4
	v_cndmask_b32_e32 v1, v2, v1, vcc
	v_cndmask_b32_e32 v2, v4, v5, vcc
	v_lshlrev_b32_e32 v4, 16, v3
	v_mov_b32_e32 v5, 0x3b800000
	v_lshlrev_b32_e32 v1, 20, v1
	v_and_b32_e32 v4, 0x80000000, v4
	v_lshl_add_u32 v2, v2, 23, v5
	v_or3_b32 v2, v4, v2, v1
.LBB5_2032:
	s_or_b64 exec, exec, s[6:7]
	s_nop 0
	v_mfma_f32_16x16x4f32 a[0:3], v0, v2, a[0:3]
	s_movk_i32 s4, 0xff
	v_and_b32_sdwa v1, v7, s4 dst_sel:DWORD dst_unused:UNUSED_PAD src0_sel:WORD_1 src1_sel:DWORD
	s_movk_i32 s4, 0x7f
	v_cmp_lt_i16_e32 vcc, s4, v1
	s_mov_b64 s[4:5], 0
                                        ; implicit-def: $sgpr10
	s_and_saveexec_b64 s[6:7], vcc
	s_xor_b64 s[6:7], exec, s[6:7]
	s_cbranch_execnz .LBB5_4081
; %bb.2033:
	s_or_saveexec_b64 s[6:7], s[6:7]
	v_mov_b32_e32 v0, s10
	s_xor_b64 exec, exec, s[6:7]
	s_cbranch_execnz .LBB5_4084
.LBB5_2034:
	s_or_b64 exec, exec, s[6:7]
	s_and_saveexec_b64 s[6:7], s[4:5]
	s_cbranch_execz .LBB5_2036
.LBB5_2035:
	v_bfe_u32 v0, v7, 16, 3
	v_ffbh_u32_e32 v4, v0
	v_min_u32_e32 v4, 32, v4
	v_lshrrev_b32_e32 v1, 19, v7
	v_subrev_u32_e32 v5, 28, v4
	v_and_b32_e32 v1, 15, v1
	v_lshlrev_b32_sdwa v5, v5, v7 dst_sel:DWORD dst_unused:UNUSED_PAD src0_sel:DWORD src1_sel:WORD_1
	v_bfe_u32 v2, v7, 19, 4
	v_sub_u32_e32 v4, 29, v4
	v_and_b32_e32 v5, 7, v5
	v_cmp_eq_u16_e32 vcc, 0, v1
	v_cndmask_b32_e32 v0, v0, v5, vcc
	v_cndmask_b32_e32 v1, v2, v4, vcc
	v_lshlrev_b32_e32 v2, 8, v7
	v_mov_b32_e32 v4, 0x3b800000
	v_lshlrev_b32_e32 v0, 20, v0
	v_and_b32_e32 v2, 0x80000000, v2
	v_lshl_add_u32 v1, v1, 23, v4
	v_or3_b32 v0, v2, v1, v0
.LBB5_2036:
	s_or_b64 exec, exec, s[6:7]
	s_movk_i32 s4, 0xff
	v_and_b32_sdwa v1, v3, s4 dst_sel:DWORD dst_unused:UNUSED_PAD src0_sel:WORD_1 src1_sel:DWORD
	s_movk_i32 s4, 0x7f
	v_cmp_lt_i16_e32 vcc, s4, v1
	s_mov_b64 s[4:5], 0
                                        ; implicit-def: $sgpr10
	s_and_saveexec_b64 s[6:7], vcc
	s_xor_b64 s[6:7], exec, s[6:7]
	s_cbranch_execnz .LBB5_4085
; %bb.2037:
	s_or_saveexec_b64 s[6:7], s[6:7]
	v_mov_b32_e32 v2, s10
	s_xor_b64 exec, exec, s[6:7]
	s_cbranch_execnz .LBB5_4088
.LBB5_2038:
	s_or_b64 exec, exec, s[6:7]
	s_and_saveexec_b64 s[6:7], s[4:5]
	s_cbranch_execz .LBB5_2040
.LBB5_2039:
	v_bfe_u32 v1, v3, 16, 3
	v_ffbh_u32_e32 v5, v1
	v_min_u32_e32 v5, 32, v5
	v_lshrrev_b32_e32 v2, 19, v3
	v_subrev_u32_e32 v6, 28, v5
	v_and_b32_e32 v2, 15, v2
	v_lshlrev_b32_sdwa v6, v6, v3 dst_sel:DWORD dst_unused:UNUSED_PAD src0_sel:DWORD src1_sel:WORD_1
	v_bfe_u32 v4, v3, 19, 4
	v_sub_u32_e32 v5, 29, v5
	v_and_b32_e32 v6, 7, v6
	v_cmp_eq_u16_e32 vcc, 0, v2
	v_cndmask_b32_e32 v1, v1, v6, vcc
	v_cndmask_b32_e32 v2, v4, v5, vcc
	v_lshlrev_b32_e32 v4, 8, v3
	v_mov_b32_e32 v5, 0x3b800000
	v_lshlrev_b32_e32 v1, 20, v1
	v_and_b32_e32 v4, 0x80000000, v4
	v_lshl_add_u32 v2, v2, 23, v5
	v_or3_b32 v2, v4, v2, v1
.LBB5_2040:
	s_or_b64 exec, exec, s[6:7]
	s_nop 0
	v_mfma_f32_16x16x4f32 a[0:3], v0, v2, a[0:3]
	s_movk_i32 s4, 0x7f
	v_cmp_gt_i16_sdwa s[6:7], v7, s4 src0_sel:BYTE_3 src1_sel:DWORD
	s_mov_b64 s[4:5], 0
                                        ; implicit-def: $sgpr10
	s_and_saveexec_b64 s[8:9], s[6:7]
	s_xor_b64 s[6:7], exec, s[8:9]
	s_cbranch_execnz .LBB5_4089
; %bb.2041:
	s_or_saveexec_b64 s[6:7], s[6:7]
	v_mov_b32_e32 v0, s10
	s_xor_b64 exec, exec, s[6:7]
	s_cbranch_execnz .LBB5_4092
.LBB5_2042:
	s_or_b64 exec, exec, s[6:7]
	s_and_saveexec_b64 s[6:7], s[4:5]
	s_cbranch_execz .LBB5_2044
.LBB5_2043:
	v_bfe_u32 v0, v7, 24, 3
	v_ffbh_u32_e32 v5, v0
	v_min_u32_e32 v5, 32, v5
	v_lshrrev_b32_e32 v2, 27, v7
	v_subrev_u32_e32 v6, 28, v5
	v_and_b32_e32 v2, 15, v2
	v_lshlrev_b32_sdwa v6, v6, v7 dst_sel:DWORD dst_unused:UNUSED_PAD src0_sel:DWORD src1_sel:BYTE_3
	v_bfe_u32 v4, v7, 27, 4
	v_sub_u32_e32 v5, 29, v5
	v_and_b32_e32 v6, 7, v6
	v_cmp_eq_u16_e32 vcc, 0, v2
	v_cndmask_b32_e32 v0, v0, v6, vcc
	v_cndmask_b32_e32 v2, v4, v5, vcc
	v_mov_b32_e32 v4, 0x3b800000
	v_and_b32_e32 v1, 0x80000000, v7
	v_lshlrev_b32_e32 v0, 20, v0
	v_lshl_add_u32 v2, v2, 23, v4
	v_or3_b32 v0, v1, v2, v0
.LBB5_2044:
	s_or_b64 exec, exec, s[6:7]
	s_movk_i32 s4, 0x7f
	v_cmp_gt_i16_sdwa s[6:7], v3, s4 src0_sel:BYTE_3 src1_sel:DWORD
	s_mov_b64 s[4:5], 0
                                        ; implicit-def: $sgpr10
	s_and_saveexec_b64 s[8:9], s[6:7]
	s_xor_b64 s[6:7], exec, s[8:9]
	s_cbranch_execnz .LBB5_4093
; %bb.2045:
	s_or_saveexec_b64 s[6:7], s[6:7]
	v_mov_b32_e32 v1, s10
	s_xor_b64 exec, exec, s[6:7]
	s_cbranch_execnz .LBB5_4096
.LBB5_2046:
	s_or_b64 exec, exec, s[6:7]
	s_and_saveexec_b64 s[6:7], s[4:5]
	s_cbranch_execz .LBB5_2048
.LBB5_2047:
	v_bfe_u32 v1, v3, 24, 3
	v_ffbh_u32_e32 v6, v1
	v_min_u32_e32 v6, 32, v6
	v_lshrrev_b32_e32 v4, 27, v3
	v_subrev_u32_e32 v7, 28, v6
	v_and_b32_e32 v2, 0x80000000, v3
	v_and_b32_e32 v4, 15, v4
	v_bfe_u32 v5, v3, 27, 4
	v_lshlrev_b32_sdwa v3, v7, v3 dst_sel:DWORD dst_unused:UNUSED_PAD src0_sel:DWORD src1_sel:BYTE_3
	v_sub_u32_e32 v6, 29, v6
	v_and_b32_e32 v3, 7, v3
	v_cmp_eq_u16_e32 vcc, 0, v4
	v_cndmask_b32_e32 v1, v1, v3, vcc
	v_cndmask_b32_e32 v3, v5, v6, vcc
	v_mov_b32_e32 v4, 0x3b800000
	v_lshlrev_b32_e32 v1, 20, v1
	v_lshl_add_u32 v3, v3, 23, v4
	v_or3_b32 v1, v2, v3, v1
.LBB5_2048:
	s_or_b64 exec, exec, s[6:7]
	s_nop 0
	v_mfma_f32_16x16x4f32 a[0:3], v0, v1, a[0:3]
	s_nop 7
	s_nop 2
	flat_store_dwordx4 v[8:9], a[0:3] offset:240
	s_waitcnt vmcnt(0) lgkmcnt(0)
	s_setpc_b64 s[30:31]
.LBB5_2049:
	s_movk_i32 s4, 0x80
	v_cmp_eq_u16_sdwa s[12:13], v6, s4 src0_sel:BYTE_0 src1_sel:DWORD
	s_mov_b64 s[4:5], -1
                                        ; implicit-def: $sgpr10
	s_and_saveexec_b64 s[8:9], s[12:13]
; %bb.2050:
	s_mov_b32 s10, 0x7f800001
	s_xor_b64 s[4:5], exec, -1
; %bb.2051:
	s_or_b64 exec, exec, s[8:9]
	s_and_b64 s[4:5], s[4:5], exec
	s_or_saveexec_b64 s[6:7], s[6:7]
	v_mov_b32_e32 v12, s10
	s_xor_b64 exec, exec, s[6:7]
	s_cbranch_execz .LBB5_2
.LBB5_2052:
	v_mov_b32_e32 v12, 0
	v_cmp_ne_u16_sdwa s[8:9], v6, v12 src0_sel:BYTE_0 src1_sel:DWORD
	s_andn2_b64 s[4:5], s[4:5], exec
	s_and_b64 s[8:9], s[8:9], exec
	s_or_b64 s[4:5], s[4:5], s[8:9]
	s_or_b64 exec, exec, s[6:7]
	s_and_saveexec_b64 s[6:7], s[4:5]
	s_cbranch_execnz .LBB5_3
	s_branch .LBB5_4
.LBB5_2053:
	s_movk_i32 s4, 0x80
	v_cmp_eq_u16_sdwa s[12:13], v2, s4 src0_sel:BYTE_0 src1_sel:DWORD
	s_mov_b64 s[4:5], -1
                                        ; implicit-def: $sgpr10
	s_and_saveexec_b64 s[8:9], s[12:13]
; %bb.2054:
	s_mov_b32 s10, 0x7f800001
	s_xor_b64 s[4:5], exec, -1
; %bb.2055:
	s_or_b64 exec, exec, s[8:9]
	s_and_b64 s[4:5], s[4:5], exec
	s_or_saveexec_b64 s[6:7], s[6:7]
	v_mov_b32_e32 v13, s10
	s_xor_b64 exec, exec, s[6:7]
	s_cbranch_execz .LBB5_6
.LBB5_2056:
	v_mov_b32_e32 v13, 0
	v_cmp_ne_u16_sdwa s[8:9], v2, v13 src0_sel:BYTE_0 src1_sel:DWORD
	s_andn2_b64 s[4:5], s[4:5], exec
	s_and_b64 s[8:9], s[8:9], exec
	s_or_b64 s[4:5], s[4:5], s[8:9]
	s_or_b64 exec, exec, s[6:7]
	s_and_saveexec_b64 s[6:7], s[4:5]
	s_cbranch_execnz .LBB5_7
	s_branch .LBB5_8
.LBB5_2057:
	s_movk_i32 s4, 0x80
	v_cmp_eq_u16_sdwa s[12:13], v13, s4 src0_sel:BYTE_0 src1_sel:DWORD
	s_mov_b64 s[4:5], -1
                                        ; implicit-def: $sgpr10
	s_and_saveexec_b64 s[8:9], s[12:13]
; %bb.2058:
	s_mov_b32 s10, 0x7f800001
	s_xor_b64 s[4:5], exec, -1
; %bb.2059:
	s_or_b64 exec, exec, s[8:9]
	s_and_b64 s[4:5], s[4:5], exec
	s_or_saveexec_b64 s[6:7], s[6:7]
	v_mov_b32_e32 v12, s10
	s_xor_b64 exec, exec, s[6:7]
	s_cbranch_execz .LBB5_10
.LBB5_2060:
	v_mov_b32_e32 v12, 0
	v_cmp_ne_u16_sdwa s[8:9], v13, v12 src0_sel:BYTE_0 src1_sel:DWORD
	s_andn2_b64 s[4:5], s[4:5], exec
	s_and_b64 s[8:9], s[8:9], exec
	s_or_b64 s[4:5], s[4:5], s[8:9]
	s_or_b64 exec, exec, s[6:7]
	s_and_saveexec_b64 s[6:7], s[4:5]
	s_cbranch_execnz .LBB5_11
	s_branch .LBB5_12
.LBB5_2061:
	s_movk_i32 s4, 0x80
	v_cmp_eq_u16_sdwa s[12:13], v13, s4 src0_sel:BYTE_0 src1_sel:DWORD
	s_mov_b64 s[4:5], -1
                                        ; implicit-def: $sgpr10
	s_and_saveexec_b64 s[8:9], s[12:13]
; %bb.2062:
	s_mov_b32 s10, 0x7f800001
	s_xor_b64 s[4:5], exec, -1
; %bb.2063:
	s_or_b64 exec, exec, s[8:9]
	s_and_b64 s[4:5], s[4:5], exec
	s_or_saveexec_b64 s[6:7], s[6:7]
	v_mov_b32_e32 v14, s10
	s_xor_b64 exec, exec, s[6:7]
	s_cbranch_execz .LBB5_14
.LBB5_2064:
	v_mov_b32_e32 v14, 0
	v_cmp_ne_u16_sdwa s[8:9], v13, v14 src0_sel:BYTE_0 src1_sel:DWORD
	s_andn2_b64 s[4:5], s[4:5], exec
	s_and_b64 s[8:9], s[8:9], exec
	s_or_b64 s[4:5], s[4:5], s[8:9]
	s_or_b64 exec, exec, s[6:7]
	s_and_saveexec_b64 s[6:7], s[4:5]
	s_cbranch_execnz .LBB5_15
	s_branch .LBB5_16
.LBB5_2065:
	s_movk_i32 s4, 0x80
	v_cmp_eq_u16_e32 vcc, s4, v13
	s_mov_b64 s[4:5], -1
                                        ; implicit-def: $sgpr10
	s_and_saveexec_b64 s[8:9], vcc
; %bb.2066:
	s_mov_b32 s10, 0x7f800001
	s_xor_b64 s[4:5], exec, -1
; %bb.2067:
	s_or_b64 exec, exec, s[8:9]
	s_and_b64 s[4:5], s[4:5], exec
                                        ; implicit-def: $vgpr13
	s_or_saveexec_b64 s[6:7], s[6:7]
	v_mov_b32_e32 v12, s10
	s_xor_b64 exec, exec, s[6:7]
	s_cbranch_execz .LBB5_18
.LBB5_2068:
	v_cmp_ne_u16_e32 vcc, 0, v13
	s_andn2_b64 s[4:5], s[4:5], exec
	s_and_b64 s[8:9], vcc, exec
	v_mov_b32_e32 v12, 0
	s_or_b64 s[4:5], s[4:5], s[8:9]
	s_or_b64 exec, exec, s[6:7]
	s_and_saveexec_b64 s[6:7], s[4:5]
	s_cbranch_execnz .LBB5_19
	s_branch .LBB5_20
.LBB5_2069:
	s_movk_i32 s4, 0x80
	v_cmp_eq_u16_e32 vcc, s4, v13
	s_mov_b64 s[4:5], -1
                                        ; implicit-def: $sgpr10
	s_and_saveexec_b64 s[8:9], vcc
; %bb.2070:
	s_mov_b32 s10, 0x7f800001
	s_xor_b64 s[4:5], exec, -1
; %bb.2071:
	s_or_b64 exec, exec, s[8:9]
	s_and_b64 s[4:5], s[4:5], exec
                                        ; implicit-def: $vgpr13
	s_or_saveexec_b64 s[6:7], s[6:7]
	v_mov_b32_e32 v14, s10
	s_xor_b64 exec, exec, s[6:7]
	s_cbranch_execz .LBB5_22
.LBB5_2072:
	v_cmp_ne_u16_e32 vcc, 0, v13
	s_andn2_b64 s[4:5], s[4:5], exec
	s_and_b64 s[8:9], vcc, exec
	v_mov_b32_e32 v14, 0
	s_or_b64 s[4:5], s[4:5], s[8:9]
	s_or_b64 exec, exec, s[6:7]
	s_and_saveexec_b64 s[6:7], s[4:5]
	s_cbranch_execnz .LBB5_23
	s_branch .LBB5_24
.LBB5_2073:
	s_movk_i32 s4, 0x80
	v_cmp_eq_u16_sdwa s[12:13], v6, s4 src0_sel:BYTE_3 src1_sel:DWORD
	s_mov_b64 s[4:5], -1
                                        ; implicit-def: $sgpr10
	s_and_saveexec_b64 s[8:9], s[12:13]
; %bb.2074:
	s_mov_b32 s10, 0x7f800001
	s_xor_b64 s[4:5], exec, -1
; %bb.2075:
	s_or_b64 exec, exec, s[8:9]
	s_and_b64 s[4:5], s[4:5], exec
	s_or_saveexec_b64 s[6:7], s[6:7]
	v_mov_b32_e32 v12, s10
	s_xor_b64 exec, exec, s[6:7]
	s_cbranch_execz .LBB5_26
.LBB5_2076:
	v_mov_b32_e32 v12, 0
	v_cmp_ne_u16_sdwa s[8:9], v6, v12 src0_sel:BYTE_3 src1_sel:DWORD
	s_andn2_b64 s[4:5], s[4:5], exec
	s_and_b64 s[8:9], s[8:9], exec
	s_or_b64 s[4:5], s[4:5], s[8:9]
	s_or_b64 exec, exec, s[6:7]
	s_and_saveexec_b64 s[6:7], s[4:5]
	s_cbranch_execnz .LBB5_27
	s_branch .LBB5_28
.LBB5_2077:
	s_movk_i32 s4, 0x80
	v_cmp_eq_u16_sdwa s[12:13], v2, s4 src0_sel:BYTE_3 src1_sel:DWORD
	s_mov_b64 s[4:5], -1
                                        ; implicit-def: $sgpr10
	s_and_saveexec_b64 s[8:9], s[12:13]
; %bb.2078:
	s_mov_b32 s10, 0x7f800001
	s_xor_b64 s[4:5], exec, -1
; %bb.2079:
	s_or_b64 exec, exec, s[8:9]
	s_and_b64 s[4:5], s[4:5], exec
	s_or_saveexec_b64 s[6:7], s[6:7]
	v_mov_b32_e32 v6, s10
	s_xor_b64 exec, exec, s[6:7]
	s_cbranch_execz .LBB5_30
.LBB5_2080:
	v_mov_b32_e32 v6, 0
	v_cmp_ne_u16_sdwa s[8:9], v2, v6 src0_sel:BYTE_3 src1_sel:DWORD
	s_andn2_b64 s[4:5], s[4:5], exec
	s_and_b64 s[8:9], s[8:9], exec
	s_or_b64 s[4:5], s[4:5], s[8:9]
	s_or_b64 exec, exec, s[6:7]
	s_and_saveexec_b64 s[6:7], s[4:5]
	s_cbranch_execnz .LBB5_31
	s_branch .LBB5_32
.LBB5_2081:
	s_movk_i32 s4, 0x80
	v_cmp_eq_u16_sdwa s[12:13], v7, s4 src0_sel:BYTE_0 src1_sel:DWORD
	s_mov_b64 s[4:5], -1
                                        ; implicit-def: $sgpr10
	s_and_saveexec_b64 s[8:9], s[12:13]
; %bb.2082:
	s_mov_b32 s10, 0x7f800001
	s_xor_b64 s[4:5], exec, -1
; %bb.2083:
	s_or_b64 exec, exec, s[8:9]
	s_and_b64 s[4:5], s[4:5], exec
	s_or_saveexec_b64 s[6:7], s[6:7]
	v_mov_b32_e32 v2, s10
	s_xor_b64 exec, exec, s[6:7]
	s_cbranch_execz .LBB5_34
.LBB5_2084:
	v_mov_b32_e32 v2, 0
	v_cmp_ne_u16_sdwa s[8:9], v7, v2 src0_sel:BYTE_0 src1_sel:DWORD
	s_andn2_b64 s[4:5], s[4:5], exec
	s_and_b64 s[8:9], s[8:9], exec
	s_or_b64 s[4:5], s[4:5], s[8:9]
	s_or_b64 exec, exec, s[6:7]
	s_and_saveexec_b64 s[6:7], s[4:5]
	s_cbranch_execnz .LBB5_35
	s_branch .LBB5_36
.LBB5_2085:
	s_movk_i32 s4, 0x80
	v_cmp_eq_u16_sdwa s[12:13], v3, s4 src0_sel:BYTE_0 src1_sel:DWORD
	s_mov_b64 s[4:5], -1
                                        ; implicit-def: $sgpr10
	s_and_saveexec_b64 s[8:9], s[12:13]
; %bb.2086:
	s_mov_b32 s10, 0x7f800001
	s_xor_b64 s[4:5], exec, -1
; %bb.2087:
	s_or_b64 exec, exec, s[8:9]
	s_and_b64 s[4:5], s[4:5], exec
	s_or_saveexec_b64 s[6:7], s[6:7]
	v_mov_b32_e32 v6, s10
	s_xor_b64 exec, exec, s[6:7]
	s_cbranch_execz .LBB5_38
.LBB5_2088:
	v_mov_b32_e32 v6, 0
	v_cmp_ne_u16_sdwa s[8:9], v3, v6 src0_sel:BYTE_0 src1_sel:DWORD
	s_andn2_b64 s[4:5], s[4:5], exec
	s_and_b64 s[8:9], s[8:9], exec
	s_or_b64 s[4:5], s[4:5], s[8:9]
	s_or_b64 exec, exec, s[6:7]
	s_and_saveexec_b64 s[6:7], s[4:5]
	s_cbranch_execnz .LBB5_39
	s_branch .LBB5_40
.LBB5_2089:
	s_movk_i32 s4, 0x80
	v_cmp_eq_u16_sdwa s[12:13], v6, s4 src0_sel:BYTE_0 src1_sel:DWORD
	s_mov_b64 s[4:5], -1
                                        ; implicit-def: $sgpr10
	s_and_saveexec_b64 s[8:9], s[12:13]
; %bb.2090:
	s_mov_b32 s10, 0x7f800001
	s_xor_b64 s[4:5], exec, -1
; %bb.2091:
	s_or_b64 exec, exec, s[8:9]
	s_and_b64 s[4:5], s[4:5], exec
	s_or_saveexec_b64 s[6:7], s[6:7]
	v_mov_b32_e32 v2, s10
	s_xor_b64 exec, exec, s[6:7]
	s_cbranch_execz .LBB5_42
.LBB5_2092:
	v_mov_b32_e32 v2, 0
	v_cmp_ne_u16_sdwa s[8:9], v6, v2 src0_sel:BYTE_0 src1_sel:DWORD
	s_andn2_b64 s[4:5], s[4:5], exec
	s_and_b64 s[8:9], s[8:9], exec
	s_or_b64 s[4:5], s[4:5], s[8:9]
	s_or_b64 exec, exec, s[6:7]
	s_and_saveexec_b64 s[6:7], s[4:5]
	s_cbranch_execnz .LBB5_43
	s_branch .LBB5_44
.LBB5_2093:
	s_movk_i32 s4, 0x80
	v_cmp_eq_u16_sdwa s[12:13], v6, s4 src0_sel:BYTE_0 src1_sel:DWORD
	s_mov_b64 s[4:5], -1
                                        ; implicit-def: $sgpr10
	s_and_saveexec_b64 s[8:9], s[12:13]
; %bb.2094:
	s_mov_b32 s10, 0x7f800001
	s_xor_b64 s[4:5], exec, -1
; %bb.2095:
	s_or_b64 exec, exec, s[8:9]
	s_and_b64 s[4:5], s[4:5], exec
	s_or_saveexec_b64 s[6:7], s[6:7]
	v_mov_b32_e32 v12, s10
	s_xor_b64 exec, exec, s[6:7]
	s_cbranch_execz .LBB5_46
.LBB5_2096:
	v_mov_b32_e32 v12, 0
	v_cmp_ne_u16_sdwa s[8:9], v6, v12 src0_sel:BYTE_0 src1_sel:DWORD
	s_andn2_b64 s[4:5], s[4:5], exec
	s_and_b64 s[8:9], s[8:9], exec
	s_or_b64 s[4:5], s[4:5], s[8:9]
	s_or_b64 exec, exec, s[6:7]
	s_and_saveexec_b64 s[6:7], s[4:5]
	s_cbranch_execnz .LBB5_47
	s_branch .LBB5_48
.LBB5_2097:
	s_movk_i32 s4, 0x80
	v_cmp_eq_u16_e32 vcc, s4, v6
	s_mov_b64 s[4:5], -1
                                        ; implicit-def: $sgpr10
	s_and_saveexec_b64 s[8:9], vcc
; %bb.2098:
	s_mov_b32 s10, 0x7f800001
	s_xor_b64 s[4:5], exec, -1
; %bb.2099:
	s_or_b64 exec, exec, s[8:9]
	s_and_b64 s[4:5], s[4:5], exec
                                        ; implicit-def: $vgpr6
	s_or_saveexec_b64 s[6:7], s[6:7]
	v_mov_b32_e32 v2, s10
	s_xor_b64 exec, exec, s[6:7]
	s_cbranch_execz .LBB5_50
.LBB5_2100:
	v_cmp_ne_u16_e32 vcc, 0, v6
	s_andn2_b64 s[4:5], s[4:5], exec
	s_and_b64 s[8:9], vcc, exec
	v_mov_b32_e32 v2, 0
	s_or_b64 s[4:5], s[4:5], s[8:9]
	s_or_b64 exec, exec, s[6:7]
	s_and_saveexec_b64 s[6:7], s[4:5]
	s_cbranch_execnz .LBB5_51
	s_branch .LBB5_52
.LBB5_2101:
	s_movk_i32 s4, 0x80
	v_cmp_eq_u16_e32 vcc, s4, v6
	s_mov_b64 s[4:5], -1
                                        ; implicit-def: $sgpr10
	s_and_saveexec_b64 s[8:9], vcc
; %bb.2102:
	s_mov_b32 s10, 0x7f800001
	s_xor_b64 s[4:5], exec, -1
; %bb.2103:
	s_or_b64 exec, exec, s[8:9]
	s_and_b64 s[4:5], s[4:5], exec
                                        ; implicit-def: $vgpr6
	s_or_saveexec_b64 s[6:7], s[6:7]
	v_mov_b32_e32 v12, s10
	s_xor_b64 exec, exec, s[6:7]
	s_cbranch_execz .LBB5_54
.LBB5_2104:
	v_cmp_ne_u16_e32 vcc, 0, v6
	s_andn2_b64 s[4:5], s[4:5], exec
	s_and_b64 s[8:9], vcc, exec
	v_mov_b32_e32 v12, 0
	s_or_b64 s[4:5], s[4:5], s[8:9]
	s_or_b64 exec, exec, s[6:7]
	s_and_saveexec_b64 s[6:7], s[4:5]
	s_cbranch_execnz .LBB5_55
	s_branch .LBB5_56
.LBB5_2105:
	s_movk_i32 s4, 0x80
	v_cmp_eq_u16_sdwa s[12:13], v7, s4 src0_sel:BYTE_3 src1_sel:DWORD
	s_mov_b64 s[4:5], -1
                                        ; implicit-def: $sgpr10
	s_and_saveexec_b64 s[8:9], s[12:13]
; %bb.2106:
	s_mov_b32 s10, 0x7f800001
	s_xor_b64 s[4:5], exec, -1
; %bb.2107:
	s_or_b64 exec, exec, s[8:9]
	s_and_b64 s[4:5], s[4:5], exec
	s_or_saveexec_b64 s[6:7], s[6:7]
	v_mov_b32_e32 v2, s10
	s_xor_b64 exec, exec, s[6:7]
	s_cbranch_execz .LBB5_58
.LBB5_2108:
	v_mov_b32_e32 v2, 0
	v_cmp_ne_u16_sdwa s[8:9], v7, v2 src0_sel:BYTE_3 src1_sel:DWORD
	s_andn2_b64 s[4:5], s[4:5], exec
	s_and_b64 s[8:9], s[8:9], exec
	s_or_b64 s[4:5], s[4:5], s[8:9]
	s_or_b64 exec, exec, s[6:7]
	s_and_saveexec_b64 s[6:7], s[4:5]
	s_cbranch_execnz .LBB5_59
	s_branch .LBB5_60
.LBB5_2109:
	s_movk_i32 s4, 0x80
	v_cmp_eq_u16_sdwa s[12:13], v3, s4 src0_sel:BYTE_3 src1_sel:DWORD
	s_mov_b64 s[4:5], -1
                                        ; implicit-def: $sgpr10
	s_and_saveexec_b64 s[8:9], s[12:13]
; %bb.2110:
	s_mov_b32 s10, 0x7f800001
	s_xor_b64 s[4:5], exec, -1
; %bb.2111:
	s_or_b64 exec, exec, s[8:9]
	s_and_b64 s[4:5], s[4:5], exec
	s_or_saveexec_b64 s[6:7], s[6:7]
	v_mov_b32_e32 v6, s10
	s_xor_b64 exec, exec, s[6:7]
	s_cbranch_execz .LBB5_62
.LBB5_2112:
	v_mov_b32_e32 v6, 0
	v_cmp_ne_u16_sdwa s[8:9], v3, v6 src0_sel:BYTE_3 src1_sel:DWORD
	s_andn2_b64 s[4:5], s[4:5], exec
	s_and_b64 s[8:9], s[8:9], exec
	s_or_b64 s[4:5], s[4:5], s[8:9]
	s_or_b64 exec, exec, s[6:7]
	s_and_saveexec_b64 s[6:7], s[4:5]
	s_cbranch_execnz .LBB5_63
	s_branch .LBB5_64
.LBB5_2113:
	s_movk_i32 s4, 0x80
	v_cmp_eq_u16_sdwa s[12:13], v8, s4 src0_sel:BYTE_0 src1_sel:DWORD
	s_mov_b64 s[4:5], -1
                                        ; implicit-def: $sgpr10
	s_and_saveexec_b64 s[8:9], s[12:13]
; %bb.2114:
	s_mov_b32 s10, 0x7f800001
	s_xor_b64 s[4:5], exec, -1
; %bb.2115:
	s_or_b64 exec, exec, s[8:9]
	s_and_b64 s[4:5], s[4:5], exec
	s_or_saveexec_b64 s[6:7], s[6:7]
	v_mov_b32_e32 v2, s10
	s_xor_b64 exec, exec, s[6:7]
	s_cbranch_execz .LBB5_66
.LBB5_2116:
	v_mov_b32_e32 v2, 0
	v_cmp_ne_u16_sdwa s[8:9], v8, v2 src0_sel:BYTE_0 src1_sel:DWORD
	s_andn2_b64 s[4:5], s[4:5], exec
	s_and_b64 s[8:9], s[8:9], exec
	s_or_b64 s[4:5], s[4:5], s[8:9]
	s_or_b64 exec, exec, s[6:7]
	s_and_saveexec_b64 s[6:7], s[4:5]
	s_cbranch_execnz .LBB5_67
	s_branch .LBB5_68
.LBB5_2117:
	s_movk_i32 s4, 0x80
	v_cmp_eq_u16_sdwa s[12:13], v4, s4 src0_sel:BYTE_0 src1_sel:DWORD
	s_mov_b64 s[4:5], -1
                                        ; implicit-def: $sgpr10
	s_and_saveexec_b64 s[8:9], s[12:13]
; %bb.2118:
	s_mov_b32 s10, 0x7f800001
	s_xor_b64 s[4:5], exec, -1
; %bb.2119:
	s_or_b64 exec, exec, s[8:9]
	s_and_b64 s[4:5], s[4:5], exec
	s_or_saveexec_b64 s[6:7], s[6:7]
	v_mov_b32_e32 v3, s10
	s_xor_b64 exec, exec, s[6:7]
	s_cbranch_execz .LBB5_70
.LBB5_2120:
	v_mov_b32_e32 v3, 0
	v_cmp_ne_u16_sdwa s[8:9], v4, v3 src0_sel:BYTE_0 src1_sel:DWORD
	s_andn2_b64 s[4:5], s[4:5], exec
	s_and_b64 s[8:9], s[8:9], exec
	s_or_b64 s[4:5], s[4:5], s[8:9]
	s_or_b64 exec, exec, s[6:7]
	s_and_saveexec_b64 s[6:7], s[4:5]
	s_cbranch_execnz .LBB5_71
	s_branch .LBB5_72
.LBB5_2121:
	s_movk_i32 s4, 0x80
	v_cmp_eq_u16_sdwa s[12:13], v3, s4 src0_sel:BYTE_0 src1_sel:DWORD
	s_mov_b64 s[4:5], -1
                                        ; implicit-def: $sgpr10
	s_and_saveexec_b64 s[8:9], s[12:13]
; %bb.2122:
	s_mov_b32 s10, 0x7f800001
	s_xor_b64 s[4:5], exec, -1
; %bb.2123:
	s_or_b64 exec, exec, s[8:9]
	s_and_b64 s[4:5], s[4:5], exec
	s_or_saveexec_b64 s[6:7], s[6:7]
	v_mov_b32_e32 v2, s10
	s_xor_b64 exec, exec, s[6:7]
	s_cbranch_execz .LBB5_74
.LBB5_2124:
	v_mov_b32_e32 v2, 0
	v_cmp_ne_u16_sdwa s[8:9], v3, v2 src0_sel:BYTE_0 src1_sel:DWORD
	s_andn2_b64 s[4:5], s[4:5], exec
	s_and_b64 s[8:9], s[8:9], exec
	s_or_b64 s[4:5], s[4:5], s[8:9]
	s_or_b64 exec, exec, s[6:7]
	s_and_saveexec_b64 s[6:7], s[4:5]
	s_cbranch_execnz .LBB5_75
	s_branch .LBB5_76
.LBB5_2125:
	s_movk_i32 s4, 0x80
	v_cmp_eq_u16_sdwa s[12:13], v3, s4 src0_sel:BYTE_0 src1_sel:DWORD
	s_mov_b64 s[4:5], -1
                                        ; implicit-def: $sgpr10
	s_and_saveexec_b64 s[8:9], s[12:13]
; %bb.2126:
	s_mov_b32 s10, 0x7f800001
	s_xor_b64 s[4:5], exec, -1
; %bb.2127:
	s_or_b64 exec, exec, s[8:9]
	s_and_b64 s[4:5], s[4:5], exec
	s_or_saveexec_b64 s[6:7], s[6:7]
	v_mov_b32_e32 v6, s10
	s_xor_b64 exec, exec, s[6:7]
	s_cbranch_execz .LBB5_78
.LBB5_2128:
	v_mov_b32_e32 v6, 0
	v_cmp_ne_u16_sdwa s[8:9], v3, v6 src0_sel:BYTE_0 src1_sel:DWORD
	s_andn2_b64 s[4:5], s[4:5], exec
	s_and_b64 s[8:9], s[8:9], exec
	s_or_b64 s[4:5], s[4:5], s[8:9]
	s_or_b64 exec, exec, s[6:7]
	s_and_saveexec_b64 s[6:7], s[4:5]
	s_cbranch_execnz .LBB5_79
	s_branch .LBB5_80
.LBB5_2129:
	s_movk_i32 s4, 0x80
	v_cmp_eq_u16_e32 vcc, s4, v3
	s_mov_b64 s[4:5], -1
                                        ; implicit-def: $sgpr10
	s_and_saveexec_b64 s[8:9], vcc
; %bb.2130:
	s_mov_b32 s10, 0x7f800001
	s_xor_b64 s[4:5], exec, -1
; %bb.2131:
	s_or_b64 exec, exec, s[8:9]
	s_and_b64 s[4:5], s[4:5], exec
                                        ; implicit-def: $vgpr3
	s_or_saveexec_b64 s[6:7], s[6:7]
	v_mov_b32_e32 v2, s10
	s_xor_b64 exec, exec, s[6:7]
	s_cbranch_execz .LBB5_82
.LBB5_2132:
	v_cmp_ne_u16_e32 vcc, 0, v3
	s_andn2_b64 s[4:5], s[4:5], exec
	s_and_b64 s[8:9], vcc, exec
	v_mov_b32_e32 v2, 0
	s_or_b64 s[4:5], s[4:5], s[8:9]
	s_or_b64 exec, exec, s[6:7]
	s_and_saveexec_b64 s[6:7], s[4:5]
	s_cbranch_execnz .LBB5_83
	s_branch .LBB5_84
.LBB5_2133:
	s_movk_i32 s4, 0x80
	v_cmp_eq_u16_e32 vcc, s4, v3
	s_mov_b64 s[4:5], -1
                                        ; implicit-def: $sgpr10
	s_and_saveexec_b64 s[8:9], vcc
; %bb.2134:
	s_mov_b32 s10, 0x7f800001
	s_xor_b64 s[4:5], exec, -1
; %bb.2135:
	s_or_b64 exec, exec, s[8:9]
	s_and_b64 s[4:5], s[4:5], exec
                                        ; implicit-def: $vgpr3
	s_or_saveexec_b64 s[6:7], s[6:7]
	v_mov_b32_e32 v6, s10
	s_xor_b64 exec, exec, s[6:7]
	s_cbranch_execz .LBB5_86
.LBB5_2136:
	v_cmp_ne_u16_e32 vcc, 0, v3
	s_andn2_b64 s[4:5], s[4:5], exec
	s_and_b64 s[8:9], vcc, exec
	v_mov_b32_e32 v6, 0
	s_or_b64 s[4:5], s[4:5], s[8:9]
	s_or_b64 exec, exec, s[6:7]
	s_and_saveexec_b64 s[6:7], s[4:5]
	s_cbranch_execnz .LBB5_87
	s_branch .LBB5_88
.LBB5_2137:
	s_movk_i32 s4, 0x80
	v_cmp_eq_u16_sdwa s[12:13], v8, s4 src0_sel:BYTE_3 src1_sel:DWORD
	s_mov_b64 s[4:5], -1
                                        ; implicit-def: $sgpr10
	s_and_saveexec_b64 s[8:9], s[12:13]
; %bb.2138:
	s_mov_b32 s10, 0x7f800001
	s_xor_b64 s[4:5], exec, -1
; %bb.2139:
	s_or_b64 exec, exec, s[8:9]
	s_and_b64 s[4:5], s[4:5], exec
	s_or_saveexec_b64 s[6:7], s[6:7]
	v_mov_b32_e32 v2, s10
	s_xor_b64 exec, exec, s[6:7]
	s_cbranch_execz .LBB5_90
.LBB5_2140:
	v_mov_b32_e32 v2, 0
	v_cmp_ne_u16_sdwa s[8:9], v8, v2 src0_sel:BYTE_3 src1_sel:DWORD
	s_andn2_b64 s[4:5], s[4:5], exec
	s_and_b64 s[8:9], s[8:9], exec
	s_or_b64 s[4:5], s[4:5], s[8:9]
	s_or_b64 exec, exec, s[6:7]
	s_and_saveexec_b64 s[6:7], s[4:5]
	s_cbranch_execnz .LBB5_91
	s_branch .LBB5_92
.LBB5_2141:
	s_movk_i32 s4, 0x80
	v_cmp_eq_u16_sdwa s[12:13], v4, s4 src0_sel:BYTE_3 src1_sel:DWORD
	s_mov_b64 s[4:5], -1
                                        ; implicit-def: $sgpr10
	s_and_saveexec_b64 s[8:9], s[12:13]
; %bb.2142:
	s_mov_b32 s10, 0x7f800001
	s_xor_b64 s[4:5], exec, -1
; %bb.2143:
	s_or_b64 exec, exec, s[8:9]
	s_and_b64 s[4:5], s[4:5], exec
	s_or_saveexec_b64 s[6:7], s[6:7]
	v_mov_b32_e32 v3, s10
	s_xor_b64 exec, exec, s[6:7]
	s_cbranch_execz .LBB5_94
.LBB5_2144:
	v_mov_b32_e32 v3, 0
	v_cmp_ne_u16_sdwa s[8:9], v4, v3 src0_sel:BYTE_3 src1_sel:DWORD
	s_andn2_b64 s[4:5], s[4:5], exec
	s_and_b64 s[8:9], s[8:9], exec
	s_or_b64 s[4:5], s[4:5], s[8:9]
	s_or_b64 exec, exec, s[6:7]
	s_and_saveexec_b64 s[6:7], s[4:5]
	s_cbranch_execnz .LBB5_95
	s_branch .LBB5_96
.LBB5_2145:
	s_movk_i32 s4, 0x80
	v_cmp_eq_u16_sdwa s[12:13], v9, s4 src0_sel:BYTE_0 src1_sel:DWORD
	s_mov_b64 s[4:5], -1
                                        ; implicit-def: $sgpr10
	s_and_saveexec_b64 s[8:9], s[12:13]
; %bb.2146:
	s_mov_b32 s10, 0x7f800001
	s_xor_b64 s[4:5], exec, -1
; %bb.2147:
	s_or_b64 exec, exec, s[8:9]
	s_and_b64 s[4:5], s[4:5], exec
	s_or_saveexec_b64 s[6:7], s[6:7]
	v_mov_b32_e32 v2, s10
	s_xor_b64 exec, exec, s[6:7]
	s_cbranch_execz .LBB5_98
.LBB5_2148:
	v_mov_b32_e32 v2, 0
	v_cmp_ne_u16_sdwa s[8:9], v9, v2 src0_sel:BYTE_0 src1_sel:DWORD
	s_andn2_b64 s[4:5], s[4:5], exec
	s_and_b64 s[8:9], s[8:9], exec
	s_or_b64 s[4:5], s[4:5], s[8:9]
	s_or_b64 exec, exec, s[6:7]
	s_and_saveexec_b64 s[6:7], s[4:5]
	s_cbranch_execnz .LBB5_99
	s_branch .LBB5_100
.LBB5_2149:
	s_movk_i32 s4, 0x80
	v_cmp_eq_u16_sdwa s[12:13], v5, s4 src0_sel:BYTE_0 src1_sel:DWORD
	s_mov_b64 s[4:5], -1
                                        ; implicit-def: $sgpr10
	s_and_saveexec_b64 s[8:9], s[12:13]
; %bb.2150:
	s_mov_b32 s10, 0x7f800001
	s_xor_b64 s[4:5], exec, -1
; %bb.2151:
	s_or_b64 exec, exec, s[8:9]
	s_and_b64 s[4:5], s[4:5], exec
	s_or_saveexec_b64 s[6:7], s[6:7]
	v_mov_b32_e32 v3, s10
	s_xor_b64 exec, exec, s[6:7]
	s_cbranch_execz .LBB5_102
.LBB5_2152:
	v_mov_b32_e32 v3, 0
	v_cmp_ne_u16_sdwa s[8:9], v5, v3 src0_sel:BYTE_0 src1_sel:DWORD
	s_andn2_b64 s[4:5], s[4:5], exec
	s_and_b64 s[8:9], s[8:9], exec
	s_or_b64 s[4:5], s[4:5], s[8:9]
	s_or_b64 exec, exec, s[6:7]
	s_and_saveexec_b64 s[6:7], s[4:5]
	s_cbranch_execnz .LBB5_103
	s_branch .LBB5_104
.LBB5_2153:
	s_movk_i32 s4, 0x80
	v_cmp_eq_u16_sdwa s[12:13], v3, s4 src0_sel:BYTE_0 src1_sel:DWORD
	s_mov_b64 s[4:5], -1
                                        ; implicit-def: $sgpr10
	s_and_saveexec_b64 s[8:9], s[12:13]
; %bb.2154:
	s_mov_b32 s10, 0x7f800001
	s_xor_b64 s[4:5], exec, -1
; %bb.2155:
	s_or_b64 exec, exec, s[8:9]
	s_and_b64 s[4:5], s[4:5], exec
	s_or_saveexec_b64 s[6:7], s[6:7]
	v_mov_b32_e32 v2, s10
	s_xor_b64 exec, exec, s[6:7]
	s_cbranch_execz .LBB5_106
.LBB5_2156:
	v_mov_b32_e32 v2, 0
	v_cmp_ne_u16_sdwa s[8:9], v3, v2 src0_sel:BYTE_0 src1_sel:DWORD
	s_andn2_b64 s[4:5], s[4:5], exec
	s_and_b64 s[8:9], s[8:9], exec
	s_or_b64 s[4:5], s[4:5], s[8:9]
	s_or_b64 exec, exec, s[6:7]
	s_and_saveexec_b64 s[6:7], s[4:5]
	s_cbranch_execnz .LBB5_107
	s_branch .LBB5_108
.LBB5_2157:
	s_movk_i32 s4, 0x80
	v_cmp_eq_u16_sdwa s[12:13], v3, s4 src0_sel:BYTE_0 src1_sel:DWORD
	s_mov_b64 s[4:5], -1
                                        ; implicit-def: $sgpr10
	s_and_saveexec_b64 s[8:9], s[12:13]
; %bb.2158:
	s_mov_b32 s10, 0x7f800001
	s_xor_b64 s[4:5], exec, -1
; %bb.2159:
	s_or_b64 exec, exec, s[8:9]
	s_and_b64 s[4:5], s[4:5], exec
	s_or_saveexec_b64 s[6:7], s[6:7]
	v_mov_b32_e32 v4, s10
	s_xor_b64 exec, exec, s[6:7]
	s_cbranch_execz .LBB5_110
.LBB5_2160:
	v_mov_b32_e32 v4, 0
	v_cmp_ne_u16_sdwa s[8:9], v3, v4 src0_sel:BYTE_0 src1_sel:DWORD
	s_andn2_b64 s[4:5], s[4:5], exec
	s_and_b64 s[8:9], s[8:9], exec
	s_or_b64 s[4:5], s[4:5], s[8:9]
	s_or_b64 exec, exec, s[6:7]
	s_and_saveexec_b64 s[6:7], s[4:5]
	s_cbranch_execnz .LBB5_111
	s_branch .LBB5_112
.LBB5_2161:
	s_movk_i32 s4, 0x80
	v_cmp_eq_u16_e32 vcc, s4, v3
	s_mov_b64 s[4:5], -1
                                        ; implicit-def: $sgpr10
	s_and_saveexec_b64 s[8:9], vcc
; %bb.2162:
	s_mov_b32 s10, 0x7f800001
	s_xor_b64 s[4:5], exec, -1
; %bb.2163:
	s_or_b64 exec, exec, s[8:9]
	s_and_b64 s[4:5], s[4:5], exec
                                        ; implicit-def: $vgpr3
	s_or_saveexec_b64 s[6:7], s[6:7]
	v_mov_b32_e32 v2, s10
	s_xor_b64 exec, exec, s[6:7]
	s_cbranch_execz .LBB5_114
.LBB5_2164:
	v_cmp_ne_u16_e32 vcc, 0, v3
	s_andn2_b64 s[4:5], s[4:5], exec
	s_and_b64 s[8:9], vcc, exec
	v_mov_b32_e32 v2, 0
	s_or_b64 s[4:5], s[4:5], s[8:9]
	s_or_b64 exec, exec, s[6:7]
	s_and_saveexec_b64 s[6:7], s[4:5]
	s_cbranch_execnz .LBB5_115
	s_branch .LBB5_116
.LBB5_2165:
	s_movk_i32 s4, 0x80
	v_cmp_eq_u16_e32 vcc, s4, v3
	s_mov_b64 s[4:5], -1
                                        ; implicit-def: $sgpr10
	s_and_saveexec_b64 s[8:9], vcc
; %bb.2166:
	s_mov_b32 s10, 0x7f800001
	s_xor_b64 s[4:5], exec, -1
; %bb.2167:
	s_or_b64 exec, exec, s[8:9]
	s_and_b64 s[4:5], s[4:5], exec
                                        ; implicit-def: $vgpr3
	s_or_saveexec_b64 s[6:7], s[6:7]
	v_mov_b32_e32 v4, s10
	s_xor_b64 exec, exec, s[6:7]
	s_cbranch_execz .LBB5_118
.LBB5_2168:
	v_cmp_ne_u16_e32 vcc, 0, v3
	s_andn2_b64 s[4:5], s[4:5], exec
	s_and_b64 s[8:9], vcc, exec
	v_mov_b32_e32 v4, 0
	s_or_b64 s[4:5], s[4:5], s[8:9]
	s_or_b64 exec, exec, s[6:7]
	s_and_saveexec_b64 s[6:7], s[4:5]
	s_cbranch_execnz .LBB5_119
	s_branch .LBB5_120
.LBB5_2169:
	s_movk_i32 s4, 0x80
	v_cmp_eq_u16_sdwa s[12:13], v9, s4 src0_sel:BYTE_3 src1_sel:DWORD
	s_mov_b64 s[4:5], -1
                                        ; implicit-def: $sgpr10
	s_and_saveexec_b64 s[8:9], s[12:13]
; %bb.2170:
	s_mov_b32 s10, 0x7f800001
	s_xor_b64 s[4:5], exec, -1
; %bb.2171:
	s_or_b64 exec, exec, s[8:9]
	s_and_b64 s[4:5], s[4:5], exec
	s_or_saveexec_b64 s[6:7], s[6:7]
	v_mov_b32_e32 v2, s10
	s_xor_b64 exec, exec, s[6:7]
	s_cbranch_execz .LBB5_122
.LBB5_2172:
	v_mov_b32_e32 v2, 0
	v_cmp_ne_u16_sdwa s[8:9], v9, v2 src0_sel:BYTE_3 src1_sel:DWORD
	s_andn2_b64 s[4:5], s[4:5], exec
	s_and_b64 s[8:9], s[8:9], exec
	s_or_b64 s[4:5], s[4:5], s[8:9]
	s_or_b64 exec, exec, s[6:7]
	s_and_saveexec_b64 s[6:7], s[4:5]
	s_cbranch_execnz .LBB5_123
	s_branch .LBB5_124
.LBB5_2173:
	s_movk_i32 s4, 0x80
	v_cmp_eq_u16_sdwa s[12:13], v5, s4 src0_sel:BYTE_3 src1_sel:DWORD
	s_mov_b64 s[4:5], -1
                                        ; implicit-def: $sgpr10
	s_and_saveexec_b64 s[8:9], s[12:13]
; %bb.2174:
	s_mov_b32 s10, 0x7f800001
	s_xor_b64 s[4:5], exec, -1
; %bb.2175:
	s_or_b64 exec, exec, s[8:9]
	s_and_b64 s[4:5], s[4:5], exec
	s_or_saveexec_b64 s[6:7], s[6:7]
	v_mov_b32_e32 v3, s10
	s_xor_b64 exec, exec, s[6:7]
	s_cbranch_execz .LBB5_126
.LBB5_2176:
	v_mov_b32_e32 v3, 0
	v_cmp_ne_u16_sdwa s[8:9], v5, v3 src0_sel:BYTE_3 src1_sel:DWORD
	s_andn2_b64 s[4:5], s[4:5], exec
	s_and_b64 s[8:9], s[8:9], exec
	s_or_b64 s[4:5], s[4:5], s[8:9]
	s_or_b64 exec, exec, s[6:7]
	s_and_saveexec_b64 s[6:7], s[4:5]
	s_cbranch_execnz .LBB5_127
	s_branch .LBB5_128
.LBB5_2177:
	s_movk_i32 s4, 0x80
	v_cmp_eq_u16_sdwa s[12:13], v6, s4 src0_sel:BYTE_0 src1_sel:DWORD
	s_mov_b64 s[4:5], -1
                                        ; implicit-def: $sgpr10
	s_and_saveexec_b64 s[8:9], s[12:13]
; %bb.2178:
	s_mov_b32 s10, 0x7f800001
	s_xor_b64 s[4:5], exec, -1
; %bb.2179:
	s_or_b64 exec, exec, s[8:9]
	s_and_b64 s[4:5], s[4:5], exec
	s_or_saveexec_b64 s[6:7], s[6:7]
	v_mov_b32_e32 v12, s10
	s_xor_b64 exec, exec, s[6:7]
	s_cbranch_execz .LBB5_130
.LBB5_2180:
	v_mov_b32_e32 v12, 0
	v_cmp_ne_u16_sdwa s[8:9], v6, v12 src0_sel:BYTE_0 src1_sel:DWORD
	s_andn2_b64 s[4:5], s[4:5], exec
	s_and_b64 s[8:9], s[8:9], exec
	s_or_b64 s[4:5], s[4:5], s[8:9]
	s_or_b64 exec, exec, s[6:7]
	s_and_saveexec_b64 s[6:7], s[4:5]
	s_cbranch_execnz .LBB5_131
	s_branch .LBB5_132
.LBB5_2181:
	s_movk_i32 s4, 0x80
	v_cmp_eq_u16_sdwa s[12:13], v2, s4 src0_sel:BYTE_0 src1_sel:DWORD
	s_mov_b64 s[4:5], -1
                                        ; implicit-def: $sgpr10
	s_and_saveexec_b64 s[8:9], s[12:13]
; %bb.2182:
	s_mov_b32 s10, 0x7f800001
	s_xor_b64 s[4:5], exec, -1
; %bb.2183:
	s_or_b64 exec, exec, s[8:9]
	s_and_b64 s[4:5], s[4:5], exec
	s_or_saveexec_b64 s[6:7], s[6:7]
	v_mov_b32_e32 v13, s10
	s_xor_b64 exec, exec, s[6:7]
	s_cbranch_execz .LBB5_134
.LBB5_2184:
	v_mov_b32_e32 v13, 0
	v_cmp_ne_u16_sdwa s[8:9], v2, v13 src0_sel:BYTE_0 src1_sel:DWORD
	s_andn2_b64 s[4:5], s[4:5], exec
	s_and_b64 s[8:9], s[8:9], exec
	s_or_b64 s[4:5], s[4:5], s[8:9]
	s_or_b64 exec, exec, s[6:7]
	s_and_saveexec_b64 s[6:7], s[4:5]
	s_cbranch_execnz .LBB5_135
	s_branch .LBB5_136
.LBB5_2185:
	s_movk_i32 s4, 0x80
	v_cmp_eq_u16_sdwa s[12:13], v13, s4 src0_sel:BYTE_0 src1_sel:DWORD
	s_mov_b64 s[4:5], -1
                                        ; implicit-def: $sgpr10
	s_and_saveexec_b64 s[8:9], s[12:13]
; %bb.2186:
	s_mov_b32 s10, 0x7f800001
	s_xor_b64 s[4:5], exec, -1
; %bb.2187:
	s_or_b64 exec, exec, s[8:9]
	s_and_b64 s[4:5], s[4:5], exec
	s_or_saveexec_b64 s[6:7], s[6:7]
	v_mov_b32_e32 v12, s10
	s_xor_b64 exec, exec, s[6:7]
	s_cbranch_execz .LBB5_138
.LBB5_2188:
	v_mov_b32_e32 v12, 0
	v_cmp_ne_u16_sdwa s[8:9], v13, v12 src0_sel:BYTE_0 src1_sel:DWORD
	s_andn2_b64 s[4:5], s[4:5], exec
	s_and_b64 s[8:9], s[8:9], exec
	s_or_b64 s[4:5], s[4:5], s[8:9]
	s_or_b64 exec, exec, s[6:7]
	s_and_saveexec_b64 s[6:7], s[4:5]
	s_cbranch_execnz .LBB5_139
	s_branch .LBB5_140
.LBB5_2189:
	s_movk_i32 s4, 0x80
	v_cmp_eq_u16_sdwa s[12:13], v13, s4 src0_sel:BYTE_0 src1_sel:DWORD
	s_mov_b64 s[4:5], -1
                                        ; implicit-def: $sgpr10
	s_and_saveexec_b64 s[8:9], s[12:13]
; %bb.2190:
	s_mov_b32 s10, 0x7f800001
	s_xor_b64 s[4:5], exec, -1
; %bb.2191:
	s_or_b64 exec, exec, s[8:9]
	s_and_b64 s[4:5], s[4:5], exec
	s_or_saveexec_b64 s[6:7], s[6:7]
	v_mov_b32_e32 v14, s10
	s_xor_b64 exec, exec, s[6:7]
	s_cbranch_execz .LBB5_142
.LBB5_2192:
	v_mov_b32_e32 v14, 0
	v_cmp_ne_u16_sdwa s[8:9], v13, v14 src0_sel:BYTE_0 src1_sel:DWORD
	s_andn2_b64 s[4:5], s[4:5], exec
	s_and_b64 s[8:9], s[8:9], exec
	s_or_b64 s[4:5], s[4:5], s[8:9]
	s_or_b64 exec, exec, s[6:7]
	s_and_saveexec_b64 s[6:7], s[4:5]
	s_cbranch_execnz .LBB5_143
	s_branch .LBB5_144
.LBB5_2193:
	s_movk_i32 s4, 0x80
	v_cmp_eq_u16_e32 vcc, s4, v13
	s_mov_b64 s[4:5], -1
                                        ; implicit-def: $sgpr10
	s_and_saveexec_b64 s[8:9], vcc
; %bb.2194:
	s_mov_b32 s10, 0x7f800001
	s_xor_b64 s[4:5], exec, -1
; %bb.2195:
	s_or_b64 exec, exec, s[8:9]
	s_and_b64 s[4:5], s[4:5], exec
                                        ; implicit-def: $vgpr13
	s_or_saveexec_b64 s[6:7], s[6:7]
	v_mov_b32_e32 v12, s10
	s_xor_b64 exec, exec, s[6:7]
	s_cbranch_execz .LBB5_146
.LBB5_2196:
	v_cmp_ne_u16_e32 vcc, 0, v13
	s_andn2_b64 s[4:5], s[4:5], exec
	s_and_b64 s[8:9], vcc, exec
	v_mov_b32_e32 v12, 0
	s_or_b64 s[4:5], s[4:5], s[8:9]
	s_or_b64 exec, exec, s[6:7]
	s_and_saveexec_b64 s[6:7], s[4:5]
	s_cbranch_execnz .LBB5_147
	s_branch .LBB5_148
.LBB5_2197:
	s_movk_i32 s4, 0x80
	v_cmp_eq_u16_e32 vcc, s4, v13
	s_mov_b64 s[4:5], -1
                                        ; implicit-def: $sgpr10
	s_and_saveexec_b64 s[8:9], vcc
; %bb.2198:
	s_mov_b32 s10, 0x7f800001
	s_xor_b64 s[4:5], exec, -1
; %bb.2199:
	s_or_b64 exec, exec, s[8:9]
	s_and_b64 s[4:5], s[4:5], exec
                                        ; implicit-def: $vgpr13
	s_or_saveexec_b64 s[6:7], s[6:7]
	v_mov_b32_e32 v14, s10
	s_xor_b64 exec, exec, s[6:7]
	s_cbranch_execz .LBB5_150
.LBB5_2200:
	v_cmp_ne_u16_e32 vcc, 0, v13
	s_andn2_b64 s[4:5], s[4:5], exec
	s_and_b64 s[8:9], vcc, exec
	v_mov_b32_e32 v14, 0
	s_or_b64 s[4:5], s[4:5], s[8:9]
	s_or_b64 exec, exec, s[6:7]
	s_and_saveexec_b64 s[6:7], s[4:5]
	s_cbranch_execnz .LBB5_151
	s_branch .LBB5_152
.LBB5_2201:
	s_movk_i32 s4, 0x80
	v_cmp_eq_u16_sdwa s[12:13], v6, s4 src0_sel:BYTE_3 src1_sel:DWORD
	s_mov_b64 s[4:5], -1
                                        ; implicit-def: $sgpr10
	s_and_saveexec_b64 s[8:9], s[12:13]
; %bb.2202:
	s_mov_b32 s10, 0x7f800001
	s_xor_b64 s[4:5], exec, -1
; %bb.2203:
	s_or_b64 exec, exec, s[8:9]
	s_and_b64 s[4:5], s[4:5], exec
	s_or_saveexec_b64 s[6:7], s[6:7]
	v_mov_b32_e32 v12, s10
	s_xor_b64 exec, exec, s[6:7]
	s_cbranch_execz .LBB5_154
.LBB5_2204:
	v_mov_b32_e32 v12, 0
	v_cmp_ne_u16_sdwa s[8:9], v6, v12 src0_sel:BYTE_3 src1_sel:DWORD
	s_andn2_b64 s[4:5], s[4:5], exec
	s_and_b64 s[8:9], s[8:9], exec
	s_or_b64 s[4:5], s[4:5], s[8:9]
	s_or_b64 exec, exec, s[6:7]
	s_and_saveexec_b64 s[6:7], s[4:5]
	s_cbranch_execnz .LBB5_155
	s_branch .LBB5_156
.LBB5_2205:
	s_movk_i32 s4, 0x80
	v_cmp_eq_u16_sdwa s[12:13], v2, s4 src0_sel:BYTE_3 src1_sel:DWORD
	s_mov_b64 s[4:5], -1
                                        ; implicit-def: $sgpr10
	s_and_saveexec_b64 s[8:9], s[12:13]
; %bb.2206:
	s_mov_b32 s10, 0x7f800001
	s_xor_b64 s[4:5], exec, -1
; %bb.2207:
	s_or_b64 exec, exec, s[8:9]
	s_and_b64 s[4:5], s[4:5], exec
	s_or_saveexec_b64 s[6:7], s[6:7]
	v_mov_b32_e32 v6, s10
	s_xor_b64 exec, exec, s[6:7]
	s_cbranch_execz .LBB5_158
.LBB5_2208:
	v_mov_b32_e32 v6, 0
	v_cmp_ne_u16_sdwa s[8:9], v2, v6 src0_sel:BYTE_3 src1_sel:DWORD
	s_andn2_b64 s[4:5], s[4:5], exec
	s_and_b64 s[8:9], s[8:9], exec
	s_or_b64 s[4:5], s[4:5], s[8:9]
	s_or_b64 exec, exec, s[6:7]
	s_and_saveexec_b64 s[6:7], s[4:5]
	s_cbranch_execnz .LBB5_159
	s_branch .LBB5_160
.LBB5_2209:
	s_movk_i32 s4, 0x80
	v_cmp_eq_u16_sdwa s[12:13], v7, s4 src0_sel:BYTE_0 src1_sel:DWORD
	s_mov_b64 s[4:5], -1
                                        ; implicit-def: $sgpr10
	s_and_saveexec_b64 s[8:9], s[12:13]
; %bb.2210:
	s_mov_b32 s10, 0x7f800001
	s_xor_b64 s[4:5], exec, -1
; %bb.2211:
	s_or_b64 exec, exec, s[8:9]
	s_and_b64 s[4:5], s[4:5], exec
	s_or_saveexec_b64 s[6:7], s[6:7]
	v_mov_b32_e32 v2, s10
	s_xor_b64 exec, exec, s[6:7]
	s_cbranch_execz .LBB5_162
.LBB5_2212:
	v_mov_b32_e32 v2, 0
	v_cmp_ne_u16_sdwa s[8:9], v7, v2 src0_sel:BYTE_0 src1_sel:DWORD
	s_andn2_b64 s[4:5], s[4:5], exec
	s_and_b64 s[8:9], s[8:9], exec
	s_or_b64 s[4:5], s[4:5], s[8:9]
	s_or_b64 exec, exec, s[6:7]
	s_and_saveexec_b64 s[6:7], s[4:5]
	s_cbranch_execnz .LBB5_163
	s_branch .LBB5_164
.LBB5_2213:
	s_movk_i32 s4, 0x80
	v_cmp_eq_u16_sdwa s[12:13], v3, s4 src0_sel:BYTE_0 src1_sel:DWORD
	s_mov_b64 s[4:5], -1
                                        ; implicit-def: $sgpr10
	s_and_saveexec_b64 s[8:9], s[12:13]
; %bb.2214:
	s_mov_b32 s10, 0x7f800001
	s_xor_b64 s[4:5], exec, -1
; %bb.2215:
	s_or_b64 exec, exec, s[8:9]
	s_and_b64 s[4:5], s[4:5], exec
	s_or_saveexec_b64 s[6:7], s[6:7]
	v_mov_b32_e32 v6, s10
	s_xor_b64 exec, exec, s[6:7]
	s_cbranch_execz .LBB5_166
.LBB5_2216:
	v_mov_b32_e32 v6, 0
	v_cmp_ne_u16_sdwa s[8:9], v3, v6 src0_sel:BYTE_0 src1_sel:DWORD
	s_andn2_b64 s[4:5], s[4:5], exec
	s_and_b64 s[8:9], s[8:9], exec
	s_or_b64 s[4:5], s[4:5], s[8:9]
	s_or_b64 exec, exec, s[6:7]
	s_and_saveexec_b64 s[6:7], s[4:5]
	s_cbranch_execnz .LBB5_167
	s_branch .LBB5_168
.LBB5_2217:
	s_movk_i32 s4, 0x80
	v_cmp_eq_u16_sdwa s[12:13], v6, s4 src0_sel:BYTE_0 src1_sel:DWORD
	s_mov_b64 s[4:5], -1
                                        ; implicit-def: $sgpr10
	s_and_saveexec_b64 s[8:9], s[12:13]
; %bb.2218:
	s_mov_b32 s10, 0x7f800001
	s_xor_b64 s[4:5], exec, -1
; %bb.2219:
	s_or_b64 exec, exec, s[8:9]
	s_and_b64 s[4:5], s[4:5], exec
	s_or_saveexec_b64 s[6:7], s[6:7]
	v_mov_b32_e32 v2, s10
	s_xor_b64 exec, exec, s[6:7]
	s_cbranch_execz .LBB5_170
.LBB5_2220:
	v_mov_b32_e32 v2, 0
	v_cmp_ne_u16_sdwa s[8:9], v6, v2 src0_sel:BYTE_0 src1_sel:DWORD
	s_andn2_b64 s[4:5], s[4:5], exec
	s_and_b64 s[8:9], s[8:9], exec
	s_or_b64 s[4:5], s[4:5], s[8:9]
	s_or_b64 exec, exec, s[6:7]
	s_and_saveexec_b64 s[6:7], s[4:5]
	s_cbranch_execnz .LBB5_171
	s_branch .LBB5_172
.LBB5_2221:
	s_movk_i32 s4, 0x80
	v_cmp_eq_u16_sdwa s[12:13], v6, s4 src0_sel:BYTE_0 src1_sel:DWORD
	s_mov_b64 s[4:5], -1
                                        ; implicit-def: $sgpr10
	s_and_saveexec_b64 s[8:9], s[12:13]
; %bb.2222:
	s_mov_b32 s10, 0x7f800001
	s_xor_b64 s[4:5], exec, -1
; %bb.2223:
	s_or_b64 exec, exec, s[8:9]
	s_and_b64 s[4:5], s[4:5], exec
	s_or_saveexec_b64 s[6:7], s[6:7]
	v_mov_b32_e32 v12, s10
	s_xor_b64 exec, exec, s[6:7]
	s_cbranch_execz .LBB5_174
.LBB5_2224:
	v_mov_b32_e32 v12, 0
	v_cmp_ne_u16_sdwa s[8:9], v6, v12 src0_sel:BYTE_0 src1_sel:DWORD
	s_andn2_b64 s[4:5], s[4:5], exec
	s_and_b64 s[8:9], s[8:9], exec
	s_or_b64 s[4:5], s[4:5], s[8:9]
	s_or_b64 exec, exec, s[6:7]
	s_and_saveexec_b64 s[6:7], s[4:5]
	s_cbranch_execnz .LBB5_175
	s_branch .LBB5_176
.LBB5_2225:
	s_movk_i32 s4, 0x80
	v_cmp_eq_u16_e32 vcc, s4, v6
	s_mov_b64 s[4:5], -1
                                        ; implicit-def: $sgpr10
	s_and_saveexec_b64 s[8:9], vcc
; %bb.2226:
	s_mov_b32 s10, 0x7f800001
	s_xor_b64 s[4:5], exec, -1
; %bb.2227:
	s_or_b64 exec, exec, s[8:9]
	s_and_b64 s[4:5], s[4:5], exec
                                        ; implicit-def: $vgpr6
	s_or_saveexec_b64 s[6:7], s[6:7]
	v_mov_b32_e32 v2, s10
	s_xor_b64 exec, exec, s[6:7]
	s_cbranch_execz .LBB5_178
.LBB5_2228:
	v_cmp_ne_u16_e32 vcc, 0, v6
	s_andn2_b64 s[4:5], s[4:5], exec
	s_and_b64 s[8:9], vcc, exec
	v_mov_b32_e32 v2, 0
	s_or_b64 s[4:5], s[4:5], s[8:9]
	s_or_b64 exec, exec, s[6:7]
	s_and_saveexec_b64 s[6:7], s[4:5]
	s_cbranch_execnz .LBB5_179
	s_branch .LBB5_180
.LBB5_2229:
	s_movk_i32 s4, 0x80
	v_cmp_eq_u16_e32 vcc, s4, v6
	s_mov_b64 s[4:5], -1
                                        ; implicit-def: $sgpr10
	s_and_saveexec_b64 s[8:9], vcc
; %bb.2230:
	s_mov_b32 s10, 0x7f800001
	s_xor_b64 s[4:5], exec, -1
; %bb.2231:
	s_or_b64 exec, exec, s[8:9]
	s_and_b64 s[4:5], s[4:5], exec
                                        ; implicit-def: $vgpr6
	s_or_saveexec_b64 s[6:7], s[6:7]
	v_mov_b32_e32 v12, s10
	s_xor_b64 exec, exec, s[6:7]
	s_cbranch_execz .LBB5_182
.LBB5_2232:
	v_cmp_ne_u16_e32 vcc, 0, v6
	s_andn2_b64 s[4:5], s[4:5], exec
	s_and_b64 s[8:9], vcc, exec
	v_mov_b32_e32 v12, 0
	s_or_b64 s[4:5], s[4:5], s[8:9]
	s_or_b64 exec, exec, s[6:7]
	s_and_saveexec_b64 s[6:7], s[4:5]
	s_cbranch_execnz .LBB5_183
	s_branch .LBB5_184
.LBB5_2233:
	s_movk_i32 s4, 0x80
	v_cmp_eq_u16_sdwa s[12:13], v7, s4 src0_sel:BYTE_3 src1_sel:DWORD
	s_mov_b64 s[4:5], -1
                                        ; implicit-def: $sgpr10
	s_and_saveexec_b64 s[8:9], s[12:13]
; %bb.2234:
	s_mov_b32 s10, 0x7f800001
	s_xor_b64 s[4:5], exec, -1
; %bb.2235:
	s_or_b64 exec, exec, s[8:9]
	s_and_b64 s[4:5], s[4:5], exec
	s_or_saveexec_b64 s[6:7], s[6:7]
	v_mov_b32_e32 v2, s10
	s_xor_b64 exec, exec, s[6:7]
	s_cbranch_execz .LBB5_186
.LBB5_2236:
	v_mov_b32_e32 v2, 0
	v_cmp_ne_u16_sdwa s[8:9], v7, v2 src0_sel:BYTE_3 src1_sel:DWORD
	s_andn2_b64 s[4:5], s[4:5], exec
	s_and_b64 s[8:9], s[8:9], exec
	s_or_b64 s[4:5], s[4:5], s[8:9]
	s_or_b64 exec, exec, s[6:7]
	s_and_saveexec_b64 s[6:7], s[4:5]
	s_cbranch_execnz .LBB5_187
	s_branch .LBB5_188
.LBB5_2237:
	s_movk_i32 s4, 0x80
	v_cmp_eq_u16_sdwa s[12:13], v3, s4 src0_sel:BYTE_3 src1_sel:DWORD
	s_mov_b64 s[4:5], -1
                                        ; implicit-def: $sgpr10
	s_and_saveexec_b64 s[8:9], s[12:13]
; %bb.2238:
	s_mov_b32 s10, 0x7f800001
	s_xor_b64 s[4:5], exec, -1
; %bb.2239:
	s_or_b64 exec, exec, s[8:9]
	s_and_b64 s[4:5], s[4:5], exec
	s_or_saveexec_b64 s[6:7], s[6:7]
	v_mov_b32_e32 v6, s10
	s_xor_b64 exec, exec, s[6:7]
	s_cbranch_execz .LBB5_190
.LBB5_2240:
	v_mov_b32_e32 v6, 0
	v_cmp_ne_u16_sdwa s[8:9], v3, v6 src0_sel:BYTE_3 src1_sel:DWORD
	s_andn2_b64 s[4:5], s[4:5], exec
	s_and_b64 s[8:9], s[8:9], exec
	s_or_b64 s[4:5], s[4:5], s[8:9]
	s_or_b64 exec, exec, s[6:7]
	s_and_saveexec_b64 s[6:7], s[4:5]
	s_cbranch_execnz .LBB5_191
	s_branch .LBB5_192
.LBB5_2241:
	s_movk_i32 s4, 0x80
	v_cmp_eq_u16_sdwa s[12:13], v8, s4 src0_sel:BYTE_0 src1_sel:DWORD
	s_mov_b64 s[4:5], -1
                                        ; implicit-def: $sgpr10
	s_and_saveexec_b64 s[8:9], s[12:13]
; %bb.2242:
	s_mov_b32 s10, 0x7f800001
	s_xor_b64 s[4:5], exec, -1
; %bb.2243:
	s_or_b64 exec, exec, s[8:9]
	s_and_b64 s[4:5], s[4:5], exec
	s_or_saveexec_b64 s[6:7], s[6:7]
	v_mov_b32_e32 v2, s10
	s_xor_b64 exec, exec, s[6:7]
	s_cbranch_execz .LBB5_194
.LBB5_2244:
	v_mov_b32_e32 v2, 0
	v_cmp_ne_u16_sdwa s[8:9], v8, v2 src0_sel:BYTE_0 src1_sel:DWORD
	s_andn2_b64 s[4:5], s[4:5], exec
	s_and_b64 s[8:9], s[8:9], exec
	s_or_b64 s[4:5], s[4:5], s[8:9]
	s_or_b64 exec, exec, s[6:7]
	s_and_saveexec_b64 s[6:7], s[4:5]
	s_cbranch_execnz .LBB5_195
	s_branch .LBB5_196
.LBB5_2245:
	s_movk_i32 s4, 0x80
	v_cmp_eq_u16_sdwa s[12:13], v4, s4 src0_sel:BYTE_0 src1_sel:DWORD
	s_mov_b64 s[4:5], -1
                                        ; implicit-def: $sgpr10
	s_and_saveexec_b64 s[8:9], s[12:13]
; %bb.2246:
	s_mov_b32 s10, 0x7f800001
	s_xor_b64 s[4:5], exec, -1
; %bb.2247:
	s_or_b64 exec, exec, s[8:9]
	s_and_b64 s[4:5], s[4:5], exec
	s_or_saveexec_b64 s[6:7], s[6:7]
	v_mov_b32_e32 v3, s10
	s_xor_b64 exec, exec, s[6:7]
	s_cbranch_execz .LBB5_198
.LBB5_2248:
	v_mov_b32_e32 v3, 0
	v_cmp_ne_u16_sdwa s[8:9], v4, v3 src0_sel:BYTE_0 src1_sel:DWORD
	s_andn2_b64 s[4:5], s[4:5], exec
	s_and_b64 s[8:9], s[8:9], exec
	s_or_b64 s[4:5], s[4:5], s[8:9]
	s_or_b64 exec, exec, s[6:7]
	s_and_saveexec_b64 s[6:7], s[4:5]
	s_cbranch_execnz .LBB5_199
	s_branch .LBB5_200
.LBB5_2249:
	s_movk_i32 s4, 0x80
	v_cmp_eq_u16_sdwa s[12:13], v3, s4 src0_sel:BYTE_0 src1_sel:DWORD
	s_mov_b64 s[4:5], -1
                                        ; implicit-def: $sgpr10
	s_and_saveexec_b64 s[8:9], s[12:13]
; %bb.2250:
	s_mov_b32 s10, 0x7f800001
	s_xor_b64 s[4:5], exec, -1
; %bb.2251:
	s_or_b64 exec, exec, s[8:9]
	s_and_b64 s[4:5], s[4:5], exec
	s_or_saveexec_b64 s[6:7], s[6:7]
	v_mov_b32_e32 v2, s10
	s_xor_b64 exec, exec, s[6:7]
	s_cbranch_execz .LBB5_202
.LBB5_2252:
	v_mov_b32_e32 v2, 0
	v_cmp_ne_u16_sdwa s[8:9], v3, v2 src0_sel:BYTE_0 src1_sel:DWORD
	s_andn2_b64 s[4:5], s[4:5], exec
	s_and_b64 s[8:9], s[8:9], exec
	s_or_b64 s[4:5], s[4:5], s[8:9]
	s_or_b64 exec, exec, s[6:7]
	s_and_saveexec_b64 s[6:7], s[4:5]
	s_cbranch_execnz .LBB5_203
	s_branch .LBB5_204
.LBB5_2253:
	s_movk_i32 s4, 0x80
	v_cmp_eq_u16_sdwa s[12:13], v3, s4 src0_sel:BYTE_0 src1_sel:DWORD
	s_mov_b64 s[4:5], -1
                                        ; implicit-def: $sgpr10
	s_and_saveexec_b64 s[8:9], s[12:13]
; %bb.2254:
	s_mov_b32 s10, 0x7f800001
	s_xor_b64 s[4:5], exec, -1
; %bb.2255:
	s_or_b64 exec, exec, s[8:9]
	s_and_b64 s[4:5], s[4:5], exec
	s_or_saveexec_b64 s[6:7], s[6:7]
	v_mov_b32_e32 v6, s10
	s_xor_b64 exec, exec, s[6:7]
	s_cbranch_execz .LBB5_206
.LBB5_2256:
	v_mov_b32_e32 v6, 0
	v_cmp_ne_u16_sdwa s[8:9], v3, v6 src0_sel:BYTE_0 src1_sel:DWORD
	s_andn2_b64 s[4:5], s[4:5], exec
	s_and_b64 s[8:9], s[8:9], exec
	s_or_b64 s[4:5], s[4:5], s[8:9]
	s_or_b64 exec, exec, s[6:7]
	s_and_saveexec_b64 s[6:7], s[4:5]
	s_cbranch_execnz .LBB5_207
	s_branch .LBB5_208
.LBB5_2257:
	s_movk_i32 s4, 0x80
	v_cmp_eq_u16_e32 vcc, s4, v3
	s_mov_b64 s[4:5], -1
                                        ; implicit-def: $sgpr10
	s_and_saveexec_b64 s[8:9], vcc
; %bb.2258:
	s_mov_b32 s10, 0x7f800001
	s_xor_b64 s[4:5], exec, -1
; %bb.2259:
	s_or_b64 exec, exec, s[8:9]
	s_and_b64 s[4:5], s[4:5], exec
                                        ; implicit-def: $vgpr3
	s_or_saveexec_b64 s[6:7], s[6:7]
	v_mov_b32_e32 v2, s10
	s_xor_b64 exec, exec, s[6:7]
	s_cbranch_execz .LBB5_210
.LBB5_2260:
	v_cmp_ne_u16_e32 vcc, 0, v3
	s_andn2_b64 s[4:5], s[4:5], exec
	s_and_b64 s[8:9], vcc, exec
	v_mov_b32_e32 v2, 0
	s_or_b64 s[4:5], s[4:5], s[8:9]
	s_or_b64 exec, exec, s[6:7]
	s_and_saveexec_b64 s[6:7], s[4:5]
	s_cbranch_execnz .LBB5_211
	s_branch .LBB5_212
.LBB5_2261:
	s_movk_i32 s4, 0x80
	v_cmp_eq_u16_e32 vcc, s4, v3
	s_mov_b64 s[4:5], -1
                                        ; implicit-def: $sgpr10
	s_and_saveexec_b64 s[8:9], vcc
; %bb.2262:
	s_mov_b32 s10, 0x7f800001
	s_xor_b64 s[4:5], exec, -1
; %bb.2263:
	s_or_b64 exec, exec, s[8:9]
	s_and_b64 s[4:5], s[4:5], exec
                                        ; implicit-def: $vgpr3
	s_or_saveexec_b64 s[6:7], s[6:7]
	v_mov_b32_e32 v6, s10
	s_xor_b64 exec, exec, s[6:7]
	s_cbranch_execz .LBB5_214
.LBB5_2264:
	v_cmp_ne_u16_e32 vcc, 0, v3
	s_andn2_b64 s[4:5], s[4:5], exec
	s_and_b64 s[8:9], vcc, exec
	v_mov_b32_e32 v6, 0
	s_or_b64 s[4:5], s[4:5], s[8:9]
	s_or_b64 exec, exec, s[6:7]
	s_and_saveexec_b64 s[6:7], s[4:5]
	s_cbranch_execnz .LBB5_215
	s_branch .LBB5_216
.LBB5_2265:
	s_movk_i32 s4, 0x80
	v_cmp_eq_u16_sdwa s[12:13], v8, s4 src0_sel:BYTE_3 src1_sel:DWORD
	s_mov_b64 s[4:5], -1
                                        ; implicit-def: $sgpr10
	s_and_saveexec_b64 s[8:9], s[12:13]
; %bb.2266:
	s_mov_b32 s10, 0x7f800001
	s_xor_b64 s[4:5], exec, -1
; %bb.2267:
	s_or_b64 exec, exec, s[8:9]
	s_and_b64 s[4:5], s[4:5], exec
	s_or_saveexec_b64 s[6:7], s[6:7]
	v_mov_b32_e32 v2, s10
	s_xor_b64 exec, exec, s[6:7]
	s_cbranch_execz .LBB5_218
.LBB5_2268:
	v_mov_b32_e32 v2, 0
	v_cmp_ne_u16_sdwa s[8:9], v8, v2 src0_sel:BYTE_3 src1_sel:DWORD
	s_andn2_b64 s[4:5], s[4:5], exec
	s_and_b64 s[8:9], s[8:9], exec
	s_or_b64 s[4:5], s[4:5], s[8:9]
	s_or_b64 exec, exec, s[6:7]
	s_and_saveexec_b64 s[6:7], s[4:5]
	s_cbranch_execnz .LBB5_219
	s_branch .LBB5_220
.LBB5_2269:
	s_movk_i32 s4, 0x80
	v_cmp_eq_u16_sdwa s[12:13], v4, s4 src0_sel:BYTE_3 src1_sel:DWORD
	s_mov_b64 s[4:5], -1
                                        ; implicit-def: $sgpr10
	s_and_saveexec_b64 s[8:9], s[12:13]
; %bb.2270:
	s_mov_b32 s10, 0x7f800001
	s_xor_b64 s[4:5], exec, -1
; %bb.2271:
	s_or_b64 exec, exec, s[8:9]
	s_and_b64 s[4:5], s[4:5], exec
	s_or_saveexec_b64 s[6:7], s[6:7]
	v_mov_b32_e32 v3, s10
	s_xor_b64 exec, exec, s[6:7]
	s_cbranch_execz .LBB5_222
.LBB5_2272:
	v_mov_b32_e32 v3, 0
	v_cmp_ne_u16_sdwa s[8:9], v4, v3 src0_sel:BYTE_3 src1_sel:DWORD
	s_andn2_b64 s[4:5], s[4:5], exec
	s_and_b64 s[8:9], s[8:9], exec
	s_or_b64 s[4:5], s[4:5], s[8:9]
	s_or_b64 exec, exec, s[6:7]
	s_and_saveexec_b64 s[6:7], s[4:5]
	s_cbranch_execnz .LBB5_223
	s_branch .LBB5_224
.LBB5_2273:
	s_movk_i32 s4, 0x80
	v_cmp_eq_u16_sdwa s[12:13], v9, s4 src0_sel:BYTE_0 src1_sel:DWORD
	s_mov_b64 s[4:5], -1
                                        ; implicit-def: $sgpr10
	s_and_saveexec_b64 s[8:9], s[12:13]
; %bb.2274:
	s_mov_b32 s10, 0x7f800001
	s_xor_b64 s[4:5], exec, -1
; %bb.2275:
	s_or_b64 exec, exec, s[8:9]
	s_and_b64 s[4:5], s[4:5], exec
	s_or_saveexec_b64 s[6:7], s[6:7]
	v_mov_b32_e32 v2, s10
	s_xor_b64 exec, exec, s[6:7]
	s_cbranch_execz .LBB5_226
.LBB5_2276:
	v_mov_b32_e32 v2, 0
	v_cmp_ne_u16_sdwa s[8:9], v9, v2 src0_sel:BYTE_0 src1_sel:DWORD
	s_andn2_b64 s[4:5], s[4:5], exec
	s_and_b64 s[8:9], s[8:9], exec
	s_or_b64 s[4:5], s[4:5], s[8:9]
	s_or_b64 exec, exec, s[6:7]
	s_and_saveexec_b64 s[6:7], s[4:5]
	s_cbranch_execnz .LBB5_227
	s_branch .LBB5_228
.LBB5_2277:
	s_movk_i32 s4, 0x80
	v_cmp_eq_u16_sdwa s[12:13], v5, s4 src0_sel:BYTE_0 src1_sel:DWORD
	s_mov_b64 s[4:5], -1
                                        ; implicit-def: $sgpr10
	s_and_saveexec_b64 s[8:9], s[12:13]
; %bb.2278:
	s_mov_b32 s10, 0x7f800001
	s_xor_b64 s[4:5], exec, -1
; %bb.2279:
	s_or_b64 exec, exec, s[8:9]
	s_and_b64 s[4:5], s[4:5], exec
	s_or_saveexec_b64 s[6:7], s[6:7]
	v_mov_b32_e32 v3, s10
	s_xor_b64 exec, exec, s[6:7]
	s_cbranch_execz .LBB5_230
.LBB5_2280:
	v_mov_b32_e32 v3, 0
	v_cmp_ne_u16_sdwa s[8:9], v5, v3 src0_sel:BYTE_0 src1_sel:DWORD
	s_andn2_b64 s[4:5], s[4:5], exec
	s_and_b64 s[8:9], s[8:9], exec
	s_or_b64 s[4:5], s[4:5], s[8:9]
	s_or_b64 exec, exec, s[6:7]
	s_and_saveexec_b64 s[6:7], s[4:5]
	s_cbranch_execnz .LBB5_231
	s_branch .LBB5_232
.LBB5_2281:
	s_movk_i32 s4, 0x80
	v_cmp_eq_u16_sdwa s[12:13], v3, s4 src0_sel:BYTE_0 src1_sel:DWORD
	s_mov_b64 s[4:5], -1
                                        ; implicit-def: $sgpr10
	s_and_saveexec_b64 s[8:9], s[12:13]
; %bb.2282:
	s_mov_b32 s10, 0x7f800001
	s_xor_b64 s[4:5], exec, -1
; %bb.2283:
	s_or_b64 exec, exec, s[8:9]
	s_and_b64 s[4:5], s[4:5], exec
	s_or_saveexec_b64 s[6:7], s[6:7]
	v_mov_b32_e32 v2, s10
	s_xor_b64 exec, exec, s[6:7]
	s_cbranch_execz .LBB5_234
.LBB5_2284:
	v_mov_b32_e32 v2, 0
	v_cmp_ne_u16_sdwa s[8:9], v3, v2 src0_sel:BYTE_0 src1_sel:DWORD
	s_andn2_b64 s[4:5], s[4:5], exec
	s_and_b64 s[8:9], s[8:9], exec
	s_or_b64 s[4:5], s[4:5], s[8:9]
	s_or_b64 exec, exec, s[6:7]
	s_and_saveexec_b64 s[6:7], s[4:5]
	s_cbranch_execnz .LBB5_235
	s_branch .LBB5_236
.LBB5_2285:
	s_movk_i32 s4, 0x80
	v_cmp_eq_u16_sdwa s[12:13], v3, s4 src0_sel:BYTE_0 src1_sel:DWORD
	s_mov_b64 s[4:5], -1
                                        ; implicit-def: $sgpr10
	s_and_saveexec_b64 s[8:9], s[12:13]
; %bb.2286:
	s_mov_b32 s10, 0x7f800001
	s_xor_b64 s[4:5], exec, -1
; %bb.2287:
	s_or_b64 exec, exec, s[8:9]
	s_and_b64 s[4:5], s[4:5], exec
	s_or_saveexec_b64 s[6:7], s[6:7]
	v_mov_b32_e32 v4, s10
	s_xor_b64 exec, exec, s[6:7]
	s_cbranch_execz .LBB5_238
.LBB5_2288:
	v_mov_b32_e32 v4, 0
	v_cmp_ne_u16_sdwa s[8:9], v3, v4 src0_sel:BYTE_0 src1_sel:DWORD
	s_andn2_b64 s[4:5], s[4:5], exec
	s_and_b64 s[8:9], s[8:9], exec
	s_or_b64 s[4:5], s[4:5], s[8:9]
	s_or_b64 exec, exec, s[6:7]
	s_and_saveexec_b64 s[6:7], s[4:5]
	s_cbranch_execnz .LBB5_239
	s_branch .LBB5_240
.LBB5_2289:
	s_movk_i32 s4, 0x80
	v_cmp_eq_u16_e32 vcc, s4, v3
	s_mov_b64 s[4:5], -1
                                        ; implicit-def: $sgpr10
	s_and_saveexec_b64 s[8:9], vcc
; %bb.2290:
	s_mov_b32 s10, 0x7f800001
	s_xor_b64 s[4:5], exec, -1
; %bb.2291:
	s_or_b64 exec, exec, s[8:9]
	s_and_b64 s[4:5], s[4:5], exec
                                        ; implicit-def: $vgpr3
	s_or_saveexec_b64 s[6:7], s[6:7]
	v_mov_b32_e32 v2, s10
	s_xor_b64 exec, exec, s[6:7]
	s_cbranch_execz .LBB5_242
.LBB5_2292:
	v_cmp_ne_u16_e32 vcc, 0, v3
	s_andn2_b64 s[4:5], s[4:5], exec
	s_and_b64 s[8:9], vcc, exec
	v_mov_b32_e32 v2, 0
	s_or_b64 s[4:5], s[4:5], s[8:9]
	s_or_b64 exec, exec, s[6:7]
	s_and_saveexec_b64 s[6:7], s[4:5]
	s_cbranch_execnz .LBB5_243
	s_branch .LBB5_244
.LBB5_2293:
	s_movk_i32 s4, 0x80
	v_cmp_eq_u16_e32 vcc, s4, v3
	s_mov_b64 s[4:5], -1
                                        ; implicit-def: $sgpr10
	s_and_saveexec_b64 s[8:9], vcc
; %bb.2294:
	s_mov_b32 s10, 0x7f800001
	s_xor_b64 s[4:5], exec, -1
; %bb.2295:
	s_or_b64 exec, exec, s[8:9]
	s_and_b64 s[4:5], s[4:5], exec
                                        ; implicit-def: $vgpr3
	s_or_saveexec_b64 s[6:7], s[6:7]
	v_mov_b32_e32 v4, s10
	s_xor_b64 exec, exec, s[6:7]
	s_cbranch_execz .LBB5_246
.LBB5_2296:
	v_cmp_ne_u16_e32 vcc, 0, v3
	s_andn2_b64 s[4:5], s[4:5], exec
	s_and_b64 s[8:9], vcc, exec
	v_mov_b32_e32 v4, 0
	s_or_b64 s[4:5], s[4:5], s[8:9]
	s_or_b64 exec, exec, s[6:7]
	s_and_saveexec_b64 s[6:7], s[4:5]
	s_cbranch_execnz .LBB5_247
	s_branch .LBB5_248
.LBB5_2297:
	s_movk_i32 s4, 0x80
	v_cmp_eq_u16_sdwa s[12:13], v9, s4 src0_sel:BYTE_3 src1_sel:DWORD
	s_mov_b64 s[4:5], -1
                                        ; implicit-def: $sgpr10
	s_and_saveexec_b64 s[8:9], s[12:13]
; %bb.2298:
	s_mov_b32 s10, 0x7f800001
	s_xor_b64 s[4:5], exec, -1
; %bb.2299:
	s_or_b64 exec, exec, s[8:9]
	s_and_b64 s[4:5], s[4:5], exec
	s_or_saveexec_b64 s[6:7], s[6:7]
	v_mov_b32_e32 v2, s10
	s_xor_b64 exec, exec, s[6:7]
	s_cbranch_execz .LBB5_250
.LBB5_2300:
	v_mov_b32_e32 v2, 0
	v_cmp_ne_u16_sdwa s[8:9], v9, v2 src0_sel:BYTE_3 src1_sel:DWORD
	s_andn2_b64 s[4:5], s[4:5], exec
	s_and_b64 s[8:9], s[8:9], exec
	s_or_b64 s[4:5], s[4:5], s[8:9]
	s_or_b64 exec, exec, s[6:7]
	s_and_saveexec_b64 s[6:7], s[4:5]
	s_cbranch_execnz .LBB5_251
	s_branch .LBB5_252
.LBB5_2301:
	s_movk_i32 s4, 0x80
	v_cmp_eq_u16_sdwa s[12:13], v5, s4 src0_sel:BYTE_3 src1_sel:DWORD
	s_mov_b64 s[4:5], -1
                                        ; implicit-def: $sgpr10
	s_and_saveexec_b64 s[8:9], s[12:13]
; %bb.2302:
	s_mov_b32 s10, 0x7f800001
	s_xor_b64 s[4:5], exec, -1
; %bb.2303:
	s_or_b64 exec, exec, s[8:9]
	s_and_b64 s[4:5], s[4:5], exec
	s_or_saveexec_b64 s[6:7], s[6:7]
	v_mov_b32_e32 v3, s10
	s_xor_b64 exec, exec, s[6:7]
	s_cbranch_execz .LBB5_254
.LBB5_2304:
	v_mov_b32_e32 v3, 0
	v_cmp_ne_u16_sdwa s[8:9], v5, v3 src0_sel:BYTE_3 src1_sel:DWORD
	s_andn2_b64 s[4:5], s[4:5], exec
	s_and_b64 s[8:9], s[8:9], exec
	s_or_b64 s[4:5], s[4:5], s[8:9]
	s_or_b64 exec, exec, s[6:7]
	s_and_saveexec_b64 s[6:7], s[4:5]
	s_cbranch_execnz .LBB5_255
	s_branch .LBB5_256
.LBB5_2305:
	s_movk_i32 s4, 0x80
	v_cmp_eq_u16_sdwa s[12:13], v6, s4 src0_sel:BYTE_0 src1_sel:DWORD
	s_mov_b64 s[4:5], -1
                                        ; implicit-def: $sgpr10
	s_and_saveexec_b64 s[8:9], s[12:13]
; %bb.2306:
	s_mov_b32 s10, 0x7f800001
	s_xor_b64 s[4:5], exec, -1
; %bb.2307:
	s_or_b64 exec, exec, s[8:9]
	s_and_b64 s[4:5], s[4:5], exec
	s_or_saveexec_b64 s[6:7], s[6:7]
	v_mov_b32_e32 v12, s10
	s_xor_b64 exec, exec, s[6:7]
	s_cbranch_execz .LBB5_258
.LBB5_2308:
	v_mov_b32_e32 v12, 0
	v_cmp_ne_u16_sdwa s[8:9], v6, v12 src0_sel:BYTE_0 src1_sel:DWORD
	s_andn2_b64 s[4:5], s[4:5], exec
	s_and_b64 s[8:9], s[8:9], exec
	s_or_b64 s[4:5], s[4:5], s[8:9]
	s_or_b64 exec, exec, s[6:7]
	s_and_saveexec_b64 s[6:7], s[4:5]
	s_cbranch_execnz .LBB5_259
	s_branch .LBB5_260
.LBB5_2309:
	s_movk_i32 s4, 0x80
	v_cmp_eq_u16_sdwa s[12:13], v2, s4 src0_sel:BYTE_0 src1_sel:DWORD
	s_mov_b64 s[4:5], -1
                                        ; implicit-def: $sgpr10
	s_and_saveexec_b64 s[8:9], s[12:13]
; %bb.2310:
	s_mov_b32 s10, 0x7f800001
	s_xor_b64 s[4:5], exec, -1
; %bb.2311:
	s_or_b64 exec, exec, s[8:9]
	s_and_b64 s[4:5], s[4:5], exec
	s_or_saveexec_b64 s[6:7], s[6:7]
	v_mov_b32_e32 v13, s10
	s_xor_b64 exec, exec, s[6:7]
	s_cbranch_execz .LBB5_262
.LBB5_2312:
	v_mov_b32_e32 v13, 0
	v_cmp_ne_u16_sdwa s[8:9], v2, v13 src0_sel:BYTE_0 src1_sel:DWORD
	s_andn2_b64 s[4:5], s[4:5], exec
	s_and_b64 s[8:9], s[8:9], exec
	s_or_b64 s[4:5], s[4:5], s[8:9]
	s_or_b64 exec, exec, s[6:7]
	s_and_saveexec_b64 s[6:7], s[4:5]
	s_cbranch_execnz .LBB5_263
	s_branch .LBB5_264
.LBB5_2313:
	s_movk_i32 s4, 0x80
	v_cmp_eq_u16_sdwa s[12:13], v13, s4 src0_sel:BYTE_0 src1_sel:DWORD
	s_mov_b64 s[4:5], -1
                                        ; implicit-def: $sgpr10
	s_and_saveexec_b64 s[8:9], s[12:13]
; %bb.2314:
	s_mov_b32 s10, 0x7f800001
	s_xor_b64 s[4:5], exec, -1
; %bb.2315:
	s_or_b64 exec, exec, s[8:9]
	s_and_b64 s[4:5], s[4:5], exec
	s_or_saveexec_b64 s[6:7], s[6:7]
	v_mov_b32_e32 v12, s10
	s_xor_b64 exec, exec, s[6:7]
	s_cbranch_execz .LBB5_266
.LBB5_2316:
	v_mov_b32_e32 v12, 0
	v_cmp_ne_u16_sdwa s[8:9], v13, v12 src0_sel:BYTE_0 src1_sel:DWORD
	s_andn2_b64 s[4:5], s[4:5], exec
	s_and_b64 s[8:9], s[8:9], exec
	s_or_b64 s[4:5], s[4:5], s[8:9]
	s_or_b64 exec, exec, s[6:7]
	s_and_saveexec_b64 s[6:7], s[4:5]
	s_cbranch_execnz .LBB5_267
	s_branch .LBB5_268
.LBB5_2317:
	s_movk_i32 s4, 0x80
	v_cmp_eq_u16_sdwa s[12:13], v13, s4 src0_sel:BYTE_0 src1_sel:DWORD
	s_mov_b64 s[4:5], -1
                                        ; implicit-def: $sgpr10
	s_and_saveexec_b64 s[8:9], s[12:13]
; %bb.2318:
	s_mov_b32 s10, 0x7f800001
	s_xor_b64 s[4:5], exec, -1
; %bb.2319:
	s_or_b64 exec, exec, s[8:9]
	s_and_b64 s[4:5], s[4:5], exec
	s_or_saveexec_b64 s[6:7], s[6:7]
	v_mov_b32_e32 v14, s10
	s_xor_b64 exec, exec, s[6:7]
	s_cbranch_execz .LBB5_270
.LBB5_2320:
	v_mov_b32_e32 v14, 0
	v_cmp_ne_u16_sdwa s[8:9], v13, v14 src0_sel:BYTE_0 src1_sel:DWORD
	s_andn2_b64 s[4:5], s[4:5], exec
	s_and_b64 s[8:9], s[8:9], exec
	s_or_b64 s[4:5], s[4:5], s[8:9]
	s_or_b64 exec, exec, s[6:7]
	s_and_saveexec_b64 s[6:7], s[4:5]
	s_cbranch_execnz .LBB5_271
	s_branch .LBB5_272
.LBB5_2321:
	s_movk_i32 s4, 0x80
	v_cmp_eq_u16_e32 vcc, s4, v13
	s_mov_b64 s[4:5], -1
                                        ; implicit-def: $sgpr10
	s_and_saveexec_b64 s[8:9], vcc
; %bb.2322:
	s_mov_b32 s10, 0x7f800001
	s_xor_b64 s[4:5], exec, -1
; %bb.2323:
	s_or_b64 exec, exec, s[8:9]
	s_and_b64 s[4:5], s[4:5], exec
                                        ; implicit-def: $vgpr13
	s_or_saveexec_b64 s[6:7], s[6:7]
	v_mov_b32_e32 v12, s10
	s_xor_b64 exec, exec, s[6:7]
	s_cbranch_execz .LBB5_274
.LBB5_2324:
	v_cmp_ne_u16_e32 vcc, 0, v13
	s_andn2_b64 s[4:5], s[4:5], exec
	s_and_b64 s[8:9], vcc, exec
	v_mov_b32_e32 v12, 0
	s_or_b64 s[4:5], s[4:5], s[8:9]
	s_or_b64 exec, exec, s[6:7]
	s_and_saveexec_b64 s[6:7], s[4:5]
	s_cbranch_execnz .LBB5_275
	s_branch .LBB5_276
.LBB5_2325:
	s_movk_i32 s4, 0x80
	v_cmp_eq_u16_e32 vcc, s4, v13
	s_mov_b64 s[4:5], -1
                                        ; implicit-def: $sgpr10
	s_and_saveexec_b64 s[8:9], vcc
; %bb.2326:
	s_mov_b32 s10, 0x7f800001
	s_xor_b64 s[4:5], exec, -1
; %bb.2327:
	s_or_b64 exec, exec, s[8:9]
	s_and_b64 s[4:5], s[4:5], exec
                                        ; implicit-def: $vgpr13
	s_or_saveexec_b64 s[6:7], s[6:7]
	v_mov_b32_e32 v14, s10
	s_xor_b64 exec, exec, s[6:7]
	s_cbranch_execz .LBB5_278
.LBB5_2328:
	v_cmp_ne_u16_e32 vcc, 0, v13
	s_andn2_b64 s[4:5], s[4:5], exec
	s_and_b64 s[8:9], vcc, exec
	v_mov_b32_e32 v14, 0
	s_or_b64 s[4:5], s[4:5], s[8:9]
	s_or_b64 exec, exec, s[6:7]
	s_and_saveexec_b64 s[6:7], s[4:5]
	s_cbranch_execnz .LBB5_279
	s_branch .LBB5_280
.LBB5_2329:
	s_movk_i32 s4, 0x80
	v_cmp_eq_u16_sdwa s[12:13], v6, s4 src0_sel:BYTE_3 src1_sel:DWORD
	s_mov_b64 s[4:5], -1
                                        ; implicit-def: $sgpr10
	s_and_saveexec_b64 s[8:9], s[12:13]
; %bb.2330:
	s_mov_b32 s10, 0x7f800001
	s_xor_b64 s[4:5], exec, -1
; %bb.2331:
	s_or_b64 exec, exec, s[8:9]
	s_and_b64 s[4:5], s[4:5], exec
	s_or_saveexec_b64 s[6:7], s[6:7]
	v_mov_b32_e32 v12, s10
	s_xor_b64 exec, exec, s[6:7]
	s_cbranch_execz .LBB5_282
.LBB5_2332:
	v_mov_b32_e32 v12, 0
	v_cmp_ne_u16_sdwa s[8:9], v6, v12 src0_sel:BYTE_3 src1_sel:DWORD
	s_andn2_b64 s[4:5], s[4:5], exec
	s_and_b64 s[8:9], s[8:9], exec
	s_or_b64 s[4:5], s[4:5], s[8:9]
	s_or_b64 exec, exec, s[6:7]
	s_and_saveexec_b64 s[6:7], s[4:5]
	s_cbranch_execnz .LBB5_283
	s_branch .LBB5_284
.LBB5_2333:
	s_movk_i32 s4, 0x80
	v_cmp_eq_u16_sdwa s[12:13], v2, s4 src0_sel:BYTE_3 src1_sel:DWORD
	s_mov_b64 s[4:5], -1
                                        ; implicit-def: $sgpr10
	s_and_saveexec_b64 s[8:9], s[12:13]
; %bb.2334:
	s_mov_b32 s10, 0x7f800001
	s_xor_b64 s[4:5], exec, -1
; %bb.2335:
	s_or_b64 exec, exec, s[8:9]
	s_and_b64 s[4:5], s[4:5], exec
	s_or_saveexec_b64 s[6:7], s[6:7]
	v_mov_b32_e32 v6, s10
	s_xor_b64 exec, exec, s[6:7]
	s_cbranch_execz .LBB5_286
.LBB5_2336:
	v_mov_b32_e32 v6, 0
	v_cmp_ne_u16_sdwa s[8:9], v2, v6 src0_sel:BYTE_3 src1_sel:DWORD
	s_andn2_b64 s[4:5], s[4:5], exec
	s_and_b64 s[8:9], s[8:9], exec
	s_or_b64 s[4:5], s[4:5], s[8:9]
	s_or_b64 exec, exec, s[6:7]
	s_and_saveexec_b64 s[6:7], s[4:5]
	s_cbranch_execnz .LBB5_287
	s_branch .LBB5_288
.LBB5_2337:
	s_movk_i32 s4, 0x80
	v_cmp_eq_u16_sdwa s[12:13], v7, s4 src0_sel:BYTE_0 src1_sel:DWORD
	s_mov_b64 s[4:5], -1
                                        ; implicit-def: $sgpr10
	s_and_saveexec_b64 s[8:9], s[12:13]
; %bb.2338:
	s_mov_b32 s10, 0x7f800001
	s_xor_b64 s[4:5], exec, -1
; %bb.2339:
	s_or_b64 exec, exec, s[8:9]
	s_and_b64 s[4:5], s[4:5], exec
	s_or_saveexec_b64 s[6:7], s[6:7]
	v_mov_b32_e32 v2, s10
	s_xor_b64 exec, exec, s[6:7]
	s_cbranch_execz .LBB5_290
.LBB5_2340:
	v_mov_b32_e32 v2, 0
	v_cmp_ne_u16_sdwa s[8:9], v7, v2 src0_sel:BYTE_0 src1_sel:DWORD
	s_andn2_b64 s[4:5], s[4:5], exec
	s_and_b64 s[8:9], s[8:9], exec
	s_or_b64 s[4:5], s[4:5], s[8:9]
	s_or_b64 exec, exec, s[6:7]
	s_and_saveexec_b64 s[6:7], s[4:5]
	s_cbranch_execnz .LBB5_291
	s_branch .LBB5_292
.LBB5_2341:
	s_movk_i32 s4, 0x80
	v_cmp_eq_u16_sdwa s[12:13], v3, s4 src0_sel:BYTE_0 src1_sel:DWORD
	s_mov_b64 s[4:5], -1
                                        ; implicit-def: $sgpr10
	s_and_saveexec_b64 s[8:9], s[12:13]
; %bb.2342:
	s_mov_b32 s10, 0x7f800001
	s_xor_b64 s[4:5], exec, -1
; %bb.2343:
	s_or_b64 exec, exec, s[8:9]
	s_and_b64 s[4:5], s[4:5], exec
	s_or_saveexec_b64 s[6:7], s[6:7]
	v_mov_b32_e32 v6, s10
	s_xor_b64 exec, exec, s[6:7]
	s_cbranch_execz .LBB5_294
.LBB5_2344:
	v_mov_b32_e32 v6, 0
	v_cmp_ne_u16_sdwa s[8:9], v3, v6 src0_sel:BYTE_0 src1_sel:DWORD
	s_andn2_b64 s[4:5], s[4:5], exec
	s_and_b64 s[8:9], s[8:9], exec
	s_or_b64 s[4:5], s[4:5], s[8:9]
	s_or_b64 exec, exec, s[6:7]
	s_and_saveexec_b64 s[6:7], s[4:5]
	s_cbranch_execnz .LBB5_295
	s_branch .LBB5_296
.LBB5_2345:
	s_movk_i32 s4, 0x80
	v_cmp_eq_u16_sdwa s[12:13], v6, s4 src0_sel:BYTE_0 src1_sel:DWORD
	s_mov_b64 s[4:5], -1
                                        ; implicit-def: $sgpr10
	s_and_saveexec_b64 s[8:9], s[12:13]
; %bb.2346:
	s_mov_b32 s10, 0x7f800001
	s_xor_b64 s[4:5], exec, -1
; %bb.2347:
	s_or_b64 exec, exec, s[8:9]
	s_and_b64 s[4:5], s[4:5], exec
	s_or_saveexec_b64 s[6:7], s[6:7]
	v_mov_b32_e32 v2, s10
	s_xor_b64 exec, exec, s[6:7]
	s_cbranch_execz .LBB5_298
.LBB5_2348:
	v_mov_b32_e32 v2, 0
	v_cmp_ne_u16_sdwa s[8:9], v6, v2 src0_sel:BYTE_0 src1_sel:DWORD
	s_andn2_b64 s[4:5], s[4:5], exec
	s_and_b64 s[8:9], s[8:9], exec
	s_or_b64 s[4:5], s[4:5], s[8:9]
	s_or_b64 exec, exec, s[6:7]
	s_and_saveexec_b64 s[6:7], s[4:5]
	s_cbranch_execnz .LBB5_299
	s_branch .LBB5_300
.LBB5_2349:
	s_movk_i32 s4, 0x80
	v_cmp_eq_u16_sdwa s[12:13], v6, s4 src0_sel:BYTE_0 src1_sel:DWORD
	s_mov_b64 s[4:5], -1
                                        ; implicit-def: $sgpr10
	s_and_saveexec_b64 s[8:9], s[12:13]
; %bb.2350:
	s_mov_b32 s10, 0x7f800001
	s_xor_b64 s[4:5], exec, -1
; %bb.2351:
	s_or_b64 exec, exec, s[8:9]
	s_and_b64 s[4:5], s[4:5], exec
	s_or_saveexec_b64 s[6:7], s[6:7]
	v_mov_b32_e32 v12, s10
	s_xor_b64 exec, exec, s[6:7]
	s_cbranch_execz .LBB5_302
.LBB5_2352:
	v_mov_b32_e32 v12, 0
	v_cmp_ne_u16_sdwa s[8:9], v6, v12 src0_sel:BYTE_0 src1_sel:DWORD
	s_andn2_b64 s[4:5], s[4:5], exec
	s_and_b64 s[8:9], s[8:9], exec
	s_or_b64 s[4:5], s[4:5], s[8:9]
	s_or_b64 exec, exec, s[6:7]
	s_and_saveexec_b64 s[6:7], s[4:5]
	s_cbranch_execnz .LBB5_303
	s_branch .LBB5_304
.LBB5_2353:
	s_movk_i32 s4, 0x80
	v_cmp_eq_u16_e32 vcc, s4, v6
	s_mov_b64 s[4:5], -1
                                        ; implicit-def: $sgpr10
	s_and_saveexec_b64 s[8:9], vcc
; %bb.2354:
	s_mov_b32 s10, 0x7f800001
	s_xor_b64 s[4:5], exec, -1
; %bb.2355:
	s_or_b64 exec, exec, s[8:9]
	s_and_b64 s[4:5], s[4:5], exec
                                        ; implicit-def: $vgpr6
	s_or_saveexec_b64 s[6:7], s[6:7]
	v_mov_b32_e32 v2, s10
	s_xor_b64 exec, exec, s[6:7]
	s_cbranch_execz .LBB5_306
.LBB5_2356:
	v_cmp_ne_u16_e32 vcc, 0, v6
	s_andn2_b64 s[4:5], s[4:5], exec
	s_and_b64 s[8:9], vcc, exec
	v_mov_b32_e32 v2, 0
	s_or_b64 s[4:5], s[4:5], s[8:9]
	s_or_b64 exec, exec, s[6:7]
	s_and_saveexec_b64 s[6:7], s[4:5]
	s_cbranch_execnz .LBB5_307
	s_branch .LBB5_308
.LBB5_2357:
	s_movk_i32 s4, 0x80
	v_cmp_eq_u16_e32 vcc, s4, v6
	s_mov_b64 s[4:5], -1
                                        ; implicit-def: $sgpr10
	s_and_saveexec_b64 s[8:9], vcc
; %bb.2358:
	s_mov_b32 s10, 0x7f800001
	s_xor_b64 s[4:5], exec, -1
; %bb.2359:
	s_or_b64 exec, exec, s[8:9]
	s_and_b64 s[4:5], s[4:5], exec
                                        ; implicit-def: $vgpr6
	s_or_saveexec_b64 s[6:7], s[6:7]
	v_mov_b32_e32 v12, s10
	s_xor_b64 exec, exec, s[6:7]
	s_cbranch_execz .LBB5_310
.LBB5_2360:
	v_cmp_ne_u16_e32 vcc, 0, v6
	s_andn2_b64 s[4:5], s[4:5], exec
	s_and_b64 s[8:9], vcc, exec
	v_mov_b32_e32 v12, 0
	s_or_b64 s[4:5], s[4:5], s[8:9]
	s_or_b64 exec, exec, s[6:7]
	s_and_saveexec_b64 s[6:7], s[4:5]
	s_cbranch_execnz .LBB5_311
	s_branch .LBB5_312
.LBB5_2361:
	s_movk_i32 s4, 0x80
	v_cmp_eq_u16_sdwa s[12:13], v7, s4 src0_sel:BYTE_3 src1_sel:DWORD
	s_mov_b64 s[4:5], -1
                                        ; implicit-def: $sgpr10
	s_and_saveexec_b64 s[8:9], s[12:13]
; %bb.2362:
	s_mov_b32 s10, 0x7f800001
	s_xor_b64 s[4:5], exec, -1
; %bb.2363:
	s_or_b64 exec, exec, s[8:9]
	s_and_b64 s[4:5], s[4:5], exec
	s_or_saveexec_b64 s[6:7], s[6:7]
	v_mov_b32_e32 v2, s10
	s_xor_b64 exec, exec, s[6:7]
	s_cbranch_execz .LBB5_314
.LBB5_2364:
	v_mov_b32_e32 v2, 0
	v_cmp_ne_u16_sdwa s[8:9], v7, v2 src0_sel:BYTE_3 src1_sel:DWORD
	s_andn2_b64 s[4:5], s[4:5], exec
	s_and_b64 s[8:9], s[8:9], exec
	s_or_b64 s[4:5], s[4:5], s[8:9]
	s_or_b64 exec, exec, s[6:7]
	s_and_saveexec_b64 s[6:7], s[4:5]
	s_cbranch_execnz .LBB5_315
	s_branch .LBB5_316
.LBB5_2365:
	s_movk_i32 s4, 0x80
	v_cmp_eq_u16_sdwa s[12:13], v3, s4 src0_sel:BYTE_3 src1_sel:DWORD
	s_mov_b64 s[4:5], -1
                                        ; implicit-def: $sgpr10
	s_and_saveexec_b64 s[8:9], s[12:13]
; %bb.2366:
	s_mov_b32 s10, 0x7f800001
	s_xor_b64 s[4:5], exec, -1
; %bb.2367:
	s_or_b64 exec, exec, s[8:9]
	s_and_b64 s[4:5], s[4:5], exec
	s_or_saveexec_b64 s[6:7], s[6:7]
	v_mov_b32_e32 v6, s10
	s_xor_b64 exec, exec, s[6:7]
	s_cbranch_execz .LBB5_318
.LBB5_2368:
	v_mov_b32_e32 v6, 0
	v_cmp_ne_u16_sdwa s[8:9], v3, v6 src0_sel:BYTE_3 src1_sel:DWORD
	s_andn2_b64 s[4:5], s[4:5], exec
	s_and_b64 s[8:9], s[8:9], exec
	s_or_b64 s[4:5], s[4:5], s[8:9]
	s_or_b64 exec, exec, s[6:7]
	s_and_saveexec_b64 s[6:7], s[4:5]
	s_cbranch_execnz .LBB5_319
	s_branch .LBB5_320
.LBB5_2369:
	s_movk_i32 s4, 0x80
	v_cmp_eq_u16_sdwa s[12:13], v8, s4 src0_sel:BYTE_0 src1_sel:DWORD
	s_mov_b64 s[4:5], -1
                                        ; implicit-def: $sgpr10
	s_and_saveexec_b64 s[8:9], s[12:13]
; %bb.2370:
	s_mov_b32 s10, 0x7f800001
	s_xor_b64 s[4:5], exec, -1
; %bb.2371:
	s_or_b64 exec, exec, s[8:9]
	s_and_b64 s[4:5], s[4:5], exec
	s_or_saveexec_b64 s[6:7], s[6:7]
	v_mov_b32_e32 v2, s10
	s_xor_b64 exec, exec, s[6:7]
	s_cbranch_execz .LBB5_322
.LBB5_2372:
	v_mov_b32_e32 v2, 0
	v_cmp_ne_u16_sdwa s[8:9], v8, v2 src0_sel:BYTE_0 src1_sel:DWORD
	s_andn2_b64 s[4:5], s[4:5], exec
	s_and_b64 s[8:9], s[8:9], exec
	s_or_b64 s[4:5], s[4:5], s[8:9]
	s_or_b64 exec, exec, s[6:7]
	s_and_saveexec_b64 s[6:7], s[4:5]
	s_cbranch_execnz .LBB5_323
	s_branch .LBB5_324
.LBB5_2373:
	s_movk_i32 s4, 0x80
	v_cmp_eq_u16_sdwa s[12:13], v4, s4 src0_sel:BYTE_0 src1_sel:DWORD
	s_mov_b64 s[4:5], -1
                                        ; implicit-def: $sgpr10
	s_and_saveexec_b64 s[8:9], s[12:13]
; %bb.2374:
	s_mov_b32 s10, 0x7f800001
	s_xor_b64 s[4:5], exec, -1
; %bb.2375:
	s_or_b64 exec, exec, s[8:9]
	s_and_b64 s[4:5], s[4:5], exec
	s_or_saveexec_b64 s[6:7], s[6:7]
	v_mov_b32_e32 v3, s10
	s_xor_b64 exec, exec, s[6:7]
	s_cbranch_execz .LBB5_326
.LBB5_2376:
	v_mov_b32_e32 v3, 0
	v_cmp_ne_u16_sdwa s[8:9], v4, v3 src0_sel:BYTE_0 src1_sel:DWORD
	s_andn2_b64 s[4:5], s[4:5], exec
	s_and_b64 s[8:9], s[8:9], exec
	s_or_b64 s[4:5], s[4:5], s[8:9]
	s_or_b64 exec, exec, s[6:7]
	s_and_saveexec_b64 s[6:7], s[4:5]
	s_cbranch_execnz .LBB5_327
	s_branch .LBB5_328
.LBB5_2377:
	s_movk_i32 s4, 0x80
	v_cmp_eq_u16_sdwa s[12:13], v3, s4 src0_sel:BYTE_0 src1_sel:DWORD
	s_mov_b64 s[4:5], -1
                                        ; implicit-def: $sgpr10
	s_and_saveexec_b64 s[8:9], s[12:13]
; %bb.2378:
	s_mov_b32 s10, 0x7f800001
	s_xor_b64 s[4:5], exec, -1
; %bb.2379:
	s_or_b64 exec, exec, s[8:9]
	s_and_b64 s[4:5], s[4:5], exec
	s_or_saveexec_b64 s[6:7], s[6:7]
	v_mov_b32_e32 v2, s10
	s_xor_b64 exec, exec, s[6:7]
	s_cbranch_execz .LBB5_330
.LBB5_2380:
	v_mov_b32_e32 v2, 0
	v_cmp_ne_u16_sdwa s[8:9], v3, v2 src0_sel:BYTE_0 src1_sel:DWORD
	s_andn2_b64 s[4:5], s[4:5], exec
	s_and_b64 s[8:9], s[8:9], exec
	s_or_b64 s[4:5], s[4:5], s[8:9]
	s_or_b64 exec, exec, s[6:7]
	s_and_saveexec_b64 s[6:7], s[4:5]
	s_cbranch_execnz .LBB5_331
	s_branch .LBB5_332
.LBB5_2381:
	s_movk_i32 s4, 0x80
	v_cmp_eq_u16_sdwa s[12:13], v3, s4 src0_sel:BYTE_0 src1_sel:DWORD
	s_mov_b64 s[4:5], -1
                                        ; implicit-def: $sgpr10
	s_and_saveexec_b64 s[8:9], s[12:13]
; %bb.2382:
	s_mov_b32 s10, 0x7f800001
	s_xor_b64 s[4:5], exec, -1
; %bb.2383:
	s_or_b64 exec, exec, s[8:9]
	s_and_b64 s[4:5], s[4:5], exec
	s_or_saveexec_b64 s[6:7], s[6:7]
	v_mov_b32_e32 v6, s10
	s_xor_b64 exec, exec, s[6:7]
	s_cbranch_execz .LBB5_334
.LBB5_2384:
	v_mov_b32_e32 v6, 0
	v_cmp_ne_u16_sdwa s[8:9], v3, v6 src0_sel:BYTE_0 src1_sel:DWORD
	s_andn2_b64 s[4:5], s[4:5], exec
	s_and_b64 s[8:9], s[8:9], exec
	s_or_b64 s[4:5], s[4:5], s[8:9]
	s_or_b64 exec, exec, s[6:7]
	s_and_saveexec_b64 s[6:7], s[4:5]
	s_cbranch_execnz .LBB5_335
	s_branch .LBB5_336
.LBB5_2385:
	s_movk_i32 s4, 0x80
	v_cmp_eq_u16_e32 vcc, s4, v3
	s_mov_b64 s[4:5], -1
                                        ; implicit-def: $sgpr10
	s_and_saveexec_b64 s[8:9], vcc
; %bb.2386:
	s_mov_b32 s10, 0x7f800001
	s_xor_b64 s[4:5], exec, -1
; %bb.2387:
	s_or_b64 exec, exec, s[8:9]
	s_and_b64 s[4:5], s[4:5], exec
                                        ; implicit-def: $vgpr3
	s_or_saveexec_b64 s[6:7], s[6:7]
	v_mov_b32_e32 v2, s10
	s_xor_b64 exec, exec, s[6:7]
	s_cbranch_execz .LBB5_338
.LBB5_2388:
	v_cmp_ne_u16_e32 vcc, 0, v3
	s_andn2_b64 s[4:5], s[4:5], exec
	s_and_b64 s[8:9], vcc, exec
	v_mov_b32_e32 v2, 0
	s_or_b64 s[4:5], s[4:5], s[8:9]
	s_or_b64 exec, exec, s[6:7]
	s_and_saveexec_b64 s[6:7], s[4:5]
	s_cbranch_execnz .LBB5_339
	s_branch .LBB5_340
.LBB5_2389:
	s_movk_i32 s4, 0x80
	v_cmp_eq_u16_e32 vcc, s4, v3
	s_mov_b64 s[4:5], -1
                                        ; implicit-def: $sgpr10
	s_and_saveexec_b64 s[8:9], vcc
; %bb.2390:
	s_mov_b32 s10, 0x7f800001
	s_xor_b64 s[4:5], exec, -1
; %bb.2391:
	s_or_b64 exec, exec, s[8:9]
	s_and_b64 s[4:5], s[4:5], exec
                                        ; implicit-def: $vgpr3
	s_or_saveexec_b64 s[6:7], s[6:7]
	v_mov_b32_e32 v6, s10
	s_xor_b64 exec, exec, s[6:7]
	s_cbranch_execz .LBB5_342
.LBB5_2392:
	v_cmp_ne_u16_e32 vcc, 0, v3
	s_andn2_b64 s[4:5], s[4:5], exec
	s_and_b64 s[8:9], vcc, exec
	v_mov_b32_e32 v6, 0
	s_or_b64 s[4:5], s[4:5], s[8:9]
	s_or_b64 exec, exec, s[6:7]
	s_and_saveexec_b64 s[6:7], s[4:5]
	s_cbranch_execnz .LBB5_343
	s_branch .LBB5_344
.LBB5_2393:
	s_movk_i32 s4, 0x80
	v_cmp_eq_u16_sdwa s[12:13], v8, s4 src0_sel:BYTE_3 src1_sel:DWORD
	s_mov_b64 s[4:5], -1
                                        ; implicit-def: $sgpr10
	s_and_saveexec_b64 s[8:9], s[12:13]
; %bb.2394:
	s_mov_b32 s10, 0x7f800001
	s_xor_b64 s[4:5], exec, -1
; %bb.2395:
	s_or_b64 exec, exec, s[8:9]
	s_and_b64 s[4:5], s[4:5], exec
	s_or_saveexec_b64 s[6:7], s[6:7]
	v_mov_b32_e32 v2, s10
	s_xor_b64 exec, exec, s[6:7]
	s_cbranch_execz .LBB5_346
.LBB5_2396:
	v_mov_b32_e32 v2, 0
	v_cmp_ne_u16_sdwa s[8:9], v8, v2 src0_sel:BYTE_3 src1_sel:DWORD
	s_andn2_b64 s[4:5], s[4:5], exec
	s_and_b64 s[8:9], s[8:9], exec
	s_or_b64 s[4:5], s[4:5], s[8:9]
	s_or_b64 exec, exec, s[6:7]
	s_and_saveexec_b64 s[6:7], s[4:5]
	s_cbranch_execnz .LBB5_347
	s_branch .LBB5_348
.LBB5_2397:
	s_movk_i32 s4, 0x80
	v_cmp_eq_u16_sdwa s[12:13], v4, s4 src0_sel:BYTE_3 src1_sel:DWORD
	s_mov_b64 s[4:5], -1
                                        ; implicit-def: $sgpr10
	s_and_saveexec_b64 s[8:9], s[12:13]
; %bb.2398:
	s_mov_b32 s10, 0x7f800001
	s_xor_b64 s[4:5], exec, -1
; %bb.2399:
	s_or_b64 exec, exec, s[8:9]
	s_and_b64 s[4:5], s[4:5], exec
	s_or_saveexec_b64 s[6:7], s[6:7]
	v_mov_b32_e32 v3, s10
	s_xor_b64 exec, exec, s[6:7]
	s_cbranch_execz .LBB5_350
.LBB5_2400:
	v_mov_b32_e32 v3, 0
	v_cmp_ne_u16_sdwa s[8:9], v4, v3 src0_sel:BYTE_3 src1_sel:DWORD
	s_andn2_b64 s[4:5], s[4:5], exec
	s_and_b64 s[8:9], s[8:9], exec
	s_or_b64 s[4:5], s[4:5], s[8:9]
	s_or_b64 exec, exec, s[6:7]
	s_and_saveexec_b64 s[6:7], s[4:5]
	s_cbranch_execnz .LBB5_351
	s_branch .LBB5_352
.LBB5_2401:
	s_movk_i32 s4, 0x80
	v_cmp_eq_u16_sdwa s[12:13], v9, s4 src0_sel:BYTE_0 src1_sel:DWORD
	s_mov_b64 s[4:5], -1
                                        ; implicit-def: $sgpr10
	s_and_saveexec_b64 s[8:9], s[12:13]
; %bb.2402:
	s_mov_b32 s10, 0x7f800001
	s_xor_b64 s[4:5], exec, -1
; %bb.2403:
	s_or_b64 exec, exec, s[8:9]
	s_and_b64 s[4:5], s[4:5], exec
	s_or_saveexec_b64 s[6:7], s[6:7]
	v_mov_b32_e32 v2, s10
	s_xor_b64 exec, exec, s[6:7]
	s_cbranch_execz .LBB5_354
.LBB5_2404:
	v_mov_b32_e32 v2, 0
	v_cmp_ne_u16_sdwa s[8:9], v9, v2 src0_sel:BYTE_0 src1_sel:DWORD
	s_andn2_b64 s[4:5], s[4:5], exec
	s_and_b64 s[8:9], s[8:9], exec
	s_or_b64 s[4:5], s[4:5], s[8:9]
	s_or_b64 exec, exec, s[6:7]
	s_and_saveexec_b64 s[6:7], s[4:5]
	s_cbranch_execnz .LBB5_355
	s_branch .LBB5_356
.LBB5_2405:
	s_movk_i32 s4, 0x80
	v_cmp_eq_u16_sdwa s[12:13], v5, s4 src0_sel:BYTE_0 src1_sel:DWORD
	s_mov_b64 s[4:5], -1
                                        ; implicit-def: $sgpr10
	s_and_saveexec_b64 s[8:9], s[12:13]
; %bb.2406:
	s_mov_b32 s10, 0x7f800001
	s_xor_b64 s[4:5], exec, -1
; %bb.2407:
	s_or_b64 exec, exec, s[8:9]
	s_and_b64 s[4:5], s[4:5], exec
	s_or_saveexec_b64 s[6:7], s[6:7]
	v_mov_b32_e32 v3, s10
	s_xor_b64 exec, exec, s[6:7]
	s_cbranch_execz .LBB5_358
.LBB5_2408:
	v_mov_b32_e32 v3, 0
	v_cmp_ne_u16_sdwa s[8:9], v5, v3 src0_sel:BYTE_0 src1_sel:DWORD
	s_andn2_b64 s[4:5], s[4:5], exec
	s_and_b64 s[8:9], s[8:9], exec
	s_or_b64 s[4:5], s[4:5], s[8:9]
	s_or_b64 exec, exec, s[6:7]
	s_and_saveexec_b64 s[6:7], s[4:5]
	s_cbranch_execnz .LBB5_359
	s_branch .LBB5_360
.LBB5_2409:
	s_movk_i32 s4, 0x80
	v_cmp_eq_u16_sdwa s[12:13], v3, s4 src0_sel:BYTE_0 src1_sel:DWORD
	s_mov_b64 s[4:5], -1
                                        ; implicit-def: $sgpr10
	s_and_saveexec_b64 s[8:9], s[12:13]
; %bb.2410:
	s_mov_b32 s10, 0x7f800001
	s_xor_b64 s[4:5], exec, -1
; %bb.2411:
	s_or_b64 exec, exec, s[8:9]
	s_and_b64 s[4:5], s[4:5], exec
	s_or_saveexec_b64 s[6:7], s[6:7]
	v_mov_b32_e32 v2, s10
	s_xor_b64 exec, exec, s[6:7]
	s_cbranch_execz .LBB5_362
.LBB5_2412:
	v_mov_b32_e32 v2, 0
	v_cmp_ne_u16_sdwa s[8:9], v3, v2 src0_sel:BYTE_0 src1_sel:DWORD
	s_andn2_b64 s[4:5], s[4:5], exec
	s_and_b64 s[8:9], s[8:9], exec
	s_or_b64 s[4:5], s[4:5], s[8:9]
	s_or_b64 exec, exec, s[6:7]
	s_and_saveexec_b64 s[6:7], s[4:5]
	s_cbranch_execnz .LBB5_363
	s_branch .LBB5_364
.LBB5_2413:
	s_movk_i32 s4, 0x80
	v_cmp_eq_u16_sdwa s[12:13], v3, s4 src0_sel:BYTE_0 src1_sel:DWORD
	s_mov_b64 s[4:5], -1
                                        ; implicit-def: $sgpr10
	s_and_saveexec_b64 s[8:9], s[12:13]
; %bb.2414:
	s_mov_b32 s10, 0x7f800001
	s_xor_b64 s[4:5], exec, -1
; %bb.2415:
	s_or_b64 exec, exec, s[8:9]
	s_and_b64 s[4:5], s[4:5], exec
	s_or_saveexec_b64 s[6:7], s[6:7]
	v_mov_b32_e32 v4, s10
	s_xor_b64 exec, exec, s[6:7]
	s_cbranch_execz .LBB5_366
.LBB5_2416:
	v_mov_b32_e32 v4, 0
	v_cmp_ne_u16_sdwa s[8:9], v3, v4 src0_sel:BYTE_0 src1_sel:DWORD
	s_andn2_b64 s[4:5], s[4:5], exec
	s_and_b64 s[8:9], s[8:9], exec
	s_or_b64 s[4:5], s[4:5], s[8:9]
	s_or_b64 exec, exec, s[6:7]
	s_and_saveexec_b64 s[6:7], s[4:5]
	s_cbranch_execnz .LBB5_367
	s_branch .LBB5_368
.LBB5_2417:
	s_movk_i32 s4, 0x80
	v_cmp_eq_u16_e32 vcc, s4, v3
	s_mov_b64 s[4:5], -1
                                        ; implicit-def: $sgpr10
	s_and_saveexec_b64 s[8:9], vcc
; %bb.2418:
	s_mov_b32 s10, 0x7f800001
	s_xor_b64 s[4:5], exec, -1
; %bb.2419:
	s_or_b64 exec, exec, s[8:9]
	s_and_b64 s[4:5], s[4:5], exec
                                        ; implicit-def: $vgpr3
	s_or_saveexec_b64 s[6:7], s[6:7]
	v_mov_b32_e32 v2, s10
	s_xor_b64 exec, exec, s[6:7]
	s_cbranch_execz .LBB5_370
.LBB5_2420:
	v_cmp_ne_u16_e32 vcc, 0, v3
	s_andn2_b64 s[4:5], s[4:5], exec
	s_and_b64 s[8:9], vcc, exec
	v_mov_b32_e32 v2, 0
	s_or_b64 s[4:5], s[4:5], s[8:9]
	s_or_b64 exec, exec, s[6:7]
	s_and_saveexec_b64 s[6:7], s[4:5]
	s_cbranch_execnz .LBB5_371
	s_branch .LBB5_372
.LBB5_2421:
	s_movk_i32 s4, 0x80
	v_cmp_eq_u16_e32 vcc, s4, v3
	s_mov_b64 s[4:5], -1
                                        ; implicit-def: $sgpr10
	s_and_saveexec_b64 s[8:9], vcc
; %bb.2422:
	s_mov_b32 s10, 0x7f800001
	s_xor_b64 s[4:5], exec, -1
; %bb.2423:
	s_or_b64 exec, exec, s[8:9]
	s_and_b64 s[4:5], s[4:5], exec
                                        ; implicit-def: $vgpr3
	s_or_saveexec_b64 s[6:7], s[6:7]
	v_mov_b32_e32 v4, s10
	s_xor_b64 exec, exec, s[6:7]
	s_cbranch_execz .LBB5_374
.LBB5_2424:
	v_cmp_ne_u16_e32 vcc, 0, v3
	s_andn2_b64 s[4:5], s[4:5], exec
	s_and_b64 s[8:9], vcc, exec
	v_mov_b32_e32 v4, 0
	s_or_b64 s[4:5], s[4:5], s[8:9]
	s_or_b64 exec, exec, s[6:7]
	s_and_saveexec_b64 s[6:7], s[4:5]
	s_cbranch_execnz .LBB5_375
	s_branch .LBB5_376
.LBB5_2425:
	s_movk_i32 s4, 0x80
	v_cmp_eq_u16_sdwa s[12:13], v9, s4 src0_sel:BYTE_3 src1_sel:DWORD
	s_mov_b64 s[4:5], -1
                                        ; implicit-def: $sgpr10
	s_and_saveexec_b64 s[8:9], s[12:13]
; %bb.2426:
	s_mov_b32 s10, 0x7f800001
	s_xor_b64 s[4:5], exec, -1
; %bb.2427:
	s_or_b64 exec, exec, s[8:9]
	s_and_b64 s[4:5], s[4:5], exec
	s_or_saveexec_b64 s[6:7], s[6:7]
	v_mov_b32_e32 v2, s10
	s_xor_b64 exec, exec, s[6:7]
	s_cbranch_execz .LBB5_378
.LBB5_2428:
	v_mov_b32_e32 v2, 0
	v_cmp_ne_u16_sdwa s[8:9], v9, v2 src0_sel:BYTE_3 src1_sel:DWORD
	s_andn2_b64 s[4:5], s[4:5], exec
	s_and_b64 s[8:9], s[8:9], exec
	s_or_b64 s[4:5], s[4:5], s[8:9]
	s_or_b64 exec, exec, s[6:7]
	s_and_saveexec_b64 s[6:7], s[4:5]
	s_cbranch_execnz .LBB5_379
	s_branch .LBB5_380
.LBB5_2429:
	s_movk_i32 s4, 0x80
	v_cmp_eq_u16_sdwa s[12:13], v5, s4 src0_sel:BYTE_3 src1_sel:DWORD
	s_mov_b64 s[4:5], -1
                                        ; implicit-def: $sgpr10
	s_and_saveexec_b64 s[8:9], s[12:13]
; %bb.2430:
	s_mov_b32 s10, 0x7f800001
	s_xor_b64 s[4:5], exec, -1
; %bb.2431:
	s_or_b64 exec, exec, s[8:9]
	s_and_b64 s[4:5], s[4:5], exec
	s_or_saveexec_b64 s[6:7], s[6:7]
	v_mov_b32_e32 v3, s10
	s_xor_b64 exec, exec, s[6:7]
	s_cbranch_execz .LBB5_382
.LBB5_2432:
	v_mov_b32_e32 v3, 0
	v_cmp_ne_u16_sdwa s[8:9], v5, v3 src0_sel:BYTE_3 src1_sel:DWORD
	s_andn2_b64 s[4:5], s[4:5], exec
	s_and_b64 s[8:9], s[8:9], exec
	s_or_b64 s[4:5], s[4:5], s[8:9]
	s_or_b64 exec, exec, s[6:7]
	s_and_saveexec_b64 s[6:7], s[4:5]
	s_cbranch_execnz .LBB5_383
	s_branch .LBB5_384
.LBB5_2433:
	s_movk_i32 s4, 0x80
	v_cmp_eq_u16_sdwa s[12:13], v6, s4 src0_sel:BYTE_0 src1_sel:DWORD
	s_mov_b64 s[4:5], -1
                                        ; implicit-def: $sgpr10
	s_and_saveexec_b64 s[8:9], s[12:13]
; %bb.2434:
	s_mov_b32 s10, 0x7f800001
	s_xor_b64 s[4:5], exec, -1
; %bb.2435:
	s_or_b64 exec, exec, s[8:9]
	s_and_b64 s[4:5], s[4:5], exec
	s_or_saveexec_b64 s[6:7], s[6:7]
	v_mov_b32_e32 v12, s10
	s_xor_b64 exec, exec, s[6:7]
	s_cbranch_execz .LBB5_386
.LBB5_2436:
	v_mov_b32_e32 v12, 0
	v_cmp_ne_u16_sdwa s[8:9], v6, v12 src0_sel:BYTE_0 src1_sel:DWORD
	s_andn2_b64 s[4:5], s[4:5], exec
	s_and_b64 s[8:9], s[8:9], exec
	s_or_b64 s[4:5], s[4:5], s[8:9]
	s_or_b64 exec, exec, s[6:7]
	s_and_saveexec_b64 s[6:7], s[4:5]
	s_cbranch_execnz .LBB5_387
	s_branch .LBB5_388
.LBB5_2437:
	s_movk_i32 s4, 0x80
	v_cmp_eq_u16_sdwa s[12:13], v2, s4 src0_sel:BYTE_0 src1_sel:DWORD
	s_mov_b64 s[4:5], -1
                                        ; implicit-def: $sgpr10
	s_and_saveexec_b64 s[8:9], s[12:13]
; %bb.2438:
	s_mov_b32 s10, 0x7f800001
	s_xor_b64 s[4:5], exec, -1
; %bb.2439:
	s_or_b64 exec, exec, s[8:9]
	s_and_b64 s[4:5], s[4:5], exec
	s_or_saveexec_b64 s[6:7], s[6:7]
	v_mov_b32_e32 v13, s10
	s_xor_b64 exec, exec, s[6:7]
	s_cbranch_execz .LBB5_390
.LBB5_2440:
	v_mov_b32_e32 v13, 0
	v_cmp_ne_u16_sdwa s[8:9], v2, v13 src0_sel:BYTE_0 src1_sel:DWORD
	s_andn2_b64 s[4:5], s[4:5], exec
	s_and_b64 s[8:9], s[8:9], exec
	s_or_b64 s[4:5], s[4:5], s[8:9]
	s_or_b64 exec, exec, s[6:7]
	s_and_saveexec_b64 s[6:7], s[4:5]
	s_cbranch_execnz .LBB5_391
	s_branch .LBB5_392
.LBB5_2441:
	s_movk_i32 s4, 0x80
	v_cmp_eq_u16_sdwa s[12:13], v13, s4 src0_sel:BYTE_0 src1_sel:DWORD
	s_mov_b64 s[4:5], -1
                                        ; implicit-def: $sgpr10
	s_and_saveexec_b64 s[8:9], s[12:13]
; %bb.2442:
	s_mov_b32 s10, 0x7f800001
	s_xor_b64 s[4:5], exec, -1
; %bb.2443:
	s_or_b64 exec, exec, s[8:9]
	s_and_b64 s[4:5], s[4:5], exec
	s_or_saveexec_b64 s[6:7], s[6:7]
	v_mov_b32_e32 v12, s10
	s_xor_b64 exec, exec, s[6:7]
	s_cbranch_execz .LBB5_394
.LBB5_2444:
	v_mov_b32_e32 v12, 0
	v_cmp_ne_u16_sdwa s[8:9], v13, v12 src0_sel:BYTE_0 src1_sel:DWORD
	s_andn2_b64 s[4:5], s[4:5], exec
	s_and_b64 s[8:9], s[8:9], exec
	s_or_b64 s[4:5], s[4:5], s[8:9]
	s_or_b64 exec, exec, s[6:7]
	s_and_saveexec_b64 s[6:7], s[4:5]
	s_cbranch_execnz .LBB5_395
	s_branch .LBB5_396
.LBB5_2445:
	s_movk_i32 s4, 0x80
	v_cmp_eq_u16_sdwa s[12:13], v13, s4 src0_sel:BYTE_0 src1_sel:DWORD
	s_mov_b64 s[4:5], -1
                                        ; implicit-def: $sgpr10
	s_and_saveexec_b64 s[8:9], s[12:13]
; %bb.2446:
	s_mov_b32 s10, 0x7f800001
	s_xor_b64 s[4:5], exec, -1
; %bb.2447:
	s_or_b64 exec, exec, s[8:9]
	s_and_b64 s[4:5], s[4:5], exec
	s_or_saveexec_b64 s[6:7], s[6:7]
	v_mov_b32_e32 v14, s10
	s_xor_b64 exec, exec, s[6:7]
	s_cbranch_execz .LBB5_398
.LBB5_2448:
	v_mov_b32_e32 v14, 0
	v_cmp_ne_u16_sdwa s[8:9], v13, v14 src0_sel:BYTE_0 src1_sel:DWORD
	s_andn2_b64 s[4:5], s[4:5], exec
	s_and_b64 s[8:9], s[8:9], exec
	s_or_b64 s[4:5], s[4:5], s[8:9]
	s_or_b64 exec, exec, s[6:7]
	s_and_saveexec_b64 s[6:7], s[4:5]
	s_cbranch_execnz .LBB5_399
	s_branch .LBB5_400
.LBB5_2449:
	s_movk_i32 s4, 0x80
	v_cmp_eq_u16_e32 vcc, s4, v13
	s_mov_b64 s[4:5], -1
                                        ; implicit-def: $sgpr10
	s_and_saveexec_b64 s[8:9], vcc
; %bb.2450:
	s_mov_b32 s10, 0x7f800001
	s_xor_b64 s[4:5], exec, -1
; %bb.2451:
	s_or_b64 exec, exec, s[8:9]
	s_and_b64 s[4:5], s[4:5], exec
                                        ; implicit-def: $vgpr13
	s_or_saveexec_b64 s[6:7], s[6:7]
	v_mov_b32_e32 v12, s10
	s_xor_b64 exec, exec, s[6:7]
	s_cbranch_execz .LBB5_402
.LBB5_2452:
	v_cmp_ne_u16_e32 vcc, 0, v13
	s_andn2_b64 s[4:5], s[4:5], exec
	s_and_b64 s[8:9], vcc, exec
	v_mov_b32_e32 v12, 0
	s_or_b64 s[4:5], s[4:5], s[8:9]
	s_or_b64 exec, exec, s[6:7]
	s_and_saveexec_b64 s[6:7], s[4:5]
	s_cbranch_execnz .LBB5_403
	s_branch .LBB5_404
.LBB5_2453:
	s_movk_i32 s4, 0x80
	v_cmp_eq_u16_e32 vcc, s4, v13
	s_mov_b64 s[4:5], -1
                                        ; implicit-def: $sgpr10
	s_and_saveexec_b64 s[8:9], vcc
; %bb.2454:
	s_mov_b32 s10, 0x7f800001
	s_xor_b64 s[4:5], exec, -1
; %bb.2455:
	s_or_b64 exec, exec, s[8:9]
	s_and_b64 s[4:5], s[4:5], exec
                                        ; implicit-def: $vgpr13
	s_or_saveexec_b64 s[6:7], s[6:7]
	v_mov_b32_e32 v14, s10
	s_xor_b64 exec, exec, s[6:7]
	s_cbranch_execz .LBB5_406
.LBB5_2456:
	v_cmp_ne_u16_e32 vcc, 0, v13
	s_andn2_b64 s[4:5], s[4:5], exec
	s_and_b64 s[8:9], vcc, exec
	v_mov_b32_e32 v14, 0
	s_or_b64 s[4:5], s[4:5], s[8:9]
	s_or_b64 exec, exec, s[6:7]
	s_and_saveexec_b64 s[6:7], s[4:5]
	s_cbranch_execnz .LBB5_407
	s_branch .LBB5_408
.LBB5_2457:
	s_movk_i32 s4, 0x80
	v_cmp_eq_u16_sdwa s[12:13], v6, s4 src0_sel:BYTE_3 src1_sel:DWORD
	s_mov_b64 s[4:5], -1
                                        ; implicit-def: $sgpr10
	s_and_saveexec_b64 s[8:9], s[12:13]
; %bb.2458:
	s_mov_b32 s10, 0x7f800001
	s_xor_b64 s[4:5], exec, -1
; %bb.2459:
	s_or_b64 exec, exec, s[8:9]
	s_and_b64 s[4:5], s[4:5], exec
	s_or_saveexec_b64 s[6:7], s[6:7]
	v_mov_b32_e32 v12, s10
	s_xor_b64 exec, exec, s[6:7]
	s_cbranch_execz .LBB5_410
.LBB5_2460:
	v_mov_b32_e32 v12, 0
	v_cmp_ne_u16_sdwa s[8:9], v6, v12 src0_sel:BYTE_3 src1_sel:DWORD
	s_andn2_b64 s[4:5], s[4:5], exec
	s_and_b64 s[8:9], s[8:9], exec
	s_or_b64 s[4:5], s[4:5], s[8:9]
	s_or_b64 exec, exec, s[6:7]
	s_and_saveexec_b64 s[6:7], s[4:5]
	s_cbranch_execnz .LBB5_411
	s_branch .LBB5_412
.LBB5_2461:
	s_movk_i32 s4, 0x80
	v_cmp_eq_u16_sdwa s[12:13], v2, s4 src0_sel:BYTE_3 src1_sel:DWORD
	s_mov_b64 s[4:5], -1
                                        ; implicit-def: $sgpr10
	s_and_saveexec_b64 s[8:9], s[12:13]
; %bb.2462:
	s_mov_b32 s10, 0x7f800001
	s_xor_b64 s[4:5], exec, -1
; %bb.2463:
	s_or_b64 exec, exec, s[8:9]
	s_and_b64 s[4:5], s[4:5], exec
	s_or_saveexec_b64 s[6:7], s[6:7]
	v_mov_b32_e32 v6, s10
	s_xor_b64 exec, exec, s[6:7]
	s_cbranch_execz .LBB5_414
.LBB5_2464:
	v_mov_b32_e32 v6, 0
	v_cmp_ne_u16_sdwa s[8:9], v2, v6 src0_sel:BYTE_3 src1_sel:DWORD
	s_andn2_b64 s[4:5], s[4:5], exec
	s_and_b64 s[8:9], s[8:9], exec
	s_or_b64 s[4:5], s[4:5], s[8:9]
	s_or_b64 exec, exec, s[6:7]
	s_and_saveexec_b64 s[6:7], s[4:5]
	s_cbranch_execnz .LBB5_415
	s_branch .LBB5_416
.LBB5_2465:
	s_movk_i32 s4, 0x80
	v_cmp_eq_u16_sdwa s[12:13], v7, s4 src0_sel:BYTE_0 src1_sel:DWORD
	s_mov_b64 s[4:5], -1
                                        ; implicit-def: $sgpr10
	s_and_saveexec_b64 s[8:9], s[12:13]
; %bb.2466:
	s_mov_b32 s10, 0x7f800001
	s_xor_b64 s[4:5], exec, -1
; %bb.2467:
	s_or_b64 exec, exec, s[8:9]
	s_and_b64 s[4:5], s[4:5], exec
	s_or_saveexec_b64 s[6:7], s[6:7]
	v_mov_b32_e32 v2, s10
	s_xor_b64 exec, exec, s[6:7]
	s_cbranch_execz .LBB5_418
.LBB5_2468:
	v_mov_b32_e32 v2, 0
	v_cmp_ne_u16_sdwa s[8:9], v7, v2 src0_sel:BYTE_0 src1_sel:DWORD
	s_andn2_b64 s[4:5], s[4:5], exec
	s_and_b64 s[8:9], s[8:9], exec
	s_or_b64 s[4:5], s[4:5], s[8:9]
	s_or_b64 exec, exec, s[6:7]
	s_and_saveexec_b64 s[6:7], s[4:5]
	s_cbranch_execnz .LBB5_419
	s_branch .LBB5_420
.LBB5_2469:
	s_movk_i32 s4, 0x80
	v_cmp_eq_u16_sdwa s[12:13], v3, s4 src0_sel:BYTE_0 src1_sel:DWORD
	s_mov_b64 s[4:5], -1
                                        ; implicit-def: $sgpr10
	s_and_saveexec_b64 s[8:9], s[12:13]
; %bb.2470:
	s_mov_b32 s10, 0x7f800001
	s_xor_b64 s[4:5], exec, -1
; %bb.2471:
	s_or_b64 exec, exec, s[8:9]
	s_and_b64 s[4:5], s[4:5], exec
	s_or_saveexec_b64 s[6:7], s[6:7]
	v_mov_b32_e32 v6, s10
	s_xor_b64 exec, exec, s[6:7]
	s_cbranch_execz .LBB5_422
.LBB5_2472:
	v_mov_b32_e32 v6, 0
	v_cmp_ne_u16_sdwa s[8:9], v3, v6 src0_sel:BYTE_0 src1_sel:DWORD
	s_andn2_b64 s[4:5], s[4:5], exec
	s_and_b64 s[8:9], s[8:9], exec
	s_or_b64 s[4:5], s[4:5], s[8:9]
	s_or_b64 exec, exec, s[6:7]
	s_and_saveexec_b64 s[6:7], s[4:5]
	s_cbranch_execnz .LBB5_423
	s_branch .LBB5_424
.LBB5_2473:
	s_movk_i32 s4, 0x80
	v_cmp_eq_u16_sdwa s[12:13], v6, s4 src0_sel:BYTE_0 src1_sel:DWORD
	s_mov_b64 s[4:5], -1
                                        ; implicit-def: $sgpr10
	s_and_saveexec_b64 s[8:9], s[12:13]
; %bb.2474:
	s_mov_b32 s10, 0x7f800001
	s_xor_b64 s[4:5], exec, -1
; %bb.2475:
	s_or_b64 exec, exec, s[8:9]
	s_and_b64 s[4:5], s[4:5], exec
	s_or_saveexec_b64 s[6:7], s[6:7]
	v_mov_b32_e32 v2, s10
	s_xor_b64 exec, exec, s[6:7]
	s_cbranch_execz .LBB5_426
.LBB5_2476:
	v_mov_b32_e32 v2, 0
	v_cmp_ne_u16_sdwa s[8:9], v6, v2 src0_sel:BYTE_0 src1_sel:DWORD
	s_andn2_b64 s[4:5], s[4:5], exec
	s_and_b64 s[8:9], s[8:9], exec
	s_or_b64 s[4:5], s[4:5], s[8:9]
	s_or_b64 exec, exec, s[6:7]
	s_and_saveexec_b64 s[6:7], s[4:5]
	s_cbranch_execnz .LBB5_427
	s_branch .LBB5_428
.LBB5_2477:
	s_movk_i32 s4, 0x80
	v_cmp_eq_u16_sdwa s[12:13], v6, s4 src0_sel:BYTE_0 src1_sel:DWORD
	s_mov_b64 s[4:5], -1
                                        ; implicit-def: $sgpr10
	s_and_saveexec_b64 s[8:9], s[12:13]
; %bb.2478:
	s_mov_b32 s10, 0x7f800001
	s_xor_b64 s[4:5], exec, -1
; %bb.2479:
	s_or_b64 exec, exec, s[8:9]
	s_and_b64 s[4:5], s[4:5], exec
	s_or_saveexec_b64 s[6:7], s[6:7]
	v_mov_b32_e32 v12, s10
	s_xor_b64 exec, exec, s[6:7]
	s_cbranch_execz .LBB5_430
.LBB5_2480:
	v_mov_b32_e32 v12, 0
	v_cmp_ne_u16_sdwa s[8:9], v6, v12 src0_sel:BYTE_0 src1_sel:DWORD
	s_andn2_b64 s[4:5], s[4:5], exec
	s_and_b64 s[8:9], s[8:9], exec
	s_or_b64 s[4:5], s[4:5], s[8:9]
	s_or_b64 exec, exec, s[6:7]
	s_and_saveexec_b64 s[6:7], s[4:5]
	s_cbranch_execnz .LBB5_431
	s_branch .LBB5_432
.LBB5_2481:
	s_movk_i32 s4, 0x80
	v_cmp_eq_u16_e32 vcc, s4, v6
	s_mov_b64 s[4:5], -1
                                        ; implicit-def: $sgpr10
	s_and_saveexec_b64 s[8:9], vcc
; %bb.2482:
	s_mov_b32 s10, 0x7f800001
	s_xor_b64 s[4:5], exec, -1
; %bb.2483:
	s_or_b64 exec, exec, s[8:9]
	s_and_b64 s[4:5], s[4:5], exec
                                        ; implicit-def: $vgpr6
	s_or_saveexec_b64 s[6:7], s[6:7]
	v_mov_b32_e32 v2, s10
	s_xor_b64 exec, exec, s[6:7]
	s_cbranch_execz .LBB5_434
.LBB5_2484:
	v_cmp_ne_u16_e32 vcc, 0, v6
	s_andn2_b64 s[4:5], s[4:5], exec
	s_and_b64 s[8:9], vcc, exec
	v_mov_b32_e32 v2, 0
	s_or_b64 s[4:5], s[4:5], s[8:9]
	s_or_b64 exec, exec, s[6:7]
	s_and_saveexec_b64 s[6:7], s[4:5]
	s_cbranch_execnz .LBB5_435
	s_branch .LBB5_436
.LBB5_2485:
	s_movk_i32 s4, 0x80
	v_cmp_eq_u16_e32 vcc, s4, v6
	s_mov_b64 s[4:5], -1
                                        ; implicit-def: $sgpr10
	s_and_saveexec_b64 s[8:9], vcc
; %bb.2486:
	s_mov_b32 s10, 0x7f800001
	s_xor_b64 s[4:5], exec, -1
; %bb.2487:
	s_or_b64 exec, exec, s[8:9]
	s_and_b64 s[4:5], s[4:5], exec
                                        ; implicit-def: $vgpr6
	s_or_saveexec_b64 s[6:7], s[6:7]
	v_mov_b32_e32 v12, s10
	s_xor_b64 exec, exec, s[6:7]
	s_cbranch_execz .LBB5_438
.LBB5_2488:
	v_cmp_ne_u16_e32 vcc, 0, v6
	s_andn2_b64 s[4:5], s[4:5], exec
	s_and_b64 s[8:9], vcc, exec
	v_mov_b32_e32 v12, 0
	s_or_b64 s[4:5], s[4:5], s[8:9]
	s_or_b64 exec, exec, s[6:7]
	s_and_saveexec_b64 s[6:7], s[4:5]
	s_cbranch_execnz .LBB5_439
	s_branch .LBB5_440
.LBB5_2489:
	s_movk_i32 s4, 0x80
	v_cmp_eq_u16_sdwa s[12:13], v7, s4 src0_sel:BYTE_3 src1_sel:DWORD
	s_mov_b64 s[4:5], -1
                                        ; implicit-def: $sgpr10
	s_and_saveexec_b64 s[8:9], s[12:13]
; %bb.2490:
	s_mov_b32 s10, 0x7f800001
	s_xor_b64 s[4:5], exec, -1
; %bb.2491:
	s_or_b64 exec, exec, s[8:9]
	s_and_b64 s[4:5], s[4:5], exec
	s_or_saveexec_b64 s[6:7], s[6:7]
	v_mov_b32_e32 v2, s10
	s_xor_b64 exec, exec, s[6:7]
	s_cbranch_execz .LBB5_442
.LBB5_2492:
	v_mov_b32_e32 v2, 0
	v_cmp_ne_u16_sdwa s[8:9], v7, v2 src0_sel:BYTE_3 src1_sel:DWORD
	s_andn2_b64 s[4:5], s[4:5], exec
	s_and_b64 s[8:9], s[8:9], exec
	s_or_b64 s[4:5], s[4:5], s[8:9]
	s_or_b64 exec, exec, s[6:7]
	s_and_saveexec_b64 s[6:7], s[4:5]
	s_cbranch_execnz .LBB5_443
	s_branch .LBB5_444
.LBB5_2493:
	s_movk_i32 s4, 0x80
	v_cmp_eq_u16_sdwa s[12:13], v3, s4 src0_sel:BYTE_3 src1_sel:DWORD
	s_mov_b64 s[4:5], -1
                                        ; implicit-def: $sgpr10
	s_and_saveexec_b64 s[8:9], s[12:13]
; %bb.2494:
	s_mov_b32 s10, 0x7f800001
	s_xor_b64 s[4:5], exec, -1
; %bb.2495:
	s_or_b64 exec, exec, s[8:9]
	s_and_b64 s[4:5], s[4:5], exec
	s_or_saveexec_b64 s[6:7], s[6:7]
	v_mov_b32_e32 v6, s10
	s_xor_b64 exec, exec, s[6:7]
	s_cbranch_execz .LBB5_446
.LBB5_2496:
	v_mov_b32_e32 v6, 0
	v_cmp_ne_u16_sdwa s[8:9], v3, v6 src0_sel:BYTE_3 src1_sel:DWORD
	s_andn2_b64 s[4:5], s[4:5], exec
	s_and_b64 s[8:9], s[8:9], exec
	s_or_b64 s[4:5], s[4:5], s[8:9]
	s_or_b64 exec, exec, s[6:7]
	s_and_saveexec_b64 s[6:7], s[4:5]
	s_cbranch_execnz .LBB5_447
	s_branch .LBB5_448
.LBB5_2497:
	s_movk_i32 s4, 0x80
	v_cmp_eq_u16_sdwa s[12:13], v8, s4 src0_sel:BYTE_0 src1_sel:DWORD
	s_mov_b64 s[4:5], -1
                                        ; implicit-def: $sgpr10
	s_and_saveexec_b64 s[8:9], s[12:13]
; %bb.2498:
	s_mov_b32 s10, 0x7f800001
	s_xor_b64 s[4:5], exec, -1
; %bb.2499:
	s_or_b64 exec, exec, s[8:9]
	s_and_b64 s[4:5], s[4:5], exec
	s_or_saveexec_b64 s[6:7], s[6:7]
	v_mov_b32_e32 v2, s10
	s_xor_b64 exec, exec, s[6:7]
	s_cbranch_execz .LBB5_450
.LBB5_2500:
	v_mov_b32_e32 v2, 0
	v_cmp_ne_u16_sdwa s[8:9], v8, v2 src0_sel:BYTE_0 src1_sel:DWORD
	s_andn2_b64 s[4:5], s[4:5], exec
	s_and_b64 s[8:9], s[8:9], exec
	s_or_b64 s[4:5], s[4:5], s[8:9]
	s_or_b64 exec, exec, s[6:7]
	s_and_saveexec_b64 s[6:7], s[4:5]
	s_cbranch_execnz .LBB5_451
	s_branch .LBB5_452
.LBB5_2501:
	s_movk_i32 s4, 0x80
	v_cmp_eq_u16_sdwa s[12:13], v4, s4 src0_sel:BYTE_0 src1_sel:DWORD
	s_mov_b64 s[4:5], -1
                                        ; implicit-def: $sgpr10
	s_and_saveexec_b64 s[8:9], s[12:13]
; %bb.2502:
	s_mov_b32 s10, 0x7f800001
	s_xor_b64 s[4:5], exec, -1
; %bb.2503:
	s_or_b64 exec, exec, s[8:9]
	s_and_b64 s[4:5], s[4:5], exec
	s_or_saveexec_b64 s[6:7], s[6:7]
	v_mov_b32_e32 v3, s10
	s_xor_b64 exec, exec, s[6:7]
	s_cbranch_execz .LBB5_454
.LBB5_2504:
	v_mov_b32_e32 v3, 0
	v_cmp_ne_u16_sdwa s[8:9], v4, v3 src0_sel:BYTE_0 src1_sel:DWORD
	s_andn2_b64 s[4:5], s[4:5], exec
	s_and_b64 s[8:9], s[8:9], exec
	s_or_b64 s[4:5], s[4:5], s[8:9]
	s_or_b64 exec, exec, s[6:7]
	s_and_saveexec_b64 s[6:7], s[4:5]
	s_cbranch_execnz .LBB5_455
	s_branch .LBB5_456
.LBB5_2505:
	s_movk_i32 s4, 0x80
	v_cmp_eq_u16_sdwa s[12:13], v3, s4 src0_sel:BYTE_0 src1_sel:DWORD
	s_mov_b64 s[4:5], -1
                                        ; implicit-def: $sgpr10
	s_and_saveexec_b64 s[8:9], s[12:13]
; %bb.2506:
	s_mov_b32 s10, 0x7f800001
	s_xor_b64 s[4:5], exec, -1
; %bb.2507:
	s_or_b64 exec, exec, s[8:9]
	s_and_b64 s[4:5], s[4:5], exec
	s_or_saveexec_b64 s[6:7], s[6:7]
	v_mov_b32_e32 v2, s10
	s_xor_b64 exec, exec, s[6:7]
	s_cbranch_execz .LBB5_458
.LBB5_2508:
	v_mov_b32_e32 v2, 0
	v_cmp_ne_u16_sdwa s[8:9], v3, v2 src0_sel:BYTE_0 src1_sel:DWORD
	s_andn2_b64 s[4:5], s[4:5], exec
	s_and_b64 s[8:9], s[8:9], exec
	s_or_b64 s[4:5], s[4:5], s[8:9]
	s_or_b64 exec, exec, s[6:7]
	s_and_saveexec_b64 s[6:7], s[4:5]
	s_cbranch_execnz .LBB5_459
	s_branch .LBB5_460
.LBB5_2509:
	s_movk_i32 s4, 0x80
	v_cmp_eq_u16_sdwa s[12:13], v3, s4 src0_sel:BYTE_0 src1_sel:DWORD
	s_mov_b64 s[4:5], -1
                                        ; implicit-def: $sgpr10
	s_and_saveexec_b64 s[8:9], s[12:13]
; %bb.2510:
	s_mov_b32 s10, 0x7f800001
	s_xor_b64 s[4:5], exec, -1
; %bb.2511:
	s_or_b64 exec, exec, s[8:9]
	s_and_b64 s[4:5], s[4:5], exec
	s_or_saveexec_b64 s[6:7], s[6:7]
	v_mov_b32_e32 v6, s10
	s_xor_b64 exec, exec, s[6:7]
	s_cbranch_execz .LBB5_462
.LBB5_2512:
	v_mov_b32_e32 v6, 0
	v_cmp_ne_u16_sdwa s[8:9], v3, v6 src0_sel:BYTE_0 src1_sel:DWORD
	s_andn2_b64 s[4:5], s[4:5], exec
	s_and_b64 s[8:9], s[8:9], exec
	s_or_b64 s[4:5], s[4:5], s[8:9]
	s_or_b64 exec, exec, s[6:7]
	s_and_saveexec_b64 s[6:7], s[4:5]
	s_cbranch_execnz .LBB5_463
	s_branch .LBB5_464
.LBB5_2513:
	s_movk_i32 s4, 0x80
	v_cmp_eq_u16_e32 vcc, s4, v3
	s_mov_b64 s[4:5], -1
                                        ; implicit-def: $sgpr10
	s_and_saveexec_b64 s[8:9], vcc
; %bb.2514:
	s_mov_b32 s10, 0x7f800001
	s_xor_b64 s[4:5], exec, -1
; %bb.2515:
	s_or_b64 exec, exec, s[8:9]
	s_and_b64 s[4:5], s[4:5], exec
                                        ; implicit-def: $vgpr3
	s_or_saveexec_b64 s[6:7], s[6:7]
	v_mov_b32_e32 v2, s10
	s_xor_b64 exec, exec, s[6:7]
	s_cbranch_execz .LBB5_466
.LBB5_2516:
	v_cmp_ne_u16_e32 vcc, 0, v3
	s_andn2_b64 s[4:5], s[4:5], exec
	s_and_b64 s[8:9], vcc, exec
	v_mov_b32_e32 v2, 0
	s_or_b64 s[4:5], s[4:5], s[8:9]
	s_or_b64 exec, exec, s[6:7]
	s_and_saveexec_b64 s[6:7], s[4:5]
	s_cbranch_execnz .LBB5_467
	s_branch .LBB5_468
.LBB5_2517:
	s_movk_i32 s4, 0x80
	v_cmp_eq_u16_e32 vcc, s4, v3
	s_mov_b64 s[4:5], -1
                                        ; implicit-def: $sgpr10
	s_and_saveexec_b64 s[8:9], vcc
; %bb.2518:
	s_mov_b32 s10, 0x7f800001
	s_xor_b64 s[4:5], exec, -1
; %bb.2519:
	s_or_b64 exec, exec, s[8:9]
	s_and_b64 s[4:5], s[4:5], exec
                                        ; implicit-def: $vgpr3
	s_or_saveexec_b64 s[6:7], s[6:7]
	v_mov_b32_e32 v6, s10
	s_xor_b64 exec, exec, s[6:7]
	s_cbranch_execz .LBB5_470
.LBB5_2520:
	v_cmp_ne_u16_e32 vcc, 0, v3
	s_andn2_b64 s[4:5], s[4:5], exec
	s_and_b64 s[8:9], vcc, exec
	v_mov_b32_e32 v6, 0
	s_or_b64 s[4:5], s[4:5], s[8:9]
	s_or_b64 exec, exec, s[6:7]
	s_and_saveexec_b64 s[6:7], s[4:5]
	s_cbranch_execnz .LBB5_471
	s_branch .LBB5_472
.LBB5_2521:
	s_movk_i32 s4, 0x80
	v_cmp_eq_u16_sdwa s[12:13], v8, s4 src0_sel:BYTE_3 src1_sel:DWORD
	s_mov_b64 s[4:5], -1
                                        ; implicit-def: $sgpr10
	s_and_saveexec_b64 s[8:9], s[12:13]
; %bb.2522:
	s_mov_b32 s10, 0x7f800001
	s_xor_b64 s[4:5], exec, -1
; %bb.2523:
	s_or_b64 exec, exec, s[8:9]
	s_and_b64 s[4:5], s[4:5], exec
	s_or_saveexec_b64 s[6:7], s[6:7]
	v_mov_b32_e32 v2, s10
	s_xor_b64 exec, exec, s[6:7]
	s_cbranch_execz .LBB5_474
.LBB5_2524:
	v_mov_b32_e32 v2, 0
	v_cmp_ne_u16_sdwa s[8:9], v8, v2 src0_sel:BYTE_3 src1_sel:DWORD
	s_andn2_b64 s[4:5], s[4:5], exec
	s_and_b64 s[8:9], s[8:9], exec
	s_or_b64 s[4:5], s[4:5], s[8:9]
	s_or_b64 exec, exec, s[6:7]
	s_and_saveexec_b64 s[6:7], s[4:5]
	s_cbranch_execnz .LBB5_475
	s_branch .LBB5_476
.LBB5_2525:
	s_movk_i32 s4, 0x80
	v_cmp_eq_u16_sdwa s[12:13], v4, s4 src0_sel:BYTE_3 src1_sel:DWORD
	s_mov_b64 s[4:5], -1
                                        ; implicit-def: $sgpr10
	s_and_saveexec_b64 s[8:9], s[12:13]
; %bb.2526:
	s_mov_b32 s10, 0x7f800001
	s_xor_b64 s[4:5], exec, -1
; %bb.2527:
	s_or_b64 exec, exec, s[8:9]
	s_and_b64 s[4:5], s[4:5], exec
	s_or_saveexec_b64 s[6:7], s[6:7]
	v_mov_b32_e32 v3, s10
	s_xor_b64 exec, exec, s[6:7]
	s_cbranch_execz .LBB5_478
.LBB5_2528:
	v_mov_b32_e32 v3, 0
	v_cmp_ne_u16_sdwa s[8:9], v4, v3 src0_sel:BYTE_3 src1_sel:DWORD
	s_andn2_b64 s[4:5], s[4:5], exec
	s_and_b64 s[8:9], s[8:9], exec
	s_or_b64 s[4:5], s[4:5], s[8:9]
	s_or_b64 exec, exec, s[6:7]
	s_and_saveexec_b64 s[6:7], s[4:5]
	s_cbranch_execnz .LBB5_479
	s_branch .LBB5_480
.LBB5_2529:
	s_movk_i32 s4, 0x80
	v_cmp_eq_u16_sdwa s[12:13], v9, s4 src0_sel:BYTE_0 src1_sel:DWORD
	s_mov_b64 s[4:5], -1
                                        ; implicit-def: $sgpr10
	s_and_saveexec_b64 s[8:9], s[12:13]
; %bb.2530:
	s_mov_b32 s10, 0x7f800001
	s_xor_b64 s[4:5], exec, -1
; %bb.2531:
	s_or_b64 exec, exec, s[8:9]
	s_and_b64 s[4:5], s[4:5], exec
	s_or_saveexec_b64 s[6:7], s[6:7]
	v_mov_b32_e32 v2, s10
	s_xor_b64 exec, exec, s[6:7]
	s_cbranch_execz .LBB5_482
.LBB5_2532:
	v_mov_b32_e32 v2, 0
	v_cmp_ne_u16_sdwa s[8:9], v9, v2 src0_sel:BYTE_0 src1_sel:DWORD
	s_andn2_b64 s[4:5], s[4:5], exec
	s_and_b64 s[8:9], s[8:9], exec
	s_or_b64 s[4:5], s[4:5], s[8:9]
	s_or_b64 exec, exec, s[6:7]
	s_and_saveexec_b64 s[6:7], s[4:5]
	s_cbranch_execnz .LBB5_483
	s_branch .LBB5_484
.LBB5_2533:
	s_movk_i32 s4, 0x80
	v_cmp_eq_u16_sdwa s[12:13], v5, s4 src0_sel:BYTE_0 src1_sel:DWORD
	s_mov_b64 s[4:5], -1
                                        ; implicit-def: $sgpr10
	s_and_saveexec_b64 s[8:9], s[12:13]
; %bb.2534:
	s_mov_b32 s10, 0x7f800001
	s_xor_b64 s[4:5], exec, -1
; %bb.2535:
	s_or_b64 exec, exec, s[8:9]
	s_and_b64 s[4:5], s[4:5], exec
	s_or_saveexec_b64 s[6:7], s[6:7]
	v_mov_b32_e32 v3, s10
	s_xor_b64 exec, exec, s[6:7]
	s_cbranch_execz .LBB5_486
.LBB5_2536:
	v_mov_b32_e32 v3, 0
	v_cmp_ne_u16_sdwa s[8:9], v5, v3 src0_sel:BYTE_0 src1_sel:DWORD
	s_andn2_b64 s[4:5], s[4:5], exec
	s_and_b64 s[8:9], s[8:9], exec
	s_or_b64 s[4:5], s[4:5], s[8:9]
	s_or_b64 exec, exec, s[6:7]
	s_and_saveexec_b64 s[6:7], s[4:5]
	s_cbranch_execnz .LBB5_487
	s_branch .LBB5_488
.LBB5_2537:
	s_movk_i32 s4, 0x80
	v_cmp_eq_u16_sdwa s[12:13], v3, s4 src0_sel:BYTE_0 src1_sel:DWORD
	s_mov_b64 s[4:5], -1
                                        ; implicit-def: $sgpr10
	s_and_saveexec_b64 s[8:9], s[12:13]
; %bb.2538:
	s_mov_b32 s10, 0x7f800001
	s_xor_b64 s[4:5], exec, -1
; %bb.2539:
	s_or_b64 exec, exec, s[8:9]
	s_and_b64 s[4:5], s[4:5], exec
	s_or_saveexec_b64 s[6:7], s[6:7]
	v_mov_b32_e32 v2, s10
	s_xor_b64 exec, exec, s[6:7]
	s_cbranch_execz .LBB5_490
.LBB5_2540:
	v_mov_b32_e32 v2, 0
	v_cmp_ne_u16_sdwa s[8:9], v3, v2 src0_sel:BYTE_0 src1_sel:DWORD
	s_andn2_b64 s[4:5], s[4:5], exec
	s_and_b64 s[8:9], s[8:9], exec
	s_or_b64 s[4:5], s[4:5], s[8:9]
	s_or_b64 exec, exec, s[6:7]
	s_and_saveexec_b64 s[6:7], s[4:5]
	s_cbranch_execnz .LBB5_491
	s_branch .LBB5_492
.LBB5_2541:
	s_movk_i32 s4, 0x80
	v_cmp_eq_u16_sdwa s[12:13], v3, s4 src0_sel:BYTE_0 src1_sel:DWORD
	s_mov_b64 s[4:5], -1
                                        ; implicit-def: $sgpr10
	s_and_saveexec_b64 s[8:9], s[12:13]
; %bb.2542:
	s_mov_b32 s10, 0x7f800001
	s_xor_b64 s[4:5], exec, -1
; %bb.2543:
	s_or_b64 exec, exec, s[8:9]
	s_and_b64 s[4:5], s[4:5], exec
	s_or_saveexec_b64 s[6:7], s[6:7]
	v_mov_b32_e32 v4, s10
	s_xor_b64 exec, exec, s[6:7]
	s_cbranch_execz .LBB5_494
.LBB5_2544:
	v_mov_b32_e32 v4, 0
	v_cmp_ne_u16_sdwa s[8:9], v3, v4 src0_sel:BYTE_0 src1_sel:DWORD
	s_andn2_b64 s[4:5], s[4:5], exec
	s_and_b64 s[8:9], s[8:9], exec
	s_or_b64 s[4:5], s[4:5], s[8:9]
	s_or_b64 exec, exec, s[6:7]
	s_and_saveexec_b64 s[6:7], s[4:5]
	s_cbranch_execnz .LBB5_495
	s_branch .LBB5_496
.LBB5_2545:
	s_movk_i32 s4, 0x80
	v_cmp_eq_u16_e32 vcc, s4, v3
	s_mov_b64 s[4:5], -1
                                        ; implicit-def: $sgpr10
	s_and_saveexec_b64 s[8:9], vcc
; %bb.2546:
	s_mov_b32 s10, 0x7f800001
	s_xor_b64 s[4:5], exec, -1
; %bb.2547:
	s_or_b64 exec, exec, s[8:9]
	s_and_b64 s[4:5], s[4:5], exec
                                        ; implicit-def: $vgpr3
	s_or_saveexec_b64 s[6:7], s[6:7]
	v_mov_b32_e32 v2, s10
	s_xor_b64 exec, exec, s[6:7]
	s_cbranch_execz .LBB5_498
.LBB5_2548:
	v_cmp_ne_u16_e32 vcc, 0, v3
	s_andn2_b64 s[4:5], s[4:5], exec
	s_and_b64 s[8:9], vcc, exec
	v_mov_b32_e32 v2, 0
	s_or_b64 s[4:5], s[4:5], s[8:9]
	s_or_b64 exec, exec, s[6:7]
	s_and_saveexec_b64 s[6:7], s[4:5]
	s_cbranch_execnz .LBB5_499
	s_branch .LBB5_500
.LBB5_2549:
	s_movk_i32 s4, 0x80
	v_cmp_eq_u16_e32 vcc, s4, v3
	s_mov_b64 s[4:5], -1
                                        ; implicit-def: $sgpr10
	s_and_saveexec_b64 s[8:9], vcc
; %bb.2550:
	s_mov_b32 s10, 0x7f800001
	s_xor_b64 s[4:5], exec, -1
; %bb.2551:
	s_or_b64 exec, exec, s[8:9]
	s_and_b64 s[4:5], s[4:5], exec
                                        ; implicit-def: $vgpr3
	s_or_saveexec_b64 s[6:7], s[6:7]
	v_mov_b32_e32 v4, s10
	s_xor_b64 exec, exec, s[6:7]
	s_cbranch_execz .LBB5_502
.LBB5_2552:
	v_cmp_ne_u16_e32 vcc, 0, v3
	s_andn2_b64 s[4:5], s[4:5], exec
	s_and_b64 s[8:9], vcc, exec
	v_mov_b32_e32 v4, 0
	s_or_b64 s[4:5], s[4:5], s[8:9]
	s_or_b64 exec, exec, s[6:7]
	s_and_saveexec_b64 s[6:7], s[4:5]
	s_cbranch_execnz .LBB5_503
	s_branch .LBB5_504
.LBB5_2553:
	s_movk_i32 s4, 0x80
	v_cmp_eq_u16_sdwa s[12:13], v9, s4 src0_sel:BYTE_3 src1_sel:DWORD
	s_mov_b64 s[4:5], -1
                                        ; implicit-def: $sgpr10
	s_and_saveexec_b64 s[8:9], s[12:13]
; %bb.2554:
	s_mov_b32 s10, 0x7f800001
	s_xor_b64 s[4:5], exec, -1
; %bb.2555:
	s_or_b64 exec, exec, s[8:9]
	s_and_b64 s[4:5], s[4:5], exec
	s_or_saveexec_b64 s[6:7], s[6:7]
	v_mov_b32_e32 v2, s10
	s_xor_b64 exec, exec, s[6:7]
	s_cbranch_execz .LBB5_506
.LBB5_2556:
	v_mov_b32_e32 v2, 0
	v_cmp_ne_u16_sdwa s[8:9], v9, v2 src0_sel:BYTE_3 src1_sel:DWORD
	s_andn2_b64 s[4:5], s[4:5], exec
	s_and_b64 s[8:9], s[8:9], exec
	s_or_b64 s[4:5], s[4:5], s[8:9]
	s_or_b64 exec, exec, s[6:7]
	s_and_saveexec_b64 s[6:7], s[4:5]
	s_cbranch_execnz .LBB5_507
	s_branch .LBB5_508
.LBB5_2557:
	s_movk_i32 s4, 0x80
	v_cmp_eq_u16_sdwa s[12:13], v5, s4 src0_sel:BYTE_3 src1_sel:DWORD
	s_mov_b64 s[4:5], -1
                                        ; implicit-def: $sgpr10
	s_and_saveexec_b64 s[8:9], s[12:13]
; %bb.2558:
	s_mov_b32 s10, 0x7f800001
	s_xor_b64 s[4:5], exec, -1
; %bb.2559:
	s_or_b64 exec, exec, s[8:9]
	s_and_b64 s[4:5], s[4:5], exec
	s_or_saveexec_b64 s[6:7], s[6:7]
	v_mov_b32_e32 v3, s10
	s_xor_b64 exec, exec, s[6:7]
	s_cbranch_execz .LBB5_510
.LBB5_2560:
	v_mov_b32_e32 v3, 0
	v_cmp_ne_u16_sdwa s[8:9], v5, v3 src0_sel:BYTE_3 src1_sel:DWORD
	s_andn2_b64 s[4:5], s[4:5], exec
	s_and_b64 s[8:9], s[8:9], exec
	s_or_b64 s[4:5], s[4:5], s[8:9]
	s_or_b64 exec, exec, s[6:7]
	s_and_saveexec_b64 s[6:7], s[4:5]
	s_cbranch_execnz .LBB5_511
	s_branch .LBB5_512
.LBB5_2561:
	s_movk_i32 s4, 0x80
	v_cmp_eq_u16_sdwa s[12:13], v6, s4 src0_sel:BYTE_0 src1_sel:DWORD
	s_mov_b64 s[4:5], -1
                                        ; implicit-def: $sgpr10
	s_and_saveexec_b64 s[8:9], s[12:13]
; %bb.2562:
	s_mov_b32 s10, 0x7f800001
	s_xor_b64 s[4:5], exec, -1
; %bb.2563:
	s_or_b64 exec, exec, s[8:9]
	s_and_b64 s[4:5], s[4:5], exec
	s_or_saveexec_b64 s[6:7], s[6:7]
	v_mov_b32_e32 v12, s10
	s_xor_b64 exec, exec, s[6:7]
	s_cbranch_execz .LBB5_514
.LBB5_2564:
	v_mov_b32_e32 v12, 0
	v_cmp_ne_u16_sdwa s[8:9], v6, v12 src0_sel:BYTE_0 src1_sel:DWORD
	s_andn2_b64 s[4:5], s[4:5], exec
	s_and_b64 s[8:9], s[8:9], exec
	s_or_b64 s[4:5], s[4:5], s[8:9]
	s_or_b64 exec, exec, s[6:7]
	s_and_saveexec_b64 s[6:7], s[4:5]
	s_cbranch_execnz .LBB5_515
	s_branch .LBB5_516
.LBB5_2565:
	s_movk_i32 s4, 0x80
	v_cmp_eq_u16_sdwa s[12:13], v2, s4 src0_sel:BYTE_0 src1_sel:DWORD
	s_mov_b64 s[4:5], -1
                                        ; implicit-def: $sgpr10
	s_and_saveexec_b64 s[8:9], s[12:13]
; %bb.2566:
	s_mov_b32 s10, 0x7f800001
	s_xor_b64 s[4:5], exec, -1
; %bb.2567:
	s_or_b64 exec, exec, s[8:9]
	s_and_b64 s[4:5], s[4:5], exec
	s_or_saveexec_b64 s[6:7], s[6:7]
	v_mov_b32_e32 v13, s10
	s_xor_b64 exec, exec, s[6:7]
	s_cbranch_execz .LBB5_518
.LBB5_2568:
	v_mov_b32_e32 v13, 0
	v_cmp_ne_u16_sdwa s[8:9], v2, v13 src0_sel:BYTE_0 src1_sel:DWORD
	s_andn2_b64 s[4:5], s[4:5], exec
	s_and_b64 s[8:9], s[8:9], exec
	s_or_b64 s[4:5], s[4:5], s[8:9]
	s_or_b64 exec, exec, s[6:7]
	s_and_saveexec_b64 s[6:7], s[4:5]
	s_cbranch_execnz .LBB5_519
	s_branch .LBB5_520
.LBB5_2569:
	s_movk_i32 s4, 0x80
	v_cmp_eq_u16_sdwa s[12:13], v13, s4 src0_sel:BYTE_0 src1_sel:DWORD
	s_mov_b64 s[4:5], -1
                                        ; implicit-def: $sgpr10
	s_and_saveexec_b64 s[8:9], s[12:13]
; %bb.2570:
	s_mov_b32 s10, 0x7f800001
	s_xor_b64 s[4:5], exec, -1
; %bb.2571:
	s_or_b64 exec, exec, s[8:9]
	s_and_b64 s[4:5], s[4:5], exec
	s_or_saveexec_b64 s[6:7], s[6:7]
	v_mov_b32_e32 v12, s10
	s_xor_b64 exec, exec, s[6:7]
	s_cbranch_execz .LBB5_522
.LBB5_2572:
	v_mov_b32_e32 v12, 0
	v_cmp_ne_u16_sdwa s[8:9], v13, v12 src0_sel:BYTE_0 src1_sel:DWORD
	s_andn2_b64 s[4:5], s[4:5], exec
	s_and_b64 s[8:9], s[8:9], exec
	s_or_b64 s[4:5], s[4:5], s[8:9]
	s_or_b64 exec, exec, s[6:7]
	s_and_saveexec_b64 s[6:7], s[4:5]
	s_cbranch_execnz .LBB5_523
	s_branch .LBB5_524
.LBB5_2573:
	s_movk_i32 s4, 0x80
	v_cmp_eq_u16_sdwa s[12:13], v13, s4 src0_sel:BYTE_0 src1_sel:DWORD
	s_mov_b64 s[4:5], -1
                                        ; implicit-def: $sgpr10
	s_and_saveexec_b64 s[8:9], s[12:13]
; %bb.2574:
	s_mov_b32 s10, 0x7f800001
	s_xor_b64 s[4:5], exec, -1
; %bb.2575:
	s_or_b64 exec, exec, s[8:9]
	s_and_b64 s[4:5], s[4:5], exec
	s_or_saveexec_b64 s[6:7], s[6:7]
	v_mov_b32_e32 v14, s10
	s_xor_b64 exec, exec, s[6:7]
	s_cbranch_execz .LBB5_526
.LBB5_2576:
	v_mov_b32_e32 v14, 0
	v_cmp_ne_u16_sdwa s[8:9], v13, v14 src0_sel:BYTE_0 src1_sel:DWORD
	s_andn2_b64 s[4:5], s[4:5], exec
	s_and_b64 s[8:9], s[8:9], exec
	s_or_b64 s[4:5], s[4:5], s[8:9]
	s_or_b64 exec, exec, s[6:7]
	s_and_saveexec_b64 s[6:7], s[4:5]
	s_cbranch_execnz .LBB5_527
	s_branch .LBB5_528
.LBB5_2577:
	s_movk_i32 s4, 0x80
	v_cmp_eq_u16_e32 vcc, s4, v13
	s_mov_b64 s[4:5], -1
                                        ; implicit-def: $sgpr10
	s_and_saveexec_b64 s[8:9], vcc
; %bb.2578:
	s_mov_b32 s10, 0x7f800001
	s_xor_b64 s[4:5], exec, -1
; %bb.2579:
	s_or_b64 exec, exec, s[8:9]
	s_and_b64 s[4:5], s[4:5], exec
                                        ; implicit-def: $vgpr13
	s_or_saveexec_b64 s[6:7], s[6:7]
	v_mov_b32_e32 v12, s10
	s_xor_b64 exec, exec, s[6:7]
	s_cbranch_execz .LBB5_530
.LBB5_2580:
	v_cmp_ne_u16_e32 vcc, 0, v13
	s_andn2_b64 s[4:5], s[4:5], exec
	s_and_b64 s[8:9], vcc, exec
	v_mov_b32_e32 v12, 0
	s_or_b64 s[4:5], s[4:5], s[8:9]
	s_or_b64 exec, exec, s[6:7]
	s_and_saveexec_b64 s[6:7], s[4:5]
	s_cbranch_execnz .LBB5_531
	s_branch .LBB5_532
.LBB5_2581:
	s_movk_i32 s4, 0x80
	v_cmp_eq_u16_e32 vcc, s4, v13
	s_mov_b64 s[4:5], -1
                                        ; implicit-def: $sgpr10
	s_and_saveexec_b64 s[8:9], vcc
; %bb.2582:
	s_mov_b32 s10, 0x7f800001
	s_xor_b64 s[4:5], exec, -1
; %bb.2583:
	s_or_b64 exec, exec, s[8:9]
	s_and_b64 s[4:5], s[4:5], exec
                                        ; implicit-def: $vgpr13
	s_or_saveexec_b64 s[6:7], s[6:7]
	v_mov_b32_e32 v14, s10
	s_xor_b64 exec, exec, s[6:7]
	s_cbranch_execz .LBB5_534
.LBB5_2584:
	v_cmp_ne_u16_e32 vcc, 0, v13
	s_andn2_b64 s[4:5], s[4:5], exec
	s_and_b64 s[8:9], vcc, exec
	v_mov_b32_e32 v14, 0
	s_or_b64 s[4:5], s[4:5], s[8:9]
	s_or_b64 exec, exec, s[6:7]
	s_and_saveexec_b64 s[6:7], s[4:5]
	s_cbranch_execnz .LBB5_535
	s_branch .LBB5_536
.LBB5_2585:
	s_movk_i32 s4, 0x80
	v_cmp_eq_u16_sdwa s[12:13], v6, s4 src0_sel:BYTE_3 src1_sel:DWORD
	s_mov_b64 s[4:5], -1
                                        ; implicit-def: $sgpr10
	s_and_saveexec_b64 s[8:9], s[12:13]
; %bb.2586:
	s_mov_b32 s10, 0x7f800001
	s_xor_b64 s[4:5], exec, -1
; %bb.2587:
	s_or_b64 exec, exec, s[8:9]
	s_and_b64 s[4:5], s[4:5], exec
	s_or_saveexec_b64 s[6:7], s[6:7]
	v_mov_b32_e32 v12, s10
	s_xor_b64 exec, exec, s[6:7]
	s_cbranch_execz .LBB5_538
.LBB5_2588:
	v_mov_b32_e32 v12, 0
	v_cmp_ne_u16_sdwa s[8:9], v6, v12 src0_sel:BYTE_3 src1_sel:DWORD
	s_andn2_b64 s[4:5], s[4:5], exec
	s_and_b64 s[8:9], s[8:9], exec
	s_or_b64 s[4:5], s[4:5], s[8:9]
	s_or_b64 exec, exec, s[6:7]
	s_and_saveexec_b64 s[6:7], s[4:5]
	s_cbranch_execnz .LBB5_539
	s_branch .LBB5_540
.LBB5_2589:
	s_movk_i32 s4, 0x80
	v_cmp_eq_u16_sdwa s[12:13], v2, s4 src0_sel:BYTE_3 src1_sel:DWORD
	s_mov_b64 s[4:5], -1
                                        ; implicit-def: $sgpr10
	s_and_saveexec_b64 s[8:9], s[12:13]
; %bb.2590:
	s_mov_b32 s10, 0x7f800001
	s_xor_b64 s[4:5], exec, -1
; %bb.2591:
	s_or_b64 exec, exec, s[8:9]
	s_and_b64 s[4:5], s[4:5], exec
	s_or_saveexec_b64 s[6:7], s[6:7]
	v_mov_b32_e32 v6, s10
	s_xor_b64 exec, exec, s[6:7]
	s_cbranch_execz .LBB5_542
.LBB5_2592:
	v_mov_b32_e32 v6, 0
	v_cmp_ne_u16_sdwa s[8:9], v2, v6 src0_sel:BYTE_3 src1_sel:DWORD
	s_andn2_b64 s[4:5], s[4:5], exec
	s_and_b64 s[8:9], s[8:9], exec
	s_or_b64 s[4:5], s[4:5], s[8:9]
	s_or_b64 exec, exec, s[6:7]
	s_and_saveexec_b64 s[6:7], s[4:5]
	s_cbranch_execnz .LBB5_543
	s_branch .LBB5_544
.LBB5_2593:
	s_movk_i32 s4, 0x80
	v_cmp_eq_u16_sdwa s[12:13], v7, s4 src0_sel:BYTE_0 src1_sel:DWORD
	s_mov_b64 s[4:5], -1
                                        ; implicit-def: $sgpr10
	s_and_saveexec_b64 s[8:9], s[12:13]
; %bb.2594:
	s_mov_b32 s10, 0x7f800001
	s_xor_b64 s[4:5], exec, -1
; %bb.2595:
	s_or_b64 exec, exec, s[8:9]
	s_and_b64 s[4:5], s[4:5], exec
	s_or_saveexec_b64 s[6:7], s[6:7]
	v_mov_b32_e32 v2, s10
	s_xor_b64 exec, exec, s[6:7]
	s_cbranch_execz .LBB5_546
.LBB5_2596:
	v_mov_b32_e32 v2, 0
	v_cmp_ne_u16_sdwa s[8:9], v7, v2 src0_sel:BYTE_0 src1_sel:DWORD
	s_andn2_b64 s[4:5], s[4:5], exec
	s_and_b64 s[8:9], s[8:9], exec
	s_or_b64 s[4:5], s[4:5], s[8:9]
	s_or_b64 exec, exec, s[6:7]
	s_and_saveexec_b64 s[6:7], s[4:5]
	s_cbranch_execnz .LBB5_547
	s_branch .LBB5_548
.LBB5_2597:
	s_movk_i32 s4, 0x80
	v_cmp_eq_u16_sdwa s[12:13], v3, s4 src0_sel:BYTE_0 src1_sel:DWORD
	s_mov_b64 s[4:5], -1
                                        ; implicit-def: $sgpr10
	s_and_saveexec_b64 s[8:9], s[12:13]
; %bb.2598:
	s_mov_b32 s10, 0x7f800001
	s_xor_b64 s[4:5], exec, -1
; %bb.2599:
	s_or_b64 exec, exec, s[8:9]
	s_and_b64 s[4:5], s[4:5], exec
	s_or_saveexec_b64 s[6:7], s[6:7]
	v_mov_b32_e32 v6, s10
	s_xor_b64 exec, exec, s[6:7]
	s_cbranch_execz .LBB5_550
.LBB5_2600:
	v_mov_b32_e32 v6, 0
	v_cmp_ne_u16_sdwa s[8:9], v3, v6 src0_sel:BYTE_0 src1_sel:DWORD
	s_andn2_b64 s[4:5], s[4:5], exec
	s_and_b64 s[8:9], s[8:9], exec
	s_or_b64 s[4:5], s[4:5], s[8:9]
	s_or_b64 exec, exec, s[6:7]
	s_and_saveexec_b64 s[6:7], s[4:5]
	s_cbranch_execnz .LBB5_551
	s_branch .LBB5_552
.LBB5_2601:
	s_movk_i32 s4, 0x80
	v_cmp_eq_u16_sdwa s[12:13], v6, s4 src0_sel:BYTE_0 src1_sel:DWORD
	s_mov_b64 s[4:5], -1
                                        ; implicit-def: $sgpr10
	s_and_saveexec_b64 s[8:9], s[12:13]
; %bb.2602:
	s_mov_b32 s10, 0x7f800001
	s_xor_b64 s[4:5], exec, -1
; %bb.2603:
	s_or_b64 exec, exec, s[8:9]
	s_and_b64 s[4:5], s[4:5], exec
	s_or_saveexec_b64 s[6:7], s[6:7]
	v_mov_b32_e32 v2, s10
	s_xor_b64 exec, exec, s[6:7]
	s_cbranch_execz .LBB5_554
.LBB5_2604:
	v_mov_b32_e32 v2, 0
	v_cmp_ne_u16_sdwa s[8:9], v6, v2 src0_sel:BYTE_0 src1_sel:DWORD
	s_andn2_b64 s[4:5], s[4:5], exec
	s_and_b64 s[8:9], s[8:9], exec
	s_or_b64 s[4:5], s[4:5], s[8:9]
	s_or_b64 exec, exec, s[6:7]
	s_and_saveexec_b64 s[6:7], s[4:5]
	s_cbranch_execnz .LBB5_555
	s_branch .LBB5_556
.LBB5_2605:
	s_movk_i32 s4, 0x80
	v_cmp_eq_u16_sdwa s[12:13], v6, s4 src0_sel:BYTE_0 src1_sel:DWORD
	s_mov_b64 s[4:5], -1
                                        ; implicit-def: $sgpr10
	s_and_saveexec_b64 s[8:9], s[12:13]
; %bb.2606:
	s_mov_b32 s10, 0x7f800001
	s_xor_b64 s[4:5], exec, -1
; %bb.2607:
	s_or_b64 exec, exec, s[8:9]
	s_and_b64 s[4:5], s[4:5], exec
	s_or_saveexec_b64 s[6:7], s[6:7]
	v_mov_b32_e32 v12, s10
	s_xor_b64 exec, exec, s[6:7]
	s_cbranch_execz .LBB5_558
.LBB5_2608:
	v_mov_b32_e32 v12, 0
	v_cmp_ne_u16_sdwa s[8:9], v6, v12 src0_sel:BYTE_0 src1_sel:DWORD
	s_andn2_b64 s[4:5], s[4:5], exec
	s_and_b64 s[8:9], s[8:9], exec
	s_or_b64 s[4:5], s[4:5], s[8:9]
	s_or_b64 exec, exec, s[6:7]
	s_and_saveexec_b64 s[6:7], s[4:5]
	s_cbranch_execnz .LBB5_559
	s_branch .LBB5_560
.LBB5_2609:
	s_movk_i32 s4, 0x80
	v_cmp_eq_u16_e32 vcc, s4, v6
	s_mov_b64 s[4:5], -1
                                        ; implicit-def: $sgpr10
	s_and_saveexec_b64 s[8:9], vcc
; %bb.2610:
	s_mov_b32 s10, 0x7f800001
	s_xor_b64 s[4:5], exec, -1
; %bb.2611:
	s_or_b64 exec, exec, s[8:9]
	s_and_b64 s[4:5], s[4:5], exec
                                        ; implicit-def: $vgpr6
	s_or_saveexec_b64 s[6:7], s[6:7]
	v_mov_b32_e32 v2, s10
	s_xor_b64 exec, exec, s[6:7]
	s_cbranch_execz .LBB5_562
.LBB5_2612:
	v_cmp_ne_u16_e32 vcc, 0, v6
	s_andn2_b64 s[4:5], s[4:5], exec
	s_and_b64 s[8:9], vcc, exec
	v_mov_b32_e32 v2, 0
	s_or_b64 s[4:5], s[4:5], s[8:9]
	s_or_b64 exec, exec, s[6:7]
	s_and_saveexec_b64 s[6:7], s[4:5]
	s_cbranch_execnz .LBB5_563
	s_branch .LBB5_564
.LBB5_2613:
	s_movk_i32 s4, 0x80
	v_cmp_eq_u16_e32 vcc, s4, v6
	s_mov_b64 s[4:5], -1
                                        ; implicit-def: $sgpr10
	s_and_saveexec_b64 s[8:9], vcc
; %bb.2614:
	s_mov_b32 s10, 0x7f800001
	s_xor_b64 s[4:5], exec, -1
; %bb.2615:
	s_or_b64 exec, exec, s[8:9]
	s_and_b64 s[4:5], s[4:5], exec
                                        ; implicit-def: $vgpr6
	s_or_saveexec_b64 s[6:7], s[6:7]
	v_mov_b32_e32 v12, s10
	s_xor_b64 exec, exec, s[6:7]
	s_cbranch_execz .LBB5_566
.LBB5_2616:
	v_cmp_ne_u16_e32 vcc, 0, v6
	s_andn2_b64 s[4:5], s[4:5], exec
	s_and_b64 s[8:9], vcc, exec
	v_mov_b32_e32 v12, 0
	s_or_b64 s[4:5], s[4:5], s[8:9]
	s_or_b64 exec, exec, s[6:7]
	s_and_saveexec_b64 s[6:7], s[4:5]
	s_cbranch_execnz .LBB5_567
	s_branch .LBB5_568
.LBB5_2617:
	s_movk_i32 s4, 0x80
	v_cmp_eq_u16_sdwa s[12:13], v7, s4 src0_sel:BYTE_3 src1_sel:DWORD
	s_mov_b64 s[4:5], -1
                                        ; implicit-def: $sgpr10
	s_and_saveexec_b64 s[8:9], s[12:13]
; %bb.2618:
	s_mov_b32 s10, 0x7f800001
	s_xor_b64 s[4:5], exec, -1
; %bb.2619:
	s_or_b64 exec, exec, s[8:9]
	s_and_b64 s[4:5], s[4:5], exec
	s_or_saveexec_b64 s[6:7], s[6:7]
	v_mov_b32_e32 v2, s10
	s_xor_b64 exec, exec, s[6:7]
	s_cbranch_execz .LBB5_570
.LBB5_2620:
	v_mov_b32_e32 v2, 0
	v_cmp_ne_u16_sdwa s[8:9], v7, v2 src0_sel:BYTE_3 src1_sel:DWORD
	s_andn2_b64 s[4:5], s[4:5], exec
	s_and_b64 s[8:9], s[8:9], exec
	s_or_b64 s[4:5], s[4:5], s[8:9]
	s_or_b64 exec, exec, s[6:7]
	s_and_saveexec_b64 s[6:7], s[4:5]
	s_cbranch_execnz .LBB5_571
	s_branch .LBB5_572
.LBB5_2621:
	s_movk_i32 s4, 0x80
	v_cmp_eq_u16_sdwa s[12:13], v3, s4 src0_sel:BYTE_3 src1_sel:DWORD
	s_mov_b64 s[4:5], -1
                                        ; implicit-def: $sgpr10
	s_and_saveexec_b64 s[8:9], s[12:13]
; %bb.2622:
	s_mov_b32 s10, 0x7f800001
	s_xor_b64 s[4:5], exec, -1
; %bb.2623:
	s_or_b64 exec, exec, s[8:9]
	s_and_b64 s[4:5], s[4:5], exec
	s_or_saveexec_b64 s[6:7], s[6:7]
	v_mov_b32_e32 v6, s10
	s_xor_b64 exec, exec, s[6:7]
	s_cbranch_execz .LBB5_574
.LBB5_2624:
	v_mov_b32_e32 v6, 0
	v_cmp_ne_u16_sdwa s[8:9], v3, v6 src0_sel:BYTE_3 src1_sel:DWORD
	s_andn2_b64 s[4:5], s[4:5], exec
	s_and_b64 s[8:9], s[8:9], exec
	s_or_b64 s[4:5], s[4:5], s[8:9]
	s_or_b64 exec, exec, s[6:7]
	s_and_saveexec_b64 s[6:7], s[4:5]
	s_cbranch_execnz .LBB5_575
	s_branch .LBB5_576
.LBB5_2625:
	s_movk_i32 s4, 0x80
	v_cmp_eq_u16_sdwa s[12:13], v8, s4 src0_sel:BYTE_0 src1_sel:DWORD
	s_mov_b64 s[4:5], -1
                                        ; implicit-def: $sgpr10
	s_and_saveexec_b64 s[8:9], s[12:13]
; %bb.2626:
	s_mov_b32 s10, 0x7f800001
	s_xor_b64 s[4:5], exec, -1
; %bb.2627:
	s_or_b64 exec, exec, s[8:9]
	s_and_b64 s[4:5], s[4:5], exec
	s_or_saveexec_b64 s[6:7], s[6:7]
	v_mov_b32_e32 v2, s10
	s_xor_b64 exec, exec, s[6:7]
	s_cbranch_execz .LBB5_578
.LBB5_2628:
	v_mov_b32_e32 v2, 0
	v_cmp_ne_u16_sdwa s[8:9], v8, v2 src0_sel:BYTE_0 src1_sel:DWORD
	s_andn2_b64 s[4:5], s[4:5], exec
	s_and_b64 s[8:9], s[8:9], exec
	s_or_b64 s[4:5], s[4:5], s[8:9]
	s_or_b64 exec, exec, s[6:7]
	s_and_saveexec_b64 s[6:7], s[4:5]
	s_cbranch_execnz .LBB5_579
	s_branch .LBB5_580
.LBB5_2629:
	s_movk_i32 s4, 0x80
	v_cmp_eq_u16_sdwa s[12:13], v4, s4 src0_sel:BYTE_0 src1_sel:DWORD
	s_mov_b64 s[4:5], -1
                                        ; implicit-def: $sgpr10
	s_and_saveexec_b64 s[8:9], s[12:13]
; %bb.2630:
	s_mov_b32 s10, 0x7f800001
	s_xor_b64 s[4:5], exec, -1
; %bb.2631:
	s_or_b64 exec, exec, s[8:9]
	s_and_b64 s[4:5], s[4:5], exec
	s_or_saveexec_b64 s[6:7], s[6:7]
	v_mov_b32_e32 v3, s10
	s_xor_b64 exec, exec, s[6:7]
	s_cbranch_execz .LBB5_582
.LBB5_2632:
	v_mov_b32_e32 v3, 0
	v_cmp_ne_u16_sdwa s[8:9], v4, v3 src0_sel:BYTE_0 src1_sel:DWORD
	s_andn2_b64 s[4:5], s[4:5], exec
	s_and_b64 s[8:9], s[8:9], exec
	s_or_b64 s[4:5], s[4:5], s[8:9]
	s_or_b64 exec, exec, s[6:7]
	s_and_saveexec_b64 s[6:7], s[4:5]
	s_cbranch_execnz .LBB5_583
	s_branch .LBB5_584
.LBB5_2633:
	s_movk_i32 s4, 0x80
	v_cmp_eq_u16_sdwa s[12:13], v3, s4 src0_sel:BYTE_0 src1_sel:DWORD
	s_mov_b64 s[4:5], -1
                                        ; implicit-def: $sgpr10
	s_and_saveexec_b64 s[8:9], s[12:13]
; %bb.2634:
	s_mov_b32 s10, 0x7f800001
	s_xor_b64 s[4:5], exec, -1
; %bb.2635:
	s_or_b64 exec, exec, s[8:9]
	s_and_b64 s[4:5], s[4:5], exec
	s_or_saveexec_b64 s[6:7], s[6:7]
	v_mov_b32_e32 v2, s10
	s_xor_b64 exec, exec, s[6:7]
	s_cbranch_execz .LBB5_586
.LBB5_2636:
	v_mov_b32_e32 v2, 0
	v_cmp_ne_u16_sdwa s[8:9], v3, v2 src0_sel:BYTE_0 src1_sel:DWORD
	s_andn2_b64 s[4:5], s[4:5], exec
	s_and_b64 s[8:9], s[8:9], exec
	s_or_b64 s[4:5], s[4:5], s[8:9]
	s_or_b64 exec, exec, s[6:7]
	s_and_saveexec_b64 s[6:7], s[4:5]
	s_cbranch_execnz .LBB5_587
	s_branch .LBB5_588
.LBB5_2637:
	s_movk_i32 s4, 0x80
	v_cmp_eq_u16_sdwa s[12:13], v3, s4 src0_sel:BYTE_0 src1_sel:DWORD
	s_mov_b64 s[4:5], -1
                                        ; implicit-def: $sgpr10
	s_and_saveexec_b64 s[8:9], s[12:13]
; %bb.2638:
	s_mov_b32 s10, 0x7f800001
	s_xor_b64 s[4:5], exec, -1
; %bb.2639:
	s_or_b64 exec, exec, s[8:9]
	s_and_b64 s[4:5], s[4:5], exec
	s_or_saveexec_b64 s[6:7], s[6:7]
	v_mov_b32_e32 v6, s10
	s_xor_b64 exec, exec, s[6:7]
	s_cbranch_execz .LBB5_590
.LBB5_2640:
	v_mov_b32_e32 v6, 0
	v_cmp_ne_u16_sdwa s[8:9], v3, v6 src0_sel:BYTE_0 src1_sel:DWORD
	s_andn2_b64 s[4:5], s[4:5], exec
	s_and_b64 s[8:9], s[8:9], exec
	s_or_b64 s[4:5], s[4:5], s[8:9]
	s_or_b64 exec, exec, s[6:7]
	s_and_saveexec_b64 s[6:7], s[4:5]
	s_cbranch_execnz .LBB5_591
	s_branch .LBB5_592
.LBB5_2641:
	s_movk_i32 s4, 0x80
	v_cmp_eq_u16_e32 vcc, s4, v3
	s_mov_b64 s[4:5], -1
                                        ; implicit-def: $sgpr10
	s_and_saveexec_b64 s[8:9], vcc
; %bb.2642:
	s_mov_b32 s10, 0x7f800001
	s_xor_b64 s[4:5], exec, -1
; %bb.2643:
	s_or_b64 exec, exec, s[8:9]
	s_and_b64 s[4:5], s[4:5], exec
                                        ; implicit-def: $vgpr3
	s_or_saveexec_b64 s[6:7], s[6:7]
	v_mov_b32_e32 v2, s10
	s_xor_b64 exec, exec, s[6:7]
	s_cbranch_execz .LBB5_594
.LBB5_2644:
	v_cmp_ne_u16_e32 vcc, 0, v3
	s_andn2_b64 s[4:5], s[4:5], exec
	s_and_b64 s[8:9], vcc, exec
	v_mov_b32_e32 v2, 0
	s_or_b64 s[4:5], s[4:5], s[8:9]
	s_or_b64 exec, exec, s[6:7]
	s_and_saveexec_b64 s[6:7], s[4:5]
	s_cbranch_execnz .LBB5_595
	s_branch .LBB5_596
.LBB5_2645:
	s_movk_i32 s4, 0x80
	v_cmp_eq_u16_e32 vcc, s4, v3
	s_mov_b64 s[4:5], -1
                                        ; implicit-def: $sgpr10
	s_and_saveexec_b64 s[8:9], vcc
; %bb.2646:
	s_mov_b32 s10, 0x7f800001
	s_xor_b64 s[4:5], exec, -1
; %bb.2647:
	s_or_b64 exec, exec, s[8:9]
	s_and_b64 s[4:5], s[4:5], exec
                                        ; implicit-def: $vgpr3
	s_or_saveexec_b64 s[6:7], s[6:7]
	v_mov_b32_e32 v6, s10
	s_xor_b64 exec, exec, s[6:7]
	s_cbranch_execz .LBB5_598
.LBB5_2648:
	v_cmp_ne_u16_e32 vcc, 0, v3
	s_andn2_b64 s[4:5], s[4:5], exec
	s_and_b64 s[8:9], vcc, exec
	v_mov_b32_e32 v6, 0
	s_or_b64 s[4:5], s[4:5], s[8:9]
	s_or_b64 exec, exec, s[6:7]
	s_and_saveexec_b64 s[6:7], s[4:5]
	s_cbranch_execnz .LBB5_599
	s_branch .LBB5_600
.LBB5_2649:
	s_movk_i32 s4, 0x80
	v_cmp_eq_u16_sdwa s[12:13], v8, s4 src0_sel:BYTE_3 src1_sel:DWORD
	s_mov_b64 s[4:5], -1
                                        ; implicit-def: $sgpr10
	s_and_saveexec_b64 s[8:9], s[12:13]
; %bb.2650:
	s_mov_b32 s10, 0x7f800001
	s_xor_b64 s[4:5], exec, -1
; %bb.2651:
	s_or_b64 exec, exec, s[8:9]
	s_and_b64 s[4:5], s[4:5], exec
	s_or_saveexec_b64 s[6:7], s[6:7]
	v_mov_b32_e32 v2, s10
	s_xor_b64 exec, exec, s[6:7]
	s_cbranch_execz .LBB5_602
.LBB5_2652:
	v_mov_b32_e32 v2, 0
	v_cmp_ne_u16_sdwa s[8:9], v8, v2 src0_sel:BYTE_3 src1_sel:DWORD
	s_andn2_b64 s[4:5], s[4:5], exec
	s_and_b64 s[8:9], s[8:9], exec
	s_or_b64 s[4:5], s[4:5], s[8:9]
	s_or_b64 exec, exec, s[6:7]
	s_and_saveexec_b64 s[6:7], s[4:5]
	s_cbranch_execnz .LBB5_603
	s_branch .LBB5_604
.LBB5_2653:
	s_movk_i32 s4, 0x80
	v_cmp_eq_u16_sdwa s[12:13], v4, s4 src0_sel:BYTE_3 src1_sel:DWORD
	s_mov_b64 s[4:5], -1
                                        ; implicit-def: $sgpr10
	s_and_saveexec_b64 s[8:9], s[12:13]
; %bb.2654:
	s_mov_b32 s10, 0x7f800001
	s_xor_b64 s[4:5], exec, -1
; %bb.2655:
	s_or_b64 exec, exec, s[8:9]
	s_and_b64 s[4:5], s[4:5], exec
	s_or_saveexec_b64 s[6:7], s[6:7]
	v_mov_b32_e32 v3, s10
	s_xor_b64 exec, exec, s[6:7]
	s_cbranch_execz .LBB5_606
.LBB5_2656:
	v_mov_b32_e32 v3, 0
	v_cmp_ne_u16_sdwa s[8:9], v4, v3 src0_sel:BYTE_3 src1_sel:DWORD
	s_andn2_b64 s[4:5], s[4:5], exec
	s_and_b64 s[8:9], s[8:9], exec
	s_or_b64 s[4:5], s[4:5], s[8:9]
	s_or_b64 exec, exec, s[6:7]
	s_and_saveexec_b64 s[6:7], s[4:5]
	s_cbranch_execnz .LBB5_607
	s_branch .LBB5_608
.LBB5_2657:
	s_movk_i32 s4, 0x80
	v_cmp_eq_u16_sdwa s[12:13], v9, s4 src0_sel:BYTE_0 src1_sel:DWORD
	s_mov_b64 s[4:5], -1
                                        ; implicit-def: $sgpr10
	s_and_saveexec_b64 s[8:9], s[12:13]
; %bb.2658:
	s_mov_b32 s10, 0x7f800001
	s_xor_b64 s[4:5], exec, -1
; %bb.2659:
	s_or_b64 exec, exec, s[8:9]
	s_and_b64 s[4:5], s[4:5], exec
	s_or_saveexec_b64 s[6:7], s[6:7]
	v_mov_b32_e32 v2, s10
	s_xor_b64 exec, exec, s[6:7]
	s_cbranch_execz .LBB5_610
.LBB5_2660:
	v_mov_b32_e32 v2, 0
	v_cmp_ne_u16_sdwa s[8:9], v9, v2 src0_sel:BYTE_0 src1_sel:DWORD
	s_andn2_b64 s[4:5], s[4:5], exec
	s_and_b64 s[8:9], s[8:9], exec
	s_or_b64 s[4:5], s[4:5], s[8:9]
	s_or_b64 exec, exec, s[6:7]
	s_and_saveexec_b64 s[6:7], s[4:5]
	s_cbranch_execnz .LBB5_611
	s_branch .LBB5_612
.LBB5_2661:
	s_movk_i32 s4, 0x80
	v_cmp_eq_u16_sdwa s[12:13], v5, s4 src0_sel:BYTE_0 src1_sel:DWORD
	s_mov_b64 s[4:5], -1
                                        ; implicit-def: $sgpr10
	s_and_saveexec_b64 s[8:9], s[12:13]
; %bb.2662:
	s_mov_b32 s10, 0x7f800001
	s_xor_b64 s[4:5], exec, -1
; %bb.2663:
	s_or_b64 exec, exec, s[8:9]
	s_and_b64 s[4:5], s[4:5], exec
	s_or_saveexec_b64 s[6:7], s[6:7]
	v_mov_b32_e32 v3, s10
	s_xor_b64 exec, exec, s[6:7]
	s_cbranch_execz .LBB5_614
.LBB5_2664:
	v_mov_b32_e32 v3, 0
	v_cmp_ne_u16_sdwa s[8:9], v5, v3 src0_sel:BYTE_0 src1_sel:DWORD
	s_andn2_b64 s[4:5], s[4:5], exec
	s_and_b64 s[8:9], s[8:9], exec
	s_or_b64 s[4:5], s[4:5], s[8:9]
	s_or_b64 exec, exec, s[6:7]
	s_and_saveexec_b64 s[6:7], s[4:5]
	s_cbranch_execnz .LBB5_615
	s_branch .LBB5_616
.LBB5_2665:
	s_movk_i32 s4, 0x80
	v_cmp_eq_u16_sdwa s[12:13], v3, s4 src0_sel:BYTE_0 src1_sel:DWORD
	s_mov_b64 s[4:5], -1
                                        ; implicit-def: $sgpr10
	s_and_saveexec_b64 s[8:9], s[12:13]
; %bb.2666:
	s_mov_b32 s10, 0x7f800001
	s_xor_b64 s[4:5], exec, -1
; %bb.2667:
	s_or_b64 exec, exec, s[8:9]
	s_and_b64 s[4:5], s[4:5], exec
	s_or_saveexec_b64 s[6:7], s[6:7]
	v_mov_b32_e32 v2, s10
	s_xor_b64 exec, exec, s[6:7]
	s_cbranch_execz .LBB5_618
.LBB5_2668:
	v_mov_b32_e32 v2, 0
	v_cmp_ne_u16_sdwa s[8:9], v3, v2 src0_sel:BYTE_0 src1_sel:DWORD
	s_andn2_b64 s[4:5], s[4:5], exec
	s_and_b64 s[8:9], s[8:9], exec
	s_or_b64 s[4:5], s[4:5], s[8:9]
	s_or_b64 exec, exec, s[6:7]
	s_and_saveexec_b64 s[6:7], s[4:5]
	s_cbranch_execnz .LBB5_619
	s_branch .LBB5_620
.LBB5_2669:
	s_movk_i32 s4, 0x80
	v_cmp_eq_u16_sdwa s[12:13], v3, s4 src0_sel:BYTE_0 src1_sel:DWORD
	s_mov_b64 s[4:5], -1
                                        ; implicit-def: $sgpr10
	s_and_saveexec_b64 s[8:9], s[12:13]
; %bb.2670:
	s_mov_b32 s10, 0x7f800001
	s_xor_b64 s[4:5], exec, -1
; %bb.2671:
	s_or_b64 exec, exec, s[8:9]
	s_and_b64 s[4:5], s[4:5], exec
	s_or_saveexec_b64 s[6:7], s[6:7]
	v_mov_b32_e32 v4, s10
	s_xor_b64 exec, exec, s[6:7]
	s_cbranch_execz .LBB5_622
.LBB5_2672:
	v_mov_b32_e32 v4, 0
	v_cmp_ne_u16_sdwa s[8:9], v3, v4 src0_sel:BYTE_0 src1_sel:DWORD
	s_andn2_b64 s[4:5], s[4:5], exec
	s_and_b64 s[8:9], s[8:9], exec
	s_or_b64 s[4:5], s[4:5], s[8:9]
	s_or_b64 exec, exec, s[6:7]
	s_and_saveexec_b64 s[6:7], s[4:5]
	s_cbranch_execnz .LBB5_623
	s_branch .LBB5_624
.LBB5_2673:
	s_movk_i32 s4, 0x80
	v_cmp_eq_u16_e32 vcc, s4, v3
	s_mov_b64 s[4:5], -1
                                        ; implicit-def: $sgpr10
	s_and_saveexec_b64 s[8:9], vcc
; %bb.2674:
	s_mov_b32 s10, 0x7f800001
	s_xor_b64 s[4:5], exec, -1
; %bb.2675:
	s_or_b64 exec, exec, s[8:9]
	s_and_b64 s[4:5], s[4:5], exec
                                        ; implicit-def: $vgpr3
	s_or_saveexec_b64 s[6:7], s[6:7]
	v_mov_b32_e32 v2, s10
	s_xor_b64 exec, exec, s[6:7]
	s_cbranch_execz .LBB5_626
.LBB5_2676:
	v_cmp_ne_u16_e32 vcc, 0, v3
	s_andn2_b64 s[4:5], s[4:5], exec
	s_and_b64 s[8:9], vcc, exec
	v_mov_b32_e32 v2, 0
	s_or_b64 s[4:5], s[4:5], s[8:9]
	s_or_b64 exec, exec, s[6:7]
	s_and_saveexec_b64 s[6:7], s[4:5]
	s_cbranch_execnz .LBB5_627
	s_branch .LBB5_628
.LBB5_2677:
	s_movk_i32 s4, 0x80
	v_cmp_eq_u16_e32 vcc, s4, v3
	s_mov_b64 s[4:5], -1
                                        ; implicit-def: $sgpr10
	s_and_saveexec_b64 s[8:9], vcc
; %bb.2678:
	s_mov_b32 s10, 0x7f800001
	s_xor_b64 s[4:5], exec, -1
; %bb.2679:
	s_or_b64 exec, exec, s[8:9]
	s_and_b64 s[4:5], s[4:5], exec
                                        ; implicit-def: $vgpr3
	s_or_saveexec_b64 s[6:7], s[6:7]
	v_mov_b32_e32 v4, s10
	s_xor_b64 exec, exec, s[6:7]
	s_cbranch_execz .LBB5_630
.LBB5_2680:
	v_cmp_ne_u16_e32 vcc, 0, v3
	s_andn2_b64 s[4:5], s[4:5], exec
	s_and_b64 s[8:9], vcc, exec
	v_mov_b32_e32 v4, 0
	s_or_b64 s[4:5], s[4:5], s[8:9]
	s_or_b64 exec, exec, s[6:7]
	s_and_saveexec_b64 s[6:7], s[4:5]
	s_cbranch_execnz .LBB5_631
	s_branch .LBB5_632
.LBB5_2681:
	s_movk_i32 s4, 0x80
	v_cmp_eq_u16_sdwa s[12:13], v9, s4 src0_sel:BYTE_3 src1_sel:DWORD
	s_mov_b64 s[4:5], -1
                                        ; implicit-def: $sgpr10
	s_and_saveexec_b64 s[8:9], s[12:13]
; %bb.2682:
	s_mov_b32 s10, 0x7f800001
	s_xor_b64 s[4:5], exec, -1
; %bb.2683:
	s_or_b64 exec, exec, s[8:9]
	s_and_b64 s[4:5], s[4:5], exec
	s_or_saveexec_b64 s[6:7], s[6:7]
	v_mov_b32_e32 v2, s10
	s_xor_b64 exec, exec, s[6:7]
	s_cbranch_execz .LBB5_634
.LBB5_2684:
	v_mov_b32_e32 v2, 0
	v_cmp_ne_u16_sdwa s[8:9], v9, v2 src0_sel:BYTE_3 src1_sel:DWORD
	s_andn2_b64 s[4:5], s[4:5], exec
	s_and_b64 s[8:9], s[8:9], exec
	s_or_b64 s[4:5], s[4:5], s[8:9]
	s_or_b64 exec, exec, s[6:7]
	s_and_saveexec_b64 s[6:7], s[4:5]
	s_cbranch_execnz .LBB5_635
	s_branch .LBB5_636
.LBB5_2685:
	s_movk_i32 s4, 0x80
	v_cmp_eq_u16_sdwa s[12:13], v5, s4 src0_sel:BYTE_3 src1_sel:DWORD
	s_mov_b64 s[4:5], -1
                                        ; implicit-def: $sgpr10
	s_and_saveexec_b64 s[8:9], s[12:13]
; %bb.2686:
	s_mov_b32 s10, 0x7f800001
	s_xor_b64 s[4:5], exec, -1
; %bb.2687:
	s_or_b64 exec, exec, s[8:9]
	s_and_b64 s[4:5], s[4:5], exec
	s_or_saveexec_b64 s[6:7], s[6:7]
	v_mov_b32_e32 v3, s10
	s_xor_b64 exec, exec, s[6:7]
	s_cbranch_execz .LBB5_638
.LBB5_2688:
	v_mov_b32_e32 v3, 0
	v_cmp_ne_u16_sdwa s[8:9], v5, v3 src0_sel:BYTE_3 src1_sel:DWORD
	s_andn2_b64 s[4:5], s[4:5], exec
	s_and_b64 s[8:9], s[8:9], exec
	s_or_b64 s[4:5], s[4:5], s[8:9]
	s_or_b64 exec, exec, s[6:7]
	s_and_saveexec_b64 s[6:7], s[4:5]
	s_cbranch_execnz .LBB5_639
	s_branch .LBB5_640
.LBB5_2689:
	s_movk_i32 s4, 0x80
	v_cmp_eq_u16_sdwa s[12:13], v6, s4 src0_sel:BYTE_0 src1_sel:DWORD
	s_mov_b64 s[4:5], -1
                                        ; implicit-def: $sgpr10
	s_and_saveexec_b64 s[8:9], s[12:13]
; %bb.2690:
	s_mov_b32 s10, 0x7f800001
	s_xor_b64 s[4:5], exec, -1
; %bb.2691:
	s_or_b64 exec, exec, s[8:9]
	s_and_b64 s[4:5], s[4:5], exec
	s_or_saveexec_b64 s[6:7], s[6:7]
	v_mov_b32_e32 v12, s10
	s_xor_b64 exec, exec, s[6:7]
	s_cbranch_execz .LBB5_642
.LBB5_2692:
	v_mov_b32_e32 v12, 0
	v_cmp_ne_u16_sdwa s[8:9], v6, v12 src0_sel:BYTE_0 src1_sel:DWORD
	s_andn2_b64 s[4:5], s[4:5], exec
	s_and_b64 s[8:9], s[8:9], exec
	s_or_b64 s[4:5], s[4:5], s[8:9]
	s_or_b64 exec, exec, s[6:7]
	s_and_saveexec_b64 s[6:7], s[4:5]
	s_cbranch_execnz .LBB5_643
	s_branch .LBB5_644
.LBB5_2693:
	s_movk_i32 s4, 0x80
	v_cmp_eq_u16_sdwa s[12:13], v2, s4 src0_sel:BYTE_0 src1_sel:DWORD
	s_mov_b64 s[4:5], -1
                                        ; implicit-def: $sgpr10
	s_and_saveexec_b64 s[8:9], s[12:13]
; %bb.2694:
	s_mov_b32 s10, 0x7f800001
	s_xor_b64 s[4:5], exec, -1
; %bb.2695:
	s_or_b64 exec, exec, s[8:9]
	s_and_b64 s[4:5], s[4:5], exec
	s_or_saveexec_b64 s[6:7], s[6:7]
	v_mov_b32_e32 v13, s10
	s_xor_b64 exec, exec, s[6:7]
	s_cbranch_execz .LBB5_646
.LBB5_2696:
	v_mov_b32_e32 v13, 0
	v_cmp_ne_u16_sdwa s[8:9], v2, v13 src0_sel:BYTE_0 src1_sel:DWORD
	s_andn2_b64 s[4:5], s[4:5], exec
	s_and_b64 s[8:9], s[8:9], exec
	s_or_b64 s[4:5], s[4:5], s[8:9]
	s_or_b64 exec, exec, s[6:7]
	s_and_saveexec_b64 s[6:7], s[4:5]
	s_cbranch_execnz .LBB5_647
	s_branch .LBB5_648
.LBB5_2697:
	s_movk_i32 s4, 0x80
	v_cmp_eq_u16_sdwa s[12:13], v13, s4 src0_sel:BYTE_0 src1_sel:DWORD
	s_mov_b64 s[4:5], -1
                                        ; implicit-def: $sgpr10
	s_and_saveexec_b64 s[8:9], s[12:13]
; %bb.2698:
	s_mov_b32 s10, 0x7f800001
	s_xor_b64 s[4:5], exec, -1
; %bb.2699:
	s_or_b64 exec, exec, s[8:9]
	s_and_b64 s[4:5], s[4:5], exec
	s_or_saveexec_b64 s[6:7], s[6:7]
	v_mov_b32_e32 v12, s10
	s_xor_b64 exec, exec, s[6:7]
	s_cbranch_execz .LBB5_650
.LBB5_2700:
	v_mov_b32_e32 v12, 0
	v_cmp_ne_u16_sdwa s[8:9], v13, v12 src0_sel:BYTE_0 src1_sel:DWORD
	s_andn2_b64 s[4:5], s[4:5], exec
	s_and_b64 s[8:9], s[8:9], exec
	s_or_b64 s[4:5], s[4:5], s[8:9]
	s_or_b64 exec, exec, s[6:7]
	s_and_saveexec_b64 s[6:7], s[4:5]
	s_cbranch_execnz .LBB5_651
	s_branch .LBB5_652
.LBB5_2701:
	s_movk_i32 s4, 0x80
	v_cmp_eq_u16_sdwa s[12:13], v13, s4 src0_sel:BYTE_0 src1_sel:DWORD
	s_mov_b64 s[4:5], -1
                                        ; implicit-def: $sgpr10
	s_and_saveexec_b64 s[8:9], s[12:13]
; %bb.2702:
	s_mov_b32 s10, 0x7f800001
	s_xor_b64 s[4:5], exec, -1
; %bb.2703:
	s_or_b64 exec, exec, s[8:9]
	s_and_b64 s[4:5], s[4:5], exec
	s_or_saveexec_b64 s[6:7], s[6:7]
	v_mov_b32_e32 v14, s10
	s_xor_b64 exec, exec, s[6:7]
	s_cbranch_execz .LBB5_654
.LBB5_2704:
	v_mov_b32_e32 v14, 0
	v_cmp_ne_u16_sdwa s[8:9], v13, v14 src0_sel:BYTE_0 src1_sel:DWORD
	s_andn2_b64 s[4:5], s[4:5], exec
	s_and_b64 s[8:9], s[8:9], exec
	s_or_b64 s[4:5], s[4:5], s[8:9]
	s_or_b64 exec, exec, s[6:7]
	s_and_saveexec_b64 s[6:7], s[4:5]
	s_cbranch_execnz .LBB5_655
	s_branch .LBB5_656
.LBB5_2705:
	s_movk_i32 s4, 0x80
	v_cmp_eq_u16_e32 vcc, s4, v13
	s_mov_b64 s[4:5], -1
                                        ; implicit-def: $sgpr10
	s_and_saveexec_b64 s[8:9], vcc
; %bb.2706:
	s_mov_b32 s10, 0x7f800001
	s_xor_b64 s[4:5], exec, -1
; %bb.2707:
	s_or_b64 exec, exec, s[8:9]
	s_and_b64 s[4:5], s[4:5], exec
                                        ; implicit-def: $vgpr13
	s_or_saveexec_b64 s[6:7], s[6:7]
	v_mov_b32_e32 v12, s10
	s_xor_b64 exec, exec, s[6:7]
	s_cbranch_execz .LBB5_658
.LBB5_2708:
	v_cmp_ne_u16_e32 vcc, 0, v13
	s_andn2_b64 s[4:5], s[4:5], exec
	s_and_b64 s[8:9], vcc, exec
	v_mov_b32_e32 v12, 0
	s_or_b64 s[4:5], s[4:5], s[8:9]
	s_or_b64 exec, exec, s[6:7]
	s_and_saveexec_b64 s[6:7], s[4:5]
	s_cbranch_execnz .LBB5_659
	s_branch .LBB5_660
.LBB5_2709:
	s_movk_i32 s4, 0x80
	v_cmp_eq_u16_e32 vcc, s4, v13
	s_mov_b64 s[4:5], -1
                                        ; implicit-def: $sgpr10
	s_and_saveexec_b64 s[8:9], vcc
; %bb.2710:
	s_mov_b32 s10, 0x7f800001
	s_xor_b64 s[4:5], exec, -1
; %bb.2711:
	s_or_b64 exec, exec, s[8:9]
	s_and_b64 s[4:5], s[4:5], exec
                                        ; implicit-def: $vgpr13
	s_or_saveexec_b64 s[6:7], s[6:7]
	v_mov_b32_e32 v14, s10
	s_xor_b64 exec, exec, s[6:7]
	s_cbranch_execz .LBB5_662
.LBB5_2712:
	v_cmp_ne_u16_e32 vcc, 0, v13
	s_andn2_b64 s[4:5], s[4:5], exec
	s_and_b64 s[8:9], vcc, exec
	v_mov_b32_e32 v14, 0
	s_or_b64 s[4:5], s[4:5], s[8:9]
	s_or_b64 exec, exec, s[6:7]
	s_and_saveexec_b64 s[6:7], s[4:5]
	s_cbranch_execnz .LBB5_663
	s_branch .LBB5_664
.LBB5_2713:
	s_movk_i32 s4, 0x80
	v_cmp_eq_u16_sdwa s[12:13], v6, s4 src0_sel:BYTE_3 src1_sel:DWORD
	s_mov_b64 s[4:5], -1
                                        ; implicit-def: $sgpr10
	s_and_saveexec_b64 s[8:9], s[12:13]
; %bb.2714:
	s_mov_b32 s10, 0x7f800001
	s_xor_b64 s[4:5], exec, -1
; %bb.2715:
	s_or_b64 exec, exec, s[8:9]
	s_and_b64 s[4:5], s[4:5], exec
	s_or_saveexec_b64 s[6:7], s[6:7]
	v_mov_b32_e32 v12, s10
	s_xor_b64 exec, exec, s[6:7]
	s_cbranch_execz .LBB5_666
.LBB5_2716:
	v_mov_b32_e32 v12, 0
	v_cmp_ne_u16_sdwa s[8:9], v6, v12 src0_sel:BYTE_3 src1_sel:DWORD
	s_andn2_b64 s[4:5], s[4:5], exec
	s_and_b64 s[8:9], s[8:9], exec
	s_or_b64 s[4:5], s[4:5], s[8:9]
	s_or_b64 exec, exec, s[6:7]
	s_and_saveexec_b64 s[6:7], s[4:5]
	s_cbranch_execnz .LBB5_667
	s_branch .LBB5_668
.LBB5_2717:
	s_movk_i32 s4, 0x80
	v_cmp_eq_u16_sdwa s[12:13], v2, s4 src0_sel:BYTE_3 src1_sel:DWORD
	s_mov_b64 s[4:5], -1
                                        ; implicit-def: $sgpr10
	s_and_saveexec_b64 s[8:9], s[12:13]
; %bb.2718:
	s_mov_b32 s10, 0x7f800001
	s_xor_b64 s[4:5], exec, -1
; %bb.2719:
	s_or_b64 exec, exec, s[8:9]
	s_and_b64 s[4:5], s[4:5], exec
	s_or_saveexec_b64 s[6:7], s[6:7]
	v_mov_b32_e32 v6, s10
	s_xor_b64 exec, exec, s[6:7]
	s_cbranch_execz .LBB5_670
.LBB5_2720:
	v_mov_b32_e32 v6, 0
	v_cmp_ne_u16_sdwa s[8:9], v2, v6 src0_sel:BYTE_3 src1_sel:DWORD
	s_andn2_b64 s[4:5], s[4:5], exec
	s_and_b64 s[8:9], s[8:9], exec
	s_or_b64 s[4:5], s[4:5], s[8:9]
	s_or_b64 exec, exec, s[6:7]
	s_and_saveexec_b64 s[6:7], s[4:5]
	s_cbranch_execnz .LBB5_671
	s_branch .LBB5_672
.LBB5_2721:
	s_movk_i32 s4, 0x80
	v_cmp_eq_u16_sdwa s[12:13], v7, s4 src0_sel:BYTE_0 src1_sel:DWORD
	s_mov_b64 s[4:5], -1
                                        ; implicit-def: $sgpr10
	s_and_saveexec_b64 s[8:9], s[12:13]
; %bb.2722:
	s_mov_b32 s10, 0x7f800001
	s_xor_b64 s[4:5], exec, -1
; %bb.2723:
	s_or_b64 exec, exec, s[8:9]
	s_and_b64 s[4:5], s[4:5], exec
	s_or_saveexec_b64 s[6:7], s[6:7]
	v_mov_b32_e32 v2, s10
	s_xor_b64 exec, exec, s[6:7]
	s_cbranch_execz .LBB5_674
.LBB5_2724:
	v_mov_b32_e32 v2, 0
	v_cmp_ne_u16_sdwa s[8:9], v7, v2 src0_sel:BYTE_0 src1_sel:DWORD
	s_andn2_b64 s[4:5], s[4:5], exec
	s_and_b64 s[8:9], s[8:9], exec
	s_or_b64 s[4:5], s[4:5], s[8:9]
	s_or_b64 exec, exec, s[6:7]
	s_and_saveexec_b64 s[6:7], s[4:5]
	s_cbranch_execnz .LBB5_675
	s_branch .LBB5_676
.LBB5_2725:
	s_movk_i32 s4, 0x80
	v_cmp_eq_u16_sdwa s[12:13], v3, s4 src0_sel:BYTE_0 src1_sel:DWORD
	s_mov_b64 s[4:5], -1
                                        ; implicit-def: $sgpr10
	s_and_saveexec_b64 s[8:9], s[12:13]
; %bb.2726:
	s_mov_b32 s10, 0x7f800001
	s_xor_b64 s[4:5], exec, -1
; %bb.2727:
	s_or_b64 exec, exec, s[8:9]
	s_and_b64 s[4:5], s[4:5], exec
	s_or_saveexec_b64 s[6:7], s[6:7]
	v_mov_b32_e32 v6, s10
	s_xor_b64 exec, exec, s[6:7]
	s_cbranch_execz .LBB5_678
.LBB5_2728:
	v_mov_b32_e32 v6, 0
	v_cmp_ne_u16_sdwa s[8:9], v3, v6 src0_sel:BYTE_0 src1_sel:DWORD
	s_andn2_b64 s[4:5], s[4:5], exec
	s_and_b64 s[8:9], s[8:9], exec
	s_or_b64 s[4:5], s[4:5], s[8:9]
	s_or_b64 exec, exec, s[6:7]
	s_and_saveexec_b64 s[6:7], s[4:5]
	s_cbranch_execnz .LBB5_679
	s_branch .LBB5_680
.LBB5_2729:
	s_movk_i32 s4, 0x80
	v_cmp_eq_u16_sdwa s[12:13], v6, s4 src0_sel:BYTE_0 src1_sel:DWORD
	s_mov_b64 s[4:5], -1
                                        ; implicit-def: $sgpr10
	s_and_saveexec_b64 s[8:9], s[12:13]
; %bb.2730:
	s_mov_b32 s10, 0x7f800001
	s_xor_b64 s[4:5], exec, -1
; %bb.2731:
	s_or_b64 exec, exec, s[8:9]
	s_and_b64 s[4:5], s[4:5], exec
	s_or_saveexec_b64 s[6:7], s[6:7]
	v_mov_b32_e32 v2, s10
	s_xor_b64 exec, exec, s[6:7]
	s_cbranch_execz .LBB5_682
.LBB5_2732:
	v_mov_b32_e32 v2, 0
	v_cmp_ne_u16_sdwa s[8:9], v6, v2 src0_sel:BYTE_0 src1_sel:DWORD
	s_andn2_b64 s[4:5], s[4:5], exec
	s_and_b64 s[8:9], s[8:9], exec
	s_or_b64 s[4:5], s[4:5], s[8:9]
	s_or_b64 exec, exec, s[6:7]
	s_and_saveexec_b64 s[6:7], s[4:5]
	s_cbranch_execnz .LBB5_683
	s_branch .LBB5_684
.LBB5_2733:
	s_movk_i32 s4, 0x80
	v_cmp_eq_u16_sdwa s[12:13], v6, s4 src0_sel:BYTE_0 src1_sel:DWORD
	s_mov_b64 s[4:5], -1
                                        ; implicit-def: $sgpr10
	s_and_saveexec_b64 s[8:9], s[12:13]
; %bb.2734:
	s_mov_b32 s10, 0x7f800001
	s_xor_b64 s[4:5], exec, -1
; %bb.2735:
	s_or_b64 exec, exec, s[8:9]
	s_and_b64 s[4:5], s[4:5], exec
	s_or_saveexec_b64 s[6:7], s[6:7]
	v_mov_b32_e32 v12, s10
	s_xor_b64 exec, exec, s[6:7]
	s_cbranch_execz .LBB5_686
.LBB5_2736:
	v_mov_b32_e32 v12, 0
	v_cmp_ne_u16_sdwa s[8:9], v6, v12 src0_sel:BYTE_0 src1_sel:DWORD
	s_andn2_b64 s[4:5], s[4:5], exec
	s_and_b64 s[8:9], s[8:9], exec
	s_or_b64 s[4:5], s[4:5], s[8:9]
	s_or_b64 exec, exec, s[6:7]
	s_and_saveexec_b64 s[6:7], s[4:5]
	s_cbranch_execnz .LBB5_687
	s_branch .LBB5_688
.LBB5_2737:
	s_movk_i32 s4, 0x80
	v_cmp_eq_u16_e32 vcc, s4, v6
	s_mov_b64 s[4:5], -1
                                        ; implicit-def: $sgpr10
	s_and_saveexec_b64 s[8:9], vcc
; %bb.2738:
	s_mov_b32 s10, 0x7f800001
	s_xor_b64 s[4:5], exec, -1
; %bb.2739:
	s_or_b64 exec, exec, s[8:9]
	s_and_b64 s[4:5], s[4:5], exec
                                        ; implicit-def: $vgpr6
	s_or_saveexec_b64 s[6:7], s[6:7]
	v_mov_b32_e32 v2, s10
	s_xor_b64 exec, exec, s[6:7]
	s_cbranch_execz .LBB5_690
.LBB5_2740:
	v_cmp_ne_u16_e32 vcc, 0, v6
	s_andn2_b64 s[4:5], s[4:5], exec
	s_and_b64 s[8:9], vcc, exec
	v_mov_b32_e32 v2, 0
	s_or_b64 s[4:5], s[4:5], s[8:9]
	s_or_b64 exec, exec, s[6:7]
	s_and_saveexec_b64 s[6:7], s[4:5]
	s_cbranch_execnz .LBB5_691
	s_branch .LBB5_692
.LBB5_2741:
	s_movk_i32 s4, 0x80
	v_cmp_eq_u16_e32 vcc, s4, v6
	s_mov_b64 s[4:5], -1
                                        ; implicit-def: $sgpr10
	s_and_saveexec_b64 s[8:9], vcc
; %bb.2742:
	s_mov_b32 s10, 0x7f800001
	s_xor_b64 s[4:5], exec, -1
; %bb.2743:
	s_or_b64 exec, exec, s[8:9]
	s_and_b64 s[4:5], s[4:5], exec
                                        ; implicit-def: $vgpr6
	s_or_saveexec_b64 s[6:7], s[6:7]
	v_mov_b32_e32 v12, s10
	s_xor_b64 exec, exec, s[6:7]
	s_cbranch_execz .LBB5_694
.LBB5_2744:
	v_cmp_ne_u16_e32 vcc, 0, v6
	s_andn2_b64 s[4:5], s[4:5], exec
	s_and_b64 s[8:9], vcc, exec
	v_mov_b32_e32 v12, 0
	s_or_b64 s[4:5], s[4:5], s[8:9]
	s_or_b64 exec, exec, s[6:7]
	s_and_saveexec_b64 s[6:7], s[4:5]
	s_cbranch_execnz .LBB5_695
	s_branch .LBB5_696
.LBB5_2745:
	s_movk_i32 s4, 0x80
	v_cmp_eq_u16_sdwa s[12:13], v7, s4 src0_sel:BYTE_3 src1_sel:DWORD
	s_mov_b64 s[4:5], -1
                                        ; implicit-def: $sgpr10
	s_and_saveexec_b64 s[8:9], s[12:13]
; %bb.2746:
	s_mov_b32 s10, 0x7f800001
	s_xor_b64 s[4:5], exec, -1
; %bb.2747:
	s_or_b64 exec, exec, s[8:9]
	s_and_b64 s[4:5], s[4:5], exec
	s_or_saveexec_b64 s[6:7], s[6:7]
	v_mov_b32_e32 v2, s10
	s_xor_b64 exec, exec, s[6:7]
	s_cbranch_execz .LBB5_698
.LBB5_2748:
	v_mov_b32_e32 v2, 0
	v_cmp_ne_u16_sdwa s[8:9], v7, v2 src0_sel:BYTE_3 src1_sel:DWORD
	s_andn2_b64 s[4:5], s[4:5], exec
	s_and_b64 s[8:9], s[8:9], exec
	s_or_b64 s[4:5], s[4:5], s[8:9]
	s_or_b64 exec, exec, s[6:7]
	s_and_saveexec_b64 s[6:7], s[4:5]
	s_cbranch_execnz .LBB5_699
	s_branch .LBB5_700
.LBB5_2749:
	s_movk_i32 s4, 0x80
	v_cmp_eq_u16_sdwa s[12:13], v3, s4 src0_sel:BYTE_3 src1_sel:DWORD
	s_mov_b64 s[4:5], -1
                                        ; implicit-def: $sgpr10
	s_and_saveexec_b64 s[8:9], s[12:13]
; %bb.2750:
	s_mov_b32 s10, 0x7f800001
	s_xor_b64 s[4:5], exec, -1
; %bb.2751:
	s_or_b64 exec, exec, s[8:9]
	s_and_b64 s[4:5], s[4:5], exec
	s_or_saveexec_b64 s[6:7], s[6:7]
	v_mov_b32_e32 v6, s10
	s_xor_b64 exec, exec, s[6:7]
	s_cbranch_execz .LBB5_702
.LBB5_2752:
	v_mov_b32_e32 v6, 0
	v_cmp_ne_u16_sdwa s[8:9], v3, v6 src0_sel:BYTE_3 src1_sel:DWORD
	s_andn2_b64 s[4:5], s[4:5], exec
	s_and_b64 s[8:9], s[8:9], exec
	s_or_b64 s[4:5], s[4:5], s[8:9]
	s_or_b64 exec, exec, s[6:7]
	s_and_saveexec_b64 s[6:7], s[4:5]
	s_cbranch_execnz .LBB5_703
	s_branch .LBB5_704
.LBB5_2753:
	s_movk_i32 s4, 0x80
	v_cmp_eq_u16_sdwa s[12:13], v8, s4 src0_sel:BYTE_0 src1_sel:DWORD
	s_mov_b64 s[4:5], -1
                                        ; implicit-def: $sgpr10
	s_and_saveexec_b64 s[8:9], s[12:13]
; %bb.2754:
	s_mov_b32 s10, 0x7f800001
	s_xor_b64 s[4:5], exec, -1
; %bb.2755:
	s_or_b64 exec, exec, s[8:9]
	s_and_b64 s[4:5], s[4:5], exec
	s_or_saveexec_b64 s[6:7], s[6:7]
	v_mov_b32_e32 v2, s10
	s_xor_b64 exec, exec, s[6:7]
	s_cbranch_execz .LBB5_706
.LBB5_2756:
	v_mov_b32_e32 v2, 0
	v_cmp_ne_u16_sdwa s[8:9], v8, v2 src0_sel:BYTE_0 src1_sel:DWORD
	s_andn2_b64 s[4:5], s[4:5], exec
	s_and_b64 s[8:9], s[8:9], exec
	s_or_b64 s[4:5], s[4:5], s[8:9]
	s_or_b64 exec, exec, s[6:7]
	s_and_saveexec_b64 s[6:7], s[4:5]
	s_cbranch_execnz .LBB5_707
	s_branch .LBB5_708
.LBB5_2757:
	s_movk_i32 s4, 0x80
	v_cmp_eq_u16_sdwa s[12:13], v4, s4 src0_sel:BYTE_0 src1_sel:DWORD
	s_mov_b64 s[4:5], -1
                                        ; implicit-def: $sgpr10
	s_and_saveexec_b64 s[8:9], s[12:13]
; %bb.2758:
	s_mov_b32 s10, 0x7f800001
	s_xor_b64 s[4:5], exec, -1
; %bb.2759:
	s_or_b64 exec, exec, s[8:9]
	s_and_b64 s[4:5], s[4:5], exec
	s_or_saveexec_b64 s[6:7], s[6:7]
	v_mov_b32_e32 v3, s10
	s_xor_b64 exec, exec, s[6:7]
	s_cbranch_execz .LBB5_710
.LBB5_2760:
	v_mov_b32_e32 v3, 0
	v_cmp_ne_u16_sdwa s[8:9], v4, v3 src0_sel:BYTE_0 src1_sel:DWORD
	s_andn2_b64 s[4:5], s[4:5], exec
	s_and_b64 s[8:9], s[8:9], exec
	s_or_b64 s[4:5], s[4:5], s[8:9]
	s_or_b64 exec, exec, s[6:7]
	s_and_saveexec_b64 s[6:7], s[4:5]
	s_cbranch_execnz .LBB5_711
	s_branch .LBB5_712
.LBB5_2761:
	s_movk_i32 s4, 0x80
	v_cmp_eq_u16_sdwa s[12:13], v3, s4 src0_sel:BYTE_0 src1_sel:DWORD
	s_mov_b64 s[4:5], -1
                                        ; implicit-def: $sgpr10
	s_and_saveexec_b64 s[8:9], s[12:13]
; %bb.2762:
	s_mov_b32 s10, 0x7f800001
	s_xor_b64 s[4:5], exec, -1
; %bb.2763:
	s_or_b64 exec, exec, s[8:9]
	s_and_b64 s[4:5], s[4:5], exec
	s_or_saveexec_b64 s[6:7], s[6:7]
	v_mov_b32_e32 v2, s10
	s_xor_b64 exec, exec, s[6:7]
	s_cbranch_execz .LBB5_714
.LBB5_2764:
	v_mov_b32_e32 v2, 0
	v_cmp_ne_u16_sdwa s[8:9], v3, v2 src0_sel:BYTE_0 src1_sel:DWORD
	s_andn2_b64 s[4:5], s[4:5], exec
	s_and_b64 s[8:9], s[8:9], exec
	s_or_b64 s[4:5], s[4:5], s[8:9]
	s_or_b64 exec, exec, s[6:7]
	s_and_saveexec_b64 s[6:7], s[4:5]
	s_cbranch_execnz .LBB5_715
	s_branch .LBB5_716
.LBB5_2765:
	s_movk_i32 s4, 0x80
	v_cmp_eq_u16_sdwa s[12:13], v3, s4 src0_sel:BYTE_0 src1_sel:DWORD
	s_mov_b64 s[4:5], -1
                                        ; implicit-def: $sgpr10
	s_and_saveexec_b64 s[8:9], s[12:13]
; %bb.2766:
	s_mov_b32 s10, 0x7f800001
	s_xor_b64 s[4:5], exec, -1
; %bb.2767:
	s_or_b64 exec, exec, s[8:9]
	s_and_b64 s[4:5], s[4:5], exec
	s_or_saveexec_b64 s[6:7], s[6:7]
	v_mov_b32_e32 v6, s10
	s_xor_b64 exec, exec, s[6:7]
	s_cbranch_execz .LBB5_718
.LBB5_2768:
	v_mov_b32_e32 v6, 0
	v_cmp_ne_u16_sdwa s[8:9], v3, v6 src0_sel:BYTE_0 src1_sel:DWORD
	s_andn2_b64 s[4:5], s[4:5], exec
	s_and_b64 s[8:9], s[8:9], exec
	s_or_b64 s[4:5], s[4:5], s[8:9]
	s_or_b64 exec, exec, s[6:7]
	s_and_saveexec_b64 s[6:7], s[4:5]
	s_cbranch_execnz .LBB5_719
	s_branch .LBB5_720
.LBB5_2769:
	s_movk_i32 s4, 0x80
	v_cmp_eq_u16_e32 vcc, s4, v3
	s_mov_b64 s[4:5], -1
                                        ; implicit-def: $sgpr10
	s_and_saveexec_b64 s[8:9], vcc
; %bb.2770:
	s_mov_b32 s10, 0x7f800001
	s_xor_b64 s[4:5], exec, -1
; %bb.2771:
	s_or_b64 exec, exec, s[8:9]
	s_and_b64 s[4:5], s[4:5], exec
                                        ; implicit-def: $vgpr3
	s_or_saveexec_b64 s[6:7], s[6:7]
	v_mov_b32_e32 v2, s10
	s_xor_b64 exec, exec, s[6:7]
	s_cbranch_execz .LBB5_722
.LBB5_2772:
	v_cmp_ne_u16_e32 vcc, 0, v3
	s_andn2_b64 s[4:5], s[4:5], exec
	s_and_b64 s[8:9], vcc, exec
	v_mov_b32_e32 v2, 0
	s_or_b64 s[4:5], s[4:5], s[8:9]
	s_or_b64 exec, exec, s[6:7]
	s_and_saveexec_b64 s[6:7], s[4:5]
	s_cbranch_execnz .LBB5_723
	s_branch .LBB5_724
.LBB5_2773:
	s_movk_i32 s4, 0x80
	v_cmp_eq_u16_e32 vcc, s4, v3
	s_mov_b64 s[4:5], -1
                                        ; implicit-def: $sgpr10
	s_and_saveexec_b64 s[8:9], vcc
; %bb.2774:
	s_mov_b32 s10, 0x7f800001
	s_xor_b64 s[4:5], exec, -1
; %bb.2775:
	s_or_b64 exec, exec, s[8:9]
	s_and_b64 s[4:5], s[4:5], exec
                                        ; implicit-def: $vgpr3
	s_or_saveexec_b64 s[6:7], s[6:7]
	v_mov_b32_e32 v6, s10
	s_xor_b64 exec, exec, s[6:7]
	s_cbranch_execz .LBB5_726
.LBB5_2776:
	v_cmp_ne_u16_e32 vcc, 0, v3
	s_andn2_b64 s[4:5], s[4:5], exec
	s_and_b64 s[8:9], vcc, exec
	v_mov_b32_e32 v6, 0
	s_or_b64 s[4:5], s[4:5], s[8:9]
	s_or_b64 exec, exec, s[6:7]
	s_and_saveexec_b64 s[6:7], s[4:5]
	s_cbranch_execnz .LBB5_727
	s_branch .LBB5_728
.LBB5_2777:
	s_movk_i32 s4, 0x80
	v_cmp_eq_u16_sdwa s[12:13], v8, s4 src0_sel:BYTE_3 src1_sel:DWORD
	s_mov_b64 s[4:5], -1
                                        ; implicit-def: $sgpr10
	s_and_saveexec_b64 s[8:9], s[12:13]
; %bb.2778:
	s_mov_b32 s10, 0x7f800001
	s_xor_b64 s[4:5], exec, -1
; %bb.2779:
	s_or_b64 exec, exec, s[8:9]
	s_and_b64 s[4:5], s[4:5], exec
	s_or_saveexec_b64 s[6:7], s[6:7]
	v_mov_b32_e32 v2, s10
	s_xor_b64 exec, exec, s[6:7]
	s_cbranch_execz .LBB5_730
.LBB5_2780:
	v_mov_b32_e32 v2, 0
	v_cmp_ne_u16_sdwa s[8:9], v8, v2 src0_sel:BYTE_3 src1_sel:DWORD
	s_andn2_b64 s[4:5], s[4:5], exec
	s_and_b64 s[8:9], s[8:9], exec
	s_or_b64 s[4:5], s[4:5], s[8:9]
	s_or_b64 exec, exec, s[6:7]
	s_and_saveexec_b64 s[6:7], s[4:5]
	s_cbranch_execnz .LBB5_731
	s_branch .LBB5_732
.LBB5_2781:
	s_movk_i32 s4, 0x80
	v_cmp_eq_u16_sdwa s[12:13], v4, s4 src0_sel:BYTE_3 src1_sel:DWORD
	s_mov_b64 s[4:5], -1
                                        ; implicit-def: $sgpr10
	s_and_saveexec_b64 s[8:9], s[12:13]
; %bb.2782:
	s_mov_b32 s10, 0x7f800001
	s_xor_b64 s[4:5], exec, -1
; %bb.2783:
	s_or_b64 exec, exec, s[8:9]
	s_and_b64 s[4:5], s[4:5], exec
	s_or_saveexec_b64 s[6:7], s[6:7]
	v_mov_b32_e32 v3, s10
	s_xor_b64 exec, exec, s[6:7]
	s_cbranch_execz .LBB5_734
.LBB5_2784:
	v_mov_b32_e32 v3, 0
	v_cmp_ne_u16_sdwa s[8:9], v4, v3 src0_sel:BYTE_3 src1_sel:DWORD
	s_andn2_b64 s[4:5], s[4:5], exec
	s_and_b64 s[8:9], s[8:9], exec
	s_or_b64 s[4:5], s[4:5], s[8:9]
	s_or_b64 exec, exec, s[6:7]
	s_and_saveexec_b64 s[6:7], s[4:5]
	s_cbranch_execnz .LBB5_735
	s_branch .LBB5_736
.LBB5_2785:
	s_movk_i32 s4, 0x80
	v_cmp_eq_u16_sdwa s[12:13], v9, s4 src0_sel:BYTE_0 src1_sel:DWORD
	s_mov_b64 s[4:5], -1
                                        ; implicit-def: $sgpr10
	s_and_saveexec_b64 s[8:9], s[12:13]
; %bb.2786:
	s_mov_b32 s10, 0x7f800001
	s_xor_b64 s[4:5], exec, -1
; %bb.2787:
	s_or_b64 exec, exec, s[8:9]
	s_and_b64 s[4:5], s[4:5], exec
	s_or_saveexec_b64 s[6:7], s[6:7]
	v_mov_b32_e32 v2, s10
	s_xor_b64 exec, exec, s[6:7]
	s_cbranch_execz .LBB5_738
.LBB5_2788:
	v_mov_b32_e32 v2, 0
	v_cmp_ne_u16_sdwa s[8:9], v9, v2 src0_sel:BYTE_0 src1_sel:DWORD
	s_andn2_b64 s[4:5], s[4:5], exec
	s_and_b64 s[8:9], s[8:9], exec
	s_or_b64 s[4:5], s[4:5], s[8:9]
	s_or_b64 exec, exec, s[6:7]
	s_and_saveexec_b64 s[6:7], s[4:5]
	s_cbranch_execnz .LBB5_739
	s_branch .LBB5_740
.LBB5_2789:
	s_movk_i32 s4, 0x80
	v_cmp_eq_u16_sdwa s[12:13], v5, s4 src0_sel:BYTE_0 src1_sel:DWORD
	s_mov_b64 s[4:5], -1
                                        ; implicit-def: $sgpr10
	s_and_saveexec_b64 s[8:9], s[12:13]
; %bb.2790:
	s_mov_b32 s10, 0x7f800001
	s_xor_b64 s[4:5], exec, -1
; %bb.2791:
	s_or_b64 exec, exec, s[8:9]
	s_and_b64 s[4:5], s[4:5], exec
	s_or_saveexec_b64 s[6:7], s[6:7]
	v_mov_b32_e32 v3, s10
	s_xor_b64 exec, exec, s[6:7]
	s_cbranch_execz .LBB5_742
.LBB5_2792:
	v_mov_b32_e32 v3, 0
	v_cmp_ne_u16_sdwa s[8:9], v5, v3 src0_sel:BYTE_0 src1_sel:DWORD
	s_andn2_b64 s[4:5], s[4:5], exec
	s_and_b64 s[8:9], s[8:9], exec
	s_or_b64 s[4:5], s[4:5], s[8:9]
	s_or_b64 exec, exec, s[6:7]
	s_and_saveexec_b64 s[6:7], s[4:5]
	s_cbranch_execnz .LBB5_743
	s_branch .LBB5_744
.LBB5_2793:
	s_movk_i32 s4, 0x80
	v_cmp_eq_u16_sdwa s[12:13], v3, s4 src0_sel:BYTE_0 src1_sel:DWORD
	s_mov_b64 s[4:5], -1
                                        ; implicit-def: $sgpr10
	s_and_saveexec_b64 s[8:9], s[12:13]
; %bb.2794:
	s_mov_b32 s10, 0x7f800001
	s_xor_b64 s[4:5], exec, -1
; %bb.2795:
	s_or_b64 exec, exec, s[8:9]
	s_and_b64 s[4:5], s[4:5], exec
	s_or_saveexec_b64 s[6:7], s[6:7]
	v_mov_b32_e32 v2, s10
	s_xor_b64 exec, exec, s[6:7]
	s_cbranch_execz .LBB5_746
.LBB5_2796:
	v_mov_b32_e32 v2, 0
	v_cmp_ne_u16_sdwa s[8:9], v3, v2 src0_sel:BYTE_0 src1_sel:DWORD
	s_andn2_b64 s[4:5], s[4:5], exec
	s_and_b64 s[8:9], s[8:9], exec
	s_or_b64 s[4:5], s[4:5], s[8:9]
	s_or_b64 exec, exec, s[6:7]
	s_and_saveexec_b64 s[6:7], s[4:5]
	s_cbranch_execnz .LBB5_747
	s_branch .LBB5_748
.LBB5_2797:
	s_movk_i32 s4, 0x80
	v_cmp_eq_u16_sdwa s[12:13], v3, s4 src0_sel:BYTE_0 src1_sel:DWORD
	s_mov_b64 s[4:5], -1
                                        ; implicit-def: $sgpr10
	s_and_saveexec_b64 s[8:9], s[12:13]
; %bb.2798:
	s_mov_b32 s10, 0x7f800001
	s_xor_b64 s[4:5], exec, -1
; %bb.2799:
	s_or_b64 exec, exec, s[8:9]
	s_and_b64 s[4:5], s[4:5], exec
	s_or_saveexec_b64 s[6:7], s[6:7]
	v_mov_b32_e32 v4, s10
	s_xor_b64 exec, exec, s[6:7]
	s_cbranch_execz .LBB5_750
.LBB5_2800:
	v_mov_b32_e32 v4, 0
	v_cmp_ne_u16_sdwa s[8:9], v3, v4 src0_sel:BYTE_0 src1_sel:DWORD
	s_andn2_b64 s[4:5], s[4:5], exec
	s_and_b64 s[8:9], s[8:9], exec
	s_or_b64 s[4:5], s[4:5], s[8:9]
	s_or_b64 exec, exec, s[6:7]
	s_and_saveexec_b64 s[6:7], s[4:5]
	s_cbranch_execnz .LBB5_751
	s_branch .LBB5_752
.LBB5_2801:
	s_movk_i32 s4, 0x80
	v_cmp_eq_u16_e32 vcc, s4, v3
	s_mov_b64 s[4:5], -1
                                        ; implicit-def: $sgpr10
	s_and_saveexec_b64 s[8:9], vcc
; %bb.2802:
	s_mov_b32 s10, 0x7f800001
	s_xor_b64 s[4:5], exec, -1
; %bb.2803:
	s_or_b64 exec, exec, s[8:9]
	s_and_b64 s[4:5], s[4:5], exec
                                        ; implicit-def: $vgpr3
	s_or_saveexec_b64 s[6:7], s[6:7]
	v_mov_b32_e32 v2, s10
	s_xor_b64 exec, exec, s[6:7]
	s_cbranch_execz .LBB5_754
.LBB5_2804:
	v_cmp_ne_u16_e32 vcc, 0, v3
	s_andn2_b64 s[4:5], s[4:5], exec
	s_and_b64 s[8:9], vcc, exec
	v_mov_b32_e32 v2, 0
	s_or_b64 s[4:5], s[4:5], s[8:9]
	s_or_b64 exec, exec, s[6:7]
	s_and_saveexec_b64 s[6:7], s[4:5]
	s_cbranch_execnz .LBB5_755
	s_branch .LBB5_756
.LBB5_2805:
	s_movk_i32 s4, 0x80
	v_cmp_eq_u16_e32 vcc, s4, v3
	s_mov_b64 s[4:5], -1
                                        ; implicit-def: $sgpr10
	s_and_saveexec_b64 s[8:9], vcc
; %bb.2806:
	s_mov_b32 s10, 0x7f800001
	s_xor_b64 s[4:5], exec, -1
; %bb.2807:
	s_or_b64 exec, exec, s[8:9]
	s_and_b64 s[4:5], s[4:5], exec
                                        ; implicit-def: $vgpr3
	s_or_saveexec_b64 s[6:7], s[6:7]
	v_mov_b32_e32 v4, s10
	s_xor_b64 exec, exec, s[6:7]
	s_cbranch_execz .LBB5_758
.LBB5_2808:
	v_cmp_ne_u16_e32 vcc, 0, v3
	s_andn2_b64 s[4:5], s[4:5], exec
	s_and_b64 s[8:9], vcc, exec
	v_mov_b32_e32 v4, 0
	s_or_b64 s[4:5], s[4:5], s[8:9]
	s_or_b64 exec, exec, s[6:7]
	s_and_saveexec_b64 s[6:7], s[4:5]
	s_cbranch_execnz .LBB5_759
	s_branch .LBB5_760
.LBB5_2809:
	s_movk_i32 s4, 0x80
	v_cmp_eq_u16_sdwa s[12:13], v9, s4 src0_sel:BYTE_3 src1_sel:DWORD
	s_mov_b64 s[4:5], -1
                                        ; implicit-def: $sgpr10
	s_and_saveexec_b64 s[8:9], s[12:13]
; %bb.2810:
	s_mov_b32 s10, 0x7f800001
	s_xor_b64 s[4:5], exec, -1
; %bb.2811:
	s_or_b64 exec, exec, s[8:9]
	s_and_b64 s[4:5], s[4:5], exec
	s_or_saveexec_b64 s[6:7], s[6:7]
	v_mov_b32_e32 v2, s10
	s_xor_b64 exec, exec, s[6:7]
	s_cbranch_execz .LBB5_762
.LBB5_2812:
	v_mov_b32_e32 v2, 0
	v_cmp_ne_u16_sdwa s[8:9], v9, v2 src0_sel:BYTE_3 src1_sel:DWORD
	s_andn2_b64 s[4:5], s[4:5], exec
	s_and_b64 s[8:9], s[8:9], exec
	s_or_b64 s[4:5], s[4:5], s[8:9]
	s_or_b64 exec, exec, s[6:7]
	s_and_saveexec_b64 s[6:7], s[4:5]
	s_cbranch_execnz .LBB5_763
	s_branch .LBB5_764
.LBB5_2813:
	s_movk_i32 s4, 0x80
	v_cmp_eq_u16_sdwa s[12:13], v5, s4 src0_sel:BYTE_3 src1_sel:DWORD
	s_mov_b64 s[4:5], -1
                                        ; implicit-def: $sgpr10
	s_and_saveexec_b64 s[8:9], s[12:13]
; %bb.2814:
	s_mov_b32 s10, 0x7f800001
	s_xor_b64 s[4:5], exec, -1
; %bb.2815:
	s_or_b64 exec, exec, s[8:9]
	s_and_b64 s[4:5], s[4:5], exec
	s_or_saveexec_b64 s[6:7], s[6:7]
	v_mov_b32_e32 v3, s10
	s_xor_b64 exec, exec, s[6:7]
	s_cbranch_execz .LBB5_766
.LBB5_2816:
	v_mov_b32_e32 v3, 0
	v_cmp_ne_u16_sdwa s[8:9], v5, v3 src0_sel:BYTE_3 src1_sel:DWORD
	s_andn2_b64 s[4:5], s[4:5], exec
	s_and_b64 s[8:9], s[8:9], exec
	s_or_b64 s[4:5], s[4:5], s[8:9]
	s_or_b64 exec, exec, s[6:7]
	s_and_saveexec_b64 s[6:7], s[4:5]
	s_cbranch_execnz .LBB5_767
	s_branch .LBB5_768
.LBB5_2817:
	s_movk_i32 s4, 0x80
	v_cmp_eq_u16_sdwa s[12:13], v6, s4 src0_sel:BYTE_0 src1_sel:DWORD
	s_mov_b64 s[4:5], -1
                                        ; implicit-def: $sgpr10
	s_and_saveexec_b64 s[8:9], s[12:13]
; %bb.2818:
	s_mov_b32 s10, 0x7f800001
	s_xor_b64 s[4:5], exec, -1
; %bb.2819:
	s_or_b64 exec, exec, s[8:9]
	s_and_b64 s[4:5], s[4:5], exec
	s_or_saveexec_b64 s[6:7], s[6:7]
	v_mov_b32_e32 v12, s10
	s_xor_b64 exec, exec, s[6:7]
	s_cbranch_execz .LBB5_770
.LBB5_2820:
	v_mov_b32_e32 v12, 0
	v_cmp_ne_u16_sdwa s[8:9], v6, v12 src0_sel:BYTE_0 src1_sel:DWORD
	s_andn2_b64 s[4:5], s[4:5], exec
	s_and_b64 s[8:9], s[8:9], exec
	s_or_b64 s[4:5], s[4:5], s[8:9]
	s_or_b64 exec, exec, s[6:7]
	s_and_saveexec_b64 s[6:7], s[4:5]
	s_cbranch_execnz .LBB5_771
	s_branch .LBB5_772
.LBB5_2821:
	s_movk_i32 s4, 0x80
	v_cmp_eq_u16_sdwa s[12:13], v2, s4 src0_sel:BYTE_0 src1_sel:DWORD
	s_mov_b64 s[4:5], -1
                                        ; implicit-def: $sgpr10
	s_and_saveexec_b64 s[8:9], s[12:13]
; %bb.2822:
	s_mov_b32 s10, 0x7f800001
	s_xor_b64 s[4:5], exec, -1
; %bb.2823:
	s_or_b64 exec, exec, s[8:9]
	s_and_b64 s[4:5], s[4:5], exec
	s_or_saveexec_b64 s[6:7], s[6:7]
	v_mov_b32_e32 v13, s10
	s_xor_b64 exec, exec, s[6:7]
	s_cbranch_execz .LBB5_774
.LBB5_2824:
	v_mov_b32_e32 v13, 0
	v_cmp_ne_u16_sdwa s[8:9], v2, v13 src0_sel:BYTE_0 src1_sel:DWORD
	s_andn2_b64 s[4:5], s[4:5], exec
	s_and_b64 s[8:9], s[8:9], exec
	s_or_b64 s[4:5], s[4:5], s[8:9]
	s_or_b64 exec, exec, s[6:7]
	s_and_saveexec_b64 s[6:7], s[4:5]
	s_cbranch_execnz .LBB5_775
	s_branch .LBB5_776
.LBB5_2825:
	s_movk_i32 s4, 0x80
	v_cmp_eq_u16_sdwa s[12:13], v13, s4 src0_sel:BYTE_0 src1_sel:DWORD
	s_mov_b64 s[4:5], -1
                                        ; implicit-def: $sgpr10
	s_and_saveexec_b64 s[8:9], s[12:13]
; %bb.2826:
	s_mov_b32 s10, 0x7f800001
	s_xor_b64 s[4:5], exec, -1
; %bb.2827:
	s_or_b64 exec, exec, s[8:9]
	s_and_b64 s[4:5], s[4:5], exec
	s_or_saveexec_b64 s[6:7], s[6:7]
	v_mov_b32_e32 v12, s10
	s_xor_b64 exec, exec, s[6:7]
	s_cbranch_execz .LBB5_778
.LBB5_2828:
	v_mov_b32_e32 v12, 0
	v_cmp_ne_u16_sdwa s[8:9], v13, v12 src0_sel:BYTE_0 src1_sel:DWORD
	s_andn2_b64 s[4:5], s[4:5], exec
	s_and_b64 s[8:9], s[8:9], exec
	s_or_b64 s[4:5], s[4:5], s[8:9]
	s_or_b64 exec, exec, s[6:7]
	s_and_saveexec_b64 s[6:7], s[4:5]
	s_cbranch_execnz .LBB5_779
	s_branch .LBB5_780
.LBB5_2829:
	s_movk_i32 s4, 0x80
	v_cmp_eq_u16_sdwa s[12:13], v13, s4 src0_sel:BYTE_0 src1_sel:DWORD
	s_mov_b64 s[4:5], -1
                                        ; implicit-def: $sgpr10
	s_and_saveexec_b64 s[8:9], s[12:13]
; %bb.2830:
	s_mov_b32 s10, 0x7f800001
	s_xor_b64 s[4:5], exec, -1
; %bb.2831:
	s_or_b64 exec, exec, s[8:9]
	s_and_b64 s[4:5], s[4:5], exec
	s_or_saveexec_b64 s[6:7], s[6:7]
	v_mov_b32_e32 v14, s10
	s_xor_b64 exec, exec, s[6:7]
	s_cbranch_execz .LBB5_782
.LBB5_2832:
	v_mov_b32_e32 v14, 0
	v_cmp_ne_u16_sdwa s[8:9], v13, v14 src0_sel:BYTE_0 src1_sel:DWORD
	s_andn2_b64 s[4:5], s[4:5], exec
	s_and_b64 s[8:9], s[8:9], exec
	s_or_b64 s[4:5], s[4:5], s[8:9]
	s_or_b64 exec, exec, s[6:7]
	s_and_saveexec_b64 s[6:7], s[4:5]
	s_cbranch_execnz .LBB5_783
	s_branch .LBB5_784
.LBB5_2833:
	s_movk_i32 s4, 0x80
	v_cmp_eq_u16_e32 vcc, s4, v13
	s_mov_b64 s[4:5], -1
                                        ; implicit-def: $sgpr10
	s_and_saveexec_b64 s[8:9], vcc
; %bb.2834:
	s_mov_b32 s10, 0x7f800001
	s_xor_b64 s[4:5], exec, -1
; %bb.2835:
	s_or_b64 exec, exec, s[8:9]
	s_and_b64 s[4:5], s[4:5], exec
                                        ; implicit-def: $vgpr13
	s_or_saveexec_b64 s[6:7], s[6:7]
	v_mov_b32_e32 v12, s10
	s_xor_b64 exec, exec, s[6:7]
	s_cbranch_execz .LBB5_786
.LBB5_2836:
	v_cmp_ne_u16_e32 vcc, 0, v13
	s_andn2_b64 s[4:5], s[4:5], exec
	s_and_b64 s[8:9], vcc, exec
	v_mov_b32_e32 v12, 0
	s_or_b64 s[4:5], s[4:5], s[8:9]
	s_or_b64 exec, exec, s[6:7]
	s_and_saveexec_b64 s[6:7], s[4:5]
	s_cbranch_execnz .LBB5_787
	s_branch .LBB5_788
.LBB5_2837:
	s_movk_i32 s4, 0x80
	v_cmp_eq_u16_e32 vcc, s4, v13
	s_mov_b64 s[4:5], -1
                                        ; implicit-def: $sgpr10
	s_and_saveexec_b64 s[8:9], vcc
; %bb.2838:
	s_mov_b32 s10, 0x7f800001
	s_xor_b64 s[4:5], exec, -1
; %bb.2839:
	s_or_b64 exec, exec, s[8:9]
	s_and_b64 s[4:5], s[4:5], exec
                                        ; implicit-def: $vgpr13
	s_or_saveexec_b64 s[6:7], s[6:7]
	v_mov_b32_e32 v14, s10
	s_xor_b64 exec, exec, s[6:7]
	s_cbranch_execz .LBB5_790
.LBB5_2840:
	v_cmp_ne_u16_e32 vcc, 0, v13
	s_andn2_b64 s[4:5], s[4:5], exec
	s_and_b64 s[8:9], vcc, exec
	v_mov_b32_e32 v14, 0
	s_or_b64 s[4:5], s[4:5], s[8:9]
	s_or_b64 exec, exec, s[6:7]
	s_and_saveexec_b64 s[6:7], s[4:5]
	s_cbranch_execnz .LBB5_791
	s_branch .LBB5_792
.LBB5_2841:
	s_movk_i32 s4, 0x80
	v_cmp_eq_u16_sdwa s[12:13], v6, s4 src0_sel:BYTE_3 src1_sel:DWORD
	s_mov_b64 s[4:5], -1
                                        ; implicit-def: $sgpr10
	s_and_saveexec_b64 s[8:9], s[12:13]
; %bb.2842:
	s_mov_b32 s10, 0x7f800001
	s_xor_b64 s[4:5], exec, -1
; %bb.2843:
	s_or_b64 exec, exec, s[8:9]
	s_and_b64 s[4:5], s[4:5], exec
	s_or_saveexec_b64 s[6:7], s[6:7]
	v_mov_b32_e32 v12, s10
	s_xor_b64 exec, exec, s[6:7]
	s_cbranch_execz .LBB5_794
.LBB5_2844:
	v_mov_b32_e32 v12, 0
	v_cmp_ne_u16_sdwa s[8:9], v6, v12 src0_sel:BYTE_3 src1_sel:DWORD
	s_andn2_b64 s[4:5], s[4:5], exec
	s_and_b64 s[8:9], s[8:9], exec
	s_or_b64 s[4:5], s[4:5], s[8:9]
	s_or_b64 exec, exec, s[6:7]
	s_and_saveexec_b64 s[6:7], s[4:5]
	s_cbranch_execnz .LBB5_795
	s_branch .LBB5_796
.LBB5_2845:
	s_movk_i32 s4, 0x80
	v_cmp_eq_u16_sdwa s[12:13], v2, s4 src0_sel:BYTE_3 src1_sel:DWORD
	s_mov_b64 s[4:5], -1
                                        ; implicit-def: $sgpr10
	s_and_saveexec_b64 s[8:9], s[12:13]
; %bb.2846:
	s_mov_b32 s10, 0x7f800001
	s_xor_b64 s[4:5], exec, -1
; %bb.2847:
	s_or_b64 exec, exec, s[8:9]
	s_and_b64 s[4:5], s[4:5], exec
	s_or_saveexec_b64 s[6:7], s[6:7]
	v_mov_b32_e32 v6, s10
	s_xor_b64 exec, exec, s[6:7]
	s_cbranch_execz .LBB5_798
.LBB5_2848:
	v_mov_b32_e32 v6, 0
	v_cmp_ne_u16_sdwa s[8:9], v2, v6 src0_sel:BYTE_3 src1_sel:DWORD
	s_andn2_b64 s[4:5], s[4:5], exec
	s_and_b64 s[8:9], s[8:9], exec
	s_or_b64 s[4:5], s[4:5], s[8:9]
	s_or_b64 exec, exec, s[6:7]
	s_and_saveexec_b64 s[6:7], s[4:5]
	s_cbranch_execnz .LBB5_799
	s_branch .LBB5_800
.LBB5_2849:
	s_movk_i32 s4, 0x80
	v_cmp_eq_u16_sdwa s[12:13], v7, s4 src0_sel:BYTE_0 src1_sel:DWORD
	s_mov_b64 s[4:5], -1
                                        ; implicit-def: $sgpr10
	s_and_saveexec_b64 s[8:9], s[12:13]
; %bb.2850:
	s_mov_b32 s10, 0x7f800001
	s_xor_b64 s[4:5], exec, -1
; %bb.2851:
	s_or_b64 exec, exec, s[8:9]
	s_and_b64 s[4:5], s[4:5], exec
	s_or_saveexec_b64 s[6:7], s[6:7]
	v_mov_b32_e32 v2, s10
	s_xor_b64 exec, exec, s[6:7]
	s_cbranch_execz .LBB5_802
.LBB5_2852:
	v_mov_b32_e32 v2, 0
	v_cmp_ne_u16_sdwa s[8:9], v7, v2 src0_sel:BYTE_0 src1_sel:DWORD
	s_andn2_b64 s[4:5], s[4:5], exec
	s_and_b64 s[8:9], s[8:9], exec
	s_or_b64 s[4:5], s[4:5], s[8:9]
	s_or_b64 exec, exec, s[6:7]
	s_and_saveexec_b64 s[6:7], s[4:5]
	s_cbranch_execnz .LBB5_803
	s_branch .LBB5_804
.LBB5_2853:
	s_movk_i32 s4, 0x80
	v_cmp_eq_u16_sdwa s[12:13], v3, s4 src0_sel:BYTE_0 src1_sel:DWORD
	s_mov_b64 s[4:5], -1
                                        ; implicit-def: $sgpr10
	s_and_saveexec_b64 s[8:9], s[12:13]
; %bb.2854:
	s_mov_b32 s10, 0x7f800001
	s_xor_b64 s[4:5], exec, -1
; %bb.2855:
	s_or_b64 exec, exec, s[8:9]
	s_and_b64 s[4:5], s[4:5], exec
	s_or_saveexec_b64 s[6:7], s[6:7]
	v_mov_b32_e32 v6, s10
	s_xor_b64 exec, exec, s[6:7]
	s_cbranch_execz .LBB5_806
.LBB5_2856:
	v_mov_b32_e32 v6, 0
	v_cmp_ne_u16_sdwa s[8:9], v3, v6 src0_sel:BYTE_0 src1_sel:DWORD
	s_andn2_b64 s[4:5], s[4:5], exec
	s_and_b64 s[8:9], s[8:9], exec
	s_or_b64 s[4:5], s[4:5], s[8:9]
	s_or_b64 exec, exec, s[6:7]
	s_and_saveexec_b64 s[6:7], s[4:5]
	s_cbranch_execnz .LBB5_807
	s_branch .LBB5_808
.LBB5_2857:
	s_movk_i32 s4, 0x80
	v_cmp_eq_u16_sdwa s[12:13], v6, s4 src0_sel:BYTE_0 src1_sel:DWORD
	s_mov_b64 s[4:5], -1
                                        ; implicit-def: $sgpr10
	s_and_saveexec_b64 s[8:9], s[12:13]
; %bb.2858:
	s_mov_b32 s10, 0x7f800001
	s_xor_b64 s[4:5], exec, -1
; %bb.2859:
	s_or_b64 exec, exec, s[8:9]
	s_and_b64 s[4:5], s[4:5], exec
	s_or_saveexec_b64 s[6:7], s[6:7]
	v_mov_b32_e32 v2, s10
	s_xor_b64 exec, exec, s[6:7]
	s_cbranch_execz .LBB5_810
.LBB5_2860:
	v_mov_b32_e32 v2, 0
	v_cmp_ne_u16_sdwa s[8:9], v6, v2 src0_sel:BYTE_0 src1_sel:DWORD
	s_andn2_b64 s[4:5], s[4:5], exec
	s_and_b64 s[8:9], s[8:9], exec
	s_or_b64 s[4:5], s[4:5], s[8:9]
	s_or_b64 exec, exec, s[6:7]
	s_and_saveexec_b64 s[6:7], s[4:5]
	s_cbranch_execnz .LBB5_811
	s_branch .LBB5_812
.LBB5_2861:
	s_movk_i32 s4, 0x80
	v_cmp_eq_u16_sdwa s[12:13], v6, s4 src0_sel:BYTE_0 src1_sel:DWORD
	s_mov_b64 s[4:5], -1
                                        ; implicit-def: $sgpr10
	s_and_saveexec_b64 s[8:9], s[12:13]
; %bb.2862:
	s_mov_b32 s10, 0x7f800001
	s_xor_b64 s[4:5], exec, -1
; %bb.2863:
	s_or_b64 exec, exec, s[8:9]
	s_and_b64 s[4:5], s[4:5], exec
	s_or_saveexec_b64 s[6:7], s[6:7]
	v_mov_b32_e32 v12, s10
	s_xor_b64 exec, exec, s[6:7]
	s_cbranch_execz .LBB5_814
.LBB5_2864:
	v_mov_b32_e32 v12, 0
	v_cmp_ne_u16_sdwa s[8:9], v6, v12 src0_sel:BYTE_0 src1_sel:DWORD
	s_andn2_b64 s[4:5], s[4:5], exec
	s_and_b64 s[8:9], s[8:9], exec
	s_or_b64 s[4:5], s[4:5], s[8:9]
	s_or_b64 exec, exec, s[6:7]
	s_and_saveexec_b64 s[6:7], s[4:5]
	s_cbranch_execnz .LBB5_815
	s_branch .LBB5_816
.LBB5_2865:
	s_movk_i32 s4, 0x80
	v_cmp_eq_u16_e32 vcc, s4, v6
	s_mov_b64 s[4:5], -1
                                        ; implicit-def: $sgpr10
	s_and_saveexec_b64 s[8:9], vcc
; %bb.2866:
	s_mov_b32 s10, 0x7f800001
	s_xor_b64 s[4:5], exec, -1
; %bb.2867:
	s_or_b64 exec, exec, s[8:9]
	s_and_b64 s[4:5], s[4:5], exec
                                        ; implicit-def: $vgpr6
	s_or_saveexec_b64 s[6:7], s[6:7]
	v_mov_b32_e32 v2, s10
	s_xor_b64 exec, exec, s[6:7]
	s_cbranch_execz .LBB5_818
.LBB5_2868:
	v_cmp_ne_u16_e32 vcc, 0, v6
	s_andn2_b64 s[4:5], s[4:5], exec
	s_and_b64 s[8:9], vcc, exec
	v_mov_b32_e32 v2, 0
	s_or_b64 s[4:5], s[4:5], s[8:9]
	s_or_b64 exec, exec, s[6:7]
	s_and_saveexec_b64 s[6:7], s[4:5]
	s_cbranch_execnz .LBB5_819
	s_branch .LBB5_820
.LBB5_2869:
	s_movk_i32 s4, 0x80
	v_cmp_eq_u16_e32 vcc, s4, v6
	s_mov_b64 s[4:5], -1
                                        ; implicit-def: $sgpr10
	s_and_saveexec_b64 s[8:9], vcc
; %bb.2870:
	s_mov_b32 s10, 0x7f800001
	s_xor_b64 s[4:5], exec, -1
; %bb.2871:
	s_or_b64 exec, exec, s[8:9]
	s_and_b64 s[4:5], s[4:5], exec
                                        ; implicit-def: $vgpr6
	s_or_saveexec_b64 s[6:7], s[6:7]
	v_mov_b32_e32 v12, s10
	s_xor_b64 exec, exec, s[6:7]
	s_cbranch_execz .LBB5_822
.LBB5_2872:
	v_cmp_ne_u16_e32 vcc, 0, v6
	s_andn2_b64 s[4:5], s[4:5], exec
	s_and_b64 s[8:9], vcc, exec
	v_mov_b32_e32 v12, 0
	s_or_b64 s[4:5], s[4:5], s[8:9]
	s_or_b64 exec, exec, s[6:7]
	s_and_saveexec_b64 s[6:7], s[4:5]
	s_cbranch_execnz .LBB5_823
	s_branch .LBB5_824
.LBB5_2873:
	s_movk_i32 s4, 0x80
	v_cmp_eq_u16_sdwa s[12:13], v7, s4 src0_sel:BYTE_3 src1_sel:DWORD
	s_mov_b64 s[4:5], -1
                                        ; implicit-def: $sgpr10
	s_and_saveexec_b64 s[8:9], s[12:13]
; %bb.2874:
	s_mov_b32 s10, 0x7f800001
	s_xor_b64 s[4:5], exec, -1
; %bb.2875:
	s_or_b64 exec, exec, s[8:9]
	s_and_b64 s[4:5], s[4:5], exec
	s_or_saveexec_b64 s[6:7], s[6:7]
	v_mov_b32_e32 v2, s10
	s_xor_b64 exec, exec, s[6:7]
	s_cbranch_execz .LBB5_826
.LBB5_2876:
	v_mov_b32_e32 v2, 0
	v_cmp_ne_u16_sdwa s[8:9], v7, v2 src0_sel:BYTE_3 src1_sel:DWORD
	s_andn2_b64 s[4:5], s[4:5], exec
	s_and_b64 s[8:9], s[8:9], exec
	s_or_b64 s[4:5], s[4:5], s[8:9]
	s_or_b64 exec, exec, s[6:7]
	s_and_saveexec_b64 s[6:7], s[4:5]
	s_cbranch_execnz .LBB5_827
	s_branch .LBB5_828
.LBB5_2877:
	s_movk_i32 s4, 0x80
	v_cmp_eq_u16_sdwa s[12:13], v3, s4 src0_sel:BYTE_3 src1_sel:DWORD
	s_mov_b64 s[4:5], -1
                                        ; implicit-def: $sgpr10
	s_and_saveexec_b64 s[8:9], s[12:13]
; %bb.2878:
	s_mov_b32 s10, 0x7f800001
	s_xor_b64 s[4:5], exec, -1
; %bb.2879:
	s_or_b64 exec, exec, s[8:9]
	s_and_b64 s[4:5], s[4:5], exec
	s_or_saveexec_b64 s[6:7], s[6:7]
	v_mov_b32_e32 v6, s10
	s_xor_b64 exec, exec, s[6:7]
	s_cbranch_execz .LBB5_830
.LBB5_2880:
	v_mov_b32_e32 v6, 0
	v_cmp_ne_u16_sdwa s[8:9], v3, v6 src0_sel:BYTE_3 src1_sel:DWORD
	s_andn2_b64 s[4:5], s[4:5], exec
	s_and_b64 s[8:9], s[8:9], exec
	s_or_b64 s[4:5], s[4:5], s[8:9]
	s_or_b64 exec, exec, s[6:7]
	s_and_saveexec_b64 s[6:7], s[4:5]
	s_cbranch_execnz .LBB5_831
	s_branch .LBB5_832
.LBB5_2881:
	s_movk_i32 s4, 0x80
	v_cmp_eq_u16_sdwa s[12:13], v8, s4 src0_sel:BYTE_0 src1_sel:DWORD
	s_mov_b64 s[4:5], -1
                                        ; implicit-def: $sgpr10
	s_and_saveexec_b64 s[8:9], s[12:13]
; %bb.2882:
	s_mov_b32 s10, 0x7f800001
	s_xor_b64 s[4:5], exec, -1
; %bb.2883:
	s_or_b64 exec, exec, s[8:9]
	s_and_b64 s[4:5], s[4:5], exec
	s_or_saveexec_b64 s[6:7], s[6:7]
	v_mov_b32_e32 v2, s10
	s_xor_b64 exec, exec, s[6:7]
	s_cbranch_execz .LBB5_834
.LBB5_2884:
	v_mov_b32_e32 v2, 0
	v_cmp_ne_u16_sdwa s[8:9], v8, v2 src0_sel:BYTE_0 src1_sel:DWORD
	s_andn2_b64 s[4:5], s[4:5], exec
	s_and_b64 s[8:9], s[8:9], exec
	s_or_b64 s[4:5], s[4:5], s[8:9]
	s_or_b64 exec, exec, s[6:7]
	s_and_saveexec_b64 s[6:7], s[4:5]
	s_cbranch_execnz .LBB5_835
	s_branch .LBB5_836
.LBB5_2885:
	s_movk_i32 s4, 0x80
	v_cmp_eq_u16_sdwa s[12:13], v4, s4 src0_sel:BYTE_0 src1_sel:DWORD
	s_mov_b64 s[4:5], -1
                                        ; implicit-def: $sgpr10
	s_and_saveexec_b64 s[8:9], s[12:13]
; %bb.2886:
	s_mov_b32 s10, 0x7f800001
	s_xor_b64 s[4:5], exec, -1
; %bb.2887:
	s_or_b64 exec, exec, s[8:9]
	s_and_b64 s[4:5], s[4:5], exec
	s_or_saveexec_b64 s[6:7], s[6:7]
	v_mov_b32_e32 v3, s10
	s_xor_b64 exec, exec, s[6:7]
	s_cbranch_execz .LBB5_838
.LBB5_2888:
	v_mov_b32_e32 v3, 0
	v_cmp_ne_u16_sdwa s[8:9], v4, v3 src0_sel:BYTE_0 src1_sel:DWORD
	s_andn2_b64 s[4:5], s[4:5], exec
	s_and_b64 s[8:9], s[8:9], exec
	s_or_b64 s[4:5], s[4:5], s[8:9]
	s_or_b64 exec, exec, s[6:7]
	s_and_saveexec_b64 s[6:7], s[4:5]
	s_cbranch_execnz .LBB5_839
	s_branch .LBB5_840
.LBB5_2889:
	s_movk_i32 s4, 0x80
	v_cmp_eq_u16_sdwa s[12:13], v3, s4 src0_sel:BYTE_0 src1_sel:DWORD
	s_mov_b64 s[4:5], -1
                                        ; implicit-def: $sgpr10
	s_and_saveexec_b64 s[8:9], s[12:13]
; %bb.2890:
	s_mov_b32 s10, 0x7f800001
	s_xor_b64 s[4:5], exec, -1
; %bb.2891:
	s_or_b64 exec, exec, s[8:9]
	s_and_b64 s[4:5], s[4:5], exec
	s_or_saveexec_b64 s[6:7], s[6:7]
	v_mov_b32_e32 v2, s10
	s_xor_b64 exec, exec, s[6:7]
	s_cbranch_execz .LBB5_842
.LBB5_2892:
	v_mov_b32_e32 v2, 0
	v_cmp_ne_u16_sdwa s[8:9], v3, v2 src0_sel:BYTE_0 src1_sel:DWORD
	s_andn2_b64 s[4:5], s[4:5], exec
	s_and_b64 s[8:9], s[8:9], exec
	s_or_b64 s[4:5], s[4:5], s[8:9]
	s_or_b64 exec, exec, s[6:7]
	s_and_saveexec_b64 s[6:7], s[4:5]
	s_cbranch_execnz .LBB5_843
	s_branch .LBB5_844
.LBB5_2893:
	s_movk_i32 s4, 0x80
	v_cmp_eq_u16_sdwa s[12:13], v3, s4 src0_sel:BYTE_0 src1_sel:DWORD
	s_mov_b64 s[4:5], -1
                                        ; implicit-def: $sgpr10
	s_and_saveexec_b64 s[8:9], s[12:13]
; %bb.2894:
	s_mov_b32 s10, 0x7f800001
	s_xor_b64 s[4:5], exec, -1
; %bb.2895:
	s_or_b64 exec, exec, s[8:9]
	s_and_b64 s[4:5], s[4:5], exec
	s_or_saveexec_b64 s[6:7], s[6:7]
	v_mov_b32_e32 v6, s10
	s_xor_b64 exec, exec, s[6:7]
	s_cbranch_execz .LBB5_846
.LBB5_2896:
	v_mov_b32_e32 v6, 0
	v_cmp_ne_u16_sdwa s[8:9], v3, v6 src0_sel:BYTE_0 src1_sel:DWORD
	s_andn2_b64 s[4:5], s[4:5], exec
	s_and_b64 s[8:9], s[8:9], exec
	s_or_b64 s[4:5], s[4:5], s[8:9]
	s_or_b64 exec, exec, s[6:7]
	s_and_saveexec_b64 s[6:7], s[4:5]
	s_cbranch_execnz .LBB5_847
	s_branch .LBB5_848
.LBB5_2897:
	s_movk_i32 s4, 0x80
	v_cmp_eq_u16_e32 vcc, s4, v3
	s_mov_b64 s[4:5], -1
                                        ; implicit-def: $sgpr10
	s_and_saveexec_b64 s[8:9], vcc
; %bb.2898:
	s_mov_b32 s10, 0x7f800001
	s_xor_b64 s[4:5], exec, -1
; %bb.2899:
	s_or_b64 exec, exec, s[8:9]
	s_and_b64 s[4:5], s[4:5], exec
                                        ; implicit-def: $vgpr3
	s_or_saveexec_b64 s[6:7], s[6:7]
	v_mov_b32_e32 v2, s10
	s_xor_b64 exec, exec, s[6:7]
	s_cbranch_execz .LBB5_850
.LBB5_2900:
	v_cmp_ne_u16_e32 vcc, 0, v3
	s_andn2_b64 s[4:5], s[4:5], exec
	s_and_b64 s[8:9], vcc, exec
	v_mov_b32_e32 v2, 0
	s_or_b64 s[4:5], s[4:5], s[8:9]
	s_or_b64 exec, exec, s[6:7]
	s_and_saveexec_b64 s[6:7], s[4:5]
	s_cbranch_execnz .LBB5_851
	s_branch .LBB5_852
.LBB5_2901:
	s_movk_i32 s4, 0x80
	v_cmp_eq_u16_e32 vcc, s4, v3
	s_mov_b64 s[4:5], -1
                                        ; implicit-def: $sgpr10
	s_and_saveexec_b64 s[8:9], vcc
; %bb.2902:
	s_mov_b32 s10, 0x7f800001
	s_xor_b64 s[4:5], exec, -1
; %bb.2903:
	s_or_b64 exec, exec, s[8:9]
	s_and_b64 s[4:5], s[4:5], exec
                                        ; implicit-def: $vgpr3
	s_or_saveexec_b64 s[6:7], s[6:7]
	v_mov_b32_e32 v6, s10
	s_xor_b64 exec, exec, s[6:7]
	s_cbranch_execz .LBB5_854
.LBB5_2904:
	v_cmp_ne_u16_e32 vcc, 0, v3
	s_andn2_b64 s[4:5], s[4:5], exec
	s_and_b64 s[8:9], vcc, exec
	v_mov_b32_e32 v6, 0
	s_or_b64 s[4:5], s[4:5], s[8:9]
	s_or_b64 exec, exec, s[6:7]
	s_and_saveexec_b64 s[6:7], s[4:5]
	s_cbranch_execnz .LBB5_855
	s_branch .LBB5_856
.LBB5_2905:
	s_movk_i32 s4, 0x80
	v_cmp_eq_u16_sdwa s[12:13], v8, s4 src0_sel:BYTE_3 src1_sel:DWORD
	s_mov_b64 s[4:5], -1
                                        ; implicit-def: $sgpr10
	s_and_saveexec_b64 s[8:9], s[12:13]
; %bb.2906:
	s_mov_b32 s10, 0x7f800001
	s_xor_b64 s[4:5], exec, -1
; %bb.2907:
	s_or_b64 exec, exec, s[8:9]
	s_and_b64 s[4:5], s[4:5], exec
	s_or_saveexec_b64 s[6:7], s[6:7]
	v_mov_b32_e32 v2, s10
	s_xor_b64 exec, exec, s[6:7]
	s_cbranch_execz .LBB5_858
.LBB5_2908:
	v_mov_b32_e32 v2, 0
	v_cmp_ne_u16_sdwa s[8:9], v8, v2 src0_sel:BYTE_3 src1_sel:DWORD
	s_andn2_b64 s[4:5], s[4:5], exec
	s_and_b64 s[8:9], s[8:9], exec
	s_or_b64 s[4:5], s[4:5], s[8:9]
	s_or_b64 exec, exec, s[6:7]
	s_and_saveexec_b64 s[6:7], s[4:5]
	s_cbranch_execnz .LBB5_859
	s_branch .LBB5_860
.LBB5_2909:
	s_movk_i32 s4, 0x80
	v_cmp_eq_u16_sdwa s[12:13], v4, s4 src0_sel:BYTE_3 src1_sel:DWORD
	s_mov_b64 s[4:5], -1
                                        ; implicit-def: $sgpr10
	s_and_saveexec_b64 s[8:9], s[12:13]
; %bb.2910:
	s_mov_b32 s10, 0x7f800001
	s_xor_b64 s[4:5], exec, -1
; %bb.2911:
	s_or_b64 exec, exec, s[8:9]
	s_and_b64 s[4:5], s[4:5], exec
	s_or_saveexec_b64 s[6:7], s[6:7]
	v_mov_b32_e32 v3, s10
	s_xor_b64 exec, exec, s[6:7]
	s_cbranch_execz .LBB5_862
.LBB5_2912:
	v_mov_b32_e32 v3, 0
	v_cmp_ne_u16_sdwa s[8:9], v4, v3 src0_sel:BYTE_3 src1_sel:DWORD
	s_andn2_b64 s[4:5], s[4:5], exec
	s_and_b64 s[8:9], s[8:9], exec
	s_or_b64 s[4:5], s[4:5], s[8:9]
	s_or_b64 exec, exec, s[6:7]
	s_and_saveexec_b64 s[6:7], s[4:5]
	s_cbranch_execnz .LBB5_863
	s_branch .LBB5_864
.LBB5_2913:
	s_movk_i32 s4, 0x80
	v_cmp_eq_u16_sdwa s[12:13], v9, s4 src0_sel:BYTE_0 src1_sel:DWORD
	s_mov_b64 s[4:5], -1
                                        ; implicit-def: $sgpr10
	s_and_saveexec_b64 s[8:9], s[12:13]
; %bb.2914:
	s_mov_b32 s10, 0x7f800001
	s_xor_b64 s[4:5], exec, -1
; %bb.2915:
	s_or_b64 exec, exec, s[8:9]
	s_and_b64 s[4:5], s[4:5], exec
	s_or_saveexec_b64 s[6:7], s[6:7]
	v_mov_b32_e32 v2, s10
	s_xor_b64 exec, exec, s[6:7]
	s_cbranch_execz .LBB5_866
.LBB5_2916:
	v_mov_b32_e32 v2, 0
	v_cmp_ne_u16_sdwa s[8:9], v9, v2 src0_sel:BYTE_0 src1_sel:DWORD
	s_andn2_b64 s[4:5], s[4:5], exec
	s_and_b64 s[8:9], s[8:9], exec
	s_or_b64 s[4:5], s[4:5], s[8:9]
	s_or_b64 exec, exec, s[6:7]
	s_and_saveexec_b64 s[6:7], s[4:5]
	s_cbranch_execnz .LBB5_867
	s_branch .LBB5_868
.LBB5_2917:
	s_movk_i32 s4, 0x80
	v_cmp_eq_u16_sdwa s[12:13], v5, s4 src0_sel:BYTE_0 src1_sel:DWORD
	s_mov_b64 s[4:5], -1
                                        ; implicit-def: $sgpr10
	s_and_saveexec_b64 s[8:9], s[12:13]
; %bb.2918:
	s_mov_b32 s10, 0x7f800001
	s_xor_b64 s[4:5], exec, -1
; %bb.2919:
	s_or_b64 exec, exec, s[8:9]
	s_and_b64 s[4:5], s[4:5], exec
	s_or_saveexec_b64 s[6:7], s[6:7]
	v_mov_b32_e32 v3, s10
	s_xor_b64 exec, exec, s[6:7]
	s_cbranch_execz .LBB5_870
.LBB5_2920:
	v_mov_b32_e32 v3, 0
	v_cmp_ne_u16_sdwa s[8:9], v5, v3 src0_sel:BYTE_0 src1_sel:DWORD
	s_andn2_b64 s[4:5], s[4:5], exec
	s_and_b64 s[8:9], s[8:9], exec
	s_or_b64 s[4:5], s[4:5], s[8:9]
	s_or_b64 exec, exec, s[6:7]
	s_and_saveexec_b64 s[6:7], s[4:5]
	s_cbranch_execnz .LBB5_871
	s_branch .LBB5_872
.LBB5_2921:
	s_movk_i32 s4, 0x80
	v_cmp_eq_u16_sdwa s[12:13], v3, s4 src0_sel:BYTE_0 src1_sel:DWORD
	s_mov_b64 s[4:5], -1
                                        ; implicit-def: $sgpr10
	s_and_saveexec_b64 s[8:9], s[12:13]
; %bb.2922:
	s_mov_b32 s10, 0x7f800001
	s_xor_b64 s[4:5], exec, -1
; %bb.2923:
	s_or_b64 exec, exec, s[8:9]
	s_and_b64 s[4:5], s[4:5], exec
	s_or_saveexec_b64 s[6:7], s[6:7]
	v_mov_b32_e32 v2, s10
	s_xor_b64 exec, exec, s[6:7]
	s_cbranch_execz .LBB5_874
.LBB5_2924:
	v_mov_b32_e32 v2, 0
	v_cmp_ne_u16_sdwa s[8:9], v3, v2 src0_sel:BYTE_0 src1_sel:DWORD
	s_andn2_b64 s[4:5], s[4:5], exec
	s_and_b64 s[8:9], s[8:9], exec
	s_or_b64 s[4:5], s[4:5], s[8:9]
	s_or_b64 exec, exec, s[6:7]
	s_and_saveexec_b64 s[6:7], s[4:5]
	s_cbranch_execnz .LBB5_875
	s_branch .LBB5_876
.LBB5_2925:
	s_movk_i32 s4, 0x80
	v_cmp_eq_u16_sdwa s[12:13], v3, s4 src0_sel:BYTE_0 src1_sel:DWORD
	s_mov_b64 s[4:5], -1
                                        ; implicit-def: $sgpr10
	s_and_saveexec_b64 s[8:9], s[12:13]
; %bb.2926:
	s_mov_b32 s10, 0x7f800001
	s_xor_b64 s[4:5], exec, -1
; %bb.2927:
	s_or_b64 exec, exec, s[8:9]
	s_and_b64 s[4:5], s[4:5], exec
	s_or_saveexec_b64 s[6:7], s[6:7]
	v_mov_b32_e32 v4, s10
	s_xor_b64 exec, exec, s[6:7]
	s_cbranch_execz .LBB5_878
.LBB5_2928:
	v_mov_b32_e32 v4, 0
	v_cmp_ne_u16_sdwa s[8:9], v3, v4 src0_sel:BYTE_0 src1_sel:DWORD
	s_andn2_b64 s[4:5], s[4:5], exec
	s_and_b64 s[8:9], s[8:9], exec
	s_or_b64 s[4:5], s[4:5], s[8:9]
	s_or_b64 exec, exec, s[6:7]
	s_and_saveexec_b64 s[6:7], s[4:5]
	s_cbranch_execnz .LBB5_879
	s_branch .LBB5_880
.LBB5_2929:
	s_movk_i32 s4, 0x80
	v_cmp_eq_u16_e32 vcc, s4, v3
	s_mov_b64 s[4:5], -1
                                        ; implicit-def: $sgpr10
	s_and_saveexec_b64 s[8:9], vcc
; %bb.2930:
	s_mov_b32 s10, 0x7f800001
	s_xor_b64 s[4:5], exec, -1
; %bb.2931:
	s_or_b64 exec, exec, s[8:9]
	s_and_b64 s[4:5], s[4:5], exec
                                        ; implicit-def: $vgpr3
	s_or_saveexec_b64 s[6:7], s[6:7]
	v_mov_b32_e32 v2, s10
	s_xor_b64 exec, exec, s[6:7]
	s_cbranch_execz .LBB5_882
.LBB5_2932:
	v_cmp_ne_u16_e32 vcc, 0, v3
	s_andn2_b64 s[4:5], s[4:5], exec
	s_and_b64 s[8:9], vcc, exec
	v_mov_b32_e32 v2, 0
	s_or_b64 s[4:5], s[4:5], s[8:9]
	s_or_b64 exec, exec, s[6:7]
	s_and_saveexec_b64 s[6:7], s[4:5]
	s_cbranch_execnz .LBB5_883
	s_branch .LBB5_884
.LBB5_2933:
	s_movk_i32 s4, 0x80
	v_cmp_eq_u16_e32 vcc, s4, v3
	s_mov_b64 s[4:5], -1
                                        ; implicit-def: $sgpr10
	s_and_saveexec_b64 s[8:9], vcc
; %bb.2934:
	s_mov_b32 s10, 0x7f800001
	s_xor_b64 s[4:5], exec, -1
; %bb.2935:
	s_or_b64 exec, exec, s[8:9]
	s_and_b64 s[4:5], s[4:5], exec
                                        ; implicit-def: $vgpr3
	s_or_saveexec_b64 s[6:7], s[6:7]
	v_mov_b32_e32 v4, s10
	s_xor_b64 exec, exec, s[6:7]
	s_cbranch_execz .LBB5_886
.LBB5_2936:
	v_cmp_ne_u16_e32 vcc, 0, v3
	s_andn2_b64 s[4:5], s[4:5], exec
	s_and_b64 s[8:9], vcc, exec
	v_mov_b32_e32 v4, 0
	s_or_b64 s[4:5], s[4:5], s[8:9]
	s_or_b64 exec, exec, s[6:7]
	s_and_saveexec_b64 s[6:7], s[4:5]
	s_cbranch_execnz .LBB5_887
	s_branch .LBB5_888
.LBB5_2937:
	s_movk_i32 s4, 0x80
	v_cmp_eq_u16_sdwa s[12:13], v9, s4 src0_sel:BYTE_3 src1_sel:DWORD
	s_mov_b64 s[4:5], -1
                                        ; implicit-def: $sgpr10
	s_and_saveexec_b64 s[8:9], s[12:13]
; %bb.2938:
	s_mov_b32 s10, 0x7f800001
	s_xor_b64 s[4:5], exec, -1
; %bb.2939:
	s_or_b64 exec, exec, s[8:9]
	s_and_b64 s[4:5], s[4:5], exec
	s_or_saveexec_b64 s[6:7], s[6:7]
	v_mov_b32_e32 v2, s10
	s_xor_b64 exec, exec, s[6:7]
	s_cbranch_execz .LBB5_890
.LBB5_2940:
	v_mov_b32_e32 v2, 0
	v_cmp_ne_u16_sdwa s[8:9], v9, v2 src0_sel:BYTE_3 src1_sel:DWORD
	s_andn2_b64 s[4:5], s[4:5], exec
	s_and_b64 s[8:9], s[8:9], exec
	s_or_b64 s[4:5], s[4:5], s[8:9]
	s_or_b64 exec, exec, s[6:7]
	s_and_saveexec_b64 s[6:7], s[4:5]
	s_cbranch_execnz .LBB5_891
	s_branch .LBB5_892
.LBB5_2941:
	s_movk_i32 s4, 0x80
	v_cmp_eq_u16_sdwa s[12:13], v5, s4 src0_sel:BYTE_3 src1_sel:DWORD
	s_mov_b64 s[4:5], -1
                                        ; implicit-def: $sgpr10
	s_and_saveexec_b64 s[8:9], s[12:13]
; %bb.2942:
	s_mov_b32 s10, 0x7f800001
	s_xor_b64 s[4:5], exec, -1
; %bb.2943:
	s_or_b64 exec, exec, s[8:9]
	s_and_b64 s[4:5], s[4:5], exec
	s_or_saveexec_b64 s[6:7], s[6:7]
	v_mov_b32_e32 v3, s10
	s_xor_b64 exec, exec, s[6:7]
	s_cbranch_execz .LBB5_894
.LBB5_2944:
	v_mov_b32_e32 v3, 0
	v_cmp_ne_u16_sdwa s[8:9], v5, v3 src0_sel:BYTE_3 src1_sel:DWORD
	s_andn2_b64 s[4:5], s[4:5], exec
	s_and_b64 s[8:9], s[8:9], exec
	s_or_b64 s[4:5], s[4:5], s[8:9]
	s_or_b64 exec, exec, s[6:7]
	s_and_saveexec_b64 s[6:7], s[4:5]
	s_cbranch_execnz .LBB5_895
	s_branch .LBB5_896
.LBB5_2945:
	s_movk_i32 s4, 0x80
	v_cmp_eq_u16_sdwa s[12:13], v6, s4 src0_sel:BYTE_0 src1_sel:DWORD
	s_mov_b64 s[4:5], -1
                                        ; implicit-def: $sgpr10
	s_and_saveexec_b64 s[8:9], s[12:13]
; %bb.2946:
	s_mov_b32 s10, 0x7f800001
	s_xor_b64 s[4:5], exec, -1
; %bb.2947:
	s_or_b64 exec, exec, s[8:9]
	s_and_b64 s[4:5], s[4:5], exec
	s_or_saveexec_b64 s[6:7], s[6:7]
	v_mov_b32_e32 v12, s10
	s_xor_b64 exec, exec, s[6:7]
	s_cbranch_execz .LBB5_898
.LBB5_2948:
	v_mov_b32_e32 v12, 0
	v_cmp_ne_u16_sdwa s[8:9], v6, v12 src0_sel:BYTE_0 src1_sel:DWORD
	s_andn2_b64 s[4:5], s[4:5], exec
	s_and_b64 s[8:9], s[8:9], exec
	s_or_b64 s[4:5], s[4:5], s[8:9]
	s_or_b64 exec, exec, s[6:7]
	s_and_saveexec_b64 s[6:7], s[4:5]
	s_cbranch_execnz .LBB5_899
	s_branch .LBB5_900
.LBB5_2949:
	s_movk_i32 s4, 0x80
	v_cmp_eq_u16_sdwa s[12:13], v2, s4 src0_sel:BYTE_0 src1_sel:DWORD
	s_mov_b64 s[4:5], -1
                                        ; implicit-def: $sgpr10
	s_and_saveexec_b64 s[8:9], s[12:13]
; %bb.2950:
	s_mov_b32 s10, 0x7f800001
	s_xor_b64 s[4:5], exec, -1
; %bb.2951:
	s_or_b64 exec, exec, s[8:9]
	s_and_b64 s[4:5], s[4:5], exec
	s_or_saveexec_b64 s[6:7], s[6:7]
	v_mov_b32_e32 v13, s10
	s_xor_b64 exec, exec, s[6:7]
	s_cbranch_execz .LBB5_902
.LBB5_2952:
	v_mov_b32_e32 v13, 0
	v_cmp_ne_u16_sdwa s[8:9], v2, v13 src0_sel:BYTE_0 src1_sel:DWORD
	s_andn2_b64 s[4:5], s[4:5], exec
	s_and_b64 s[8:9], s[8:9], exec
	s_or_b64 s[4:5], s[4:5], s[8:9]
	s_or_b64 exec, exec, s[6:7]
	s_and_saveexec_b64 s[6:7], s[4:5]
	s_cbranch_execnz .LBB5_903
	s_branch .LBB5_904
.LBB5_2953:
	s_movk_i32 s4, 0x80
	v_cmp_eq_u16_sdwa s[12:13], v13, s4 src0_sel:BYTE_0 src1_sel:DWORD
	s_mov_b64 s[4:5], -1
                                        ; implicit-def: $sgpr10
	s_and_saveexec_b64 s[8:9], s[12:13]
; %bb.2954:
	s_mov_b32 s10, 0x7f800001
	s_xor_b64 s[4:5], exec, -1
; %bb.2955:
	s_or_b64 exec, exec, s[8:9]
	s_and_b64 s[4:5], s[4:5], exec
	s_or_saveexec_b64 s[6:7], s[6:7]
	v_mov_b32_e32 v12, s10
	s_xor_b64 exec, exec, s[6:7]
	s_cbranch_execz .LBB5_906
.LBB5_2956:
	v_mov_b32_e32 v12, 0
	v_cmp_ne_u16_sdwa s[8:9], v13, v12 src0_sel:BYTE_0 src1_sel:DWORD
	s_andn2_b64 s[4:5], s[4:5], exec
	s_and_b64 s[8:9], s[8:9], exec
	s_or_b64 s[4:5], s[4:5], s[8:9]
	s_or_b64 exec, exec, s[6:7]
	s_and_saveexec_b64 s[6:7], s[4:5]
	s_cbranch_execnz .LBB5_907
	s_branch .LBB5_908
.LBB5_2957:
	s_movk_i32 s4, 0x80
	v_cmp_eq_u16_sdwa s[12:13], v13, s4 src0_sel:BYTE_0 src1_sel:DWORD
	s_mov_b64 s[4:5], -1
                                        ; implicit-def: $sgpr10
	s_and_saveexec_b64 s[8:9], s[12:13]
; %bb.2958:
	s_mov_b32 s10, 0x7f800001
	s_xor_b64 s[4:5], exec, -1
; %bb.2959:
	s_or_b64 exec, exec, s[8:9]
	s_and_b64 s[4:5], s[4:5], exec
	s_or_saveexec_b64 s[6:7], s[6:7]
	v_mov_b32_e32 v14, s10
	s_xor_b64 exec, exec, s[6:7]
	s_cbranch_execz .LBB5_910
.LBB5_2960:
	v_mov_b32_e32 v14, 0
	v_cmp_ne_u16_sdwa s[8:9], v13, v14 src0_sel:BYTE_0 src1_sel:DWORD
	s_andn2_b64 s[4:5], s[4:5], exec
	s_and_b64 s[8:9], s[8:9], exec
	s_or_b64 s[4:5], s[4:5], s[8:9]
	s_or_b64 exec, exec, s[6:7]
	s_and_saveexec_b64 s[6:7], s[4:5]
	s_cbranch_execnz .LBB5_911
	s_branch .LBB5_912
.LBB5_2961:
	s_movk_i32 s4, 0x80
	v_cmp_eq_u16_e32 vcc, s4, v13
	s_mov_b64 s[4:5], -1
                                        ; implicit-def: $sgpr10
	s_and_saveexec_b64 s[8:9], vcc
; %bb.2962:
	s_mov_b32 s10, 0x7f800001
	s_xor_b64 s[4:5], exec, -1
; %bb.2963:
	s_or_b64 exec, exec, s[8:9]
	s_and_b64 s[4:5], s[4:5], exec
                                        ; implicit-def: $vgpr13
	s_or_saveexec_b64 s[6:7], s[6:7]
	v_mov_b32_e32 v12, s10
	s_xor_b64 exec, exec, s[6:7]
	s_cbranch_execz .LBB5_914
.LBB5_2964:
	v_cmp_ne_u16_e32 vcc, 0, v13
	s_andn2_b64 s[4:5], s[4:5], exec
	s_and_b64 s[8:9], vcc, exec
	v_mov_b32_e32 v12, 0
	s_or_b64 s[4:5], s[4:5], s[8:9]
	s_or_b64 exec, exec, s[6:7]
	s_and_saveexec_b64 s[6:7], s[4:5]
	s_cbranch_execnz .LBB5_915
	s_branch .LBB5_916
.LBB5_2965:
	s_movk_i32 s4, 0x80
	v_cmp_eq_u16_e32 vcc, s4, v13
	s_mov_b64 s[4:5], -1
                                        ; implicit-def: $sgpr10
	s_and_saveexec_b64 s[8:9], vcc
; %bb.2966:
	s_mov_b32 s10, 0x7f800001
	s_xor_b64 s[4:5], exec, -1
; %bb.2967:
	s_or_b64 exec, exec, s[8:9]
	s_and_b64 s[4:5], s[4:5], exec
                                        ; implicit-def: $vgpr13
	s_or_saveexec_b64 s[6:7], s[6:7]
	v_mov_b32_e32 v14, s10
	s_xor_b64 exec, exec, s[6:7]
	s_cbranch_execz .LBB5_918
.LBB5_2968:
	v_cmp_ne_u16_e32 vcc, 0, v13
	s_andn2_b64 s[4:5], s[4:5], exec
	s_and_b64 s[8:9], vcc, exec
	v_mov_b32_e32 v14, 0
	s_or_b64 s[4:5], s[4:5], s[8:9]
	s_or_b64 exec, exec, s[6:7]
	s_and_saveexec_b64 s[6:7], s[4:5]
	s_cbranch_execnz .LBB5_919
	s_branch .LBB5_920
.LBB5_2969:
	s_movk_i32 s4, 0x80
	v_cmp_eq_u16_sdwa s[12:13], v6, s4 src0_sel:BYTE_3 src1_sel:DWORD
	s_mov_b64 s[4:5], -1
                                        ; implicit-def: $sgpr10
	s_and_saveexec_b64 s[8:9], s[12:13]
; %bb.2970:
	s_mov_b32 s10, 0x7f800001
	s_xor_b64 s[4:5], exec, -1
; %bb.2971:
	s_or_b64 exec, exec, s[8:9]
	s_and_b64 s[4:5], s[4:5], exec
	s_or_saveexec_b64 s[6:7], s[6:7]
	v_mov_b32_e32 v12, s10
	s_xor_b64 exec, exec, s[6:7]
	s_cbranch_execz .LBB5_922
.LBB5_2972:
	v_mov_b32_e32 v12, 0
	v_cmp_ne_u16_sdwa s[8:9], v6, v12 src0_sel:BYTE_3 src1_sel:DWORD
	s_andn2_b64 s[4:5], s[4:5], exec
	s_and_b64 s[8:9], s[8:9], exec
	s_or_b64 s[4:5], s[4:5], s[8:9]
	s_or_b64 exec, exec, s[6:7]
	s_and_saveexec_b64 s[6:7], s[4:5]
	s_cbranch_execnz .LBB5_923
	s_branch .LBB5_924
.LBB5_2973:
	s_movk_i32 s4, 0x80
	v_cmp_eq_u16_sdwa s[12:13], v2, s4 src0_sel:BYTE_3 src1_sel:DWORD
	s_mov_b64 s[4:5], -1
                                        ; implicit-def: $sgpr10
	s_and_saveexec_b64 s[8:9], s[12:13]
; %bb.2974:
	s_mov_b32 s10, 0x7f800001
	s_xor_b64 s[4:5], exec, -1
; %bb.2975:
	s_or_b64 exec, exec, s[8:9]
	s_and_b64 s[4:5], s[4:5], exec
	s_or_saveexec_b64 s[6:7], s[6:7]
	v_mov_b32_e32 v6, s10
	s_xor_b64 exec, exec, s[6:7]
	s_cbranch_execz .LBB5_926
.LBB5_2976:
	v_mov_b32_e32 v6, 0
	v_cmp_ne_u16_sdwa s[8:9], v2, v6 src0_sel:BYTE_3 src1_sel:DWORD
	s_andn2_b64 s[4:5], s[4:5], exec
	s_and_b64 s[8:9], s[8:9], exec
	s_or_b64 s[4:5], s[4:5], s[8:9]
	s_or_b64 exec, exec, s[6:7]
	s_and_saveexec_b64 s[6:7], s[4:5]
	s_cbranch_execnz .LBB5_927
	s_branch .LBB5_928
.LBB5_2977:
	s_movk_i32 s4, 0x80
	v_cmp_eq_u16_sdwa s[12:13], v7, s4 src0_sel:BYTE_0 src1_sel:DWORD
	s_mov_b64 s[4:5], -1
                                        ; implicit-def: $sgpr10
	s_and_saveexec_b64 s[8:9], s[12:13]
; %bb.2978:
	s_mov_b32 s10, 0x7f800001
	s_xor_b64 s[4:5], exec, -1
; %bb.2979:
	s_or_b64 exec, exec, s[8:9]
	s_and_b64 s[4:5], s[4:5], exec
	s_or_saveexec_b64 s[6:7], s[6:7]
	v_mov_b32_e32 v2, s10
	s_xor_b64 exec, exec, s[6:7]
	s_cbranch_execz .LBB5_930
.LBB5_2980:
	v_mov_b32_e32 v2, 0
	v_cmp_ne_u16_sdwa s[8:9], v7, v2 src0_sel:BYTE_0 src1_sel:DWORD
	s_andn2_b64 s[4:5], s[4:5], exec
	s_and_b64 s[8:9], s[8:9], exec
	s_or_b64 s[4:5], s[4:5], s[8:9]
	s_or_b64 exec, exec, s[6:7]
	s_and_saveexec_b64 s[6:7], s[4:5]
	s_cbranch_execnz .LBB5_931
	s_branch .LBB5_932
.LBB5_2981:
	s_movk_i32 s4, 0x80
	v_cmp_eq_u16_sdwa s[12:13], v3, s4 src0_sel:BYTE_0 src1_sel:DWORD
	s_mov_b64 s[4:5], -1
                                        ; implicit-def: $sgpr10
	s_and_saveexec_b64 s[8:9], s[12:13]
; %bb.2982:
	s_mov_b32 s10, 0x7f800001
	s_xor_b64 s[4:5], exec, -1
; %bb.2983:
	s_or_b64 exec, exec, s[8:9]
	s_and_b64 s[4:5], s[4:5], exec
	s_or_saveexec_b64 s[6:7], s[6:7]
	v_mov_b32_e32 v6, s10
	s_xor_b64 exec, exec, s[6:7]
	s_cbranch_execz .LBB5_934
.LBB5_2984:
	v_mov_b32_e32 v6, 0
	v_cmp_ne_u16_sdwa s[8:9], v3, v6 src0_sel:BYTE_0 src1_sel:DWORD
	s_andn2_b64 s[4:5], s[4:5], exec
	s_and_b64 s[8:9], s[8:9], exec
	s_or_b64 s[4:5], s[4:5], s[8:9]
	s_or_b64 exec, exec, s[6:7]
	s_and_saveexec_b64 s[6:7], s[4:5]
	s_cbranch_execnz .LBB5_935
	s_branch .LBB5_936
.LBB5_2985:
	s_movk_i32 s4, 0x80
	v_cmp_eq_u16_sdwa s[12:13], v6, s4 src0_sel:BYTE_0 src1_sel:DWORD
	s_mov_b64 s[4:5], -1
                                        ; implicit-def: $sgpr10
	s_and_saveexec_b64 s[8:9], s[12:13]
; %bb.2986:
	s_mov_b32 s10, 0x7f800001
	s_xor_b64 s[4:5], exec, -1
; %bb.2987:
	s_or_b64 exec, exec, s[8:9]
	s_and_b64 s[4:5], s[4:5], exec
	s_or_saveexec_b64 s[6:7], s[6:7]
	v_mov_b32_e32 v2, s10
	s_xor_b64 exec, exec, s[6:7]
	s_cbranch_execz .LBB5_938
.LBB5_2988:
	v_mov_b32_e32 v2, 0
	v_cmp_ne_u16_sdwa s[8:9], v6, v2 src0_sel:BYTE_0 src1_sel:DWORD
	s_andn2_b64 s[4:5], s[4:5], exec
	s_and_b64 s[8:9], s[8:9], exec
	s_or_b64 s[4:5], s[4:5], s[8:9]
	s_or_b64 exec, exec, s[6:7]
	s_and_saveexec_b64 s[6:7], s[4:5]
	s_cbranch_execnz .LBB5_939
	s_branch .LBB5_940
.LBB5_2989:
	s_movk_i32 s4, 0x80
	v_cmp_eq_u16_sdwa s[12:13], v6, s4 src0_sel:BYTE_0 src1_sel:DWORD
	s_mov_b64 s[4:5], -1
                                        ; implicit-def: $sgpr10
	s_and_saveexec_b64 s[8:9], s[12:13]
; %bb.2990:
	s_mov_b32 s10, 0x7f800001
	s_xor_b64 s[4:5], exec, -1
; %bb.2991:
	s_or_b64 exec, exec, s[8:9]
	s_and_b64 s[4:5], s[4:5], exec
	s_or_saveexec_b64 s[6:7], s[6:7]
	v_mov_b32_e32 v12, s10
	s_xor_b64 exec, exec, s[6:7]
	s_cbranch_execz .LBB5_942
.LBB5_2992:
	v_mov_b32_e32 v12, 0
	v_cmp_ne_u16_sdwa s[8:9], v6, v12 src0_sel:BYTE_0 src1_sel:DWORD
	s_andn2_b64 s[4:5], s[4:5], exec
	s_and_b64 s[8:9], s[8:9], exec
	s_or_b64 s[4:5], s[4:5], s[8:9]
	s_or_b64 exec, exec, s[6:7]
	s_and_saveexec_b64 s[6:7], s[4:5]
	s_cbranch_execnz .LBB5_943
	s_branch .LBB5_944
.LBB5_2993:
	s_movk_i32 s4, 0x80
	v_cmp_eq_u16_e32 vcc, s4, v6
	s_mov_b64 s[4:5], -1
                                        ; implicit-def: $sgpr10
	s_and_saveexec_b64 s[8:9], vcc
; %bb.2994:
	s_mov_b32 s10, 0x7f800001
	s_xor_b64 s[4:5], exec, -1
; %bb.2995:
	s_or_b64 exec, exec, s[8:9]
	s_and_b64 s[4:5], s[4:5], exec
                                        ; implicit-def: $vgpr6
	s_or_saveexec_b64 s[6:7], s[6:7]
	v_mov_b32_e32 v2, s10
	s_xor_b64 exec, exec, s[6:7]
	s_cbranch_execz .LBB5_946
.LBB5_2996:
	v_cmp_ne_u16_e32 vcc, 0, v6
	s_andn2_b64 s[4:5], s[4:5], exec
	s_and_b64 s[8:9], vcc, exec
	v_mov_b32_e32 v2, 0
	s_or_b64 s[4:5], s[4:5], s[8:9]
	s_or_b64 exec, exec, s[6:7]
	s_and_saveexec_b64 s[6:7], s[4:5]
	s_cbranch_execnz .LBB5_947
	s_branch .LBB5_948
.LBB5_2997:
	s_movk_i32 s4, 0x80
	v_cmp_eq_u16_e32 vcc, s4, v6
	s_mov_b64 s[4:5], -1
                                        ; implicit-def: $sgpr10
	s_and_saveexec_b64 s[8:9], vcc
; %bb.2998:
	s_mov_b32 s10, 0x7f800001
	s_xor_b64 s[4:5], exec, -1
; %bb.2999:
	s_or_b64 exec, exec, s[8:9]
	s_and_b64 s[4:5], s[4:5], exec
                                        ; implicit-def: $vgpr6
	s_or_saveexec_b64 s[6:7], s[6:7]
	v_mov_b32_e32 v12, s10
	s_xor_b64 exec, exec, s[6:7]
	s_cbranch_execz .LBB5_950
.LBB5_3000:
	v_cmp_ne_u16_e32 vcc, 0, v6
	s_andn2_b64 s[4:5], s[4:5], exec
	s_and_b64 s[8:9], vcc, exec
	v_mov_b32_e32 v12, 0
	s_or_b64 s[4:5], s[4:5], s[8:9]
	s_or_b64 exec, exec, s[6:7]
	s_and_saveexec_b64 s[6:7], s[4:5]
	s_cbranch_execnz .LBB5_951
	s_branch .LBB5_952
.LBB5_3001:
	s_movk_i32 s4, 0x80
	v_cmp_eq_u16_sdwa s[12:13], v7, s4 src0_sel:BYTE_3 src1_sel:DWORD
	s_mov_b64 s[4:5], -1
                                        ; implicit-def: $sgpr10
	s_and_saveexec_b64 s[8:9], s[12:13]
; %bb.3002:
	s_mov_b32 s10, 0x7f800001
	s_xor_b64 s[4:5], exec, -1
; %bb.3003:
	s_or_b64 exec, exec, s[8:9]
	s_and_b64 s[4:5], s[4:5], exec
	s_or_saveexec_b64 s[6:7], s[6:7]
	v_mov_b32_e32 v2, s10
	s_xor_b64 exec, exec, s[6:7]
	s_cbranch_execz .LBB5_954
.LBB5_3004:
	v_mov_b32_e32 v2, 0
	v_cmp_ne_u16_sdwa s[8:9], v7, v2 src0_sel:BYTE_3 src1_sel:DWORD
	s_andn2_b64 s[4:5], s[4:5], exec
	s_and_b64 s[8:9], s[8:9], exec
	s_or_b64 s[4:5], s[4:5], s[8:9]
	s_or_b64 exec, exec, s[6:7]
	s_and_saveexec_b64 s[6:7], s[4:5]
	s_cbranch_execnz .LBB5_955
	s_branch .LBB5_956
.LBB5_3005:
	s_movk_i32 s4, 0x80
	v_cmp_eq_u16_sdwa s[12:13], v3, s4 src0_sel:BYTE_3 src1_sel:DWORD
	s_mov_b64 s[4:5], -1
                                        ; implicit-def: $sgpr10
	s_and_saveexec_b64 s[8:9], s[12:13]
; %bb.3006:
	s_mov_b32 s10, 0x7f800001
	s_xor_b64 s[4:5], exec, -1
; %bb.3007:
	s_or_b64 exec, exec, s[8:9]
	s_and_b64 s[4:5], s[4:5], exec
	s_or_saveexec_b64 s[6:7], s[6:7]
	v_mov_b32_e32 v6, s10
	s_xor_b64 exec, exec, s[6:7]
	s_cbranch_execz .LBB5_958
.LBB5_3008:
	v_mov_b32_e32 v6, 0
	v_cmp_ne_u16_sdwa s[8:9], v3, v6 src0_sel:BYTE_3 src1_sel:DWORD
	s_andn2_b64 s[4:5], s[4:5], exec
	s_and_b64 s[8:9], s[8:9], exec
	s_or_b64 s[4:5], s[4:5], s[8:9]
	s_or_b64 exec, exec, s[6:7]
	s_and_saveexec_b64 s[6:7], s[4:5]
	s_cbranch_execnz .LBB5_959
	s_branch .LBB5_960
.LBB5_3009:
	s_movk_i32 s4, 0x80
	v_cmp_eq_u16_sdwa s[12:13], v8, s4 src0_sel:BYTE_0 src1_sel:DWORD
	s_mov_b64 s[4:5], -1
                                        ; implicit-def: $sgpr10
	s_and_saveexec_b64 s[8:9], s[12:13]
; %bb.3010:
	s_mov_b32 s10, 0x7f800001
	s_xor_b64 s[4:5], exec, -1
; %bb.3011:
	s_or_b64 exec, exec, s[8:9]
	s_and_b64 s[4:5], s[4:5], exec
	s_or_saveexec_b64 s[6:7], s[6:7]
	v_mov_b32_e32 v2, s10
	s_xor_b64 exec, exec, s[6:7]
	s_cbranch_execz .LBB5_962
.LBB5_3012:
	v_mov_b32_e32 v2, 0
	v_cmp_ne_u16_sdwa s[8:9], v8, v2 src0_sel:BYTE_0 src1_sel:DWORD
	s_andn2_b64 s[4:5], s[4:5], exec
	s_and_b64 s[8:9], s[8:9], exec
	s_or_b64 s[4:5], s[4:5], s[8:9]
	s_or_b64 exec, exec, s[6:7]
	s_and_saveexec_b64 s[6:7], s[4:5]
	s_cbranch_execnz .LBB5_963
	s_branch .LBB5_964
.LBB5_3013:
	s_movk_i32 s4, 0x80
	v_cmp_eq_u16_sdwa s[12:13], v4, s4 src0_sel:BYTE_0 src1_sel:DWORD
	s_mov_b64 s[4:5], -1
                                        ; implicit-def: $sgpr10
	s_and_saveexec_b64 s[8:9], s[12:13]
; %bb.3014:
	s_mov_b32 s10, 0x7f800001
	s_xor_b64 s[4:5], exec, -1
; %bb.3015:
	s_or_b64 exec, exec, s[8:9]
	s_and_b64 s[4:5], s[4:5], exec
	s_or_saveexec_b64 s[6:7], s[6:7]
	v_mov_b32_e32 v3, s10
	s_xor_b64 exec, exec, s[6:7]
	s_cbranch_execz .LBB5_966
.LBB5_3016:
	v_mov_b32_e32 v3, 0
	v_cmp_ne_u16_sdwa s[8:9], v4, v3 src0_sel:BYTE_0 src1_sel:DWORD
	s_andn2_b64 s[4:5], s[4:5], exec
	s_and_b64 s[8:9], s[8:9], exec
	s_or_b64 s[4:5], s[4:5], s[8:9]
	s_or_b64 exec, exec, s[6:7]
	s_and_saveexec_b64 s[6:7], s[4:5]
	s_cbranch_execnz .LBB5_967
	s_branch .LBB5_968
.LBB5_3017:
	s_movk_i32 s4, 0x80
	v_cmp_eq_u16_sdwa s[12:13], v3, s4 src0_sel:BYTE_0 src1_sel:DWORD
	s_mov_b64 s[4:5], -1
                                        ; implicit-def: $sgpr10
	s_and_saveexec_b64 s[8:9], s[12:13]
; %bb.3018:
	s_mov_b32 s10, 0x7f800001
	s_xor_b64 s[4:5], exec, -1
; %bb.3019:
	s_or_b64 exec, exec, s[8:9]
	s_and_b64 s[4:5], s[4:5], exec
	s_or_saveexec_b64 s[6:7], s[6:7]
	v_mov_b32_e32 v2, s10
	s_xor_b64 exec, exec, s[6:7]
	s_cbranch_execz .LBB5_970
.LBB5_3020:
	v_mov_b32_e32 v2, 0
	v_cmp_ne_u16_sdwa s[8:9], v3, v2 src0_sel:BYTE_0 src1_sel:DWORD
	s_andn2_b64 s[4:5], s[4:5], exec
	s_and_b64 s[8:9], s[8:9], exec
	s_or_b64 s[4:5], s[4:5], s[8:9]
	s_or_b64 exec, exec, s[6:7]
	s_and_saveexec_b64 s[6:7], s[4:5]
	s_cbranch_execnz .LBB5_971
	s_branch .LBB5_972
.LBB5_3021:
	s_movk_i32 s4, 0x80
	v_cmp_eq_u16_sdwa s[12:13], v3, s4 src0_sel:BYTE_0 src1_sel:DWORD
	s_mov_b64 s[4:5], -1
                                        ; implicit-def: $sgpr10
	s_and_saveexec_b64 s[8:9], s[12:13]
; %bb.3022:
	s_mov_b32 s10, 0x7f800001
	s_xor_b64 s[4:5], exec, -1
; %bb.3023:
	s_or_b64 exec, exec, s[8:9]
	s_and_b64 s[4:5], s[4:5], exec
	s_or_saveexec_b64 s[6:7], s[6:7]
	v_mov_b32_e32 v6, s10
	s_xor_b64 exec, exec, s[6:7]
	s_cbranch_execz .LBB5_974
.LBB5_3024:
	v_mov_b32_e32 v6, 0
	v_cmp_ne_u16_sdwa s[8:9], v3, v6 src0_sel:BYTE_0 src1_sel:DWORD
	s_andn2_b64 s[4:5], s[4:5], exec
	s_and_b64 s[8:9], s[8:9], exec
	s_or_b64 s[4:5], s[4:5], s[8:9]
	s_or_b64 exec, exec, s[6:7]
	s_and_saveexec_b64 s[6:7], s[4:5]
	s_cbranch_execnz .LBB5_975
	s_branch .LBB5_976
.LBB5_3025:
	s_movk_i32 s4, 0x80
	v_cmp_eq_u16_e32 vcc, s4, v3
	s_mov_b64 s[4:5], -1
                                        ; implicit-def: $sgpr10
	s_and_saveexec_b64 s[8:9], vcc
; %bb.3026:
	s_mov_b32 s10, 0x7f800001
	s_xor_b64 s[4:5], exec, -1
; %bb.3027:
	s_or_b64 exec, exec, s[8:9]
	s_and_b64 s[4:5], s[4:5], exec
                                        ; implicit-def: $vgpr3
	s_or_saveexec_b64 s[6:7], s[6:7]
	v_mov_b32_e32 v2, s10
	s_xor_b64 exec, exec, s[6:7]
	s_cbranch_execz .LBB5_978
.LBB5_3028:
	v_cmp_ne_u16_e32 vcc, 0, v3
	s_andn2_b64 s[4:5], s[4:5], exec
	s_and_b64 s[8:9], vcc, exec
	v_mov_b32_e32 v2, 0
	s_or_b64 s[4:5], s[4:5], s[8:9]
	s_or_b64 exec, exec, s[6:7]
	s_and_saveexec_b64 s[6:7], s[4:5]
	s_cbranch_execnz .LBB5_979
	s_branch .LBB5_980
.LBB5_3029:
	s_movk_i32 s4, 0x80
	v_cmp_eq_u16_e32 vcc, s4, v3
	s_mov_b64 s[4:5], -1
                                        ; implicit-def: $sgpr10
	s_and_saveexec_b64 s[8:9], vcc
; %bb.3030:
	s_mov_b32 s10, 0x7f800001
	s_xor_b64 s[4:5], exec, -1
; %bb.3031:
	s_or_b64 exec, exec, s[8:9]
	s_and_b64 s[4:5], s[4:5], exec
                                        ; implicit-def: $vgpr3
	s_or_saveexec_b64 s[6:7], s[6:7]
	v_mov_b32_e32 v6, s10
	s_xor_b64 exec, exec, s[6:7]
	s_cbranch_execz .LBB5_982
.LBB5_3032:
	v_cmp_ne_u16_e32 vcc, 0, v3
	s_andn2_b64 s[4:5], s[4:5], exec
	s_and_b64 s[8:9], vcc, exec
	v_mov_b32_e32 v6, 0
	s_or_b64 s[4:5], s[4:5], s[8:9]
	s_or_b64 exec, exec, s[6:7]
	s_and_saveexec_b64 s[6:7], s[4:5]
	s_cbranch_execnz .LBB5_983
	s_branch .LBB5_984
.LBB5_3033:
	s_movk_i32 s4, 0x80
	v_cmp_eq_u16_sdwa s[12:13], v8, s4 src0_sel:BYTE_3 src1_sel:DWORD
	s_mov_b64 s[4:5], -1
                                        ; implicit-def: $sgpr10
	s_and_saveexec_b64 s[8:9], s[12:13]
; %bb.3034:
	s_mov_b32 s10, 0x7f800001
	s_xor_b64 s[4:5], exec, -1
; %bb.3035:
	s_or_b64 exec, exec, s[8:9]
	s_and_b64 s[4:5], s[4:5], exec
	s_or_saveexec_b64 s[6:7], s[6:7]
	v_mov_b32_e32 v2, s10
	s_xor_b64 exec, exec, s[6:7]
	s_cbranch_execz .LBB5_986
.LBB5_3036:
	v_mov_b32_e32 v2, 0
	v_cmp_ne_u16_sdwa s[8:9], v8, v2 src0_sel:BYTE_3 src1_sel:DWORD
	s_andn2_b64 s[4:5], s[4:5], exec
	s_and_b64 s[8:9], s[8:9], exec
	s_or_b64 s[4:5], s[4:5], s[8:9]
	s_or_b64 exec, exec, s[6:7]
	s_and_saveexec_b64 s[6:7], s[4:5]
	s_cbranch_execnz .LBB5_987
	s_branch .LBB5_988
.LBB5_3037:
	s_movk_i32 s4, 0x80
	v_cmp_eq_u16_sdwa s[12:13], v4, s4 src0_sel:BYTE_3 src1_sel:DWORD
	s_mov_b64 s[4:5], -1
                                        ; implicit-def: $sgpr10
	s_and_saveexec_b64 s[8:9], s[12:13]
; %bb.3038:
	s_mov_b32 s10, 0x7f800001
	s_xor_b64 s[4:5], exec, -1
; %bb.3039:
	s_or_b64 exec, exec, s[8:9]
	s_and_b64 s[4:5], s[4:5], exec
	s_or_saveexec_b64 s[6:7], s[6:7]
	v_mov_b32_e32 v3, s10
	s_xor_b64 exec, exec, s[6:7]
	s_cbranch_execz .LBB5_990
.LBB5_3040:
	v_mov_b32_e32 v3, 0
	v_cmp_ne_u16_sdwa s[8:9], v4, v3 src0_sel:BYTE_3 src1_sel:DWORD
	s_andn2_b64 s[4:5], s[4:5], exec
	s_and_b64 s[8:9], s[8:9], exec
	s_or_b64 s[4:5], s[4:5], s[8:9]
	s_or_b64 exec, exec, s[6:7]
	s_and_saveexec_b64 s[6:7], s[4:5]
	s_cbranch_execnz .LBB5_991
	s_branch .LBB5_992
.LBB5_3041:
	s_movk_i32 s4, 0x80
	v_cmp_eq_u16_sdwa s[12:13], v9, s4 src0_sel:BYTE_0 src1_sel:DWORD
	s_mov_b64 s[4:5], -1
                                        ; implicit-def: $sgpr10
	s_and_saveexec_b64 s[8:9], s[12:13]
; %bb.3042:
	s_mov_b32 s10, 0x7f800001
	s_xor_b64 s[4:5], exec, -1
; %bb.3043:
	s_or_b64 exec, exec, s[8:9]
	s_and_b64 s[4:5], s[4:5], exec
	s_or_saveexec_b64 s[6:7], s[6:7]
	v_mov_b32_e32 v2, s10
	s_xor_b64 exec, exec, s[6:7]
	s_cbranch_execz .LBB5_994
.LBB5_3044:
	v_mov_b32_e32 v2, 0
	v_cmp_ne_u16_sdwa s[8:9], v9, v2 src0_sel:BYTE_0 src1_sel:DWORD
	s_andn2_b64 s[4:5], s[4:5], exec
	s_and_b64 s[8:9], s[8:9], exec
	s_or_b64 s[4:5], s[4:5], s[8:9]
	s_or_b64 exec, exec, s[6:7]
	s_and_saveexec_b64 s[6:7], s[4:5]
	s_cbranch_execnz .LBB5_995
	s_branch .LBB5_996
.LBB5_3045:
	s_movk_i32 s4, 0x80
	v_cmp_eq_u16_sdwa s[12:13], v5, s4 src0_sel:BYTE_0 src1_sel:DWORD
	s_mov_b64 s[4:5], -1
                                        ; implicit-def: $sgpr10
	s_and_saveexec_b64 s[8:9], s[12:13]
; %bb.3046:
	s_mov_b32 s10, 0x7f800001
	s_xor_b64 s[4:5], exec, -1
; %bb.3047:
	s_or_b64 exec, exec, s[8:9]
	s_and_b64 s[4:5], s[4:5], exec
	s_or_saveexec_b64 s[6:7], s[6:7]
	v_mov_b32_e32 v3, s10
	s_xor_b64 exec, exec, s[6:7]
	s_cbranch_execz .LBB5_998
.LBB5_3048:
	v_mov_b32_e32 v3, 0
	v_cmp_ne_u16_sdwa s[8:9], v5, v3 src0_sel:BYTE_0 src1_sel:DWORD
	s_andn2_b64 s[4:5], s[4:5], exec
	s_and_b64 s[8:9], s[8:9], exec
	s_or_b64 s[4:5], s[4:5], s[8:9]
	s_or_b64 exec, exec, s[6:7]
	s_and_saveexec_b64 s[6:7], s[4:5]
	s_cbranch_execnz .LBB5_999
	s_branch .LBB5_1000
.LBB5_3049:
	s_movk_i32 s4, 0x80
	v_cmp_eq_u16_sdwa s[12:13], v3, s4 src0_sel:BYTE_0 src1_sel:DWORD
	s_mov_b64 s[4:5], -1
                                        ; implicit-def: $sgpr10
	s_and_saveexec_b64 s[8:9], s[12:13]
; %bb.3050:
	s_mov_b32 s10, 0x7f800001
	s_xor_b64 s[4:5], exec, -1
; %bb.3051:
	s_or_b64 exec, exec, s[8:9]
	s_and_b64 s[4:5], s[4:5], exec
	s_or_saveexec_b64 s[6:7], s[6:7]
	v_mov_b32_e32 v2, s10
	s_xor_b64 exec, exec, s[6:7]
	s_cbranch_execz .LBB5_1002
.LBB5_3052:
	v_mov_b32_e32 v2, 0
	v_cmp_ne_u16_sdwa s[8:9], v3, v2 src0_sel:BYTE_0 src1_sel:DWORD
	s_andn2_b64 s[4:5], s[4:5], exec
	s_and_b64 s[8:9], s[8:9], exec
	s_or_b64 s[4:5], s[4:5], s[8:9]
	s_or_b64 exec, exec, s[6:7]
	s_and_saveexec_b64 s[6:7], s[4:5]
	s_cbranch_execnz .LBB5_1003
	s_branch .LBB5_1004
.LBB5_3053:
	s_movk_i32 s4, 0x80
	v_cmp_eq_u16_sdwa s[12:13], v3, s4 src0_sel:BYTE_0 src1_sel:DWORD
	s_mov_b64 s[4:5], -1
                                        ; implicit-def: $sgpr10
	s_and_saveexec_b64 s[8:9], s[12:13]
; %bb.3054:
	s_mov_b32 s10, 0x7f800001
	s_xor_b64 s[4:5], exec, -1
; %bb.3055:
	s_or_b64 exec, exec, s[8:9]
	s_and_b64 s[4:5], s[4:5], exec
	s_or_saveexec_b64 s[6:7], s[6:7]
	v_mov_b32_e32 v4, s10
	s_xor_b64 exec, exec, s[6:7]
	s_cbranch_execz .LBB5_1006
.LBB5_3056:
	v_mov_b32_e32 v4, 0
	v_cmp_ne_u16_sdwa s[8:9], v3, v4 src0_sel:BYTE_0 src1_sel:DWORD
	s_andn2_b64 s[4:5], s[4:5], exec
	s_and_b64 s[8:9], s[8:9], exec
	s_or_b64 s[4:5], s[4:5], s[8:9]
	s_or_b64 exec, exec, s[6:7]
	s_and_saveexec_b64 s[6:7], s[4:5]
	s_cbranch_execnz .LBB5_1007
	s_branch .LBB5_1008
.LBB5_3057:
	s_movk_i32 s4, 0x80
	v_cmp_eq_u16_e32 vcc, s4, v3
	s_mov_b64 s[4:5], -1
                                        ; implicit-def: $sgpr10
	s_and_saveexec_b64 s[8:9], vcc
; %bb.3058:
	s_mov_b32 s10, 0x7f800001
	s_xor_b64 s[4:5], exec, -1
; %bb.3059:
	s_or_b64 exec, exec, s[8:9]
	s_and_b64 s[4:5], s[4:5], exec
                                        ; implicit-def: $vgpr3
	s_or_saveexec_b64 s[6:7], s[6:7]
	v_mov_b32_e32 v2, s10
	s_xor_b64 exec, exec, s[6:7]
	s_cbranch_execz .LBB5_1010
.LBB5_3060:
	v_cmp_ne_u16_e32 vcc, 0, v3
	s_andn2_b64 s[4:5], s[4:5], exec
	s_and_b64 s[8:9], vcc, exec
	v_mov_b32_e32 v2, 0
	s_or_b64 s[4:5], s[4:5], s[8:9]
	s_or_b64 exec, exec, s[6:7]
	s_and_saveexec_b64 s[6:7], s[4:5]
	s_cbranch_execnz .LBB5_1011
	s_branch .LBB5_1012
.LBB5_3061:
	s_movk_i32 s4, 0x80
	v_cmp_eq_u16_e32 vcc, s4, v3
	s_mov_b64 s[4:5], -1
                                        ; implicit-def: $sgpr10
	s_and_saveexec_b64 s[8:9], vcc
; %bb.3062:
	s_mov_b32 s10, 0x7f800001
	s_xor_b64 s[4:5], exec, -1
; %bb.3063:
	s_or_b64 exec, exec, s[8:9]
	s_and_b64 s[4:5], s[4:5], exec
                                        ; implicit-def: $vgpr3
	s_or_saveexec_b64 s[6:7], s[6:7]
	v_mov_b32_e32 v4, s10
	s_xor_b64 exec, exec, s[6:7]
	s_cbranch_execz .LBB5_1014
.LBB5_3064:
	v_cmp_ne_u16_e32 vcc, 0, v3
	s_andn2_b64 s[4:5], s[4:5], exec
	s_and_b64 s[8:9], vcc, exec
	v_mov_b32_e32 v4, 0
	s_or_b64 s[4:5], s[4:5], s[8:9]
	s_or_b64 exec, exec, s[6:7]
	s_and_saveexec_b64 s[6:7], s[4:5]
	s_cbranch_execnz .LBB5_1015
	s_branch .LBB5_1016
.LBB5_3065:
	s_movk_i32 s4, 0x80
	v_cmp_eq_u16_sdwa s[12:13], v9, s4 src0_sel:BYTE_3 src1_sel:DWORD
	s_mov_b64 s[4:5], -1
                                        ; implicit-def: $sgpr10
	s_and_saveexec_b64 s[8:9], s[12:13]
; %bb.3066:
	s_mov_b32 s10, 0x7f800001
	s_xor_b64 s[4:5], exec, -1
; %bb.3067:
	s_or_b64 exec, exec, s[8:9]
	s_and_b64 s[4:5], s[4:5], exec
	s_or_saveexec_b64 s[6:7], s[6:7]
	v_mov_b32_e32 v2, s10
	s_xor_b64 exec, exec, s[6:7]
	s_cbranch_execz .LBB5_1018
.LBB5_3068:
	v_mov_b32_e32 v2, 0
	v_cmp_ne_u16_sdwa s[8:9], v9, v2 src0_sel:BYTE_3 src1_sel:DWORD
	s_andn2_b64 s[4:5], s[4:5], exec
	s_and_b64 s[8:9], s[8:9], exec
	s_or_b64 s[4:5], s[4:5], s[8:9]
	s_or_b64 exec, exec, s[6:7]
	s_and_saveexec_b64 s[6:7], s[4:5]
	s_cbranch_execnz .LBB5_1019
	s_branch .LBB5_1020
.LBB5_3069:
	s_movk_i32 s4, 0x80
	v_cmp_eq_u16_sdwa s[12:13], v5, s4 src0_sel:BYTE_3 src1_sel:DWORD
	s_mov_b64 s[4:5], -1
                                        ; implicit-def: $sgpr10
	s_and_saveexec_b64 s[8:9], s[12:13]
; %bb.3070:
	s_mov_b32 s10, 0x7f800001
	s_xor_b64 s[4:5], exec, -1
; %bb.3071:
	s_or_b64 exec, exec, s[8:9]
	s_and_b64 s[4:5], s[4:5], exec
	s_or_saveexec_b64 s[6:7], s[6:7]
	v_mov_b32_e32 v3, s10
	s_xor_b64 exec, exec, s[6:7]
	s_cbranch_execz .LBB5_1022
.LBB5_3072:
	v_mov_b32_e32 v3, 0
	v_cmp_ne_u16_sdwa s[8:9], v5, v3 src0_sel:BYTE_3 src1_sel:DWORD
	s_andn2_b64 s[4:5], s[4:5], exec
	s_and_b64 s[8:9], s[8:9], exec
	s_or_b64 s[4:5], s[4:5], s[8:9]
	s_or_b64 exec, exec, s[6:7]
	s_and_saveexec_b64 s[6:7], s[4:5]
	s_cbranch_execnz .LBB5_1023
	s_branch .LBB5_1024
.LBB5_3073:
	s_movk_i32 s4, 0x80
	v_cmp_eq_u16_sdwa s[12:13], v6, s4 src0_sel:BYTE_0 src1_sel:DWORD
	s_mov_b64 s[4:5], -1
                                        ; implicit-def: $sgpr10
	s_and_saveexec_b64 s[8:9], s[12:13]
; %bb.3074:
	s_mov_b32 s10, 0x7f800001
	s_xor_b64 s[4:5], exec, -1
; %bb.3075:
	s_or_b64 exec, exec, s[8:9]
	s_and_b64 s[4:5], s[4:5], exec
	s_or_saveexec_b64 s[6:7], s[6:7]
	v_mov_b32_e32 v12, s10
	s_xor_b64 exec, exec, s[6:7]
	s_cbranch_execz .LBB5_1026
.LBB5_3076:
	v_mov_b32_e32 v12, 0
	v_cmp_ne_u16_sdwa s[8:9], v6, v12 src0_sel:BYTE_0 src1_sel:DWORD
	s_andn2_b64 s[4:5], s[4:5], exec
	s_and_b64 s[8:9], s[8:9], exec
	s_or_b64 s[4:5], s[4:5], s[8:9]
	s_or_b64 exec, exec, s[6:7]
	s_and_saveexec_b64 s[6:7], s[4:5]
	s_cbranch_execnz .LBB5_1027
	s_branch .LBB5_1028
.LBB5_3077:
	s_movk_i32 s4, 0x80
	v_cmp_eq_u16_sdwa s[12:13], v2, s4 src0_sel:BYTE_0 src1_sel:DWORD
	s_mov_b64 s[4:5], -1
                                        ; implicit-def: $sgpr10
	s_and_saveexec_b64 s[8:9], s[12:13]
; %bb.3078:
	s_mov_b32 s10, 0x7f800001
	s_xor_b64 s[4:5], exec, -1
; %bb.3079:
	s_or_b64 exec, exec, s[8:9]
	s_and_b64 s[4:5], s[4:5], exec
	s_or_saveexec_b64 s[6:7], s[6:7]
	v_mov_b32_e32 v13, s10
	s_xor_b64 exec, exec, s[6:7]
	s_cbranch_execz .LBB5_1030
.LBB5_3080:
	v_mov_b32_e32 v13, 0
	v_cmp_ne_u16_sdwa s[8:9], v2, v13 src0_sel:BYTE_0 src1_sel:DWORD
	s_andn2_b64 s[4:5], s[4:5], exec
	s_and_b64 s[8:9], s[8:9], exec
	s_or_b64 s[4:5], s[4:5], s[8:9]
	s_or_b64 exec, exec, s[6:7]
	s_and_saveexec_b64 s[6:7], s[4:5]
	s_cbranch_execnz .LBB5_1031
	s_branch .LBB5_1032
.LBB5_3081:
	s_movk_i32 s4, 0x80
	v_cmp_eq_u16_sdwa s[12:13], v13, s4 src0_sel:BYTE_0 src1_sel:DWORD
	s_mov_b64 s[4:5], -1
                                        ; implicit-def: $sgpr10
	s_and_saveexec_b64 s[8:9], s[12:13]
; %bb.3082:
	s_mov_b32 s10, 0x7f800001
	s_xor_b64 s[4:5], exec, -1
; %bb.3083:
	s_or_b64 exec, exec, s[8:9]
	s_and_b64 s[4:5], s[4:5], exec
	s_or_saveexec_b64 s[6:7], s[6:7]
	v_mov_b32_e32 v12, s10
	s_xor_b64 exec, exec, s[6:7]
	s_cbranch_execz .LBB5_1034
.LBB5_3084:
	v_mov_b32_e32 v12, 0
	v_cmp_ne_u16_sdwa s[8:9], v13, v12 src0_sel:BYTE_0 src1_sel:DWORD
	s_andn2_b64 s[4:5], s[4:5], exec
	s_and_b64 s[8:9], s[8:9], exec
	s_or_b64 s[4:5], s[4:5], s[8:9]
	s_or_b64 exec, exec, s[6:7]
	s_and_saveexec_b64 s[6:7], s[4:5]
	s_cbranch_execnz .LBB5_1035
	s_branch .LBB5_1036
.LBB5_3085:
	s_movk_i32 s4, 0x80
	v_cmp_eq_u16_sdwa s[12:13], v13, s4 src0_sel:BYTE_0 src1_sel:DWORD
	s_mov_b64 s[4:5], -1
                                        ; implicit-def: $sgpr10
	s_and_saveexec_b64 s[8:9], s[12:13]
; %bb.3086:
	s_mov_b32 s10, 0x7f800001
	s_xor_b64 s[4:5], exec, -1
; %bb.3087:
	s_or_b64 exec, exec, s[8:9]
	s_and_b64 s[4:5], s[4:5], exec
	s_or_saveexec_b64 s[6:7], s[6:7]
	v_mov_b32_e32 v14, s10
	s_xor_b64 exec, exec, s[6:7]
	s_cbranch_execz .LBB5_1038
.LBB5_3088:
	v_mov_b32_e32 v14, 0
	v_cmp_ne_u16_sdwa s[8:9], v13, v14 src0_sel:BYTE_0 src1_sel:DWORD
	s_andn2_b64 s[4:5], s[4:5], exec
	s_and_b64 s[8:9], s[8:9], exec
	s_or_b64 s[4:5], s[4:5], s[8:9]
	s_or_b64 exec, exec, s[6:7]
	s_and_saveexec_b64 s[6:7], s[4:5]
	s_cbranch_execnz .LBB5_1039
	s_branch .LBB5_1040
.LBB5_3089:
	s_movk_i32 s4, 0x80
	v_cmp_eq_u16_e32 vcc, s4, v13
	s_mov_b64 s[4:5], -1
                                        ; implicit-def: $sgpr10
	s_and_saveexec_b64 s[8:9], vcc
; %bb.3090:
	s_mov_b32 s10, 0x7f800001
	s_xor_b64 s[4:5], exec, -1
; %bb.3091:
	s_or_b64 exec, exec, s[8:9]
	s_and_b64 s[4:5], s[4:5], exec
                                        ; implicit-def: $vgpr13
	s_or_saveexec_b64 s[6:7], s[6:7]
	v_mov_b32_e32 v12, s10
	s_xor_b64 exec, exec, s[6:7]
	s_cbranch_execz .LBB5_1042
.LBB5_3092:
	v_cmp_ne_u16_e32 vcc, 0, v13
	s_andn2_b64 s[4:5], s[4:5], exec
	s_and_b64 s[8:9], vcc, exec
	v_mov_b32_e32 v12, 0
	s_or_b64 s[4:5], s[4:5], s[8:9]
	s_or_b64 exec, exec, s[6:7]
	s_and_saveexec_b64 s[6:7], s[4:5]
	s_cbranch_execnz .LBB5_1043
	s_branch .LBB5_1044
.LBB5_3093:
	s_movk_i32 s4, 0x80
	v_cmp_eq_u16_e32 vcc, s4, v13
	s_mov_b64 s[4:5], -1
                                        ; implicit-def: $sgpr10
	s_and_saveexec_b64 s[8:9], vcc
; %bb.3094:
	s_mov_b32 s10, 0x7f800001
	s_xor_b64 s[4:5], exec, -1
; %bb.3095:
	s_or_b64 exec, exec, s[8:9]
	s_and_b64 s[4:5], s[4:5], exec
                                        ; implicit-def: $vgpr13
	s_or_saveexec_b64 s[6:7], s[6:7]
	v_mov_b32_e32 v14, s10
	s_xor_b64 exec, exec, s[6:7]
	s_cbranch_execz .LBB5_1046
.LBB5_3096:
	v_cmp_ne_u16_e32 vcc, 0, v13
	s_andn2_b64 s[4:5], s[4:5], exec
	s_and_b64 s[8:9], vcc, exec
	v_mov_b32_e32 v14, 0
	s_or_b64 s[4:5], s[4:5], s[8:9]
	s_or_b64 exec, exec, s[6:7]
	s_and_saveexec_b64 s[6:7], s[4:5]
	s_cbranch_execnz .LBB5_1047
	s_branch .LBB5_1048
.LBB5_3097:
	s_movk_i32 s4, 0x80
	v_cmp_eq_u16_sdwa s[12:13], v6, s4 src0_sel:BYTE_3 src1_sel:DWORD
	s_mov_b64 s[4:5], -1
                                        ; implicit-def: $sgpr10
	s_and_saveexec_b64 s[8:9], s[12:13]
; %bb.3098:
	s_mov_b32 s10, 0x7f800001
	s_xor_b64 s[4:5], exec, -1
; %bb.3099:
	s_or_b64 exec, exec, s[8:9]
	s_and_b64 s[4:5], s[4:5], exec
	s_or_saveexec_b64 s[6:7], s[6:7]
	v_mov_b32_e32 v12, s10
	s_xor_b64 exec, exec, s[6:7]
	s_cbranch_execz .LBB5_1050
.LBB5_3100:
	v_mov_b32_e32 v12, 0
	v_cmp_ne_u16_sdwa s[8:9], v6, v12 src0_sel:BYTE_3 src1_sel:DWORD
	s_andn2_b64 s[4:5], s[4:5], exec
	s_and_b64 s[8:9], s[8:9], exec
	s_or_b64 s[4:5], s[4:5], s[8:9]
	s_or_b64 exec, exec, s[6:7]
	s_and_saveexec_b64 s[6:7], s[4:5]
	s_cbranch_execnz .LBB5_1051
	s_branch .LBB5_1052
.LBB5_3101:
	s_movk_i32 s4, 0x80
	v_cmp_eq_u16_sdwa s[12:13], v2, s4 src0_sel:BYTE_3 src1_sel:DWORD
	s_mov_b64 s[4:5], -1
                                        ; implicit-def: $sgpr10
	s_and_saveexec_b64 s[8:9], s[12:13]
; %bb.3102:
	s_mov_b32 s10, 0x7f800001
	s_xor_b64 s[4:5], exec, -1
; %bb.3103:
	s_or_b64 exec, exec, s[8:9]
	s_and_b64 s[4:5], s[4:5], exec
	s_or_saveexec_b64 s[6:7], s[6:7]
	v_mov_b32_e32 v6, s10
	s_xor_b64 exec, exec, s[6:7]
	s_cbranch_execz .LBB5_1054
.LBB5_3104:
	v_mov_b32_e32 v6, 0
	v_cmp_ne_u16_sdwa s[8:9], v2, v6 src0_sel:BYTE_3 src1_sel:DWORD
	s_andn2_b64 s[4:5], s[4:5], exec
	s_and_b64 s[8:9], s[8:9], exec
	s_or_b64 s[4:5], s[4:5], s[8:9]
	s_or_b64 exec, exec, s[6:7]
	s_and_saveexec_b64 s[6:7], s[4:5]
	s_cbranch_execnz .LBB5_1055
	s_branch .LBB5_1056
.LBB5_3105:
	s_movk_i32 s4, 0x80
	v_cmp_eq_u16_sdwa s[12:13], v7, s4 src0_sel:BYTE_0 src1_sel:DWORD
	s_mov_b64 s[4:5], -1
                                        ; implicit-def: $sgpr10
	s_and_saveexec_b64 s[8:9], s[12:13]
; %bb.3106:
	s_mov_b32 s10, 0x7f800001
	s_xor_b64 s[4:5], exec, -1
; %bb.3107:
	s_or_b64 exec, exec, s[8:9]
	s_and_b64 s[4:5], s[4:5], exec
	s_or_saveexec_b64 s[6:7], s[6:7]
	v_mov_b32_e32 v2, s10
	s_xor_b64 exec, exec, s[6:7]
	s_cbranch_execz .LBB5_1058
.LBB5_3108:
	v_mov_b32_e32 v2, 0
	v_cmp_ne_u16_sdwa s[8:9], v7, v2 src0_sel:BYTE_0 src1_sel:DWORD
	s_andn2_b64 s[4:5], s[4:5], exec
	s_and_b64 s[8:9], s[8:9], exec
	s_or_b64 s[4:5], s[4:5], s[8:9]
	s_or_b64 exec, exec, s[6:7]
	s_and_saveexec_b64 s[6:7], s[4:5]
	s_cbranch_execnz .LBB5_1059
	s_branch .LBB5_1060
.LBB5_3109:
	s_movk_i32 s4, 0x80
	v_cmp_eq_u16_sdwa s[12:13], v3, s4 src0_sel:BYTE_0 src1_sel:DWORD
	s_mov_b64 s[4:5], -1
                                        ; implicit-def: $sgpr10
	s_and_saveexec_b64 s[8:9], s[12:13]
; %bb.3110:
	s_mov_b32 s10, 0x7f800001
	s_xor_b64 s[4:5], exec, -1
; %bb.3111:
	s_or_b64 exec, exec, s[8:9]
	s_and_b64 s[4:5], s[4:5], exec
	s_or_saveexec_b64 s[6:7], s[6:7]
	v_mov_b32_e32 v6, s10
	s_xor_b64 exec, exec, s[6:7]
	s_cbranch_execz .LBB5_1062
.LBB5_3112:
	v_mov_b32_e32 v6, 0
	v_cmp_ne_u16_sdwa s[8:9], v3, v6 src0_sel:BYTE_0 src1_sel:DWORD
	s_andn2_b64 s[4:5], s[4:5], exec
	s_and_b64 s[8:9], s[8:9], exec
	s_or_b64 s[4:5], s[4:5], s[8:9]
	s_or_b64 exec, exec, s[6:7]
	s_and_saveexec_b64 s[6:7], s[4:5]
	s_cbranch_execnz .LBB5_1063
	s_branch .LBB5_1064
.LBB5_3113:
	s_movk_i32 s4, 0x80
	v_cmp_eq_u16_sdwa s[12:13], v6, s4 src0_sel:BYTE_0 src1_sel:DWORD
	s_mov_b64 s[4:5], -1
                                        ; implicit-def: $sgpr10
	s_and_saveexec_b64 s[8:9], s[12:13]
; %bb.3114:
	s_mov_b32 s10, 0x7f800001
	s_xor_b64 s[4:5], exec, -1
; %bb.3115:
	s_or_b64 exec, exec, s[8:9]
	s_and_b64 s[4:5], s[4:5], exec
	s_or_saveexec_b64 s[6:7], s[6:7]
	v_mov_b32_e32 v2, s10
	s_xor_b64 exec, exec, s[6:7]
	s_cbranch_execz .LBB5_1066
.LBB5_3116:
	v_mov_b32_e32 v2, 0
	v_cmp_ne_u16_sdwa s[8:9], v6, v2 src0_sel:BYTE_0 src1_sel:DWORD
	s_andn2_b64 s[4:5], s[4:5], exec
	s_and_b64 s[8:9], s[8:9], exec
	s_or_b64 s[4:5], s[4:5], s[8:9]
	s_or_b64 exec, exec, s[6:7]
	s_and_saveexec_b64 s[6:7], s[4:5]
	s_cbranch_execnz .LBB5_1067
	s_branch .LBB5_1068
.LBB5_3117:
	s_movk_i32 s4, 0x80
	v_cmp_eq_u16_sdwa s[12:13], v6, s4 src0_sel:BYTE_0 src1_sel:DWORD
	s_mov_b64 s[4:5], -1
                                        ; implicit-def: $sgpr10
	s_and_saveexec_b64 s[8:9], s[12:13]
; %bb.3118:
	s_mov_b32 s10, 0x7f800001
	s_xor_b64 s[4:5], exec, -1
; %bb.3119:
	s_or_b64 exec, exec, s[8:9]
	s_and_b64 s[4:5], s[4:5], exec
	s_or_saveexec_b64 s[6:7], s[6:7]
	v_mov_b32_e32 v12, s10
	s_xor_b64 exec, exec, s[6:7]
	s_cbranch_execz .LBB5_1070
.LBB5_3120:
	v_mov_b32_e32 v12, 0
	v_cmp_ne_u16_sdwa s[8:9], v6, v12 src0_sel:BYTE_0 src1_sel:DWORD
	s_andn2_b64 s[4:5], s[4:5], exec
	s_and_b64 s[8:9], s[8:9], exec
	s_or_b64 s[4:5], s[4:5], s[8:9]
	s_or_b64 exec, exec, s[6:7]
	s_and_saveexec_b64 s[6:7], s[4:5]
	s_cbranch_execnz .LBB5_1071
	s_branch .LBB5_1072
.LBB5_3121:
	s_movk_i32 s4, 0x80
	v_cmp_eq_u16_e32 vcc, s4, v6
	s_mov_b64 s[4:5], -1
                                        ; implicit-def: $sgpr10
	s_and_saveexec_b64 s[8:9], vcc
; %bb.3122:
	s_mov_b32 s10, 0x7f800001
	s_xor_b64 s[4:5], exec, -1
; %bb.3123:
	s_or_b64 exec, exec, s[8:9]
	s_and_b64 s[4:5], s[4:5], exec
                                        ; implicit-def: $vgpr6
	s_or_saveexec_b64 s[6:7], s[6:7]
	v_mov_b32_e32 v2, s10
	s_xor_b64 exec, exec, s[6:7]
	s_cbranch_execz .LBB5_1074
.LBB5_3124:
	v_cmp_ne_u16_e32 vcc, 0, v6
	s_andn2_b64 s[4:5], s[4:5], exec
	s_and_b64 s[8:9], vcc, exec
	v_mov_b32_e32 v2, 0
	s_or_b64 s[4:5], s[4:5], s[8:9]
	s_or_b64 exec, exec, s[6:7]
	s_and_saveexec_b64 s[6:7], s[4:5]
	s_cbranch_execnz .LBB5_1075
	s_branch .LBB5_1076
.LBB5_3125:
	s_movk_i32 s4, 0x80
	v_cmp_eq_u16_e32 vcc, s4, v6
	s_mov_b64 s[4:5], -1
                                        ; implicit-def: $sgpr10
	s_and_saveexec_b64 s[8:9], vcc
; %bb.3126:
	s_mov_b32 s10, 0x7f800001
	s_xor_b64 s[4:5], exec, -1
; %bb.3127:
	s_or_b64 exec, exec, s[8:9]
	s_and_b64 s[4:5], s[4:5], exec
                                        ; implicit-def: $vgpr6
	s_or_saveexec_b64 s[6:7], s[6:7]
	v_mov_b32_e32 v12, s10
	s_xor_b64 exec, exec, s[6:7]
	s_cbranch_execz .LBB5_1078
.LBB5_3128:
	v_cmp_ne_u16_e32 vcc, 0, v6
	s_andn2_b64 s[4:5], s[4:5], exec
	s_and_b64 s[8:9], vcc, exec
	v_mov_b32_e32 v12, 0
	s_or_b64 s[4:5], s[4:5], s[8:9]
	s_or_b64 exec, exec, s[6:7]
	s_and_saveexec_b64 s[6:7], s[4:5]
	s_cbranch_execnz .LBB5_1079
	s_branch .LBB5_1080
.LBB5_3129:
	s_movk_i32 s4, 0x80
	v_cmp_eq_u16_sdwa s[12:13], v7, s4 src0_sel:BYTE_3 src1_sel:DWORD
	s_mov_b64 s[4:5], -1
                                        ; implicit-def: $sgpr10
	s_and_saveexec_b64 s[8:9], s[12:13]
; %bb.3130:
	s_mov_b32 s10, 0x7f800001
	s_xor_b64 s[4:5], exec, -1
; %bb.3131:
	s_or_b64 exec, exec, s[8:9]
	s_and_b64 s[4:5], s[4:5], exec
	s_or_saveexec_b64 s[6:7], s[6:7]
	v_mov_b32_e32 v2, s10
	s_xor_b64 exec, exec, s[6:7]
	s_cbranch_execz .LBB5_1082
.LBB5_3132:
	v_mov_b32_e32 v2, 0
	v_cmp_ne_u16_sdwa s[8:9], v7, v2 src0_sel:BYTE_3 src1_sel:DWORD
	s_andn2_b64 s[4:5], s[4:5], exec
	s_and_b64 s[8:9], s[8:9], exec
	s_or_b64 s[4:5], s[4:5], s[8:9]
	s_or_b64 exec, exec, s[6:7]
	s_and_saveexec_b64 s[6:7], s[4:5]
	s_cbranch_execnz .LBB5_1083
	s_branch .LBB5_1084
.LBB5_3133:
	s_movk_i32 s4, 0x80
	v_cmp_eq_u16_sdwa s[12:13], v3, s4 src0_sel:BYTE_3 src1_sel:DWORD
	s_mov_b64 s[4:5], -1
                                        ; implicit-def: $sgpr10
	s_and_saveexec_b64 s[8:9], s[12:13]
; %bb.3134:
	s_mov_b32 s10, 0x7f800001
	s_xor_b64 s[4:5], exec, -1
; %bb.3135:
	s_or_b64 exec, exec, s[8:9]
	s_and_b64 s[4:5], s[4:5], exec
	s_or_saveexec_b64 s[6:7], s[6:7]
	v_mov_b32_e32 v6, s10
	s_xor_b64 exec, exec, s[6:7]
	s_cbranch_execz .LBB5_1086
.LBB5_3136:
	v_mov_b32_e32 v6, 0
	v_cmp_ne_u16_sdwa s[8:9], v3, v6 src0_sel:BYTE_3 src1_sel:DWORD
	s_andn2_b64 s[4:5], s[4:5], exec
	s_and_b64 s[8:9], s[8:9], exec
	s_or_b64 s[4:5], s[4:5], s[8:9]
	s_or_b64 exec, exec, s[6:7]
	s_and_saveexec_b64 s[6:7], s[4:5]
	s_cbranch_execnz .LBB5_1087
	s_branch .LBB5_1088
.LBB5_3137:
	s_movk_i32 s4, 0x80
	v_cmp_eq_u16_sdwa s[12:13], v8, s4 src0_sel:BYTE_0 src1_sel:DWORD
	s_mov_b64 s[4:5], -1
                                        ; implicit-def: $sgpr10
	s_and_saveexec_b64 s[8:9], s[12:13]
; %bb.3138:
	s_mov_b32 s10, 0x7f800001
	s_xor_b64 s[4:5], exec, -1
; %bb.3139:
	s_or_b64 exec, exec, s[8:9]
	s_and_b64 s[4:5], s[4:5], exec
	s_or_saveexec_b64 s[6:7], s[6:7]
	v_mov_b32_e32 v2, s10
	s_xor_b64 exec, exec, s[6:7]
	s_cbranch_execz .LBB5_1090
.LBB5_3140:
	v_mov_b32_e32 v2, 0
	v_cmp_ne_u16_sdwa s[8:9], v8, v2 src0_sel:BYTE_0 src1_sel:DWORD
	s_andn2_b64 s[4:5], s[4:5], exec
	s_and_b64 s[8:9], s[8:9], exec
	s_or_b64 s[4:5], s[4:5], s[8:9]
	s_or_b64 exec, exec, s[6:7]
	s_and_saveexec_b64 s[6:7], s[4:5]
	s_cbranch_execnz .LBB5_1091
	s_branch .LBB5_1092
.LBB5_3141:
	s_movk_i32 s4, 0x80
	v_cmp_eq_u16_sdwa s[12:13], v4, s4 src0_sel:BYTE_0 src1_sel:DWORD
	s_mov_b64 s[4:5], -1
                                        ; implicit-def: $sgpr10
	s_and_saveexec_b64 s[8:9], s[12:13]
; %bb.3142:
	s_mov_b32 s10, 0x7f800001
	s_xor_b64 s[4:5], exec, -1
; %bb.3143:
	s_or_b64 exec, exec, s[8:9]
	s_and_b64 s[4:5], s[4:5], exec
	s_or_saveexec_b64 s[6:7], s[6:7]
	v_mov_b32_e32 v3, s10
	s_xor_b64 exec, exec, s[6:7]
	s_cbranch_execz .LBB5_1094
.LBB5_3144:
	v_mov_b32_e32 v3, 0
	v_cmp_ne_u16_sdwa s[8:9], v4, v3 src0_sel:BYTE_0 src1_sel:DWORD
	s_andn2_b64 s[4:5], s[4:5], exec
	s_and_b64 s[8:9], s[8:9], exec
	s_or_b64 s[4:5], s[4:5], s[8:9]
	s_or_b64 exec, exec, s[6:7]
	s_and_saveexec_b64 s[6:7], s[4:5]
	s_cbranch_execnz .LBB5_1095
	s_branch .LBB5_1096
.LBB5_3145:
	s_movk_i32 s4, 0x80
	v_cmp_eq_u16_sdwa s[12:13], v3, s4 src0_sel:BYTE_0 src1_sel:DWORD
	s_mov_b64 s[4:5], -1
                                        ; implicit-def: $sgpr10
	s_and_saveexec_b64 s[8:9], s[12:13]
; %bb.3146:
	s_mov_b32 s10, 0x7f800001
	s_xor_b64 s[4:5], exec, -1
; %bb.3147:
	s_or_b64 exec, exec, s[8:9]
	s_and_b64 s[4:5], s[4:5], exec
	s_or_saveexec_b64 s[6:7], s[6:7]
	v_mov_b32_e32 v2, s10
	s_xor_b64 exec, exec, s[6:7]
	s_cbranch_execz .LBB5_1098
.LBB5_3148:
	v_mov_b32_e32 v2, 0
	v_cmp_ne_u16_sdwa s[8:9], v3, v2 src0_sel:BYTE_0 src1_sel:DWORD
	s_andn2_b64 s[4:5], s[4:5], exec
	s_and_b64 s[8:9], s[8:9], exec
	s_or_b64 s[4:5], s[4:5], s[8:9]
	s_or_b64 exec, exec, s[6:7]
	s_and_saveexec_b64 s[6:7], s[4:5]
	s_cbranch_execnz .LBB5_1099
	s_branch .LBB5_1100
.LBB5_3149:
	s_movk_i32 s4, 0x80
	v_cmp_eq_u16_sdwa s[12:13], v3, s4 src0_sel:BYTE_0 src1_sel:DWORD
	s_mov_b64 s[4:5], -1
                                        ; implicit-def: $sgpr10
	s_and_saveexec_b64 s[8:9], s[12:13]
; %bb.3150:
	s_mov_b32 s10, 0x7f800001
	s_xor_b64 s[4:5], exec, -1
; %bb.3151:
	s_or_b64 exec, exec, s[8:9]
	s_and_b64 s[4:5], s[4:5], exec
	s_or_saveexec_b64 s[6:7], s[6:7]
	v_mov_b32_e32 v6, s10
	s_xor_b64 exec, exec, s[6:7]
	s_cbranch_execz .LBB5_1102
.LBB5_3152:
	v_mov_b32_e32 v6, 0
	v_cmp_ne_u16_sdwa s[8:9], v3, v6 src0_sel:BYTE_0 src1_sel:DWORD
	s_andn2_b64 s[4:5], s[4:5], exec
	s_and_b64 s[8:9], s[8:9], exec
	s_or_b64 s[4:5], s[4:5], s[8:9]
	s_or_b64 exec, exec, s[6:7]
	s_and_saveexec_b64 s[6:7], s[4:5]
	s_cbranch_execnz .LBB5_1103
	s_branch .LBB5_1104
.LBB5_3153:
	s_movk_i32 s4, 0x80
	v_cmp_eq_u16_e32 vcc, s4, v3
	s_mov_b64 s[4:5], -1
                                        ; implicit-def: $sgpr10
	s_and_saveexec_b64 s[8:9], vcc
; %bb.3154:
	s_mov_b32 s10, 0x7f800001
	s_xor_b64 s[4:5], exec, -1
; %bb.3155:
	s_or_b64 exec, exec, s[8:9]
	s_and_b64 s[4:5], s[4:5], exec
                                        ; implicit-def: $vgpr3
	s_or_saveexec_b64 s[6:7], s[6:7]
	v_mov_b32_e32 v2, s10
	s_xor_b64 exec, exec, s[6:7]
	s_cbranch_execz .LBB5_1106
.LBB5_3156:
	v_cmp_ne_u16_e32 vcc, 0, v3
	s_andn2_b64 s[4:5], s[4:5], exec
	s_and_b64 s[8:9], vcc, exec
	v_mov_b32_e32 v2, 0
	s_or_b64 s[4:5], s[4:5], s[8:9]
	s_or_b64 exec, exec, s[6:7]
	s_and_saveexec_b64 s[6:7], s[4:5]
	s_cbranch_execnz .LBB5_1107
	s_branch .LBB5_1108
.LBB5_3157:
	s_movk_i32 s4, 0x80
	v_cmp_eq_u16_e32 vcc, s4, v3
	s_mov_b64 s[4:5], -1
                                        ; implicit-def: $sgpr10
	s_and_saveexec_b64 s[8:9], vcc
; %bb.3158:
	s_mov_b32 s10, 0x7f800001
	s_xor_b64 s[4:5], exec, -1
; %bb.3159:
	s_or_b64 exec, exec, s[8:9]
	s_and_b64 s[4:5], s[4:5], exec
                                        ; implicit-def: $vgpr3
	s_or_saveexec_b64 s[6:7], s[6:7]
	v_mov_b32_e32 v6, s10
	s_xor_b64 exec, exec, s[6:7]
	s_cbranch_execz .LBB5_1110
.LBB5_3160:
	v_cmp_ne_u16_e32 vcc, 0, v3
	s_andn2_b64 s[4:5], s[4:5], exec
	s_and_b64 s[8:9], vcc, exec
	v_mov_b32_e32 v6, 0
	s_or_b64 s[4:5], s[4:5], s[8:9]
	s_or_b64 exec, exec, s[6:7]
	s_and_saveexec_b64 s[6:7], s[4:5]
	s_cbranch_execnz .LBB5_1111
	s_branch .LBB5_1112
.LBB5_3161:
	s_movk_i32 s4, 0x80
	v_cmp_eq_u16_sdwa s[12:13], v8, s4 src0_sel:BYTE_3 src1_sel:DWORD
	s_mov_b64 s[4:5], -1
                                        ; implicit-def: $sgpr10
	s_and_saveexec_b64 s[8:9], s[12:13]
; %bb.3162:
	s_mov_b32 s10, 0x7f800001
	s_xor_b64 s[4:5], exec, -1
; %bb.3163:
	s_or_b64 exec, exec, s[8:9]
	s_and_b64 s[4:5], s[4:5], exec
	s_or_saveexec_b64 s[6:7], s[6:7]
	v_mov_b32_e32 v2, s10
	s_xor_b64 exec, exec, s[6:7]
	s_cbranch_execz .LBB5_1114
.LBB5_3164:
	v_mov_b32_e32 v2, 0
	v_cmp_ne_u16_sdwa s[8:9], v8, v2 src0_sel:BYTE_3 src1_sel:DWORD
	s_andn2_b64 s[4:5], s[4:5], exec
	s_and_b64 s[8:9], s[8:9], exec
	s_or_b64 s[4:5], s[4:5], s[8:9]
	s_or_b64 exec, exec, s[6:7]
	s_and_saveexec_b64 s[6:7], s[4:5]
	s_cbranch_execnz .LBB5_1115
	s_branch .LBB5_1116
.LBB5_3165:
	s_movk_i32 s4, 0x80
	v_cmp_eq_u16_sdwa s[12:13], v4, s4 src0_sel:BYTE_3 src1_sel:DWORD
	s_mov_b64 s[4:5], -1
                                        ; implicit-def: $sgpr10
	s_and_saveexec_b64 s[8:9], s[12:13]
; %bb.3166:
	s_mov_b32 s10, 0x7f800001
	s_xor_b64 s[4:5], exec, -1
; %bb.3167:
	s_or_b64 exec, exec, s[8:9]
	s_and_b64 s[4:5], s[4:5], exec
	s_or_saveexec_b64 s[6:7], s[6:7]
	v_mov_b32_e32 v3, s10
	s_xor_b64 exec, exec, s[6:7]
	s_cbranch_execz .LBB5_1118
.LBB5_3168:
	v_mov_b32_e32 v3, 0
	v_cmp_ne_u16_sdwa s[8:9], v4, v3 src0_sel:BYTE_3 src1_sel:DWORD
	s_andn2_b64 s[4:5], s[4:5], exec
	s_and_b64 s[8:9], s[8:9], exec
	s_or_b64 s[4:5], s[4:5], s[8:9]
	s_or_b64 exec, exec, s[6:7]
	s_and_saveexec_b64 s[6:7], s[4:5]
	s_cbranch_execnz .LBB5_1119
	s_branch .LBB5_1120
.LBB5_3169:
	s_movk_i32 s4, 0x80
	v_cmp_eq_u16_sdwa s[12:13], v9, s4 src0_sel:BYTE_0 src1_sel:DWORD
	s_mov_b64 s[4:5], -1
                                        ; implicit-def: $sgpr10
	s_and_saveexec_b64 s[8:9], s[12:13]
; %bb.3170:
	s_mov_b32 s10, 0x7f800001
	s_xor_b64 s[4:5], exec, -1
; %bb.3171:
	s_or_b64 exec, exec, s[8:9]
	s_and_b64 s[4:5], s[4:5], exec
	s_or_saveexec_b64 s[6:7], s[6:7]
	v_mov_b32_e32 v2, s10
	s_xor_b64 exec, exec, s[6:7]
	s_cbranch_execz .LBB5_1122
.LBB5_3172:
	v_mov_b32_e32 v2, 0
	v_cmp_ne_u16_sdwa s[8:9], v9, v2 src0_sel:BYTE_0 src1_sel:DWORD
	s_andn2_b64 s[4:5], s[4:5], exec
	s_and_b64 s[8:9], s[8:9], exec
	s_or_b64 s[4:5], s[4:5], s[8:9]
	s_or_b64 exec, exec, s[6:7]
	s_and_saveexec_b64 s[6:7], s[4:5]
	s_cbranch_execnz .LBB5_1123
	s_branch .LBB5_1124
.LBB5_3173:
	s_movk_i32 s4, 0x80
	v_cmp_eq_u16_sdwa s[12:13], v5, s4 src0_sel:BYTE_0 src1_sel:DWORD
	s_mov_b64 s[4:5], -1
                                        ; implicit-def: $sgpr10
	s_and_saveexec_b64 s[8:9], s[12:13]
; %bb.3174:
	s_mov_b32 s10, 0x7f800001
	s_xor_b64 s[4:5], exec, -1
; %bb.3175:
	s_or_b64 exec, exec, s[8:9]
	s_and_b64 s[4:5], s[4:5], exec
	s_or_saveexec_b64 s[6:7], s[6:7]
	v_mov_b32_e32 v3, s10
	s_xor_b64 exec, exec, s[6:7]
	s_cbranch_execz .LBB5_1126
.LBB5_3176:
	v_mov_b32_e32 v3, 0
	v_cmp_ne_u16_sdwa s[8:9], v5, v3 src0_sel:BYTE_0 src1_sel:DWORD
	s_andn2_b64 s[4:5], s[4:5], exec
	s_and_b64 s[8:9], s[8:9], exec
	s_or_b64 s[4:5], s[4:5], s[8:9]
	s_or_b64 exec, exec, s[6:7]
	s_and_saveexec_b64 s[6:7], s[4:5]
	s_cbranch_execnz .LBB5_1127
	s_branch .LBB5_1128
.LBB5_3177:
	s_movk_i32 s4, 0x80
	v_cmp_eq_u16_sdwa s[12:13], v3, s4 src0_sel:BYTE_0 src1_sel:DWORD
	s_mov_b64 s[4:5], -1
                                        ; implicit-def: $sgpr10
	s_and_saveexec_b64 s[8:9], s[12:13]
; %bb.3178:
	s_mov_b32 s10, 0x7f800001
	s_xor_b64 s[4:5], exec, -1
; %bb.3179:
	s_or_b64 exec, exec, s[8:9]
	s_and_b64 s[4:5], s[4:5], exec
	s_or_saveexec_b64 s[6:7], s[6:7]
	v_mov_b32_e32 v2, s10
	s_xor_b64 exec, exec, s[6:7]
	s_cbranch_execz .LBB5_1130
.LBB5_3180:
	v_mov_b32_e32 v2, 0
	v_cmp_ne_u16_sdwa s[8:9], v3, v2 src0_sel:BYTE_0 src1_sel:DWORD
	s_andn2_b64 s[4:5], s[4:5], exec
	s_and_b64 s[8:9], s[8:9], exec
	s_or_b64 s[4:5], s[4:5], s[8:9]
	s_or_b64 exec, exec, s[6:7]
	s_and_saveexec_b64 s[6:7], s[4:5]
	s_cbranch_execnz .LBB5_1131
	s_branch .LBB5_1132
.LBB5_3181:
	s_movk_i32 s4, 0x80
	v_cmp_eq_u16_sdwa s[12:13], v3, s4 src0_sel:BYTE_0 src1_sel:DWORD
	s_mov_b64 s[4:5], -1
                                        ; implicit-def: $sgpr10
	s_and_saveexec_b64 s[8:9], s[12:13]
; %bb.3182:
	s_mov_b32 s10, 0x7f800001
	s_xor_b64 s[4:5], exec, -1
; %bb.3183:
	s_or_b64 exec, exec, s[8:9]
	s_and_b64 s[4:5], s[4:5], exec
	s_or_saveexec_b64 s[6:7], s[6:7]
	v_mov_b32_e32 v4, s10
	s_xor_b64 exec, exec, s[6:7]
	s_cbranch_execz .LBB5_1134
.LBB5_3184:
	v_mov_b32_e32 v4, 0
	v_cmp_ne_u16_sdwa s[8:9], v3, v4 src0_sel:BYTE_0 src1_sel:DWORD
	s_andn2_b64 s[4:5], s[4:5], exec
	s_and_b64 s[8:9], s[8:9], exec
	s_or_b64 s[4:5], s[4:5], s[8:9]
	s_or_b64 exec, exec, s[6:7]
	s_and_saveexec_b64 s[6:7], s[4:5]
	s_cbranch_execnz .LBB5_1135
	s_branch .LBB5_1136
.LBB5_3185:
	s_movk_i32 s4, 0x80
	v_cmp_eq_u16_e32 vcc, s4, v3
	s_mov_b64 s[4:5], -1
                                        ; implicit-def: $sgpr10
	s_and_saveexec_b64 s[8:9], vcc
; %bb.3186:
	s_mov_b32 s10, 0x7f800001
	s_xor_b64 s[4:5], exec, -1
; %bb.3187:
	s_or_b64 exec, exec, s[8:9]
	s_and_b64 s[4:5], s[4:5], exec
                                        ; implicit-def: $vgpr3
	s_or_saveexec_b64 s[6:7], s[6:7]
	v_mov_b32_e32 v2, s10
	s_xor_b64 exec, exec, s[6:7]
	s_cbranch_execz .LBB5_1138
.LBB5_3188:
	v_cmp_ne_u16_e32 vcc, 0, v3
	s_andn2_b64 s[4:5], s[4:5], exec
	s_and_b64 s[8:9], vcc, exec
	v_mov_b32_e32 v2, 0
	s_or_b64 s[4:5], s[4:5], s[8:9]
	s_or_b64 exec, exec, s[6:7]
	s_and_saveexec_b64 s[6:7], s[4:5]
	s_cbranch_execnz .LBB5_1139
	s_branch .LBB5_1140
.LBB5_3189:
	s_movk_i32 s4, 0x80
	v_cmp_eq_u16_e32 vcc, s4, v3
	s_mov_b64 s[4:5], -1
                                        ; implicit-def: $sgpr10
	s_and_saveexec_b64 s[8:9], vcc
; %bb.3190:
	s_mov_b32 s10, 0x7f800001
	s_xor_b64 s[4:5], exec, -1
; %bb.3191:
	s_or_b64 exec, exec, s[8:9]
	s_and_b64 s[4:5], s[4:5], exec
                                        ; implicit-def: $vgpr3
	s_or_saveexec_b64 s[6:7], s[6:7]
	v_mov_b32_e32 v4, s10
	s_xor_b64 exec, exec, s[6:7]
	s_cbranch_execz .LBB5_1142
.LBB5_3192:
	v_cmp_ne_u16_e32 vcc, 0, v3
	s_andn2_b64 s[4:5], s[4:5], exec
	s_and_b64 s[8:9], vcc, exec
	v_mov_b32_e32 v4, 0
	s_or_b64 s[4:5], s[4:5], s[8:9]
	s_or_b64 exec, exec, s[6:7]
	s_and_saveexec_b64 s[6:7], s[4:5]
	s_cbranch_execnz .LBB5_1143
	s_branch .LBB5_1144
.LBB5_3193:
	s_movk_i32 s4, 0x80
	v_cmp_eq_u16_sdwa s[12:13], v9, s4 src0_sel:BYTE_3 src1_sel:DWORD
	s_mov_b64 s[4:5], -1
                                        ; implicit-def: $sgpr10
	s_and_saveexec_b64 s[8:9], s[12:13]
; %bb.3194:
	s_mov_b32 s10, 0x7f800001
	s_xor_b64 s[4:5], exec, -1
; %bb.3195:
	s_or_b64 exec, exec, s[8:9]
	s_and_b64 s[4:5], s[4:5], exec
	s_or_saveexec_b64 s[6:7], s[6:7]
	v_mov_b32_e32 v2, s10
	s_xor_b64 exec, exec, s[6:7]
	s_cbranch_execz .LBB5_1146
.LBB5_3196:
	v_mov_b32_e32 v2, 0
	v_cmp_ne_u16_sdwa s[8:9], v9, v2 src0_sel:BYTE_3 src1_sel:DWORD
	s_andn2_b64 s[4:5], s[4:5], exec
	s_and_b64 s[8:9], s[8:9], exec
	s_or_b64 s[4:5], s[4:5], s[8:9]
	s_or_b64 exec, exec, s[6:7]
	s_and_saveexec_b64 s[6:7], s[4:5]
	s_cbranch_execnz .LBB5_1147
	s_branch .LBB5_1148
.LBB5_3197:
	s_movk_i32 s4, 0x80
	v_cmp_eq_u16_sdwa s[12:13], v5, s4 src0_sel:BYTE_3 src1_sel:DWORD
	s_mov_b64 s[4:5], -1
                                        ; implicit-def: $sgpr10
	s_and_saveexec_b64 s[8:9], s[12:13]
; %bb.3198:
	s_mov_b32 s10, 0x7f800001
	s_xor_b64 s[4:5], exec, -1
; %bb.3199:
	s_or_b64 exec, exec, s[8:9]
	s_and_b64 s[4:5], s[4:5], exec
	s_or_saveexec_b64 s[6:7], s[6:7]
	v_mov_b32_e32 v3, s10
	s_xor_b64 exec, exec, s[6:7]
	s_cbranch_execz .LBB5_1150
.LBB5_3200:
	v_mov_b32_e32 v3, 0
	v_cmp_ne_u16_sdwa s[8:9], v5, v3 src0_sel:BYTE_3 src1_sel:DWORD
	s_andn2_b64 s[4:5], s[4:5], exec
	s_and_b64 s[8:9], s[8:9], exec
	s_or_b64 s[4:5], s[4:5], s[8:9]
	s_or_b64 exec, exec, s[6:7]
	s_and_saveexec_b64 s[6:7], s[4:5]
	s_cbranch_execnz .LBB5_1151
	s_branch .LBB5_1152
.LBB5_3201:
	s_movk_i32 s4, 0x80
	v_cmp_eq_u16_sdwa s[12:13], v6, s4 src0_sel:BYTE_0 src1_sel:DWORD
	s_mov_b64 s[4:5], -1
                                        ; implicit-def: $sgpr10
	s_and_saveexec_b64 s[8:9], s[12:13]
; %bb.3202:
	s_mov_b32 s10, 0x7f800001
	s_xor_b64 s[4:5], exec, -1
; %bb.3203:
	s_or_b64 exec, exec, s[8:9]
	s_and_b64 s[4:5], s[4:5], exec
	s_or_saveexec_b64 s[6:7], s[6:7]
	v_mov_b32_e32 v12, s10
	s_xor_b64 exec, exec, s[6:7]
	s_cbranch_execz .LBB5_1154
.LBB5_3204:
	v_mov_b32_e32 v12, 0
	v_cmp_ne_u16_sdwa s[8:9], v6, v12 src0_sel:BYTE_0 src1_sel:DWORD
	s_andn2_b64 s[4:5], s[4:5], exec
	s_and_b64 s[8:9], s[8:9], exec
	s_or_b64 s[4:5], s[4:5], s[8:9]
	s_or_b64 exec, exec, s[6:7]
	s_and_saveexec_b64 s[6:7], s[4:5]
	s_cbranch_execnz .LBB5_1155
	s_branch .LBB5_1156
.LBB5_3205:
	s_movk_i32 s4, 0x80
	v_cmp_eq_u16_sdwa s[12:13], v2, s4 src0_sel:BYTE_0 src1_sel:DWORD
	s_mov_b64 s[4:5], -1
                                        ; implicit-def: $sgpr10
	s_and_saveexec_b64 s[8:9], s[12:13]
; %bb.3206:
	s_mov_b32 s10, 0x7f800001
	s_xor_b64 s[4:5], exec, -1
; %bb.3207:
	s_or_b64 exec, exec, s[8:9]
	s_and_b64 s[4:5], s[4:5], exec
	s_or_saveexec_b64 s[6:7], s[6:7]
	v_mov_b32_e32 v13, s10
	s_xor_b64 exec, exec, s[6:7]
	s_cbranch_execz .LBB5_1158
.LBB5_3208:
	v_mov_b32_e32 v13, 0
	v_cmp_ne_u16_sdwa s[8:9], v2, v13 src0_sel:BYTE_0 src1_sel:DWORD
	s_andn2_b64 s[4:5], s[4:5], exec
	s_and_b64 s[8:9], s[8:9], exec
	s_or_b64 s[4:5], s[4:5], s[8:9]
	s_or_b64 exec, exec, s[6:7]
	s_and_saveexec_b64 s[6:7], s[4:5]
	s_cbranch_execnz .LBB5_1159
	s_branch .LBB5_1160
.LBB5_3209:
	s_movk_i32 s4, 0x80
	v_cmp_eq_u16_sdwa s[12:13], v13, s4 src0_sel:BYTE_0 src1_sel:DWORD
	s_mov_b64 s[4:5], -1
                                        ; implicit-def: $sgpr10
	s_and_saveexec_b64 s[8:9], s[12:13]
; %bb.3210:
	s_mov_b32 s10, 0x7f800001
	s_xor_b64 s[4:5], exec, -1
; %bb.3211:
	s_or_b64 exec, exec, s[8:9]
	s_and_b64 s[4:5], s[4:5], exec
	s_or_saveexec_b64 s[6:7], s[6:7]
	v_mov_b32_e32 v12, s10
	s_xor_b64 exec, exec, s[6:7]
	s_cbranch_execz .LBB5_1162
.LBB5_3212:
	v_mov_b32_e32 v12, 0
	v_cmp_ne_u16_sdwa s[8:9], v13, v12 src0_sel:BYTE_0 src1_sel:DWORD
	s_andn2_b64 s[4:5], s[4:5], exec
	s_and_b64 s[8:9], s[8:9], exec
	s_or_b64 s[4:5], s[4:5], s[8:9]
	s_or_b64 exec, exec, s[6:7]
	s_and_saveexec_b64 s[6:7], s[4:5]
	s_cbranch_execnz .LBB5_1163
	s_branch .LBB5_1164
.LBB5_3213:
	s_movk_i32 s4, 0x80
	v_cmp_eq_u16_sdwa s[12:13], v13, s4 src0_sel:BYTE_0 src1_sel:DWORD
	s_mov_b64 s[4:5], -1
                                        ; implicit-def: $sgpr10
	s_and_saveexec_b64 s[8:9], s[12:13]
; %bb.3214:
	s_mov_b32 s10, 0x7f800001
	s_xor_b64 s[4:5], exec, -1
; %bb.3215:
	s_or_b64 exec, exec, s[8:9]
	s_and_b64 s[4:5], s[4:5], exec
	s_or_saveexec_b64 s[6:7], s[6:7]
	v_mov_b32_e32 v14, s10
	s_xor_b64 exec, exec, s[6:7]
	s_cbranch_execz .LBB5_1166
.LBB5_3216:
	v_mov_b32_e32 v14, 0
	v_cmp_ne_u16_sdwa s[8:9], v13, v14 src0_sel:BYTE_0 src1_sel:DWORD
	s_andn2_b64 s[4:5], s[4:5], exec
	s_and_b64 s[8:9], s[8:9], exec
	s_or_b64 s[4:5], s[4:5], s[8:9]
	s_or_b64 exec, exec, s[6:7]
	s_and_saveexec_b64 s[6:7], s[4:5]
	s_cbranch_execnz .LBB5_1167
	s_branch .LBB5_1168
.LBB5_3217:
	s_movk_i32 s4, 0x80
	v_cmp_eq_u16_e32 vcc, s4, v13
	s_mov_b64 s[4:5], -1
                                        ; implicit-def: $sgpr10
	s_and_saveexec_b64 s[8:9], vcc
; %bb.3218:
	s_mov_b32 s10, 0x7f800001
	s_xor_b64 s[4:5], exec, -1
; %bb.3219:
	s_or_b64 exec, exec, s[8:9]
	s_and_b64 s[4:5], s[4:5], exec
                                        ; implicit-def: $vgpr13
	s_or_saveexec_b64 s[6:7], s[6:7]
	v_mov_b32_e32 v12, s10
	s_xor_b64 exec, exec, s[6:7]
	s_cbranch_execz .LBB5_1170
.LBB5_3220:
	v_cmp_ne_u16_e32 vcc, 0, v13
	s_andn2_b64 s[4:5], s[4:5], exec
	s_and_b64 s[8:9], vcc, exec
	v_mov_b32_e32 v12, 0
	s_or_b64 s[4:5], s[4:5], s[8:9]
	s_or_b64 exec, exec, s[6:7]
	s_and_saveexec_b64 s[6:7], s[4:5]
	s_cbranch_execnz .LBB5_1171
	s_branch .LBB5_1172
.LBB5_3221:
	s_movk_i32 s4, 0x80
	v_cmp_eq_u16_e32 vcc, s4, v13
	s_mov_b64 s[4:5], -1
                                        ; implicit-def: $sgpr10
	s_and_saveexec_b64 s[8:9], vcc
; %bb.3222:
	s_mov_b32 s10, 0x7f800001
	s_xor_b64 s[4:5], exec, -1
; %bb.3223:
	s_or_b64 exec, exec, s[8:9]
	s_and_b64 s[4:5], s[4:5], exec
                                        ; implicit-def: $vgpr13
	s_or_saveexec_b64 s[6:7], s[6:7]
	v_mov_b32_e32 v14, s10
	s_xor_b64 exec, exec, s[6:7]
	s_cbranch_execz .LBB5_1174
.LBB5_3224:
	v_cmp_ne_u16_e32 vcc, 0, v13
	s_andn2_b64 s[4:5], s[4:5], exec
	s_and_b64 s[8:9], vcc, exec
	v_mov_b32_e32 v14, 0
	s_or_b64 s[4:5], s[4:5], s[8:9]
	s_or_b64 exec, exec, s[6:7]
	s_and_saveexec_b64 s[6:7], s[4:5]
	s_cbranch_execnz .LBB5_1175
	s_branch .LBB5_1176
.LBB5_3225:
	s_movk_i32 s4, 0x80
	v_cmp_eq_u16_sdwa s[12:13], v6, s4 src0_sel:BYTE_3 src1_sel:DWORD
	s_mov_b64 s[4:5], -1
                                        ; implicit-def: $sgpr10
	s_and_saveexec_b64 s[8:9], s[12:13]
; %bb.3226:
	s_mov_b32 s10, 0x7f800001
	s_xor_b64 s[4:5], exec, -1
; %bb.3227:
	s_or_b64 exec, exec, s[8:9]
	s_and_b64 s[4:5], s[4:5], exec
	s_or_saveexec_b64 s[6:7], s[6:7]
	v_mov_b32_e32 v12, s10
	s_xor_b64 exec, exec, s[6:7]
	s_cbranch_execz .LBB5_1178
.LBB5_3228:
	v_mov_b32_e32 v12, 0
	v_cmp_ne_u16_sdwa s[8:9], v6, v12 src0_sel:BYTE_3 src1_sel:DWORD
	s_andn2_b64 s[4:5], s[4:5], exec
	s_and_b64 s[8:9], s[8:9], exec
	s_or_b64 s[4:5], s[4:5], s[8:9]
	s_or_b64 exec, exec, s[6:7]
	s_and_saveexec_b64 s[6:7], s[4:5]
	s_cbranch_execnz .LBB5_1179
	s_branch .LBB5_1180
.LBB5_3229:
	s_movk_i32 s4, 0x80
	v_cmp_eq_u16_sdwa s[12:13], v2, s4 src0_sel:BYTE_3 src1_sel:DWORD
	s_mov_b64 s[4:5], -1
                                        ; implicit-def: $sgpr10
	s_and_saveexec_b64 s[8:9], s[12:13]
; %bb.3230:
	s_mov_b32 s10, 0x7f800001
	s_xor_b64 s[4:5], exec, -1
; %bb.3231:
	s_or_b64 exec, exec, s[8:9]
	s_and_b64 s[4:5], s[4:5], exec
	s_or_saveexec_b64 s[6:7], s[6:7]
	v_mov_b32_e32 v6, s10
	s_xor_b64 exec, exec, s[6:7]
	s_cbranch_execz .LBB5_1182
.LBB5_3232:
	v_mov_b32_e32 v6, 0
	v_cmp_ne_u16_sdwa s[8:9], v2, v6 src0_sel:BYTE_3 src1_sel:DWORD
	s_andn2_b64 s[4:5], s[4:5], exec
	s_and_b64 s[8:9], s[8:9], exec
	s_or_b64 s[4:5], s[4:5], s[8:9]
	s_or_b64 exec, exec, s[6:7]
	s_and_saveexec_b64 s[6:7], s[4:5]
	s_cbranch_execnz .LBB5_1183
	s_branch .LBB5_1184
.LBB5_3233:
	s_movk_i32 s4, 0x80
	v_cmp_eq_u16_sdwa s[12:13], v7, s4 src0_sel:BYTE_0 src1_sel:DWORD
	s_mov_b64 s[4:5], -1
                                        ; implicit-def: $sgpr10
	s_and_saveexec_b64 s[8:9], s[12:13]
; %bb.3234:
	s_mov_b32 s10, 0x7f800001
	s_xor_b64 s[4:5], exec, -1
; %bb.3235:
	s_or_b64 exec, exec, s[8:9]
	s_and_b64 s[4:5], s[4:5], exec
	s_or_saveexec_b64 s[6:7], s[6:7]
	v_mov_b32_e32 v2, s10
	s_xor_b64 exec, exec, s[6:7]
	s_cbranch_execz .LBB5_1186
.LBB5_3236:
	v_mov_b32_e32 v2, 0
	v_cmp_ne_u16_sdwa s[8:9], v7, v2 src0_sel:BYTE_0 src1_sel:DWORD
	s_andn2_b64 s[4:5], s[4:5], exec
	s_and_b64 s[8:9], s[8:9], exec
	s_or_b64 s[4:5], s[4:5], s[8:9]
	s_or_b64 exec, exec, s[6:7]
	s_and_saveexec_b64 s[6:7], s[4:5]
	s_cbranch_execnz .LBB5_1187
	s_branch .LBB5_1188
.LBB5_3237:
	s_movk_i32 s4, 0x80
	v_cmp_eq_u16_sdwa s[12:13], v3, s4 src0_sel:BYTE_0 src1_sel:DWORD
	s_mov_b64 s[4:5], -1
                                        ; implicit-def: $sgpr10
	s_and_saveexec_b64 s[8:9], s[12:13]
; %bb.3238:
	s_mov_b32 s10, 0x7f800001
	s_xor_b64 s[4:5], exec, -1
; %bb.3239:
	s_or_b64 exec, exec, s[8:9]
	s_and_b64 s[4:5], s[4:5], exec
	s_or_saveexec_b64 s[6:7], s[6:7]
	v_mov_b32_e32 v6, s10
	s_xor_b64 exec, exec, s[6:7]
	s_cbranch_execz .LBB5_1190
.LBB5_3240:
	v_mov_b32_e32 v6, 0
	v_cmp_ne_u16_sdwa s[8:9], v3, v6 src0_sel:BYTE_0 src1_sel:DWORD
	s_andn2_b64 s[4:5], s[4:5], exec
	s_and_b64 s[8:9], s[8:9], exec
	s_or_b64 s[4:5], s[4:5], s[8:9]
	s_or_b64 exec, exec, s[6:7]
	s_and_saveexec_b64 s[6:7], s[4:5]
	s_cbranch_execnz .LBB5_1191
	s_branch .LBB5_1192
.LBB5_3241:
	s_movk_i32 s4, 0x80
	v_cmp_eq_u16_sdwa s[12:13], v6, s4 src0_sel:BYTE_0 src1_sel:DWORD
	s_mov_b64 s[4:5], -1
                                        ; implicit-def: $sgpr10
	s_and_saveexec_b64 s[8:9], s[12:13]
; %bb.3242:
	s_mov_b32 s10, 0x7f800001
	s_xor_b64 s[4:5], exec, -1
; %bb.3243:
	s_or_b64 exec, exec, s[8:9]
	s_and_b64 s[4:5], s[4:5], exec
	s_or_saveexec_b64 s[6:7], s[6:7]
	v_mov_b32_e32 v2, s10
	s_xor_b64 exec, exec, s[6:7]
	s_cbranch_execz .LBB5_1194
.LBB5_3244:
	v_mov_b32_e32 v2, 0
	v_cmp_ne_u16_sdwa s[8:9], v6, v2 src0_sel:BYTE_0 src1_sel:DWORD
	s_andn2_b64 s[4:5], s[4:5], exec
	s_and_b64 s[8:9], s[8:9], exec
	s_or_b64 s[4:5], s[4:5], s[8:9]
	s_or_b64 exec, exec, s[6:7]
	s_and_saveexec_b64 s[6:7], s[4:5]
	s_cbranch_execnz .LBB5_1195
	s_branch .LBB5_1196
.LBB5_3245:
	s_movk_i32 s4, 0x80
	v_cmp_eq_u16_sdwa s[12:13], v6, s4 src0_sel:BYTE_0 src1_sel:DWORD
	s_mov_b64 s[4:5], -1
                                        ; implicit-def: $sgpr10
	s_and_saveexec_b64 s[8:9], s[12:13]
; %bb.3246:
	s_mov_b32 s10, 0x7f800001
	s_xor_b64 s[4:5], exec, -1
; %bb.3247:
	s_or_b64 exec, exec, s[8:9]
	s_and_b64 s[4:5], s[4:5], exec
	s_or_saveexec_b64 s[6:7], s[6:7]
	v_mov_b32_e32 v12, s10
	s_xor_b64 exec, exec, s[6:7]
	s_cbranch_execz .LBB5_1198
.LBB5_3248:
	v_mov_b32_e32 v12, 0
	v_cmp_ne_u16_sdwa s[8:9], v6, v12 src0_sel:BYTE_0 src1_sel:DWORD
	s_andn2_b64 s[4:5], s[4:5], exec
	s_and_b64 s[8:9], s[8:9], exec
	s_or_b64 s[4:5], s[4:5], s[8:9]
	s_or_b64 exec, exec, s[6:7]
	s_and_saveexec_b64 s[6:7], s[4:5]
	s_cbranch_execnz .LBB5_1199
	s_branch .LBB5_1200
.LBB5_3249:
	s_movk_i32 s4, 0x80
	v_cmp_eq_u16_e32 vcc, s4, v6
	s_mov_b64 s[4:5], -1
                                        ; implicit-def: $sgpr10
	s_and_saveexec_b64 s[8:9], vcc
; %bb.3250:
	s_mov_b32 s10, 0x7f800001
	s_xor_b64 s[4:5], exec, -1
; %bb.3251:
	s_or_b64 exec, exec, s[8:9]
	s_and_b64 s[4:5], s[4:5], exec
                                        ; implicit-def: $vgpr6
	s_or_saveexec_b64 s[6:7], s[6:7]
	v_mov_b32_e32 v2, s10
	s_xor_b64 exec, exec, s[6:7]
	s_cbranch_execz .LBB5_1202
.LBB5_3252:
	v_cmp_ne_u16_e32 vcc, 0, v6
	s_andn2_b64 s[4:5], s[4:5], exec
	s_and_b64 s[8:9], vcc, exec
	v_mov_b32_e32 v2, 0
	s_or_b64 s[4:5], s[4:5], s[8:9]
	s_or_b64 exec, exec, s[6:7]
	s_and_saveexec_b64 s[6:7], s[4:5]
	s_cbranch_execnz .LBB5_1203
	s_branch .LBB5_1204
.LBB5_3253:
	s_movk_i32 s4, 0x80
	v_cmp_eq_u16_e32 vcc, s4, v6
	s_mov_b64 s[4:5], -1
                                        ; implicit-def: $sgpr10
	s_and_saveexec_b64 s[8:9], vcc
; %bb.3254:
	s_mov_b32 s10, 0x7f800001
	s_xor_b64 s[4:5], exec, -1
; %bb.3255:
	s_or_b64 exec, exec, s[8:9]
	s_and_b64 s[4:5], s[4:5], exec
                                        ; implicit-def: $vgpr6
	s_or_saveexec_b64 s[6:7], s[6:7]
	v_mov_b32_e32 v12, s10
	s_xor_b64 exec, exec, s[6:7]
	s_cbranch_execz .LBB5_1206
.LBB5_3256:
	v_cmp_ne_u16_e32 vcc, 0, v6
	s_andn2_b64 s[4:5], s[4:5], exec
	s_and_b64 s[8:9], vcc, exec
	v_mov_b32_e32 v12, 0
	s_or_b64 s[4:5], s[4:5], s[8:9]
	s_or_b64 exec, exec, s[6:7]
	s_and_saveexec_b64 s[6:7], s[4:5]
	s_cbranch_execnz .LBB5_1207
	s_branch .LBB5_1208
.LBB5_3257:
	s_movk_i32 s4, 0x80
	v_cmp_eq_u16_sdwa s[12:13], v7, s4 src0_sel:BYTE_3 src1_sel:DWORD
	s_mov_b64 s[4:5], -1
                                        ; implicit-def: $sgpr10
	s_and_saveexec_b64 s[8:9], s[12:13]
; %bb.3258:
	s_mov_b32 s10, 0x7f800001
	s_xor_b64 s[4:5], exec, -1
; %bb.3259:
	s_or_b64 exec, exec, s[8:9]
	s_and_b64 s[4:5], s[4:5], exec
	s_or_saveexec_b64 s[6:7], s[6:7]
	v_mov_b32_e32 v2, s10
	s_xor_b64 exec, exec, s[6:7]
	s_cbranch_execz .LBB5_1210
.LBB5_3260:
	v_mov_b32_e32 v2, 0
	v_cmp_ne_u16_sdwa s[8:9], v7, v2 src0_sel:BYTE_3 src1_sel:DWORD
	s_andn2_b64 s[4:5], s[4:5], exec
	s_and_b64 s[8:9], s[8:9], exec
	s_or_b64 s[4:5], s[4:5], s[8:9]
	s_or_b64 exec, exec, s[6:7]
	s_and_saveexec_b64 s[6:7], s[4:5]
	s_cbranch_execnz .LBB5_1211
	s_branch .LBB5_1212
.LBB5_3261:
	s_movk_i32 s4, 0x80
	v_cmp_eq_u16_sdwa s[12:13], v3, s4 src0_sel:BYTE_3 src1_sel:DWORD
	s_mov_b64 s[4:5], -1
                                        ; implicit-def: $sgpr10
	s_and_saveexec_b64 s[8:9], s[12:13]
; %bb.3262:
	s_mov_b32 s10, 0x7f800001
	s_xor_b64 s[4:5], exec, -1
; %bb.3263:
	s_or_b64 exec, exec, s[8:9]
	s_and_b64 s[4:5], s[4:5], exec
	s_or_saveexec_b64 s[6:7], s[6:7]
	v_mov_b32_e32 v6, s10
	s_xor_b64 exec, exec, s[6:7]
	s_cbranch_execz .LBB5_1214
.LBB5_3264:
	v_mov_b32_e32 v6, 0
	v_cmp_ne_u16_sdwa s[8:9], v3, v6 src0_sel:BYTE_3 src1_sel:DWORD
	s_andn2_b64 s[4:5], s[4:5], exec
	s_and_b64 s[8:9], s[8:9], exec
	s_or_b64 s[4:5], s[4:5], s[8:9]
	s_or_b64 exec, exec, s[6:7]
	s_and_saveexec_b64 s[6:7], s[4:5]
	s_cbranch_execnz .LBB5_1215
	s_branch .LBB5_1216
.LBB5_3265:
	s_movk_i32 s4, 0x80
	v_cmp_eq_u16_sdwa s[12:13], v8, s4 src0_sel:BYTE_0 src1_sel:DWORD
	s_mov_b64 s[4:5], -1
                                        ; implicit-def: $sgpr10
	s_and_saveexec_b64 s[8:9], s[12:13]
; %bb.3266:
	s_mov_b32 s10, 0x7f800001
	s_xor_b64 s[4:5], exec, -1
; %bb.3267:
	s_or_b64 exec, exec, s[8:9]
	s_and_b64 s[4:5], s[4:5], exec
	s_or_saveexec_b64 s[6:7], s[6:7]
	v_mov_b32_e32 v2, s10
	s_xor_b64 exec, exec, s[6:7]
	s_cbranch_execz .LBB5_1218
.LBB5_3268:
	v_mov_b32_e32 v2, 0
	v_cmp_ne_u16_sdwa s[8:9], v8, v2 src0_sel:BYTE_0 src1_sel:DWORD
	s_andn2_b64 s[4:5], s[4:5], exec
	s_and_b64 s[8:9], s[8:9], exec
	s_or_b64 s[4:5], s[4:5], s[8:9]
	s_or_b64 exec, exec, s[6:7]
	s_and_saveexec_b64 s[6:7], s[4:5]
	s_cbranch_execnz .LBB5_1219
	s_branch .LBB5_1220
.LBB5_3269:
	s_movk_i32 s4, 0x80
	v_cmp_eq_u16_sdwa s[12:13], v4, s4 src0_sel:BYTE_0 src1_sel:DWORD
	s_mov_b64 s[4:5], -1
                                        ; implicit-def: $sgpr10
	s_and_saveexec_b64 s[8:9], s[12:13]
; %bb.3270:
	s_mov_b32 s10, 0x7f800001
	s_xor_b64 s[4:5], exec, -1
; %bb.3271:
	s_or_b64 exec, exec, s[8:9]
	s_and_b64 s[4:5], s[4:5], exec
	s_or_saveexec_b64 s[6:7], s[6:7]
	v_mov_b32_e32 v3, s10
	s_xor_b64 exec, exec, s[6:7]
	s_cbranch_execz .LBB5_1222
.LBB5_3272:
	v_mov_b32_e32 v3, 0
	v_cmp_ne_u16_sdwa s[8:9], v4, v3 src0_sel:BYTE_0 src1_sel:DWORD
	s_andn2_b64 s[4:5], s[4:5], exec
	s_and_b64 s[8:9], s[8:9], exec
	s_or_b64 s[4:5], s[4:5], s[8:9]
	s_or_b64 exec, exec, s[6:7]
	s_and_saveexec_b64 s[6:7], s[4:5]
	s_cbranch_execnz .LBB5_1223
	s_branch .LBB5_1224
.LBB5_3273:
	s_movk_i32 s4, 0x80
	v_cmp_eq_u16_sdwa s[12:13], v3, s4 src0_sel:BYTE_0 src1_sel:DWORD
	s_mov_b64 s[4:5], -1
                                        ; implicit-def: $sgpr10
	s_and_saveexec_b64 s[8:9], s[12:13]
; %bb.3274:
	s_mov_b32 s10, 0x7f800001
	s_xor_b64 s[4:5], exec, -1
; %bb.3275:
	s_or_b64 exec, exec, s[8:9]
	s_and_b64 s[4:5], s[4:5], exec
	s_or_saveexec_b64 s[6:7], s[6:7]
	v_mov_b32_e32 v2, s10
	s_xor_b64 exec, exec, s[6:7]
	s_cbranch_execz .LBB5_1226
.LBB5_3276:
	v_mov_b32_e32 v2, 0
	v_cmp_ne_u16_sdwa s[8:9], v3, v2 src0_sel:BYTE_0 src1_sel:DWORD
	s_andn2_b64 s[4:5], s[4:5], exec
	s_and_b64 s[8:9], s[8:9], exec
	s_or_b64 s[4:5], s[4:5], s[8:9]
	s_or_b64 exec, exec, s[6:7]
	s_and_saveexec_b64 s[6:7], s[4:5]
	s_cbranch_execnz .LBB5_1227
	s_branch .LBB5_1228
.LBB5_3277:
	s_movk_i32 s4, 0x80
	v_cmp_eq_u16_sdwa s[12:13], v3, s4 src0_sel:BYTE_0 src1_sel:DWORD
	s_mov_b64 s[4:5], -1
                                        ; implicit-def: $sgpr10
	s_and_saveexec_b64 s[8:9], s[12:13]
; %bb.3278:
	s_mov_b32 s10, 0x7f800001
	s_xor_b64 s[4:5], exec, -1
; %bb.3279:
	s_or_b64 exec, exec, s[8:9]
	s_and_b64 s[4:5], s[4:5], exec
	s_or_saveexec_b64 s[6:7], s[6:7]
	v_mov_b32_e32 v6, s10
	s_xor_b64 exec, exec, s[6:7]
	s_cbranch_execz .LBB5_1230
.LBB5_3280:
	v_mov_b32_e32 v6, 0
	v_cmp_ne_u16_sdwa s[8:9], v3, v6 src0_sel:BYTE_0 src1_sel:DWORD
	s_andn2_b64 s[4:5], s[4:5], exec
	s_and_b64 s[8:9], s[8:9], exec
	s_or_b64 s[4:5], s[4:5], s[8:9]
	s_or_b64 exec, exec, s[6:7]
	s_and_saveexec_b64 s[6:7], s[4:5]
	s_cbranch_execnz .LBB5_1231
	s_branch .LBB5_1232
.LBB5_3281:
	s_movk_i32 s4, 0x80
	v_cmp_eq_u16_e32 vcc, s4, v3
	s_mov_b64 s[4:5], -1
                                        ; implicit-def: $sgpr10
	s_and_saveexec_b64 s[8:9], vcc
; %bb.3282:
	s_mov_b32 s10, 0x7f800001
	s_xor_b64 s[4:5], exec, -1
; %bb.3283:
	s_or_b64 exec, exec, s[8:9]
	s_and_b64 s[4:5], s[4:5], exec
                                        ; implicit-def: $vgpr3
	s_or_saveexec_b64 s[6:7], s[6:7]
	v_mov_b32_e32 v2, s10
	s_xor_b64 exec, exec, s[6:7]
	s_cbranch_execz .LBB5_1234
.LBB5_3284:
	v_cmp_ne_u16_e32 vcc, 0, v3
	s_andn2_b64 s[4:5], s[4:5], exec
	s_and_b64 s[8:9], vcc, exec
	v_mov_b32_e32 v2, 0
	s_or_b64 s[4:5], s[4:5], s[8:9]
	s_or_b64 exec, exec, s[6:7]
	s_and_saveexec_b64 s[6:7], s[4:5]
	s_cbranch_execnz .LBB5_1235
	s_branch .LBB5_1236
.LBB5_3285:
	s_movk_i32 s4, 0x80
	v_cmp_eq_u16_e32 vcc, s4, v3
	s_mov_b64 s[4:5], -1
                                        ; implicit-def: $sgpr10
	s_and_saveexec_b64 s[8:9], vcc
; %bb.3286:
	s_mov_b32 s10, 0x7f800001
	s_xor_b64 s[4:5], exec, -1
; %bb.3287:
	s_or_b64 exec, exec, s[8:9]
	s_and_b64 s[4:5], s[4:5], exec
                                        ; implicit-def: $vgpr3
	s_or_saveexec_b64 s[6:7], s[6:7]
	v_mov_b32_e32 v6, s10
	s_xor_b64 exec, exec, s[6:7]
	s_cbranch_execz .LBB5_1238
.LBB5_3288:
	v_cmp_ne_u16_e32 vcc, 0, v3
	s_andn2_b64 s[4:5], s[4:5], exec
	s_and_b64 s[8:9], vcc, exec
	v_mov_b32_e32 v6, 0
	s_or_b64 s[4:5], s[4:5], s[8:9]
	s_or_b64 exec, exec, s[6:7]
	s_and_saveexec_b64 s[6:7], s[4:5]
	s_cbranch_execnz .LBB5_1239
	s_branch .LBB5_1240
.LBB5_3289:
	s_movk_i32 s4, 0x80
	v_cmp_eq_u16_sdwa s[12:13], v8, s4 src0_sel:BYTE_3 src1_sel:DWORD
	s_mov_b64 s[4:5], -1
                                        ; implicit-def: $sgpr10
	s_and_saveexec_b64 s[8:9], s[12:13]
; %bb.3290:
	s_mov_b32 s10, 0x7f800001
	s_xor_b64 s[4:5], exec, -1
; %bb.3291:
	s_or_b64 exec, exec, s[8:9]
	s_and_b64 s[4:5], s[4:5], exec
	s_or_saveexec_b64 s[6:7], s[6:7]
	v_mov_b32_e32 v2, s10
	s_xor_b64 exec, exec, s[6:7]
	s_cbranch_execz .LBB5_1242
.LBB5_3292:
	v_mov_b32_e32 v2, 0
	v_cmp_ne_u16_sdwa s[8:9], v8, v2 src0_sel:BYTE_3 src1_sel:DWORD
	s_andn2_b64 s[4:5], s[4:5], exec
	s_and_b64 s[8:9], s[8:9], exec
	s_or_b64 s[4:5], s[4:5], s[8:9]
	s_or_b64 exec, exec, s[6:7]
	s_and_saveexec_b64 s[6:7], s[4:5]
	s_cbranch_execnz .LBB5_1243
	s_branch .LBB5_1244
.LBB5_3293:
	s_movk_i32 s4, 0x80
	v_cmp_eq_u16_sdwa s[12:13], v4, s4 src0_sel:BYTE_3 src1_sel:DWORD
	s_mov_b64 s[4:5], -1
                                        ; implicit-def: $sgpr10
	s_and_saveexec_b64 s[8:9], s[12:13]
; %bb.3294:
	s_mov_b32 s10, 0x7f800001
	s_xor_b64 s[4:5], exec, -1
; %bb.3295:
	s_or_b64 exec, exec, s[8:9]
	s_and_b64 s[4:5], s[4:5], exec
	s_or_saveexec_b64 s[6:7], s[6:7]
	v_mov_b32_e32 v3, s10
	s_xor_b64 exec, exec, s[6:7]
	s_cbranch_execz .LBB5_1246
.LBB5_3296:
	v_mov_b32_e32 v3, 0
	v_cmp_ne_u16_sdwa s[8:9], v4, v3 src0_sel:BYTE_3 src1_sel:DWORD
	s_andn2_b64 s[4:5], s[4:5], exec
	s_and_b64 s[8:9], s[8:9], exec
	s_or_b64 s[4:5], s[4:5], s[8:9]
	s_or_b64 exec, exec, s[6:7]
	s_and_saveexec_b64 s[6:7], s[4:5]
	s_cbranch_execnz .LBB5_1247
	s_branch .LBB5_1248
.LBB5_3297:
	s_movk_i32 s4, 0x80
	v_cmp_eq_u16_sdwa s[12:13], v9, s4 src0_sel:BYTE_0 src1_sel:DWORD
	s_mov_b64 s[4:5], -1
                                        ; implicit-def: $sgpr10
	s_and_saveexec_b64 s[8:9], s[12:13]
; %bb.3298:
	s_mov_b32 s10, 0x7f800001
	s_xor_b64 s[4:5], exec, -1
; %bb.3299:
	s_or_b64 exec, exec, s[8:9]
	s_and_b64 s[4:5], s[4:5], exec
	s_or_saveexec_b64 s[6:7], s[6:7]
	v_mov_b32_e32 v2, s10
	s_xor_b64 exec, exec, s[6:7]
	s_cbranch_execz .LBB5_1250
.LBB5_3300:
	v_mov_b32_e32 v2, 0
	v_cmp_ne_u16_sdwa s[8:9], v9, v2 src0_sel:BYTE_0 src1_sel:DWORD
	s_andn2_b64 s[4:5], s[4:5], exec
	s_and_b64 s[8:9], s[8:9], exec
	s_or_b64 s[4:5], s[4:5], s[8:9]
	s_or_b64 exec, exec, s[6:7]
	s_and_saveexec_b64 s[6:7], s[4:5]
	s_cbranch_execnz .LBB5_1251
	s_branch .LBB5_1252
.LBB5_3301:
	s_movk_i32 s4, 0x80
	v_cmp_eq_u16_sdwa s[12:13], v5, s4 src0_sel:BYTE_0 src1_sel:DWORD
	s_mov_b64 s[4:5], -1
                                        ; implicit-def: $sgpr10
	s_and_saveexec_b64 s[8:9], s[12:13]
; %bb.3302:
	s_mov_b32 s10, 0x7f800001
	s_xor_b64 s[4:5], exec, -1
; %bb.3303:
	s_or_b64 exec, exec, s[8:9]
	s_and_b64 s[4:5], s[4:5], exec
	s_or_saveexec_b64 s[6:7], s[6:7]
	v_mov_b32_e32 v3, s10
	s_xor_b64 exec, exec, s[6:7]
	s_cbranch_execz .LBB5_1254
.LBB5_3304:
	v_mov_b32_e32 v3, 0
	v_cmp_ne_u16_sdwa s[8:9], v5, v3 src0_sel:BYTE_0 src1_sel:DWORD
	s_andn2_b64 s[4:5], s[4:5], exec
	s_and_b64 s[8:9], s[8:9], exec
	s_or_b64 s[4:5], s[4:5], s[8:9]
	s_or_b64 exec, exec, s[6:7]
	s_and_saveexec_b64 s[6:7], s[4:5]
	s_cbranch_execnz .LBB5_1255
	s_branch .LBB5_1256
.LBB5_3305:
	s_movk_i32 s4, 0x80
	v_cmp_eq_u16_sdwa s[12:13], v3, s4 src0_sel:BYTE_0 src1_sel:DWORD
	s_mov_b64 s[4:5], -1
                                        ; implicit-def: $sgpr10
	s_and_saveexec_b64 s[8:9], s[12:13]
; %bb.3306:
	s_mov_b32 s10, 0x7f800001
	s_xor_b64 s[4:5], exec, -1
; %bb.3307:
	s_or_b64 exec, exec, s[8:9]
	s_and_b64 s[4:5], s[4:5], exec
	s_or_saveexec_b64 s[6:7], s[6:7]
	v_mov_b32_e32 v2, s10
	s_xor_b64 exec, exec, s[6:7]
	s_cbranch_execz .LBB5_1258
.LBB5_3308:
	v_mov_b32_e32 v2, 0
	v_cmp_ne_u16_sdwa s[8:9], v3, v2 src0_sel:BYTE_0 src1_sel:DWORD
	s_andn2_b64 s[4:5], s[4:5], exec
	s_and_b64 s[8:9], s[8:9], exec
	s_or_b64 s[4:5], s[4:5], s[8:9]
	s_or_b64 exec, exec, s[6:7]
	s_and_saveexec_b64 s[6:7], s[4:5]
	s_cbranch_execnz .LBB5_1259
	s_branch .LBB5_1260
.LBB5_3309:
	s_movk_i32 s4, 0x80
	v_cmp_eq_u16_sdwa s[12:13], v3, s4 src0_sel:BYTE_0 src1_sel:DWORD
	s_mov_b64 s[4:5], -1
                                        ; implicit-def: $sgpr10
	s_and_saveexec_b64 s[8:9], s[12:13]
; %bb.3310:
	s_mov_b32 s10, 0x7f800001
	s_xor_b64 s[4:5], exec, -1
; %bb.3311:
	s_or_b64 exec, exec, s[8:9]
	s_and_b64 s[4:5], s[4:5], exec
	s_or_saveexec_b64 s[6:7], s[6:7]
	v_mov_b32_e32 v4, s10
	s_xor_b64 exec, exec, s[6:7]
	s_cbranch_execz .LBB5_1262
.LBB5_3312:
	v_mov_b32_e32 v4, 0
	v_cmp_ne_u16_sdwa s[8:9], v3, v4 src0_sel:BYTE_0 src1_sel:DWORD
	s_andn2_b64 s[4:5], s[4:5], exec
	s_and_b64 s[8:9], s[8:9], exec
	s_or_b64 s[4:5], s[4:5], s[8:9]
	s_or_b64 exec, exec, s[6:7]
	s_and_saveexec_b64 s[6:7], s[4:5]
	s_cbranch_execnz .LBB5_1263
	s_branch .LBB5_1264
.LBB5_3313:
	s_movk_i32 s4, 0x80
	v_cmp_eq_u16_e32 vcc, s4, v3
	s_mov_b64 s[4:5], -1
                                        ; implicit-def: $sgpr10
	s_and_saveexec_b64 s[8:9], vcc
; %bb.3314:
	s_mov_b32 s10, 0x7f800001
	s_xor_b64 s[4:5], exec, -1
; %bb.3315:
	s_or_b64 exec, exec, s[8:9]
	s_and_b64 s[4:5], s[4:5], exec
                                        ; implicit-def: $vgpr3
	s_or_saveexec_b64 s[6:7], s[6:7]
	v_mov_b32_e32 v2, s10
	s_xor_b64 exec, exec, s[6:7]
	s_cbranch_execz .LBB5_1266
.LBB5_3316:
	v_cmp_ne_u16_e32 vcc, 0, v3
	s_andn2_b64 s[4:5], s[4:5], exec
	s_and_b64 s[8:9], vcc, exec
	v_mov_b32_e32 v2, 0
	s_or_b64 s[4:5], s[4:5], s[8:9]
	s_or_b64 exec, exec, s[6:7]
	s_and_saveexec_b64 s[6:7], s[4:5]
	s_cbranch_execnz .LBB5_1267
	s_branch .LBB5_1268
.LBB5_3317:
	s_movk_i32 s4, 0x80
	v_cmp_eq_u16_e32 vcc, s4, v3
	s_mov_b64 s[4:5], -1
                                        ; implicit-def: $sgpr10
	s_and_saveexec_b64 s[8:9], vcc
; %bb.3318:
	s_mov_b32 s10, 0x7f800001
	s_xor_b64 s[4:5], exec, -1
; %bb.3319:
	s_or_b64 exec, exec, s[8:9]
	s_and_b64 s[4:5], s[4:5], exec
                                        ; implicit-def: $vgpr3
	s_or_saveexec_b64 s[6:7], s[6:7]
	v_mov_b32_e32 v4, s10
	s_xor_b64 exec, exec, s[6:7]
	s_cbranch_execz .LBB5_1270
.LBB5_3320:
	v_cmp_ne_u16_e32 vcc, 0, v3
	s_andn2_b64 s[4:5], s[4:5], exec
	s_and_b64 s[8:9], vcc, exec
	v_mov_b32_e32 v4, 0
	s_or_b64 s[4:5], s[4:5], s[8:9]
	s_or_b64 exec, exec, s[6:7]
	s_and_saveexec_b64 s[6:7], s[4:5]
	s_cbranch_execnz .LBB5_1271
	s_branch .LBB5_1272
.LBB5_3321:
	s_movk_i32 s4, 0x80
	v_cmp_eq_u16_sdwa s[12:13], v9, s4 src0_sel:BYTE_3 src1_sel:DWORD
	s_mov_b64 s[4:5], -1
                                        ; implicit-def: $sgpr10
	s_and_saveexec_b64 s[8:9], s[12:13]
; %bb.3322:
	s_mov_b32 s10, 0x7f800001
	s_xor_b64 s[4:5], exec, -1
; %bb.3323:
	s_or_b64 exec, exec, s[8:9]
	s_and_b64 s[4:5], s[4:5], exec
	s_or_saveexec_b64 s[6:7], s[6:7]
	v_mov_b32_e32 v2, s10
	s_xor_b64 exec, exec, s[6:7]
	s_cbranch_execz .LBB5_1274
.LBB5_3324:
	v_mov_b32_e32 v2, 0
	v_cmp_ne_u16_sdwa s[8:9], v9, v2 src0_sel:BYTE_3 src1_sel:DWORD
	s_andn2_b64 s[4:5], s[4:5], exec
	s_and_b64 s[8:9], s[8:9], exec
	s_or_b64 s[4:5], s[4:5], s[8:9]
	s_or_b64 exec, exec, s[6:7]
	s_and_saveexec_b64 s[6:7], s[4:5]
	s_cbranch_execnz .LBB5_1275
	s_branch .LBB5_1276
.LBB5_3325:
	s_movk_i32 s4, 0x80
	v_cmp_eq_u16_sdwa s[12:13], v5, s4 src0_sel:BYTE_3 src1_sel:DWORD
	s_mov_b64 s[4:5], -1
                                        ; implicit-def: $sgpr10
	s_and_saveexec_b64 s[8:9], s[12:13]
; %bb.3326:
	s_mov_b32 s10, 0x7f800001
	s_xor_b64 s[4:5], exec, -1
; %bb.3327:
	s_or_b64 exec, exec, s[8:9]
	s_and_b64 s[4:5], s[4:5], exec
	s_or_saveexec_b64 s[6:7], s[6:7]
	v_mov_b32_e32 v3, s10
	s_xor_b64 exec, exec, s[6:7]
	s_cbranch_execz .LBB5_1278
.LBB5_3328:
	v_mov_b32_e32 v3, 0
	v_cmp_ne_u16_sdwa s[8:9], v5, v3 src0_sel:BYTE_3 src1_sel:DWORD
	s_andn2_b64 s[4:5], s[4:5], exec
	s_and_b64 s[8:9], s[8:9], exec
	s_or_b64 s[4:5], s[4:5], s[8:9]
	s_or_b64 exec, exec, s[6:7]
	s_and_saveexec_b64 s[6:7], s[4:5]
	s_cbranch_execnz .LBB5_1279
	s_branch .LBB5_1280
.LBB5_3329:
	s_movk_i32 s4, 0x80
	v_cmp_eq_u16_sdwa s[12:13], v6, s4 src0_sel:BYTE_0 src1_sel:DWORD
	s_mov_b64 s[4:5], -1
                                        ; implicit-def: $sgpr10
	s_and_saveexec_b64 s[8:9], s[12:13]
; %bb.3330:
	s_mov_b32 s10, 0x7f800001
	s_xor_b64 s[4:5], exec, -1
; %bb.3331:
	s_or_b64 exec, exec, s[8:9]
	s_and_b64 s[4:5], s[4:5], exec
	s_or_saveexec_b64 s[6:7], s[6:7]
	v_mov_b32_e32 v12, s10
	s_xor_b64 exec, exec, s[6:7]
	s_cbranch_execz .LBB5_1282
.LBB5_3332:
	v_mov_b32_e32 v12, 0
	v_cmp_ne_u16_sdwa s[8:9], v6, v12 src0_sel:BYTE_0 src1_sel:DWORD
	s_andn2_b64 s[4:5], s[4:5], exec
	s_and_b64 s[8:9], s[8:9], exec
	s_or_b64 s[4:5], s[4:5], s[8:9]
	s_or_b64 exec, exec, s[6:7]
	s_and_saveexec_b64 s[6:7], s[4:5]
	s_cbranch_execnz .LBB5_1283
	s_branch .LBB5_1284
.LBB5_3333:
	s_movk_i32 s4, 0x80
	v_cmp_eq_u16_sdwa s[12:13], v2, s4 src0_sel:BYTE_0 src1_sel:DWORD
	s_mov_b64 s[4:5], -1
                                        ; implicit-def: $sgpr10
	s_and_saveexec_b64 s[8:9], s[12:13]
; %bb.3334:
	s_mov_b32 s10, 0x7f800001
	s_xor_b64 s[4:5], exec, -1
; %bb.3335:
	s_or_b64 exec, exec, s[8:9]
	s_and_b64 s[4:5], s[4:5], exec
	s_or_saveexec_b64 s[6:7], s[6:7]
	v_mov_b32_e32 v13, s10
	s_xor_b64 exec, exec, s[6:7]
	s_cbranch_execz .LBB5_1286
.LBB5_3336:
	v_mov_b32_e32 v13, 0
	v_cmp_ne_u16_sdwa s[8:9], v2, v13 src0_sel:BYTE_0 src1_sel:DWORD
	s_andn2_b64 s[4:5], s[4:5], exec
	s_and_b64 s[8:9], s[8:9], exec
	s_or_b64 s[4:5], s[4:5], s[8:9]
	s_or_b64 exec, exec, s[6:7]
	s_and_saveexec_b64 s[6:7], s[4:5]
	s_cbranch_execnz .LBB5_1287
	s_branch .LBB5_1288
.LBB5_3337:
	s_movk_i32 s4, 0x80
	v_cmp_eq_u16_sdwa s[12:13], v13, s4 src0_sel:BYTE_0 src1_sel:DWORD
	s_mov_b64 s[4:5], -1
                                        ; implicit-def: $sgpr10
	s_and_saveexec_b64 s[8:9], s[12:13]
; %bb.3338:
	s_mov_b32 s10, 0x7f800001
	s_xor_b64 s[4:5], exec, -1
; %bb.3339:
	s_or_b64 exec, exec, s[8:9]
	s_and_b64 s[4:5], s[4:5], exec
	s_or_saveexec_b64 s[6:7], s[6:7]
	v_mov_b32_e32 v12, s10
	s_xor_b64 exec, exec, s[6:7]
	s_cbranch_execz .LBB5_1290
.LBB5_3340:
	v_mov_b32_e32 v12, 0
	v_cmp_ne_u16_sdwa s[8:9], v13, v12 src0_sel:BYTE_0 src1_sel:DWORD
	s_andn2_b64 s[4:5], s[4:5], exec
	s_and_b64 s[8:9], s[8:9], exec
	s_or_b64 s[4:5], s[4:5], s[8:9]
	s_or_b64 exec, exec, s[6:7]
	s_and_saveexec_b64 s[6:7], s[4:5]
	s_cbranch_execnz .LBB5_1291
	s_branch .LBB5_1292
.LBB5_3341:
	s_movk_i32 s4, 0x80
	v_cmp_eq_u16_sdwa s[12:13], v13, s4 src0_sel:BYTE_0 src1_sel:DWORD
	s_mov_b64 s[4:5], -1
                                        ; implicit-def: $sgpr10
	s_and_saveexec_b64 s[8:9], s[12:13]
; %bb.3342:
	s_mov_b32 s10, 0x7f800001
	s_xor_b64 s[4:5], exec, -1
; %bb.3343:
	s_or_b64 exec, exec, s[8:9]
	s_and_b64 s[4:5], s[4:5], exec
	s_or_saveexec_b64 s[6:7], s[6:7]
	v_mov_b32_e32 v14, s10
	s_xor_b64 exec, exec, s[6:7]
	s_cbranch_execz .LBB5_1294
.LBB5_3344:
	v_mov_b32_e32 v14, 0
	v_cmp_ne_u16_sdwa s[8:9], v13, v14 src0_sel:BYTE_0 src1_sel:DWORD
	s_andn2_b64 s[4:5], s[4:5], exec
	s_and_b64 s[8:9], s[8:9], exec
	s_or_b64 s[4:5], s[4:5], s[8:9]
	s_or_b64 exec, exec, s[6:7]
	s_and_saveexec_b64 s[6:7], s[4:5]
	s_cbranch_execnz .LBB5_1295
	s_branch .LBB5_1296
.LBB5_3345:
	s_movk_i32 s4, 0x80
	v_cmp_eq_u16_e32 vcc, s4, v13
	s_mov_b64 s[4:5], -1
                                        ; implicit-def: $sgpr10
	s_and_saveexec_b64 s[8:9], vcc
; %bb.3346:
	s_mov_b32 s10, 0x7f800001
	s_xor_b64 s[4:5], exec, -1
; %bb.3347:
	s_or_b64 exec, exec, s[8:9]
	s_and_b64 s[4:5], s[4:5], exec
                                        ; implicit-def: $vgpr13
	s_or_saveexec_b64 s[6:7], s[6:7]
	v_mov_b32_e32 v12, s10
	s_xor_b64 exec, exec, s[6:7]
	s_cbranch_execz .LBB5_1298
.LBB5_3348:
	v_cmp_ne_u16_e32 vcc, 0, v13
	s_andn2_b64 s[4:5], s[4:5], exec
	s_and_b64 s[8:9], vcc, exec
	v_mov_b32_e32 v12, 0
	s_or_b64 s[4:5], s[4:5], s[8:9]
	s_or_b64 exec, exec, s[6:7]
	s_and_saveexec_b64 s[6:7], s[4:5]
	s_cbranch_execnz .LBB5_1299
	s_branch .LBB5_1300
.LBB5_3349:
	s_movk_i32 s4, 0x80
	v_cmp_eq_u16_e32 vcc, s4, v13
	s_mov_b64 s[4:5], -1
                                        ; implicit-def: $sgpr10
	s_and_saveexec_b64 s[8:9], vcc
; %bb.3350:
	s_mov_b32 s10, 0x7f800001
	s_xor_b64 s[4:5], exec, -1
; %bb.3351:
	s_or_b64 exec, exec, s[8:9]
	s_and_b64 s[4:5], s[4:5], exec
                                        ; implicit-def: $vgpr13
	s_or_saveexec_b64 s[6:7], s[6:7]
	v_mov_b32_e32 v14, s10
	s_xor_b64 exec, exec, s[6:7]
	s_cbranch_execz .LBB5_1302
.LBB5_3352:
	v_cmp_ne_u16_e32 vcc, 0, v13
	s_andn2_b64 s[4:5], s[4:5], exec
	s_and_b64 s[8:9], vcc, exec
	v_mov_b32_e32 v14, 0
	s_or_b64 s[4:5], s[4:5], s[8:9]
	s_or_b64 exec, exec, s[6:7]
	s_and_saveexec_b64 s[6:7], s[4:5]
	s_cbranch_execnz .LBB5_1303
	s_branch .LBB5_1304
.LBB5_3353:
	s_movk_i32 s4, 0x80
	v_cmp_eq_u16_sdwa s[12:13], v6, s4 src0_sel:BYTE_3 src1_sel:DWORD
	s_mov_b64 s[4:5], -1
                                        ; implicit-def: $sgpr10
	s_and_saveexec_b64 s[8:9], s[12:13]
; %bb.3354:
	s_mov_b32 s10, 0x7f800001
	s_xor_b64 s[4:5], exec, -1
; %bb.3355:
	s_or_b64 exec, exec, s[8:9]
	s_and_b64 s[4:5], s[4:5], exec
	s_or_saveexec_b64 s[6:7], s[6:7]
	v_mov_b32_e32 v12, s10
	s_xor_b64 exec, exec, s[6:7]
	s_cbranch_execz .LBB5_1306
.LBB5_3356:
	v_mov_b32_e32 v12, 0
	v_cmp_ne_u16_sdwa s[8:9], v6, v12 src0_sel:BYTE_3 src1_sel:DWORD
	s_andn2_b64 s[4:5], s[4:5], exec
	s_and_b64 s[8:9], s[8:9], exec
	s_or_b64 s[4:5], s[4:5], s[8:9]
	s_or_b64 exec, exec, s[6:7]
	s_and_saveexec_b64 s[6:7], s[4:5]
	s_cbranch_execnz .LBB5_1307
	s_branch .LBB5_1308
.LBB5_3357:
	s_movk_i32 s4, 0x80
	v_cmp_eq_u16_sdwa s[12:13], v2, s4 src0_sel:BYTE_3 src1_sel:DWORD
	s_mov_b64 s[4:5], -1
                                        ; implicit-def: $sgpr10
	s_and_saveexec_b64 s[8:9], s[12:13]
; %bb.3358:
	s_mov_b32 s10, 0x7f800001
	s_xor_b64 s[4:5], exec, -1
; %bb.3359:
	s_or_b64 exec, exec, s[8:9]
	s_and_b64 s[4:5], s[4:5], exec
	s_or_saveexec_b64 s[6:7], s[6:7]
	v_mov_b32_e32 v6, s10
	s_xor_b64 exec, exec, s[6:7]
	s_cbranch_execz .LBB5_1310
.LBB5_3360:
	v_mov_b32_e32 v6, 0
	v_cmp_ne_u16_sdwa s[8:9], v2, v6 src0_sel:BYTE_3 src1_sel:DWORD
	s_andn2_b64 s[4:5], s[4:5], exec
	s_and_b64 s[8:9], s[8:9], exec
	s_or_b64 s[4:5], s[4:5], s[8:9]
	s_or_b64 exec, exec, s[6:7]
	s_and_saveexec_b64 s[6:7], s[4:5]
	s_cbranch_execnz .LBB5_1311
	s_branch .LBB5_1312
.LBB5_3361:
	s_movk_i32 s4, 0x80
	v_cmp_eq_u16_sdwa s[12:13], v7, s4 src0_sel:BYTE_0 src1_sel:DWORD
	s_mov_b64 s[4:5], -1
                                        ; implicit-def: $sgpr10
	s_and_saveexec_b64 s[8:9], s[12:13]
; %bb.3362:
	s_mov_b32 s10, 0x7f800001
	s_xor_b64 s[4:5], exec, -1
; %bb.3363:
	s_or_b64 exec, exec, s[8:9]
	s_and_b64 s[4:5], s[4:5], exec
	s_or_saveexec_b64 s[6:7], s[6:7]
	v_mov_b32_e32 v2, s10
	s_xor_b64 exec, exec, s[6:7]
	s_cbranch_execz .LBB5_1314
.LBB5_3364:
	v_mov_b32_e32 v2, 0
	v_cmp_ne_u16_sdwa s[8:9], v7, v2 src0_sel:BYTE_0 src1_sel:DWORD
	s_andn2_b64 s[4:5], s[4:5], exec
	s_and_b64 s[8:9], s[8:9], exec
	s_or_b64 s[4:5], s[4:5], s[8:9]
	s_or_b64 exec, exec, s[6:7]
	s_and_saveexec_b64 s[6:7], s[4:5]
	s_cbranch_execnz .LBB5_1315
	s_branch .LBB5_1316
.LBB5_3365:
	s_movk_i32 s4, 0x80
	v_cmp_eq_u16_sdwa s[12:13], v3, s4 src0_sel:BYTE_0 src1_sel:DWORD
	s_mov_b64 s[4:5], -1
                                        ; implicit-def: $sgpr10
	s_and_saveexec_b64 s[8:9], s[12:13]
; %bb.3366:
	s_mov_b32 s10, 0x7f800001
	s_xor_b64 s[4:5], exec, -1
; %bb.3367:
	s_or_b64 exec, exec, s[8:9]
	s_and_b64 s[4:5], s[4:5], exec
	s_or_saveexec_b64 s[6:7], s[6:7]
	v_mov_b32_e32 v6, s10
	s_xor_b64 exec, exec, s[6:7]
	s_cbranch_execz .LBB5_1318
.LBB5_3368:
	v_mov_b32_e32 v6, 0
	v_cmp_ne_u16_sdwa s[8:9], v3, v6 src0_sel:BYTE_0 src1_sel:DWORD
	s_andn2_b64 s[4:5], s[4:5], exec
	s_and_b64 s[8:9], s[8:9], exec
	s_or_b64 s[4:5], s[4:5], s[8:9]
	s_or_b64 exec, exec, s[6:7]
	s_and_saveexec_b64 s[6:7], s[4:5]
	s_cbranch_execnz .LBB5_1319
	s_branch .LBB5_1320
.LBB5_3369:
	s_movk_i32 s4, 0x80
	v_cmp_eq_u16_sdwa s[12:13], v6, s4 src0_sel:BYTE_0 src1_sel:DWORD
	s_mov_b64 s[4:5], -1
                                        ; implicit-def: $sgpr10
	s_and_saveexec_b64 s[8:9], s[12:13]
; %bb.3370:
	s_mov_b32 s10, 0x7f800001
	s_xor_b64 s[4:5], exec, -1
; %bb.3371:
	s_or_b64 exec, exec, s[8:9]
	s_and_b64 s[4:5], s[4:5], exec
	s_or_saveexec_b64 s[6:7], s[6:7]
	v_mov_b32_e32 v2, s10
	s_xor_b64 exec, exec, s[6:7]
	s_cbranch_execz .LBB5_1322
.LBB5_3372:
	v_mov_b32_e32 v2, 0
	v_cmp_ne_u16_sdwa s[8:9], v6, v2 src0_sel:BYTE_0 src1_sel:DWORD
	s_andn2_b64 s[4:5], s[4:5], exec
	s_and_b64 s[8:9], s[8:9], exec
	s_or_b64 s[4:5], s[4:5], s[8:9]
	s_or_b64 exec, exec, s[6:7]
	s_and_saveexec_b64 s[6:7], s[4:5]
	s_cbranch_execnz .LBB5_1323
	s_branch .LBB5_1324
.LBB5_3373:
	s_movk_i32 s4, 0x80
	v_cmp_eq_u16_sdwa s[12:13], v6, s4 src0_sel:BYTE_0 src1_sel:DWORD
	s_mov_b64 s[4:5], -1
                                        ; implicit-def: $sgpr10
	s_and_saveexec_b64 s[8:9], s[12:13]
; %bb.3374:
	s_mov_b32 s10, 0x7f800001
	s_xor_b64 s[4:5], exec, -1
; %bb.3375:
	s_or_b64 exec, exec, s[8:9]
	s_and_b64 s[4:5], s[4:5], exec
	s_or_saveexec_b64 s[6:7], s[6:7]
	v_mov_b32_e32 v12, s10
	s_xor_b64 exec, exec, s[6:7]
	s_cbranch_execz .LBB5_1326
.LBB5_3376:
	v_mov_b32_e32 v12, 0
	v_cmp_ne_u16_sdwa s[8:9], v6, v12 src0_sel:BYTE_0 src1_sel:DWORD
	s_andn2_b64 s[4:5], s[4:5], exec
	s_and_b64 s[8:9], s[8:9], exec
	s_or_b64 s[4:5], s[4:5], s[8:9]
	s_or_b64 exec, exec, s[6:7]
	s_and_saveexec_b64 s[6:7], s[4:5]
	s_cbranch_execnz .LBB5_1327
	s_branch .LBB5_1328
.LBB5_3377:
	s_movk_i32 s4, 0x80
	v_cmp_eq_u16_e32 vcc, s4, v6
	s_mov_b64 s[4:5], -1
                                        ; implicit-def: $sgpr10
	s_and_saveexec_b64 s[8:9], vcc
; %bb.3378:
	s_mov_b32 s10, 0x7f800001
	s_xor_b64 s[4:5], exec, -1
; %bb.3379:
	s_or_b64 exec, exec, s[8:9]
	s_and_b64 s[4:5], s[4:5], exec
                                        ; implicit-def: $vgpr6
	s_or_saveexec_b64 s[6:7], s[6:7]
	v_mov_b32_e32 v2, s10
	s_xor_b64 exec, exec, s[6:7]
	s_cbranch_execz .LBB5_1330
.LBB5_3380:
	v_cmp_ne_u16_e32 vcc, 0, v6
	s_andn2_b64 s[4:5], s[4:5], exec
	s_and_b64 s[8:9], vcc, exec
	v_mov_b32_e32 v2, 0
	s_or_b64 s[4:5], s[4:5], s[8:9]
	s_or_b64 exec, exec, s[6:7]
	s_and_saveexec_b64 s[6:7], s[4:5]
	s_cbranch_execnz .LBB5_1331
	s_branch .LBB5_1332
.LBB5_3381:
	s_movk_i32 s4, 0x80
	v_cmp_eq_u16_e32 vcc, s4, v6
	s_mov_b64 s[4:5], -1
                                        ; implicit-def: $sgpr10
	s_and_saveexec_b64 s[8:9], vcc
; %bb.3382:
	s_mov_b32 s10, 0x7f800001
	s_xor_b64 s[4:5], exec, -1
; %bb.3383:
	s_or_b64 exec, exec, s[8:9]
	s_and_b64 s[4:5], s[4:5], exec
                                        ; implicit-def: $vgpr6
	s_or_saveexec_b64 s[6:7], s[6:7]
	v_mov_b32_e32 v12, s10
	s_xor_b64 exec, exec, s[6:7]
	s_cbranch_execz .LBB5_1334
.LBB5_3384:
	v_cmp_ne_u16_e32 vcc, 0, v6
	s_andn2_b64 s[4:5], s[4:5], exec
	s_and_b64 s[8:9], vcc, exec
	v_mov_b32_e32 v12, 0
	s_or_b64 s[4:5], s[4:5], s[8:9]
	s_or_b64 exec, exec, s[6:7]
	s_and_saveexec_b64 s[6:7], s[4:5]
	s_cbranch_execnz .LBB5_1335
	s_branch .LBB5_1336
.LBB5_3385:
	s_movk_i32 s4, 0x80
	v_cmp_eq_u16_sdwa s[12:13], v7, s4 src0_sel:BYTE_3 src1_sel:DWORD
	s_mov_b64 s[4:5], -1
                                        ; implicit-def: $sgpr10
	s_and_saveexec_b64 s[8:9], s[12:13]
; %bb.3386:
	s_mov_b32 s10, 0x7f800001
	s_xor_b64 s[4:5], exec, -1
; %bb.3387:
	s_or_b64 exec, exec, s[8:9]
	s_and_b64 s[4:5], s[4:5], exec
	s_or_saveexec_b64 s[6:7], s[6:7]
	v_mov_b32_e32 v2, s10
	s_xor_b64 exec, exec, s[6:7]
	s_cbranch_execz .LBB5_1338
.LBB5_3388:
	v_mov_b32_e32 v2, 0
	v_cmp_ne_u16_sdwa s[8:9], v7, v2 src0_sel:BYTE_3 src1_sel:DWORD
	s_andn2_b64 s[4:5], s[4:5], exec
	s_and_b64 s[8:9], s[8:9], exec
	s_or_b64 s[4:5], s[4:5], s[8:9]
	s_or_b64 exec, exec, s[6:7]
	s_and_saveexec_b64 s[6:7], s[4:5]
	s_cbranch_execnz .LBB5_1339
	s_branch .LBB5_1340
.LBB5_3389:
	s_movk_i32 s4, 0x80
	v_cmp_eq_u16_sdwa s[12:13], v3, s4 src0_sel:BYTE_3 src1_sel:DWORD
	s_mov_b64 s[4:5], -1
                                        ; implicit-def: $sgpr10
	s_and_saveexec_b64 s[8:9], s[12:13]
; %bb.3390:
	s_mov_b32 s10, 0x7f800001
	s_xor_b64 s[4:5], exec, -1
; %bb.3391:
	s_or_b64 exec, exec, s[8:9]
	s_and_b64 s[4:5], s[4:5], exec
	s_or_saveexec_b64 s[6:7], s[6:7]
	v_mov_b32_e32 v6, s10
	s_xor_b64 exec, exec, s[6:7]
	s_cbranch_execz .LBB5_1342
.LBB5_3392:
	v_mov_b32_e32 v6, 0
	v_cmp_ne_u16_sdwa s[8:9], v3, v6 src0_sel:BYTE_3 src1_sel:DWORD
	s_andn2_b64 s[4:5], s[4:5], exec
	s_and_b64 s[8:9], s[8:9], exec
	s_or_b64 s[4:5], s[4:5], s[8:9]
	s_or_b64 exec, exec, s[6:7]
	s_and_saveexec_b64 s[6:7], s[4:5]
	s_cbranch_execnz .LBB5_1343
	s_branch .LBB5_1344
.LBB5_3393:
	s_movk_i32 s4, 0x80
	v_cmp_eq_u16_sdwa s[12:13], v8, s4 src0_sel:BYTE_0 src1_sel:DWORD
	s_mov_b64 s[4:5], -1
                                        ; implicit-def: $sgpr10
	s_and_saveexec_b64 s[8:9], s[12:13]
; %bb.3394:
	s_mov_b32 s10, 0x7f800001
	s_xor_b64 s[4:5], exec, -1
; %bb.3395:
	s_or_b64 exec, exec, s[8:9]
	s_and_b64 s[4:5], s[4:5], exec
	s_or_saveexec_b64 s[6:7], s[6:7]
	v_mov_b32_e32 v2, s10
	s_xor_b64 exec, exec, s[6:7]
	s_cbranch_execz .LBB5_1346
.LBB5_3396:
	v_mov_b32_e32 v2, 0
	v_cmp_ne_u16_sdwa s[8:9], v8, v2 src0_sel:BYTE_0 src1_sel:DWORD
	s_andn2_b64 s[4:5], s[4:5], exec
	s_and_b64 s[8:9], s[8:9], exec
	s_or_b64 s[4:5], s[4:5], s[8:9]
	s_or_b64 exec, exec, s[6:7]
	s_and_saveexec_b64 s[6:7], s[4:5]
	s_cbranch_execnz .LBB5_1347
	s_branch .LBB5_1348
.LBB5_3397:
	s_movk_i32 s4, 0x80
	v_cmp_eq_u16_sdwa s[12:13], v4, s4 src0_sel:BYTE_0 src1_sel:DWORD
	s_mov_b64 s[4:5], -1
                                        ; implicit-def: $sgpr10
	s_and_saveexec_b64 s[8:9], s[12:13]
; %bb.3398:
	s_mov_b32 s10, 0x7f800001
	s_xor_b64 s[4:5], exec, -1
; %bb.3399:
	s_or_b64 exec, exec, s[8:9]
	s_and_b64 s[4:5], s[4:5], exec
	s_or_saveexec_b64 s[6:7], s[6:7]
	v_mov_b32_e32 v3, s10
	s_xor_b64 exec, exec, s[6:7]
	s_cbranch_execz .LBB5_1350
.LBB5_3400:
	v_mov_b32_e32 v3, 0
	v_cmp_ne_u16_sdwa s[8:9], v4, v3 src0_sel:BYTE_0 src1_sel:DWORD
	s_andn2_b64 s[4:5], s[4:5], exec
	s_and_b64 s[8:9], s[8:9], exec
	s_or_b64 s[4:5], s[4:5], s[8:9]
	s_or_b64 exec, exec, s[6:7]
	s_and_saveexec_b64 s[6:7], s[4:5]
	s_cbranch_execnz .LBB5_1351
	s_branch .LBB5_1352
.LBB5_3401:
	s_movk_i32 s4, 0x80
	v_cmp_eq_u16_sdwa s[12:13], v3, s4 src0_sel:BYTE_0 src1_sel:DWORD
	s_mov_b64 s[4:5], -1
                                        ; implicit-def: $sgpr10
	s_and_saveexec_b64 s[8:9], s[12:13]
; %bb.3402:
	s_mov_b32 s10, 0x7f800001
	s_xor_b64 s[4:5], exec, -1
; %bb.3403:
	s_or_b64 exec, exec, s[8:9]
	s_and_b64 s[4:5], s[4:5], exec
	s_or_saveexec_b64 s[6:7], s[6:7]
	v_mov_b32_e32 v2, s10
	s_xor_b64 exec, exec, s[6:7]
	s_cbranch_execz .LBB5_1354
.LBB5_3404:
	v_mov_b32_e32 v2, 0
	v_cmp_ne_u16_sdwa s[8:9], v3, v2 src0_sel:BYTE_0 src1_sel:DWORD
	s_andn2_b64 s[4:5], s[4:5], exec
	s_and_b64 s[8:9], s[8:9], exec
	s_or_b64 s[4:5], s[4:5], s[8:9]
	s_or_b64 exec, exec, s[6:7]
	s_and_saveexec_b64 s[6:7], s[4:5]
	s_cbranch_execnz .LBB5_1355
	s_branch .LBB5_1356
.LBB5_3405:
	s_movk_i32 s4, 0x80
	v_cmp_eq_u16_sdwa s[12:13], v3, s4 src0_sel:BYTE_0 src1_sel:DWORD
	s_mov_b64 s[4:5], -1
                                        ; implicit-def: $sgpr10
	s_and_saveexec_b64 s[8:9], s[12:13]
; %bb.3406:
	s_mov_b32 s10, 0x7f800001
	s_xor_b64 s[4:5], exec, -1
; %bb.3407:
	s_or_b64 exec, exec, s[8:9]
	s_and_b64 s[4:5], s[4:5], exec
	s_or_saveexec_b64 s[6:7], s[6:7]
	v_mov_b32_e32 v6, s10
	s_xor_b64 exec, exec, s[6:7]
	s_cbranch_execz .LBB5_1358
.LBB5_3408:
	v_mov_b32_e32 v6, 0
	v_cmp_ne_u16_sdwa s[8:9], v3, v6 src0_sel:BYTE_0 src1_sel:DWORD
	s_andn2_b64 s[4:5], s[4:5], exec
	s_and_b64 s[8:9], s[8:9], exec
	s_or_b64 s[4:5], s[4:5], s[8:9]
	s_or_b64 exec, exec, s[6:7]
	s_and_saveexec_b64 s[6:7], s[4:5]
	s_cbranch_execnz .LBB5_1359
	s_branch .LBB5_1360
.LBB5_3409:
	s_movk_i32 s4, 0x80
	v_cmp_eq_u16_e32 vcc, s4, v3
	s_mov_b64 s[4:5], -1
                                        ; implicit-def: $sgpr10
	s_and_saveexec_b64 s[8:9], vcc
; %bb.3410:
	s_mov_b32 s10, 0x7f800001
	s_xor_b64 s[4:5], exec, -1
; %bb.3411:
	s_or_b64 exec, exec, s[8:9]
	s_and_b64 s[4:5], s[4:5], exec
                                        ; implicit-def: $vgpr3
	s_or_saveexec_b64 s[6:7], s[6:7]
	v_mov_b32_e32 v2, s10
	s_xor_b64 exec, exec, s[6:7]
	s_cbranch_execz .LBB5_1362
.LBB5_3412:
	v_cmp_ne_u16_e32 vcc, 0, v3
	s_andn2_b64 s[4:5], s[4:5], exec
	s_and_b64 s[8:9], vcc, exec
	v_mov_b32_e32 v2, 0
	s_or_b64 s[4:5], s[4:5], s[8:9]
	s_or_b64 exec, exec, s[6:7]
	s_and_saveexec_b64 s[6:7], s[4:5]
	s_cbranch_execnz .LBB5_1363
	s_branch .LBB5_1364
.LBB5_3413:
	s_movk_i32 s4, 0x80
	v_cmp_eq_u16_e32 vcc, s4, v3
	s_mov_b64 s[4:5], -1
                                        ; implicit-def: $sgpr10
	s_and_saveexec_b64 s[8:9], vcc
; %bb.3414:
	s_mov_b32 s10, 0x7f800001
	s_xor_b64 s[4:5], exec, -1
; %bb.3415:
	s_or_b64 exec, exec, s[8:9]
	s_and_b64 s[4:5], s[4:5], exec
                                        ; implicit-def: $vgpr3
	s_or_saveexec_b64 s[6:7], s[6:7]
	v_mov_b32_e32 v6, s10
	s_xor_b64 exec, exec, s[6:7]
	s_cbranch_execz .LBB5_1366
.LBB5_3416:
	v_cmp_ne_u16_e32 vcc, 0, v3
	s_andn2_b64 s[4:5], s[4:5], exec
	s_and_b64 s[8:9], vcc, exec
	v_mov_b32_e32 v6, 0
	s_or_b64 s[4:5], s[4:5], s[8:9]
	s_or_b64 exec, exec, s[6:7]
	s_and_saveexec_b64 s[6:7], s[4:5]
	s_cbranch_execnz .LBB5_1367
	s_branch .LBB5_1368
.LBB5_3417:
	s_movk_i32 s4, 0x80
	v_cmp_eq_u16_sdwa s[12:13], v8, s4 src0_sel:BYTE_3 src1_sel:DWORD
	s_mov_b64 s[4:5], -1
                                        ; implicit-def: $sgpr10
	s_and_saveexec_b64 s[8:9], s[12:13]
; %bb.3418:
	s_mov_b32 s10, 0x7f800001
	s_xor_b64 s[4:5], exec, -1
; %bb.3419:
	s_or_b64 exec, exec, s[8:9]
	s_and_b64 s[4:5], s[4:5], exec
	s_or_saveexec_b64 s[6:7], s[6:7]
	v_mov_b32_e32 v2, s10
	s_xor_b64 exec, exec, s[6:7]
	s_cbranch_execz .LBB5_1370
.LBB5_3420:
	v_mov_b32_e32 v2, 0
	v_cmp_ne_u16_sdwa s[8:9], v8, v2 src0_sel:BYTE_3 src1_sel:DWORD
	s_andn2_b64 s[4:5], s[4:5], exec
	s_and_b64 s[8:9], s[8:9], exec
	s_or_b64 s[4:5], s[4:5], s[8:9]
	s_or_b64 exec, exec, s[6:7]
	s_and_saveexec_b64 s[6:7], s[4:5]
	s_cbranch_execnz .LBB5_1371
	s_branch .LBB5_1372
.LBB5_3421:
	s_movk_i32 s4, 0x80
	v_cmp_eq_u16_sdwa s[12:13], v4, s4 src0_sel:BYTE_3 src1_sel:DWORD
	s_mov_b64 s[4:5], -1
                                        ; implicit-def: $sgpr10
	s_and_saveexec_b64 s[8:9], s[12:13]
; %bb.3422:
	s_mov_b32 s10, 0x7f800001
	s_xor_b64 s[4:5], exec, -1
; %bb.3423:
	s_or_b64 exec, exec, s[8:9]
	s_and_b64 s[4:5], s[4:5], exec
	s_or_saveexec_b64 s[6:7], s[6:7]
	v_mov_b32_e32 v3, s10
	s_xor_b64 exec, exec, s[6:7]
	s_cbranch_execz .LBB5_1374
.LBB5_3424:
	v_mov_b32_e32 v3, 0
	v_cmp_ne_u16_sdwa s[8:9], v4, v3 src0_sel:BYTE_3 src1_sel:DWORD
	s_andn2_b64 s[4:5], s[4:5], exec
	s_and_b64 s[8:9], s[8:9], exec
	s_or_b64 s[4:5], s[4:5], s[8:9]
	s_or_b64 exec, exec, s[6:7]
	s_and_saveexec_b64 s[6:7], s[4:5]
	s_cbranch_execnz .LBB5_1375
	s_branch .LBB5_1376
.LBB5_3425:
	s_movk_i32 s4, 0x80
	v_cmp_eq_u16_sdwa s[12:13], v9, s4 src0_sel:BYTE_0 src1_sel:DWORD
	s_mov_b64 s[4:5], -1
                                        ; implicit-def: $sgpr10
	s_and_saveexec_b64 s[8:9], s[12:13]
; %bb.3426:
	s_mov_b32 s10, 0x7f800001
	s_xor_b64 s[4:5], exec, -1
; %bb.3427:
	s_or_b64 exec, exec, s[8:9]
	s_and_b64 s[4:5], s[4:5], exec
	s_or_saveexec_b64 s[6:7], s[6:7]
	v_mov_b32_e32 v2, s10
	s_xor_b64 exec, exec, s[6:7]
	s_cbranch_execz .LBB5_1378
.LBB5_3428:
	v_mov_b32_e32 v2, 0
	v_cmp_ne_u16_sdwa s[8:9], v9, v2 src0_sel:BYTE_0 src1_sel:DWORD
	s_andn2_b64 s[4:5], s[4:5], exec
	s_and_b64 s[8:9], s[8:9], exec
	s_or_b64 s[4:5], s[4:5], s[8:9]
	s_or_b64 exec, exec, s[6:7]
	s_and_saveexec_b64 s[6:7], s[4:5]
	s_cbranch_execnz .LBB5_1379
	s_branch .LBB5_1380
.LBB5_3429:
	s_movk_i32 s4, 0x80
	v_cmp_eq_u16_sdwa s[12:13], v5, s4 src0_sel:BYTE_0 src1_sel:DWORD
	s_mov_b64 s[4:5], -1
                                        ; implicit-def: $sgpr10
	s_and_saveexec_b64 s[8:9], s[12:13]
; %bb.3430:
	s_mov_b32 s10, 0x7f800001
	s_xor_b64 s[4:5], exec, -1
; %bb.3431:
	s_or_b64 exec, exec, s[8:9]
	s_and_b64 s[4:5], s[4:5], exec
	s_or_saveexec_b64 s[6:7], s[6:7]
	v_mov_b32_e32 v3, s10
	s_xor_b64 exec, exec, s[6:7]
	s_cbranch_execz .LBB5_1382
.LBB5_3432:
	v_mov_b32_e32 v3, 0
	v_cmp_ne_u16_sdwa s[8:9], v5, v3 src0_sel:BYTE_0 src1_sel:DWORD
	s_andn2_b64 s[4:5], s[4:5], exec
	s_and_b64 s[8:9], s[8:9], exec
	s_or_b64 s[4:5], s[4:5], s[8:9]
	s_or_b64 exec, exec, s[6:7]
	s_and_saveexec_b64 s[6:7], s[4:5]
	s_cbranch_execnz .LBB5_1383
	s_branch .LBB5_1384
.LBB5_3433:
	s_movk_i32 s4, 0x80
	v_cmp_eq_u16_sdwa s[12:13], v3, s4 src0_sel:BYTE_0 src1_sel:DWORD
	s_mov_b64 s[4:5], -1
                                        ; implicit-def: $sgpr10
	s_and_saveexec_b64 s[8:9], s[12:13]
; %bb.3434:
	s_mov_b32 s10, 0x7f800001
	s_xor_b64 s[4:5], exec, -1
; %bb.3435:
	s_or_b64 exec, exec, s[8:9]
	s_and_b64 s[4:5], s[4:5], exec
	s_or_saveexec_b64 s[6:7], s[6:7]
	v_mov_b32_e32 v2, s10
	s_xor_b64 exec, exec, s[6:7]
	s_cbranch_execz .LBB5_1386
.LBB5_3436:
	v_mov_b32_e32 v2, 0
	v_cmp_ne_u16_sdwa s[8:9], v3, v2 src0_sel:BYTE_0 src1_sel:DWORD
	s_andn2_b64 s[4:5], s[4:5], exec
	s_and_b64 s[8:9], s[8:9], exec
	s_or_b64 s[4:5], s[4:5], s[8:9]
	s_or_b64 exec, exec, s[6:7]
	s_and_saveexec_b64 s[6:7], s[4:5]
	s_cbranch_execnz .LBB5_1387
	s_branch .LBB5_1388
.LBB5_3437:
	s_movk_i32 s4, 0x80
	v_cmp_eq_u16_sdwa s[12:13], v3, s4 src0_sel:BYTE_0 src1_sel:DWORD
	s_mov_b64 s[4:5], -1
                                        ; implicit-def: $sgpr10
	s_and_saveexec_b64 s[8:9], s[12:13]
; %bb.3438:
	s_mov_b32 s10, 0x7f800001
	s_xor_b64 s[4:5], exec, -1
; %bb.3439:
	s_or_b64 exec, exec, s[8:9]
	s_and_b64 s[4:5], s[4:5], exec
	s_or_saveexec_b64 s[6:7], s[6:7]
	v_mov_b32_e32 v4, s10
	s_xor_b64 exec, exec, s[6:7]
	s_cbranch_execz .LBB5_1390
.LBB5_3440:
	v_mov_b32_e32 v4, 0
	v_cmp_ne_u16_sdwa s[8:9], v3, v4 src0_sel:BYTE_0 src1_sel:DWORD
	s_andn2_b64 s[4:5], s[4:5], exec
	s_and_b64 s[8:9], s[8:9], exec
	s_or_b64 s[4:5], s[4:5], s[8:9]
	s_or_b64 exec, exec, s[6:7]
	s_and_saveexec_b64 s[6:7], s[4:5]
	s_cbranch_execnz .LBB5_1391
	s_branch .LBB5_1392
.LBB5_3441:
	s_movk_i32 s4, 0x80
	v_cmp_eq_u16_e32 vcc, s4, v3
	s_mov_b64 s[4:5], -1
                                        ; implicit-def: $sgpr10
	s_and_saveexec_b64 s[8:9], vcc
; %bb.3442:
	s_mov_b32 s10, 0x7f800001
	s_xor_b64 s[4:5], exec, -1
; %bb.3443:
	s_or_b64 exec, exec, s[8:9]
	s_and_b64 s[4:5], s[4:5], exec
                                        ; implicit-def: $vgpr3
	s_or_saveexec_b64 s[6:7], s[6:7]
	v_mov_b32_e32 v2, s10
	s_xor_b64 exec, exec, s[6:7]
	s_cbranch_execz .LBB5_1394
.LBB5_3444:
	v_cmp_ne_u16_e32 vcc, 0, v3
	s_andn2_b64 s[4:5], s[4:5], exec
	s_and_b64 s[8:9], vcc, exec
	v_mov_b32_e32 v2, 0
	s_or_b64 s[4:5], s[4:5], s[8:9]
	s_or_b64 exec, exec, s[6:7]
	s_and_saveexec_b64 s[6:7], s[4:5]
	s_cbranch_execnz .LBB5_1395
	s_branch .LBB5_1396
.LBB5_3445:
	s_movk_i32 s4, 0x80
	v_cmp_eq_u16_e32 vcc, s4, v3
	s_mov_b64 s[4:5], -1
                                        ; implicit-def: $sgpr10
	s_and_saveexec_b64 s[8:9], vcc
; %bb.3446:
	s_mov_b32 s10, 0x7f800001
	s_xor_b64 s[4:5], exec, -1
; %bb.3447:
	s_or_b64 exec, exec, s[8:9]
	s_and_b64 s[4:5], s[4:5], exec
                                        ; implicit-def: $vgpr3
	s_or_saveexec_b64 s[6:7], s[6:7]
	v_mov_b32_e32 v4, s10
	s_xor_b64 exec, exec, s[6:7]
	s_cbranch_execz .LBB5_1398
.LBB5_3448:
	v_cmp_ne_u16_e32 vcc, 0, v3
	s_andn2_b64 s[4:5], s[4:5], exec
	s_and_b64 s[8:9], vcc, exec
	v_mov_b32_e32 v4, 0
	s_or_b64 s[4:5], s[4:5], s[8:9]
	s_or_b64 exec, exec, s[6:7]
	s_and_saveexec_b64 s[6:7], s[4:5]
	s_cbranch_execnz .LBB5_1399
	s_branch .LBB5_1400
.LBB5_3449:
	s_movk_i32 s4, 0x80
	v_cmp_eq_u16_sdwa s[12:13], v9, s4 src0_sel:BYTE_3 src1_sel:DWORD
	s_mov_b64 s[4:5], -1
                                        ; implicit-def: $sgpr10
	s_and_saveexec_b64 s[8:9], s[12:13]
; %bb.3450:
	s_mov_b32 s10, 0x7f800001
	s_xor_b64 s[4:5], exec, -1
; %bb.3451:
	s_or_b64 exec, exec, s[8:9]
	s_and_b64 s[4:5], s[4:5], exec
	s_or_saveexec_b64 s[6:7], s[6:7]
	v_mov_b32_e32 v2, s10
	s_xor_b64 exec, exec, s[6:7]
	s_cbranch_execz .LBB5_1402
.LBB5_3452:
	v_mov_b32_e32 v2, 0
	v_cmp_ne_u16_sdwa s[8:9], v9, v2 src0_sel:BYTE_3 src1_sel:DWORD
	s_andn2_b64 s[4:5], s[4:5], exec
	s_and_b64 s[8:9], s[8:9], exec
	s_or_b64 s[4:5], s[4:5], s[8:9]
	s_or_b64 exec, exec, s[6:7]
	s_and_saveexec_b64 s[6:7], s[4:5]
	s_cbranch_execnz .LBB5_1403
	s_branch .LBB5_1404
.LBB5_3453:
	s_movk_i32 s4, 0x80
	v_cmp_eq_u16_sdwa s[12:13], v5, s4 src0_sel:BYTE_3 src1_sel:DWORD
	s_mov_b64 s[4:5], -1
                                        ; implicit-def: $sgpr10
	s_and_saveexec_b64 s[8:9], s[12:13]
; %bb.3454:
	s_mov_b32 s10, 0x7f800001
	s_xor_b64 s[4:5], exec, -1
; %bb.3455:
	s_or_b64 exec, exec, s[8:9]
	s_and_b64 s[4:5], s[4:5], exec
	s_or_saveexec_b64 s[6:7], s[6:7]
	v_mov_b32_e32 v3, s10
	s_xor_b64 exec, exec, s[6:7]
	s_cbranch_execz .LBB5_1406
.LBB5_3456:
	v_mov_b32_e32 v3, 0
	v_cmp_ne_u16_sdwa s[8:9], v5, v3 src0_sel:BYTE_3 src1_sel:DWORD
	s_andn2_b64 s[4:5], s[4:5], exec
	s_and_b64 s[8:9], s[8:9], exec
	s_or_b64 s[4:5], s[4:5], s[8:9]
	s_or_b64 exec, exec, s[6:7]
	s_and_saveexec_b64 s[6:7], s[4:5]
	s_cbranch_execnz .LBB5_1407
	s_branch .LBB5_1408
.LBB5_3457:
	s_movk_i32 s4, 0x80
	v_cmp_eq_u16_sdwa s[12:13], v6, s4 src0_sel:BYTE_0 src1_sel:DWORD
	s_mov_b64 s[4:5], -1
                                        ; implicit-def: $sgpr10
	s_and_saveexec_b64 s[8:9], s[12:13]
; %bb.3458:
	s_mov_b32 s10, 0x7f800001
	s_xor_b64 s[4:5], exec, -1
; %bb.3459:
	s_or_b64 exec, exec, s[8:9]
	s_and_b64 s[4:5], s[4:5], exec
	s_or_saveexec_b64 s[6:7], s[6:7]
	v_mov_b32_e32 v12, s10
	s_xor_b64 exec, exec, s[6:7]
	s_cbranch_execz .LBB5_1410
.LBB5_3460:
	v_mov_b32_e32 v12, 0
	v_cmp_ne_u16_sdwa s[8:9], v6, v12 src0_sel:BYTE_0 src1_sel:DWORD
	s_andn2_b64 s[4:5], s[4:5], exec
	s_and_b64 s[8:9], s[8:9], exec
	s_or_b64 s[4:5], s[4:5], s[8:9]
	s_or_b64 exec, exec, s[6:7]
	s_and_saveexec_b64 s[6:7], s[4:5]
	s_cbranch_execnz .LBB5_1411
	s_branch .LBB5_1412
.LBB5_3461:
	s_movk_i32 s4, 0x80
	v_cmp_eq_u16_sdwa s[12:13], v2, s4 src0_sel:BYTE_0 src1_sel:DWORD
	s_mov_b64 s[4:5], -1
                                        ; implicit-def: $sgpr10
	s_and_saveexec_b64 s[8:9], s[12:13]
; %bb.3462:
	s_mov_b32 s10, 0x7f800001
	s_xor_b64 s[4:5], exec, -1
; %bb.3463:
	s_or_b64 exec, exec, s[8:9]
	s_and_b64 s[4:5], s[4:5], exec
	s_or_saveexec_b64 s[6:7], s[6:7]
	v_mov_b32_e32 v13, s10
	s_xor_b64 exec, exec, s[6:7]
	s_cbranch_execz .LBB5_1414
.LBB5_3464:
	v_mov_b32_e32 v13, 0
	v_cmp_ne_u16_sdwa s[8:9], v2, v13 src0_sel:BYTE_0 src1_sel:DWORD
	s_andn2_b64 s[4:5], s[4:5], exec
	s_and_b64 s[8:9], s[8:9], exec
	s_or_b64 s[4:5], s[4:5], s[8:9]
	s_or_b64 exec, exec, s[6:7]
	s_and_saveexec_b64 s[6:7], s[4:5]
	s_cbranch_execnz .LBB5_1415
	s_branch .LBB5_1416
.LBB5_3465:
	s_movk_i32 s4, 0x80
	v_cmp_eq_u16_sdwa s[12:13], v13, s4 src0_sel:BYTE_0 src1_sel:DWORD
	s_mov_b64 s[4:5], -1
                                        ; implicit-def: $sgpr10
	s_and_saveexec_b64 s[8:9], s[12:13]
; %bb.3466:
	s_mov_b32 s10, 0x7f800001
	s_xor_b64 s[4:5], exec, -1
; %bb.3467:
	s_or_b64 exec, exec, s[8:9]
	s_and_b64 s[4:5], s[4:5], exec
	s_or_saveexec_b64 s[6:7], s[6:7]
	v_mov_b32_e32 v12, s10
	s_xor_b64 exec, exec, s[6:7]
	s_cbranch_execz .LBB5_1418
.LBB5_3468:
	v_mov_b32_e32 v12, 0
	v_cmp_ne_u16_sdwa s[8:9], v13, v12 src0_sel:BYTE_0 src1_sel:DWORD
	s_andn2_b64 s[4:5], s[4:5], exec
	s_and_b64 s[8:9], s[8:9], exec
	s_or_b64 s[4:5], s[4:5], s[8:9]
	s_or_b64 exec, exec, s[6:7]
	s_and_saveexec_b64 s[6:7], s[4:5]
	s_cbranch_execnz .LBB5_1419
	s_branch .LBB5_1420
.LBB5_3469:
	s_movk_i32 s4, 0x80
	v_cmp_eq_u16_sdwa s[12:13], v13, s4 src0_sel:BYTE_0 src1_sel:DWORD
	s_mov_b64 s[4:5], -1
                                        ; implicit-def: $sgpr10
	s_and_saveexec_b64 s[8:9], s[12:13]
; %bb.3470:
	s_mov_b32 s10, 0x7f800001
	s_xor_b64 s[4:5], exec, -1
; %bb.3471:
	s_or_b64 exec, exec, s[8:9]
	s_and_b64 s[4:5], s[4:5], exec
	s_or_saveexec_b64 s[6:7], s[6:7]
	v_mov_b32_e32 v14, s10
	s_xor_b64 exec, exec, s[6:7]
	s_cbranch_execz .LBB5_1422
.LBB5_3472:
	v_mov_b32_e32 v14, 0
	v_cmp_ne_u16_sdwa s[8:9], v13, v14 src0_sel:BYTE_0 src1_sel:DWORD
	s_andn2_b64 s[4:5], s[4:5], exec
	s_and_b64 s[8:9], s[8:9], exec
	s_or_b64 s[4:5], s[4:5], s[8:9]
	s_or_b64 exec, exec, s[6:7]
	s_and_saveexec_b64 s[6:7], s[4:5]
	s_cbranch_execnz .LBB5_1423
	s_branch .LBB5_1424
.LBB5_3473:
	s_movk_i32 s4, 0x80
	v_cmp_eq_u16_e32 vcc, s4, v13
	s_mov_b64 s[4:5], -1
                                        ; implicit-def: $sgpr10
	s_and_saveexec_b64 s[8:9], vcc
; %bb.3474:
	s_mov_b32 s10, 0x7f800001
	s_xor_b64 s[4:5], exec, -1
; %bb.3475:
	s_or_b64 exec, exec, s[8:9]
	s_and_b64 s[4:5], s[4:5], exec
                                        ; implicit-def: $vgpr13
	s_or_saveexec_b64 s[6:7], s[6:7]
	v_mov_b32_e32 v12, s10
	s_xor_b64 exec, exec, s[6:7]
	s_cbranch_execz .LBB5_1426
.LBB5_3476:
	v_cmp_ne_u16_e32 vcc, 0, v13
	s_andn2_b64 s[4:5], s[4:5], exec
	s_and_b64 s[8:9], vcc, exec
	v_mov_b32_e32 v12, 0
	s_or_b64 s[4:5], s[4:5], s[8:9]
	s_or_b64 exec, exec, s[6:7]
	s_and_saveexec_b64 s[6:7], s[4:5]
	s_cbranch_execnz .LBB5_1427
	s_branch .LBB5_1428
.LBB5_3477:
	s_movk_i32 s4, 0x80
	v_cmp_eq_u16_e32 vcc, s4, v13
	s_mov_b64 s[4:5], -1
                                        ; implicit-def: $sgpr10
	s_and_saveexec_b64 s[8:9], vcc
; %bb.3478:
	s_mov_b32 s10, 0x7f800001
	s_xor_b64 s[4:5], exec, -1
; %bb.3479:
	s_or_b64 exec, exec, s[8:9]
	s_and_b64 s[4:5], s[4:5], exec
                                        ; implicit-def: $vgpr13
	s_or_saveexec_b64 s[6:7], s[6:7]
	v_mov_b32_e32 v14, s10
	s_xor_b64 exec, exec, s[6:7]
	s_cbranch_execz .LBB5_1430
.LBB5_3480:
	v_cmp_ne_u16_e32 vcc, 0, v13
	s_andn2_b64 s[4:5], s[4:5], exec
	s_and_b64 s[8:9], vcc, exec
	v_mov_b32_e32 v14, 0
	s_or_b64 s[4:5], s[4:5], s[8:9]
	s_or_b64 exec, exec, s[6:7]
	s_and_saveexec_b64 s[6:7], s[4:5]
	s_cbranch_execnz .LBB5_1431
	s_branch .LBB5_1432
.LBB5_3481:
	s_movk_i32 s4, 0x80
	v_cmp_eq_u16_sdwa s[12:13], v6, s4 src0_sel:BYTE_3 src1_sel:DWORD
	s_mov_b64 s[4:5], -1
                                        ; implicit-def: $sgpr10
	s_and_saveexec_b64 s[8:9], s[12:13]
; %bb.3482:
	s_mov_b32 s10, 0x7f800001
	s_xor_b64 s[4:5], exec, -1
; %bb.3483:
	s_or_b64 exec, exec, s[8:9]
	s_and_b64 s[4:5], s[4:5], exec
	s_or_saveexec_b64 s[6:7], s[6:7]
	v_mov_b32_e32 v12, s10
	s_xor_b64 exec, exec, s[6:7]
	s_cbranch_execz .LBB5_1434
.LBB5_3484:
	v_mov_b32_e32 v12, 0
	v_cmp_ne_u16_sdwa s[8:9], v6, v12 src0_sel:BYTE_3 src1_sel:DWORD
	s_andn2_b64 s[4:5], s[4:5], exec
	s_and_b64 s[8:9], s[8:9], exec
	s_or_b64 s[4:5], s[4:5], s[8:9]
	s_or_b64 exec, exec, s[6:7]
	s_and_saveexec_b64 s[6:7], s[4:5]
	s_cbranch_execnz .LBB5_1435
	s_branch .LBB5_1436
.LBB5_3485:
	s_movk_i32 s4, 0x80
	v_cmp_eq_u16_sdwa s[12:13], v2, s4 src0_sel:BYTE_3 src1_sel:DWORD
	s_mov_b64 s[4:5], -1
                                        ; implicit-def: $sgpr10
	s_and_saveexec_b64 s[8:9], s[12:13]
; %bb.3486:
	s_mov_b32 s10, 0x7f800001
	s_xor_b64 s[4:5], exec, -1
; %bb.3487:
	s_or_b64 exec, exec, s[8:9]
	s_and_b64 s[4:5], s[4:5], exec
	s_or_saveexec_b64 s[6:7], s[6:7]
	v_mov_b32_e32 v6, s10
	s_xor_b64 exec, exec, s[6:7]
	s_cbranch_execz .LBB5_1438
.LBB5_3488:
	v_mov_b32_e32 v6, 0
	v_cmp_ne_u16_sdwa s[8:9], v2, v6 src0_sel:BYTE_3 src1_sel:DWORD
	s_andn2_b64 s[4:5], s[4:5], exec
	s_and_b64 s[8:9], s[8:9], exec
	s_or_b64 s[4:5], s[4:5], s[8:9]
	s_or_b64 exec, exec, s[6:7]
	s_and_saveexec_b64 s[6:7], s[4:5]
	s_cbranch_execnz .LBB5_1439
	s_branch .LBB5_1440
.LBB5_3489:
	s_movk_i32 s4, 0x80
	v_cmp_eq_u16_sdwa s[12:13], v7, s4 src0_sel:BYTE_0 src1_sel:DWORD
	s_mov_b64 s[4:5], -1
                                        ; implicit-def: $sgpr10
	s_and_saveexec_b64 s[8:9], s[12:13]
; %bb.3490:
	s_mov_b32 s10, 0x7f800001
	s_xor_b64 s[4:5], exec, -1
; %bb.3491:
	s_or_b64 exec, exec, s[8:9]
	s_and_b64 s[4:5], s[4:5], exec
	s_or_saveexec_b64 s[6:7], s[6:7]
	v_mov_b32_e32 v2, s10
	s_xor_b64 exec, exec, s[6:7]
	s_cbranch_execz .LBB5_1442
.LBB5_3492:
	v_mov_b32_e32 v2, 0
	v_cmp_ne_u16_sdwa s[8:9], v7, v2 src0_sel:BYTE_0 src1_sel:DWORD
	s_andn2_b64 s[4:5], s[4:5], exec
	s_and_b64 s[8:9], s[8:9], exec
	s_or_b64 s[4:5], s[4:5], s[8:9]
	s_or_b64 exec, exec, s[6:7]
	s_and_saveexec_b64 s[6:7], s[4:5]
	s_cbranch_execnz .LBB5_1443
	s_branch .LBB5_1444
.LBB5_3493:
	s_movk_i32 s4, 0x80
	v_cmp_eq_u16_sdwa s[12:13], v3, s4 src0_sel:BYTE_0 src1_sel:DWORD
	s_mov_b64 s[4:5], -1
                                        ; implicit-def: $sgpr10
	s_and_saveexec_b64 s[8:9], s[12:13]
; %bb.3494:
	s_mov_b32 s10, 0x7f800001
	s_xor_b64 s[4:5], exec, -1
; %bb.3495:
	s_or_b64 exec, exec, s[8:9]
	s_and_b64 s[4:5], s[4:5], exec
	s_or_saveexec_b64 s[6:7], s[6:7]
	v_mov_b32_e32 v6, s10
	s_xor_b64 exec, exec, s[6:7]
	s_cbranch_execz .LBB5_1446
.LBB5_3496:
	v_mov_b32_e32 v6, 0
	v_cmp_ne_u16_sdwa s[8:9], v3, v6 src0_sel:BYTE_0 src1_sel:DWORD
	s_andn2_b64 s[4:5], s[4:5], exec
	s_and_b64 s[8:9], s[8:9], exec
	s_or_b64 s[4:5], s[4:5], s[8:9]
	s_or_b64 exec, exec, s[6:7]
	s_and_saveexec_b64 s[6:7], s[4:5]
	s_cbranch_execnz .LBB5_1447
	s_branch .LBB5_1448
.LBB5_3497:
	s_movk_i32 s4, 0x80
	v_cmp_eq_u16_sdwa s[12:13], v6, s4 src0_sel:BYTE_0 src1_sel:DWORD
	s_mov_b64 s[4:5], -1
                                        ; implicit-def: $sgpr10
	s_and_saveexec_b64 s[8:9], s[12:13]
; %bb.3498:
	s_mov_b32 s10, 0x7f800001
	s_xor_b64 s[4:5], exec, -1
; %bb.3499:
	s_or_b64 exec, exec, s[8:9]
	s_and_b64 s[4:5], s[4:5], exec
	s_or_saveexec_b64 s[6:7], s[6:7]
	v_mov_b32_e32 v2, s10
	s_xor_b64 exec, exec, s[6:7]
	s_cbranch_execz .LBB5_1450
.LBB5_3500:
	v_mov_b32_e32 v2, 0
	v_cmp_ne_u16_sdwa s[8:9], v6, v2 src0_sel:BYTE_0 src1_sel:DWORD
	s_andn2_b64 s[4:5], s[4:5], exec
	s_and_b64 s[8:9], s[8:9], exec
	s_or_b64 s[4:5], s[4:5], s[8:9]
	s_or_b64 exec, exec, s[6:7]
	s_and_saveexec_b64 s[6:7], s[4:5]
	s_cbranch_execnz .LBB5_1451
	s_branch .LBB5_1452
.LBB5_3501:
	s_movk_i32 s4, 0x80
	v_cmp_eq_u16_sdwa s[12:13], v6, s4 src0_sel:BYTE_0 src1_sel:DWORD
	s_mov_b64 s[4:5], -1
                                        ; implicit-def: $sgpr10
	s_and_saveexec_b64 s[8:9], s[12:13]
; %bb.3502:
	s_mov_b32 s10, 0x7f800001
	s_xor_b64 s[4:5], exec, -1
; %bb.3503:
	s_or_b64 exec, exec, s[8:9]
	s_and_b64 s[4:5], s[4:5], exec
	s_or_saveexec_b64 s[6:7], s[6:7]
	v_mov_b32_e32 v12, s10
	s_xor_b64 exec, exec, s[6:7]
	s_cbranch_execz .LBB5_1454
.LBB5_3504:
	v_mov_b32_e32 v12, 0
	v_cmp_ne_u16_sdwa s[8:9], v6, v12 src0_sel:BYTE_0 src1_sel:DWORD
	s_andn2_b64 s[4:5], s[4:5], exec
	s_and_b64 s[8:9], s[8:9], exec
	s_or_b64 s[4:5], s[4:5], s[8:9]
	s_or_b64 exec, exec, s[6:7]
	s_and_saveexec_b64 s[6:7], s[4:5]
	s_cbranch_execnz .LBB5_1455
	s_branch .LBB5_1456
.LBB5_3505:
	s_movk_i32 s4, 0x80
	v_cmp_eq_u16_e32 vcc, s4, v6
	s_mov_b64 s[4:5], -1
                                        ; implicit-def: $sgpr10
	s_and_saveexec_b64 s[8:9], vcc
; %bb.3506:
	s_mov_b32 s10, 0x7f800001
	s_xor_b64 s[4:5], exec, -1
; %bb.3507:
	s_or_b64 exec, exec, s[8:9]
	s_and_b64 s[4:5], s[4:5], exec
                                        ; implicit-def: $vgpr6
	s_or_saveexec_b64 s[6:7], s[6:7]
	v_mov_b32_e32 v2, s10
	s_xor_b64 exec, exec, s[6:7]
	s_cbranch_execz .LBB5_1458
.LBB5_3508:
	v_cmp_ne_u16_e32 vcc, 0, v6
	s_andn2_b64 s[4:5], s[4:5], exec
	s_and_b64 s[8:9], vcc, exec
	v_mov_b32_e32 v2, 0
	s_or_b64 s[4:5], s[4:5], s[8:9]
	s_or_b64 exec, exec, s[6:7]
	s_and_saveexec_b64 s[6:7], s[4:5]
	s_cbranch_execnz .LBB5_1459
	s_branch .LBB5_1460
.LBB5_3509:
	s_movk_i32 s4, 0x80
	v_cmp_eq_u16_e32 vcc, s4, v6
	s_mov_b64 s[4:5], -1
                                        ; implicit-def: $sgpr10
	s_and_saveexec_b64 s[8:9], vcc
; %bb.3510:
	s_mov_b32 s10, 0x7f800001
	s_xor_b64 s[4:5], exec, -1
; %bb.3511:
	s_or_b64 exec, exec, s[8:9]
	s_and_b64 s[4:5], s[4:5], exec
                                        ; implicit-def: $vgpr6
	s_or_saveexec_b64 s[6:7], s[6:7]
	v_mov_b32_e32 v12, s10
	s_xor_b64 exec, exec, s[6:7]
	s_cbranch_execz .LBB5_1462
.LBB5_3512:
	v_cmp_ne_u16_e32 vcc, 0, v6
	s_andn2_b64 s[4:5], s[4:5], exec
	s_and_b64 s[8:9], vcc, exec
	v_mov_b32_e32 v12, 0
	s_or_b64 s[4:5], s[4:5], s[8:9]
	s_or_b64 exec, exec, s[6:7]
	s_and_saveexec_b64 s[6:7], s[4:5]
	s_cbranch_execnz .LBB5_1463
	s_branch .LBB5_1464
.LBB5_3513:
	s_movk_i32 s4, 0x80
	v_cmp_eq_u16_sdwa s[12:13], v7, s4 src0_sel:BYTE_3 src1_sel:DWORD
	s_mov_b64 s[4:5], -1
                                        ; implicit-def: $sgpr10
	s_and_saveexec_b64 s[8:9], s[12:13]
; %bb.3514:
	s_mov_b32 s10, 0x7f800001
	s_xor_b64 s[4:5], exec, -1
; %bb.3515:
	s_or_b64 exec, exec, s[8:9]
	s_and_b64 s[4:5], s[4:5], exec
	s_or_saveexec_b64 s[6:7], s[6:7]
	v_mov_b32_e32 v2, s10
	s_xor_b64 exec, exec, s[6:7]
	s_cbranch_execz .LBB5_1466
.LBB5_3516:
	v_mov_b32_e32 v2, 0
	v_cmp_ne_u16_sdwa s[8:9], v7, v2 src0_sel:BYTE_3 src1_sel:DWORD
	s_andn2_b64 s[4:5], s[4:5], exec
	s_and_b64 s[8:9], s[8:9], exec
	s_or_b64 s[4:5], s[4:5], s[8:9]
	s_or_b64 exec, exec, s[6:7]
	s_and_saveexec_b64 s[6:7], s[4:5]
	s_cbranch_execnz .LBB5_1467
	s_branch .LBB5_1468
.LBB5_3517:
	s_movk_i32 s4, 0x80
	v_cmp_eq_u16_sdwa s[12:13], v3, s4 src0_sel:BYTE_3 src1_sel:DWORD
	s_mov_b64 s[4:5], -1
                                        ; implicit-def: $sgpr10
	s_and_saveexec_b64 s[8:9], s[12:13]
; %bb.3518:
	s_mov_b32 s10, 0x7f800001
	s_xor_b64 s[4:5], exec, -1
; %bb.3519:
	s_or_b64 exec, exec, s[8:9]
	s_and_b64 s[4:5], s[4:5], exec
	s_or_saveexec_b64 s[6:7], s[6:7]
	v_mov_b32_e32 v6, s10
	s_xor_b64 exec, exec, s[6:7]
	s_cbranch_execz .LBB5_1470
.LBB5_3520:
	v_mov_b32_e32 v6, 0
	v_cmp_ne_u16_sdwa s[8:9], v3, v6 src0_sel:BYTE_3 src1_sel:DWORD
	s_andn2_b64 s[4:5], s[4:5], exec
	s_and_b64 s[8:9], s[8:9], exec
	s_or_b64 s[4:5], s[4:5], s[8:9]
	s_or_b64 exec, exec, s[6:7]
	s_and_saveexec_b64 s[6:7], s[4:5]
	s_cbranch_execnz .LBB5_1471
	s_branch .LBB5_1472
.LBB5_3521:
	s_movk_i32 s4, 0x80
	v_cmp_eq_u16_sdwa s[12:13], v8, s4 src0_sel:BYTE_0 src1_sel:DWORD
	s_mov_b64 s[4:5], -1
                                        ; implicit-def: $sgpr10
	s_and_saveexec_b64 s[8:9], s[12:13]
; %bb.3522:
	s_mov_b32 s10, 0x7f800001
	s_xor_b64 s[4:5], exec, -1
; %bb.3523:
	s_or_b64 exec, exec, s[8:9]
	s_and_b64 s[4:5], s[4:5], exec
	s_or_saveexec_b64 s[6:7], s[6:7]
	v_mov_b32_e32 v2, s10
	s_xor_b64 exec, exec, s[6:7]
	s_cbranch_execz .LBB5_1474
.LBB5_3524:
	v_mov_b32_e32 v2, 0
	v_cmp_ne_u16_sdwa s[8:9], v8, v2 src0_sel:BYTE_0 src1_sel:DWORD
	s_andn2_b64 s[4:5], s[4:5], exec
	s_and_b64 s[8:9], s[8:9], exec
	s_or_b64 s[4:5], s[4:5], s[8:9]
	s_or_b64 exec, exec, s[6:7]
	s_and_saveexec_b64 s[6:7], s[4:5]
	s_cbranch_execnz .LBB5_1475
	s_branch .LBB5_1476
.LBB5_3525:
	s_movk_i32 s4, 0x80
	v_cmp_eq_u16_sdwa s[12:13], v4, s4 src0_sel:BYTE_0 src1_sel:DWORD
	s_mov_b64 s[4:5], -1
                                        ; implicit-def: $sgpr10
	s_and_saveexec_b64 s[8:9], s[12:13]
; %bb.3526:
	s_mov_b32 s10, 0x7f800001
	s_xor_b64 s[4:5], exec, -1
; %bb.3527:
	s_or_b64 exec, exec, s[8:9]
	s_and_b64 s[4:5], s[4:5], exec
	s_or_saveexec_b64 s[6:7], s[6:7]
	v_mov_b32_e32 v3, s10
	s_xor_b64 exec, exec, s[6:7]
	s_cbranch_execz .LBB5_1478
.LBB5_3528:
	v_mov_b32_e32 v3, 0
	v_cmp_ne_u16_sdwa s[8:9], v4, v3 src0_sel:BYTE_0 src1_sel:DWORD
	s_andn2_b64 s[4:5], s[4:5], exec
	s_and_b64 s[8:9], s[8:9], exec
	s_or_b64 s[4:5], s[4:5], s[8:9]
	s_or_b64 exec, exec, s[6:7]
	s_and_saveexec_b64 s[6:7], s[4:5]
	s_cbranch_execnz .LBB5_1479
	s_branch .LBB5_1480
.LBB5_3529:
	s_movk_i32 s4, 0x80
	v_cmp_eq_u16_sdwa s[12:13], v3, s4 src0_sel:BYTE_0 src1_sel:DWORD
	s_mov_b64 s[4:5], -1
                                        ; implicit-def: $sgpr10
	s_and_saveexec_b64 s[8:9], s[12:13]
; %bb.3530:
	s_mov_b32 s10, 0x7f800001
	s_xor_b64 s[4:5], exec, -1
; %bb.3531:
	s_or_b64 exec, exec, s[8:9]
	s_and_b64 s[4:5], s[4:5], exec
	s_or_saveexec_b64 s[6:7], s[6:7]
	v_mov_b32_e32 v2, s10
	s_xor_b64 exec, exec, s[6:7]
	s_cbranch_execz .LBB5_1482
.LBB5_3532:
	v_mov_b32_e32 v2, 0
	v_cmp_ne_u16_sdwa s[8:9], v3, v2 src0_sel:BYTE_0 src1_sel:DWORD
	s_andn2_b64 s[4:5], s[4:5], exec
	s_and_b64 s[8:9], s[8:9], exec
	s_or_b64 s[4:5], s[4:5], s[8:9]
	s_or_b64 exec, exec, s[6:7]
	s_and_saveexec_b64 s[6:7], s[4:5]
	s_cbranch_execnz .LBB5_1483
	s_branch .LBB5_1484
.LBB5_3533:
	s_movk_i32 s4, 0x80
	v_cmp_eq_u16_sdwa s[12:13], v3, s4 src0_sel:BYTE_0 src1_sel:DWORD
	s_mov_b64 s[4:5], -1
                                        ; implicit-def: $sgpr10
	s_and_saveexec_b64 s[8:9], s[12:13]
; %bb.3534:
	s_mov_b32 s10, 0x7f800001
	s_xor_b64 s[4:5], exec, -1
; %bb.3535:
	s_or_b64 exec, exec, s[8:9]
	s_and_b64 s[4:5], s[4:5], exec
	s_or_saveexec_b64 s[6:7], s[6:7]
	v_mov_b32_e32 v6, s10
	s_xor_b64 exec, exec, s[6:7]
	s_cbranch_execz .LBB5_1486
.LBB5_3536:
	v_mov_b32_e32 v6, 0
	v_cmp_ne_u16_sdwa s[8:9], v3, v6 src0_sel:BYTE_0 src1_sel:DWORD
	s_andn2_b64 s[4:5], s[4:5], exec
	s_and_b64 s[8:9], s[8:9], exec
	s_or_b64 s[4:5], s[4:5], s[8:9]
	s_or_b64 exec, exec, s[6:7]
	s_and_saveexec_b64 s[6:7], s[4:5]
	s_cbranch_execnz .LBB5_1487
	s_branch .LBB5_1488
.LBB5_3537:
	s_movk_i32 s4, 0x80
	v_cmp_eq_u16_e32 vcc, s4, v3
	s_mov_b64 s[4:5], -1
                                        ; implicit-def: $sgpr10
	s_and_saveexec_b64 s[8:9], vcc
; %bb.3538:
	s_mov_b32 s10, 0x7f800001
	s_xor_b64 s[4:5], exec, -1
; %bb.3539:
	s_or_b64 exec, exec, s[8:9]
	s_and_b64 s[4:5], s[4:5], exec
                                        ; implicit-def: $vgpr3
	s_or_saveexec_b64 s[6:7], s[6:7]
	v_mov_b32_e32 v2, s10
	s_xor_b64 exec, exec, s[6:7]
	s_cbranch_execz .LBB5_1490
.LBB5_3540:
	v_cmp_ne_u16_e32 vcc, 0, v3
	s_andn2_b64 s[4:5], s[4:5], exec
	s_and_b64 s[8:9], vcc, exec
	v_mov_b32_e32 v2, 0
	s_or_b64 s[4:5], s[4:5], s[8:9]
	s_or_b64 exec, exec, s[6:7]
	s_and_saveexec_b64 s[6:7], s[4:5]
	s_cbranch_execnz .LBB5_1491
	s_branch .LBB5_1492
.LBB5_3541:
	s_movk_i32 s4, 0x80
	v_cmp_eq_u16_e32 vcc, s4, v3
	s_mov_b64 s[4:5], -1
                                        ; implicit-def: $sgpr10
	s_and_saveexec_b64 s[8:9], vcc
; %bb.3542:
	s_mov_b32 s10, 0x7f800001
	s_xor_b64 s[4:5], exec, -1
; %bb.3543:
	s_or_b64 exec, exec, s[8:9]
	s_and_b64 s[4:5], s[4:5], exec
                                        ; implicit-def: $vgpr3
	s_or_saveexec_b64 s[6:7], s[6:7]
	v_mov_b32_e32 v6, s10
	s_xor_b64 exec, exec, s[6:7]
	s_cbranch_execz .LBB5_1494
.LBB5_3544:
	v_cmp_ne_u16_e32 vcc, 0, v3
	s_andn2_b64 s[4:5], s[4:5], exec
	s_and_b64 s[8:9], vcc, exec
	v_mov_b32_e32 v6, 0
	s_or_b64 s[4:5], s[4:5], s[8:9]
	s_or_b64 exec, exec, s[6:7]
	s_and_saveexec_b64 s[6:7], s[4:5]
	s_cbranch_execnz .LBB5_1495
	s_branch .LBB5_1496
.LBB5_3545:
	s_movk_i32 s4, 0x80
	v_cmp_eq_u16_sdwa s[12:13], v8, s4 src0_sel:BYTE_3 src1_sel:DWORD
	s_mov_b64 s[4:5], -1
                                        ; implicit-def: $sgpr10
	s_and_saveexec_b64 s[8:9], s[12:13]
; %bb.3546:
	s_mov_b32 s10, 0x7f800001
	s_xor_b64 s[4:5], exec, -1
; %bb.3547:
	s_or_b64 exec, exec, s[8:9]
	s_and_b64 s[4:5], s[4:5], exec
	s_or_saveexec_b64 s[6:7], s[6:7]
	v_mov_b32_e32 v2, s10
	s_xor_b64 exec, exec, s[6:7]
	s_cbranch_execz .LBB5_1498
.LBB5_3548:
	v_mov_b32_e32 v2, 0
	v_cmp_ne_u16_sdwa s[8:9], v8, v2 src0_sel:BYTE_3 src1_sel:DWORD
	s_andn2_b64 s[4:5], s[4:5], exec
	s_and_b64 s[8:9], s[8:9], exec
	s_or_b64 s[4:5], s[4:5], s[8:9]
	s_or_b64 exec, exec, s[6:7]
	s_and_saveexec_b64 s[6:7], s[4:5]
	s_cbranch_execnz .LBB5_1499
	s_branch .LBB5_1500
.LBB5_3549:
	s_movk_i32 s4, 0x80
	v_cmp_eq_u16_sdwa s[12:13], v4, s4 src0_sel:BYTE_3 src1_sel:DWORD
	s_mov_b64 s[4:5], -1
                                        ; implicit-def: $sgpr10
	s_and_saveexec_b64 s[8:9], s[12:13]
; %bb.3550:
	s_mov_b32 s10, 0x7f800001
	s_xor_b64 s[4:5], exec, -1
; %bb.3551:
	s_or_b64 exec, exec, s[8:9]
	s_and_b64 s[4:5], s[4:5], exec
	s_or_saveexec_b64 s[6:7], s[6:7]
	v_mov_b32_e32 v3, s10
	s_xor_b64 exec, exec, s[6:7]
	s_cbranch_execz .LBB5_1502
.LBB5_3552:
	v_mov_b32_e32 v3, 0
	v_cmp_ne_u16_sdwa s[8:9], v4, v3 src0_sel:BYTE_3 src1_sel:DWORD
	s_andn2_b64 s[4:5], s[4:5], exec
	s_and_b64 s[8:9], s[8:9], exec
	s_or_b64 s[4:5], s[4:5], s[8:9]
	s_or_b64 exec, exec, s[6:7]
	s_and_saveexec_b64 s[6:7], s[4:5]
	s_cbranch_execnz .LBB5_1503
	s_branch .LBB5_1504
.LBB5_3553:
	s_movk_i32 s4, 0x80
	v_cmp_eq_u16_sdwa s[12:13], v9, s4 src0_sel:BYTE_0 src1_sel:DWORD
	s_mov_b64 s[4:5], -1
                                        ; implicit-def: $sgpr10
	s_and_saveexec_b64 s[8:9], s[12:13]
; %bb.3554:
	s_mov_b32 s10, 0x7f800001
	s_xor_b64 s[4:5], exec, -1
; %bb.3555:
	s_or_b64 exec, exec, s[8:9]
	s_and_b64 s[4:5], s[4:5], exec
	s_or_saveexec_b64 s[6:7], s[6:7]
	v_mov_b32_e32 v2, s10
	s_xor_b64 exec, exec, s[6:7]
	s_cbranch_execz .LBB5_1506
.LBB5_3556:
	v_mov_b32_e32 v2, 0
	v_cmp_ne_u16_sdwa s[8:9], v9, v2 src0_sel:BYTE_0 src1_sel:DWORD
	s_andn2_b64 s[4:5], s[4:5], exec
	s_and_b64 s[8:9], s[8:9], exec
	s_or_b64 s[4:5], s[4:5], s[8:9]
	s_or_b64 exec, exec, s[6:7]
	s_and_saveexec_b64 s[6:7], s[4:5]
	s_cbranch_execnz .LBB5_1507
	s_branch .LBB5_1508
.LBB5_3557:
	s_movk_i32 s4, 0x80
	v_cmp_eq_u16_sdwa s[12:13], v5, s4 src0_sel:BYTE_0 src1_sel:DWORD
	s_mov_b64 s[4:5], -1
                                        ; implicit-def: $sgpr10
	s_and_saveexec_b64 s[8:9], s[12:13]
; %bb.3558:
	s_mov_b32 s10, 0x7f800001
	s_xor_b64 s[4:5], exec, -1
; %bb.3559:
	s_or_b64 exec, exec, s[8:9]
	s_and_b64 s[4:5], s[4:5], exec
	s_or_saveexec_b64 s[6:7], s[6:7]
	v_mov_b32_e32 v3, s10
	s_xor_b64 exec, exec, s[6:7]
	s_cbranch_execz .LBB5_1510
.LBB5_3560:
	v_mov_b32_e32 v3, 0
	v_cmp_ne_u16_sdwa s[8:9], v5, v3 src0_sel:BYTE_0 src1_sel:DWORD
	s_andn2_b64 s[4:5], s[4:5], exec
	s_and_b64 s[8:9], s[8:9], exec
	s_or_b64 s[4:5], s[4:5], s[8:9]
	s_or_b64 exec, exec, s[6:7]
	s_and_saveexec_b64 s[6:7], s[4:5]
	s_cbranch_execnz .LBB5_1511
	s_branch .LBB5_1512
.LBB5_3561:
	s_movk_i32 s4, 0x80
	v_cmp_eq_u16_sdwa s[12:13], v3, s4 src0_sel:BYTE_0 src1_sel:DWORD
	s_mov_b64 s[4:5], -1
                                        ; implicit-def: $sgpr10
	s_and_saveexec_b64 s[8:9], s[12:13]
; %bb.3562:
	s_mov_b32 s10, 0x7f800001
	s_xor_b64 s[4:5], exec, -1
; %bb.3563:
	s_or_b64 exec, exec, s[8:9]
	s_and_b64 s[4:5], s[4:5], exec
	s_or_saveexec_b64 s[6:7], s[6:7]
	v_mov_b32_e32 v2, s10
	s_xor_b64 exec, exec, s[6:7]
	s_cbranch_execz .LBB5_1514
.LBB5_3564:
	v_mov_b32_e32 v2, 0
	v_cmp_ne_u16_sdwa s[8:9], v3, v2 src0_sel:BYTE_0 src1_sel:DWORD
	s_andn2_b64 s[4:5], s[4:5], exec
	s_and_b64 s[8:9], s[8:9], exec
	s_or_b64 s[4:5], s[4:5], s[8:9]
	s_or_b64 exec, exec, s[6:7]
	s_and_saveexec_b64 s[6:7], s[4:5]
	s_cbranch_execnz .LBB5_1515
	s_branch .LBB5_1516
.LBB5_3565:
	s_movk_i32 s4, 0x80
	v_cmp_eq_u16_sdwa s[12:13], v3, s4 src0_sel:BYTE_0 src1_sel:DWORD
	s_mov_b64 s[4:5], -1
                                        ; implicit-def: $sgpr10
	s_and_saveexec_b64 s[8:9], s[12:13]
; %bb.3566:
	s_mov_b32 s10, 0x7f800001
	s_xor_b64 s[4:5], exec, -1
; %bb.3567:
	s_or_b64 exec, exec, s[8:9]
	s_and_b64 s[4:5], s[4:5], exec
	s_or_saveexec_b64 s[6:7], s[6:7]
	v_mov_b32_e32 v4, s10
	s_xor_b64 exec, exec, s[6:7]
	s_cbranch_execz .LBB5_1518
.LBB5_3568:
	v_mov_b32_e32 v4, 0
	v_cmp_ne_u16_sdwa s[8:9], v3, v4 src0_sel:BYTE_0 src1_sel:DWORD
	s_andn2_b64 s[4:5], s[4:5], exec
	s_and_b64 s[8:9], s[8:9], exec
	s_or_b64 s[4:5], s[4:5], s[8:9]
	s_or_b64 exec, exec, s[6:7]
	s_and_saveexec_b64 s[6:7], s[4:5]
	s_cbranch_execnz .LBB5_1519
	s_branch .LBB5_1520
.LBB5_3569:
	s_movk_i32 s4, 0x80
	v_cmp_eq_u16_e32 vcc, s4, v3
	s_mov_b64 s[4:5], -1
                                        ; implicit-def: $sgpr10
	s_and_saveexec_b64 s[8:9], vcc
; %bb.3570:
	s_mov_b32 s10, 0x7f800001
	s_xor_b64 s[4:5], exec, -1
; %bb.3571:
	s_or_b64 exec, exec, s[8:9]
	s_and_b64 s[4:5], s[4:5], exec
                                        ; implicit-def: $vgpr3
	s_or_saveexec_b64 s[6:7], s[6:7]
	v_mov_b32_e32 v2, s10
	s_xor_b64 exec, exec, s[6:7]
	s_cbranch_execz .LBB5_1522
.LBB5_3572:
	v_cmp_ne_u16_e32 vcc, 0, v3
	s_andn2_b64 s[4:5], s[4:5], exec
	s_and_b64 s[8:9], vcc, exec
	v_mov_b32_e32 v2, 0
	s_or_b64 s[4:5], s[4:5], s[8:9]
	s_or_b64 exec, exec, s[6:7]
	s_and_saveexec_b64 s[6:7], s[4:5]
	s_cbranch_execnz .LBB5_1523
	s_branch .LBB5_1524
.LBB5_3573:
	s_movk_i32 s4, 0x80
	v_cmp_eq_u16_e32 vcc, s4, v3
	s_mov_b64 s[4:5], -1
                                        ; implicit-def: $sgpr10
	s_and_saveexec_b64 s[8:9], vcc
; %bb.3574:
	s_mov_b32 s10, 0x7f800001
	s_xor_b64 s[4:5], exec, -1
; %bb.3575:
	s_or_b64 exec, exec, s[8:9]
	s_and_b64 s[4:5], s[4:5], exec
                                        ; implicit-def: $vgpr3
	s_or_saveexec_b64 s[6:7], s[6:7]
	v_mov_b32_e32 v4, s10
	s_xor_b64 exec, exec, s[6:7]
	s_cbranch_execz .LBB5_1526
.LBB5_3576:
	v_cmp_ne_u16_e32 vcc, 0, v3
	s_andn2_b64 s[4:5], s[4:5], exec
	s_and_b64 s[8:9], vcc, exec
	v_mov_b32_e32 v4, 0
	s_or_b64 s[4:5], s[4:5], s[8:9]
	s_or_b64 exec, exec, s[6:7]
	s_and_saveexec_b64 s[6:7], s[4:5]
	s_cbranch_execnz .LBB5_1527
	s_branch .LBB5_1528
.LBB5_3577:
	s_movk_i32 s4, 0x80
	v_cmp_eq_u16_sdwa s[12:13], v9, s4 src0_sel:BYTE_3 src1_sel:DWORD
	s_mov_b64 s[4:5], -1
                                        ; implicit-def: $sgpr10
	s_and_saveexec_b64 s[8:9], s[12:13]
; %bb.3578:
	s_mov_b32 s10, 0x7f800001
	s_xor_b64 s[4:5], exec, -1
; %bb.3579:
	s_or_b64 exec, exec, s[8:9]
	s_and_b64 s[4:5], s[4:5], exec
	s_or_saveexec_b64 s[6:7], s[6:7]
	v_mov_b32_e32 v2, s10
	s_xor_b64 exec, exec, s[6:7]
	s_cbranch_execz .LBB5_1530
.LBB5_3580:
	v_mov_b32_e32 v2, 0
	v_cmp_ne_u16_sdwa s[8:9], v9, v2 src0_sel:BYTE_3 src1_sel:DWORD
	s_andn2_b64 s[4:5], s[4:5], exec
	s_and_b64 s[8:9], s[8:9], exec
	s_or_b64 s[4:5], s[4:5], s[8:9]
	s_or_b64 exec, exec, s[6:7]
	s_and_saveexec_b64 s[6:7], s[4:5]
	s_cbranch_execnz .LBB5_1531
	s_branch .LBB5_1532
.LBB5_3581:
	s_movk_i32 s4, 0x80
	v_cmp_eq_u16_sdwa s[12:13], v5, s4 src0_sel:BYTE_3 src1_sel:DWORD
	s_mov_b64 s[4:5], -1
                                        ; implicit-def: $sgpr10
	s_and_saveexec_b64 s[8:9], s[12:13]
; %bb.3582:
	s_mov_b32 s10, 0x7f800001
	s_xor_b64 s[4:5], exec, -1
; %bb.3583:
	s_or_b64 exec, exec, s[8:9]
	s_and_b64 s[4:5], s[4:5], exec
	s_or_saveexec_b64 s[6:7], s[6:7]
	v_mov_b32_e32 v3, s10
	s_xor_b64 exec, exec, s[6:7]
	s_cbranch_execz .LBB5_1534
.LBB5_3584:
	v_mov_b32_e32 v3, 0
	v_cmp_ne_u16_sdwa s[8:9], v5, v3 src0_sel:BYTE_3 src1_sel:DWORD
	s_andn2_b64 s[4:5], s[4:5], exec
	s_and_b64 s[8:9], s[8:9], exec
	s_or_b64 s[4:5], s[4:5], s[8:9]
	s_or_b64 exec, exec, s[6:7]
	s_and_saveexec_b64 s[6:7], s[4:5]
	s_cbranch_execnz .LBB5_1535
	s_branch .LBB5_1536
.LBB5_3585:
	s_movk_i32 s4, 0x80
	v_cmp_eq_u16_sdwa s[12:13], v6, s4 src0_sel:BYTE_0 src1_sel:DWORD
	s_mov_b64 s[4:5], -1
                                        ; implicit-def: $sgpr10
	s_and_saveexec_b64 s[8:9], s[12:13]
; %bb.3586:
	s_mov_b32 s10, 0x7f800001
	s_xor_b64 s[4:5], exec, -1
; %bb.3587:
	s_or_b64 exec, exec, s[8:9]
	s_and_b64 s[4:5], s[4:5], exec
	s_or_saveexec_b64 s[6:7], s[6:7]
	v_mov_b32_e32 v12, s10
	s_xor_b64 exec, exec, s[6:7]
	s_cbranch_execz .LBB5_1538
.LBB5_3588:
	v_mov_b32_e32 v12, 0
	v_cmp_ne_u16_sdwa s[8:9], v6, v12 src0_sel:BYTE_0 src1_sel:DWORD
	s_andn2_b64 s[4:5], s[4:5], exec
	s_and_b64 s[8:9], s[8:9], exec
	s_or_b64 s[4:5], s[4:5], s[8:9]
	s_or_b64 exec, exec, s[6:7]
	s_and_saveexec_b64 s[6:7], s[4:5]
	s_cbranch_execnz .LBB5_1539
	s_branch .LBB5_1540
.LBB5_3589:
	s_movk_i32 s4, 0x80
	v_cmp_eq_u16_sdwa s[12:13], v2, s4 src0_sel:BYTE_0 src1_sel:DWORD
	s_mov_b64 s[4:5], -1
                                        ; implicit-def: $sgpr10
	s_and_saveexec_b64 s[8:9], s[12:13]
; %bb.3590:
	s_mov_b32 s10, 0x7f800001
	s_xor_b64 s[4:5], exec, -1
; %bb.3591:
	s_or_b64 exec, exec, s[8:9]
	s_and_b64 s[4:5], s[4:5], exec
	s_or_saveexec_b64 s[6:7], s[6:7]
	v_mov_b32_e32 v13, s10
	s_xor_b64 exec, exec, s[6:7]
	s_cbranch_execz .LBB5_1542
.LBB5_3592:
	v_mov_b32_e32 v13, 0
	v_cmp_ne_u16_sdwa s[8:9], v2, v13 src0_sel:BYTE_0 src1_sel:DWORD
	s_andn2_b64 s[4:5], s[4:5], exec
	s_and_b64 s[8:9], s[8:9], exec
	s_or_b64 s[4:5], s[4:5], s[8:9]
	s_or_b64 exec, exec, s[6:7]
	s_and_saveexec_b64 s[6:7], s[4:5]
	s_cbranch_execnz .LBB5_1543
	s_branch .LBB5_1544
.LBB5_3593:
	s_movk_i32 s4, 0x80
	v_cmp_eq_u16_sdwa s[12:13], v13, s4 src0_sel:BYTE_0 src1_sel:DWORD
	s_mov_b64 s[4:5], -1
                                        ; implicit-def: $sgpr10
	s_and_saveexec_b64 s[8:9], s[12:13]
; %bb.3594:
	s_mov_b32 s10, 0x7f800001
	s_xor_b64 s[4:5], exec, -1
; %bb.3595:
	s_or_b64 exec, exec, s[8:9]
	s_and_b64 s[4:5], s[4:5], exec
	s_or_saveexec_b64 s[6:7], s[6:7]
	v_mov_b32_e32 v12, s10
	s_xor_b64 exec, exec, s[6:7]
	s_cbranch_execz .LBB5_1546
.LBB5_3596:
	v_mov_b32_e32 v12, 0
	v_cmp_ne_u16_sdwa s[8:9], v13, v12 src0_sel:BYTE_0 src1_sel:DWORD
	s_andn2_b64 s[4:5], s[4:5], exec
	s_and_b64 s[8:9], s[8:9], exec
	s_or_b64 s[4:5], s[4:5], s[8:9]
	s_or_b64 exec, exec, s[6:7]
	s_and_saveexec_b64 s[6:7], s[4:5]
	s_cbranch_execnz .LBB5_1547
	s_branch .LBB5_1548
.LBB5_3597:
	s_movk_i32 s4, 0x80
	v_cmp_eq_u16_sdwa s[12:13], v13, s4 src0_sel:BYTE_0 src1_sel:DWORD
	s_mov_b64 s[4:5], -1
                                        ; implicit-def: $sgpr10
	s_and_saveexec_b64 s[8:9], s[12:13]
; %bb.3598:
	s_mov_b32 s10, 0x7f800001
	s_xor_b64 s[4:5], exec, -1
; %bb.3599:
	s_or_b64 exec, exec, s[8:9]
	s_and_b64 s[4:5], s[4:5], exec
	s_or_saveexec_b64 s[6:7], s[6:7]
	v_mov_b32_e32 v14, s10
	s_xor_b64 exec, exec, s[6:7]
	s_cbranch_execz .LBB5_1550
.LBB5_3600:
	v_mov_b32_e32 v14, 0
	v_cmp_ne_u16_sdwa s[8:9], v13, v14 src0_sel:BYTE_0 src1_sel:DWORD
	s_andn2_b64 s[4:5], s[4:5], exec
	s_and_b64 s[8:9], s[8:9], exec
	s_or_b64 s[4:5], s[4:5], s[8:9]
	s_or_b64 exec, exec, s[6:7]
	s_and_saveexec_b64 s[6:7], s[4:5]
	s_cbranch_execnz .LBB5_1551
	s_branch .LBB5_1552
.LBB5_3601:
	s_movk_i32 s4, 0x80
	v_cmp_eq_u16_e32 vcc, s4, v13
	s_mov_b64 s[4:5], -1
                                        ; implicit-def: $sgpr10
	s_and_saveexec_b64 s[8:9], vcc
; %bb.3602:
	s_mov_b32 s10, 0x7f800001
	s_xor_b64 s[4:5], exec, -1
; %bb.3603:
	s_or_b64 exec, exec, s[8:9]
	s_and_b64 s[4:5], s[4:5], exec
                                        ; implicit-def: $vgpr13
	s_or_saveexec_b64 s[6:7], s[6:7]
	v_mov_b32_e32 v12, s10
	s_xor_b64 exec, exec, s[6:7]
	s_cbranch_execz .LBB5_1554
.LBB5_3604:
	v_cmp_ne_u16_e32 vcc, 0, v13
	s_andn2_b64 s[4:5], s[4:5], exec
	s_and_b64 s[8:9], vcc, exec
	v_mov_b32_e32 v12, 0
	s_or_b64 s[4:5], s[4:5], s[8:9]
	s_or_b64 exec, exec, s[6:7]
	s_and_saveexec_b64 s[6:7], s[4:5]
	s_cbranch_execnz .LBB5_1555
	s_branch .LBB5_1556
.LBB5_3605:
	s_movk_i32 s4, 0x80
	v_cmp_eq_u16_e32 vcc, s4, v13
	s_mov_b64 s[4:5], -1
                                        ; implicit-def: $sgpr10
	s_and_saveexec_b64 s[8:9], vcc
; %bb.3606:
	s_mov_b32 s10, 0x7f800001
	s_xor_b64 s[4:5], exec, -1
; %bb.3607:
	s_or_b64 exec, exec, s[8:9]
	s_and_b64 s[4:5], s[4:5], exec
                                        ; implicit-def: $vgpr13
	s_or_saveexec_b64 s[6:7], s[6:7]
	v_mov_b32_e32 v14, s10
	s_xor_b64 exec, exec, s[6:7]
	s_cbranch_execz .LBB5_1558
.LBB5_3608:
	v_cmp_ne_u16_e32 vcc, 0, v13
	s_andn2_b64 s[4:5], s[4:5], exec
	s_and_b64 s[8:9], vcc, exec
	v_mov_b32_e32 v14, 0
	s_or_b64 s[4:5], s[4:5], s[8:9]
	s_or_b64 exec, exec, s[6:7]
	s_and_saveexec_b64 s[6:7], s[4:5]
	s_cbranch_execnz .LBB5_1559
	s_branch .LBB5_1560
.LBB5_3609:
	s_movk_i32 s4, 0x80
	v_cmp_eq_u16_sdwa s[12:13], v6, s4 src0_sel:BYTE_3 src1_sel:DWORD
	s_mov_b64 s[4:5], -1
                                        ; implicit-def: $sgpr10
	s_and_saveexec_b64 s[8:9], s[12:13]
; %bb.3610:
	s_mov_b32 s10, 0x7f800001
	s_xor_b64 s[4:5], exec, -1
; %bb.3611:
	s_or_b64 exec, exec, s[8:9]
	s_and_b64 s[4:5], s[4:5], exec
	s_or_saveexec_b64 s[6:7], s[6:7]
	v_mov_b32_e32 v12, s10
	s_xor_b64 exec, exec, s[6:7]
	s_cbranch_execz .LBB5_1562
.LBB5_3612:
	v_mov_b32_e32 v12, 0
	v_cmp_ne_u16_sdwa s[8:9], v6, v12 src0_sel:BYTE_3 src1_sel:DWORD
	s_andn2_b64 s[4:5], s[4:5], exec
	s_and_b64 s[8:9], s[8:9], exec
	s_or_b64 s[4:5], s[4:5], s[8:9]
	s_or_b64 exec, exec, s[6:7]
	s_and_saveexec_b64 s[6:7], s[4:5]
	s_cbranch_execnz .LBB5_1563
	s_branch .LBB5_1564
.LBB5_3613:
	s_movk_i32 s4, 0x80
	v_cmp_eq_u16_sdwa s[12:13], v2, s4 src0_sel:BYTE_3 src1_sel:DWORD
	s_mov_b64 s[4:5], -1
                                        ; implicit-def: $sgpr10
	s_and_saveexec_b64 s[8:9], s[12:13]
; %bb.3614:
	s_mov_b32 s10, 0x7f800001
	s_xor_b64 s[4:5], exec, -1
; %bb.3615:
	s_or_b64 exec, exec, s[8:9]
	s_and_b64 s[4:5], s[4:5], exec
	s_or_saveexec_b64 s[6:7], s[6:7]
	v_mov_b32_e32 v6, s10
	s_xor_b64 exec, exec, s[6:7]
	s_cbranch_execz .LBB5_1566
.LBB5_3616:
	v_mov_b32_e32 v6, 0
	v_cmp_ne_u16_sdwa s[8:9], v2, v6 src0_sel:BYTE_3 src1_sel:DWORD
	s_andn2_b64 s[4:5], s[4:5], exec
	s_and_b64 s[8:9], s[8:9], exec
	s_or_b64 s[4:5], s[4:5], s[8:9]
	s_or_b64 exec, exec, s[6:7]
	s_and_saveexec_b64 s[6:7], s[4:5]
	s_cbranch_execnz .LBB5_1567
	s_branch .LBB5_1568
.LBB5_3617:
	s_movk_i32 s4, 0x80
	v_cmp_eq_u16_sdwa s[12:13], v7, s4 src0_sel:BYTE_0 src1_sel:DWORD
	s_mov_b64 s[4:5], -1
                                        ; implicit-def: $sgpr10
	s_and_saveexec_b64 s[8:9], s[12:13]
; %bb.3618:
	s_mov_b32 s10, 0x7f800001
	s_xor_b64 s[4:5], exec, -1
; %bb.3619:
	s_or_b64 exec, exec, s[8:9]
	s_and_b64 s[4:5], s[4:5], exec
	s_or_saveexec_b64 s[6:7], s[6:7]
	v_mov_b32_e32 v2, s10
	s_xor_b64 exec, exec, s[6:7]
	s_cbranch_execz .LBB5_1570
.LBB5_3620:
	v_mov_b32_e32 v2, 0
	v_cmp_ne_u16_sdwa s[8:9], v7, v2 src0_sel:BYTE_0 src1_sel:DWORD
	s_andn2_b64 s[4:5], s[4:5], exec
	s_and_b64 s[8:9], s[8:9], exec
	s_or_b64 s[4:5], s[4:5], s[8:9]
	s_or_b64 exec, exec, s[6:7]
	s_and_saveexec_b64 s[6:7], s[4:5]
	s_cbranch_execnz .LBB5_1571
	s_branch .LBB5_1572
.LBB5_3621:
	s_movk_i32 s4, 0x80
	v_cmp_eq_u16_sdwa s[12:13], v3, s4 src0_sel:BYTE_0 src1_sel:DWORD
	s_mov_b64 s[4:5], -1
                                        ; implicit-def: $sgpr10
	s_and_saveexec_b64 s[8:9], s[12:13]
; %bb.3622:
	s_mov_b32 s10, 0x7f800001
	s_xor_b64 s[4:5], exec, -1
; %bb.3623:
	s_or_b64 exec, exec, s[8:9]
	s_and_b64 s[4:5], s[4:5], exec
	s_or_saveexec_b64 s[6:7], s[6:7]
	v_mov_b32_e32 v6, s10
	s_xor_b64 exec, exec, s[6:7]
	s_cbranch_execz .LBB5_1574
.LBB5_3624:
	v_mov_b32_e32 v6, 0
	v_cmp_ne_u16_sdwa s[8:9], v3, v6 src0_sel:BYTE_0 src1_sel:DWORD
	s_andn2_b64 s[4:5], s[4:5], exec
	s_and_b64 s[8:9], s[8:9], exec
	s_or_b64 s[4:5], s[4:5], s[8:9]
	s_or_b64 exec, exec, s[6:7]
	s_and_saveexec_b64 s[6:7], s[4:5]
	s_cbranch_execnz .LBB5_1575
	s_branch .LBB5_1576
.LBB5_3625:
	s_movk_i32 s4, 0x80
	v_cmp_eq_u16_sdwa s[12:13], v6, s4 src0_sel:BYTE_0 src1_sel:DWORD
	s_mov_b64 s[4:5], -1
                                        ; implicit-def: $sgpr10
	s_and_saveexec_b64 s[8:9], s[12:13]
; %bb.3626:
	s_mov_b32 s10, 0x7f800001
	s_xor_b64 s[4:5], exec, -1
; %bb.3627:
	s_or_b64 exec, exec, s[8:9]
	s_and_b64 s[4:5], s[4:5], exec
	s_or_saveexec_b64 s[6:7], s[6:7]
	v_mov_b32_e32 v2, s10
	s_xor_b64 exec, exec, s[6:7]
	s_cbranch_execz .LBB5_1578
.LBB5_3628:
	v_mov_b32_e32 v2, 0
	v_cmp_ne_u16_sdwa s[8:9], v6, v2 src0_sel:BYTE_0 src1_sel:DWORD
	s_andn2_b64 s[4:5], s[4:5], exec
	s_and_b64 s[8:9], s[8:9], exec
	s_or_b64 s[4:5], s[4:5], s[8:9]
	s_or_b64 exec, exec, s[6:7]
	s_and_saveexec_b64 s[6:7], s[4:5]
	s_cbranch_execnz .LBB5_1579
	s_branch .LBB5_1580
.LBB5_3629:
	s_movk_i32 s4, 0x80
	v_cmp_eq_u16_sdwa s[12:13], v6, s4 src0_sel:BYTE_0 src1_sel:DWORD
	s_mov_b64 s[4:5], -1
                                        ; implicit-def: $sgpr10
	s_and_saveexec_b64 s[8:9], s[12:13]
; %bb.3630:
	s_mov_b32 s10, 0x7f800001
	s_xor_b64 s[4:5], exec, -1
; %bb.3631:
	s_or_b64 exec, exec, s[8:9]
	s_and_b64 s[4:5], s[4:5], exec
	s_or_saveexec_b64 s[6:7], s[6:7]
	v_mov_b32_e32 v12, s10
	s_xor_b64 exec, exec, s[6:7]
	s_cbranch_execz .LBB5_1582
.LBB5_3632:
	v_mov_b32_e32 v12, 0
	v_cmp_ne_u16_sdwa s[8:9], v6, v12 src0_sel:BYTE_0 src1_sel:DWORD
	s_andn2_b64 s[4:5], s[4:5], exec
	s_and_b64 s[8:9], s[8:9], exec
	s_or_b64 s[4:5], s[4:5], s[8:9]
	s_or_b64 exec, exec, s[6:7]
	s_and_saveexec_b64 s[6:7], s[4:5]
	s_cbranch_execnz .LBB5_1583
	s_branch .LBB5_1584
.LBB5_3633:
	s_movk_i32 s4, 0x80
	v_cmp_eq_u16_e32 vcc, s4, v6
	s_mov_b64 s[4:5], -1
                                        ; implicit-def: $sgpr10
	s_and_saveexec_b64 s[8:9], vcc
; %bb.3634:
	s_mov_b32 s10, 0x7f800001
	s_xor_b64 s[4:5], exec, -1
; %bb.3635:
	s_or_b64 exec, exec, s[8:9]
	s_and_b64 s[4:5], s[4:5], exec
                                        ; implicit-def: $vgpr6
	s_or_saveexec_b64 s[6:7], s[6:7]
	v_mov_b32_e32 v2, s10
	s_xor_b64 exec, exec, s[6:7]
	s_cbranch_execz .LBB5_1586
.LBB5_3636:
	v_cmp_ne_u16_e32 vcc, 0, v6
	s_andn2_b64 s[4:5], s[4:5], exec
	s_and_b64 s[8:9], vcc, exec
	v_mov_b32_e32 v2, 0
	s_or_b64 s[4:5], s[4:5], s[8:9]
	s_or_b64 exec, exec, s[6:7]
	s_and_saveexec_b64 s[6:7], s[4:5]
	s_cbranch_execnz .LBB5_1587
	s_branch .LBB5_1588
.LBB5_3637:
	s_movk_i32 s4, 0x80
	v_cmp_eq_u16_e32 vcc, s4, v6
	s_mov_b64 s[4:5], -1
                                        ; implicit-def: $sgpr10
	s_and_saveexec_b64 s[8:9], vcc
; %bb.3638:
	s_mov_b32 s10, 0x7f800001
	s_xor_b64 s[4:5], exec, -1
; %bb.3639:
	s_or_b64 exec, exec, s[8:9]
	s_and_b64 s[4:5], s[4:5], exec
                                        ; implicit-def: $vgpr6
	s_or_saveexec_b64 s[6:7], s[6:7]
	v_mov_b32_e32 v12, s10
	s_xor_b64 exec, exec, s[6:7]
	s_cbranch_execz .LBB5_1590
.LBB5_3640:
	v_cmp_ne_u16_e32 vcc, 0, v6
	s_andn2_b64 s[4:5], s[4:5], exec
	s_and_b64 s[8:9], vcc, exec
	v_mov_b32_e32 v12, 0
	s_or_b64 s[4:5], s[4:5], s[8:9]
	s_or_b64 exec, exec, s[6:7]
	s_and_saveexec_b64 s[6:7], s[4:5]
	s_cbranch_execnz .LBB5_1591
	s_branch .LBB5_1592
.LBB5_3641:
	s_movk_i32 s4, 0x80
	v_cmp_eq_u16_sdwa s[12:13], v7, s4 src0_sel:BYTE_3 src1_sel:DWORD
	s_mov_b64 s[4:5], -1
                                        ; implicit-def: $sgpr10
	s_and_saveexec_b64 s[8:9], s[12:13]
; %bb.3642:
	s_mov_b32 s10, 0x7f800001
	s_xor_b64 s[4:5], exec, -1
; %bb.3643:
	s_or_b64 exec, exec, s[8:9]
	s_and_b64 s[4:5], s[4:5], exec
	s_or_saveexec_b64 s[6:7], s[6:7]
	v_mov_b32_e32 v2, s10
	s_xor_b64 exec, exec, s[6:7]
	s_cbranch_execz .LBB5_1594
.LBB5_3644:
	v_mov_b32_e32 v2, 0
	v_cmp_ne_u16_sdwa s[8:9], v7, v2 src0_sel:BYTE_3 src1_sel:DWORD
	s_andn2_b64 s[4:5], s[4:5], exec
	s_and_b64 s[8:9], s[8:9], exec
	s_or_b64 s[4:5], s[4:5], s[8:9]
	s_or_b64 exec, exec, s[6:7]
	s_and_saveexec_b64 s[6:7], s[4:5]
	s_cbranch_execnz .LBB5_1595
	s_branch .LBB5_1596
.LBB5_3645:
	s_movk_i32 s4, 0x80
	v_cmp_eq_u16_sdwa s[12:13], v3, s4 src0_sel:BYTE_3 src1_sel:DWORD
	s_mov_b64 s[4:5], -1
                                        ; implicit-def: $sgpr10
	s_and_saveexec_b64 s[8:9], s[12:13]
; %bb.3646:
	s_mov_b32 s10, 0x7f800001
	s_xor_b64 s[4:5], exec, -1
; %bb.3647:
	s_or_b64 exec, exec, s[8:9]
	s_and_b64 s[4:5], s[4:5], exec
	s_or_saveexec_b64 s[6:7], s[6:7]
	v_mov_b32_e32 v6, s10
	s_xor_b64 exec, exec, s[6:7]
	s_cbranch_execz .LBB5_1598
.LBB5_3648:
	v_mov_b32_e32 v6, 0
	v_cmp_ne_u16_sdwa s[8:9], v3, v6 src0_sel:BYTE_3 src1_sel:DWORD
	s_andn2_b64 s[4:5], s[4:5], exec
	s_and_b64 s[8:9], s[8:9], exec
	s_or_b64 s[4:5], s[4:5], s[8:9]
	s_or_b64 exec, exec, s[6:7]
	s_and_saveexec_b64 s[6:7], s[4:5]
	s_cbranch_execnz .LBB5_1599
	s_branch .LBB5_1600
.LBB5_3649:
	s_movk_i32 s4, 0x80
	v_cmp_eq_u16_sdwa s[12:13], v8, s4 src0_sel:BYTE_0 src1_sel:DWORD
	s_mov_b64 s[4:5], -1
                                        ; implicit-def: $sgpr10
	s_and_saveexec_b64 s[8:9], s[12:13]
; %bb.3650:
	s_mov_b32 s10, 0x7f800001
	s_xor_b64 s[4:5], exec, -1
; %bb.3651:
	s_or_b64 exec, exec, s[8:9]
	s_and_b64 s[4:5], s[4:5], exec
	s_or_saveexec_b64 s[6:7], s[6:7]
	v_mov_b32_e32 v2, s10
	s_xor_b64 exec, exec, s[6:7]
	s_cbranch_execz .LBB5_1602
.LBB5_3652:
	v_mov_b32_e32 v2, 0
	v_cmp_ne_u16_sdwa s[8:9], v8, v2 src0_sel:BYTE_0 src1_sel:DWORD
	s_andn2_b64 s[4:5], s[4:5], exec
	s_and_b64 s[8:9], s[8:9], exec
	s_or_b64 s[4:5], s[4:5], s[8:9]
	s_or_b64 exec, exec, s[6:7]
	s_and_saveexec_b64 s[6:7], s[4:5]
	s_cbranch_execnz .LBB5_1603
	s_branch .LBB5_1604
.LBB5_3653:
	s_movk_i32 s4, 0x80
	v_cmp_eq_u16_sdwa s[12:13], v4, s4 src0_sel:BYTE_0 src1_sel:DWORD
	s_mov_b64 s[4:5], -1
                                        ; implicit-def: $sgpr10
	s_and_saveexec_b64 s[8:9], s[12:13]
; %bb.3654:
	s_mov_b32 s10, 0x7f800001
	s_xor_b64 s[4:5], exec, -1
; %bb.3655:
	s_or_b64 exec, exec, s[8:9]
	s_and_b64 s[4:5], s[4:5], exec
	s_or_saveexec_b64 s[6:7], s[6:7]
	v_mov_b32_e32 v3, s10
	s_xor_b64 exec, exec, s[6:7]
	s_cbranch_execz .LBB5_1606
.LBB5_3656:
	v_mov_b32_e32 v3, 0
	v_cmp_ne_u16_sdwa s[8:9], v4, v3 src0_sel:BYTE_0 src1_sel:DWORD
	s_andn2_b64 s[4:5], s[4:5], exec
	s_and_b64 s[8:9], s[8:9], exec
	s_or_b64 s[4:5], s[4:5], s[8:9]
	s_or_b64 exec, exec, s[6:7]
	s_and_saveexec_b64 s[6:7], s[4:5]
	s_cbranch_execnz .LBB5_1607
	s_branch .LBB5_1608
.LBB5_3657:
	s_movk_i32 s4, 0x80
	v_cmp_eq_u16_sdwa s[12:13], v3, s4 src0_sel:BYTE_0 src1_sel:DWORD
	s_mov_b64 s[4:5], -1
                                        ; implicit-def: $sgpr10
	s_and_saveexec_b64 s[8:9], s[12:13]
; %bb.3658:
	s_mov_b32 s10, 0x7f800001
	s_xor_b64 s[4:5], exec, -1
; %bb.3659:
	s_or_b64 exec, exec, s[8:9]
	s_and_b64 s[4:5], s[4:5], exec
	s_or_saveexec_b64 s[6:7], s[6:7]
	v_mov_b32_e32 v2, s10
	s_xor_b64 exec, exec, s[6:7]
	s_cbranch_execz .LBB5_1610
.LBB5_3660:
	v_mov_b32_e32 v2, 0
	v_cmp_ne_u16_sdwa s[8:9], v3, v2 src0_sel:BYTE_0 src1_sel:DWORD
	s_andn2_b64 s[4:5], s[4:5], exec
	s_and_b64 s[8:9], s[8:9], exec
	s_or_b64 s[4:5], s[4:5], s[8:9]
	s_or_b64 exec, exec, s[6:7]
	s_and_saveexec_b64 s[6:7], s[4:5]
	s_cbranch_execnz .LBB5_1611
	s_branch .LBB5_1612
.LBB5_3661:
	s_movk_i32 s4, 0x80
	v_cmp_eq_u16_sdwa s[12:13], v3, s4 src0_sel:BYTE_0 src1_sel:DWORD
	s_mov_b64 s[4:5], -1
                                        ; implicit-def: $sgpr10
	s_and_saveexec_b64 s[8:9], s[12:13]
; %bb.3662:
	s_mov_b32 s10, 0x7f800001
	s_xor_b64 s[4:5], exec, -1
; %bb.3663:
	s_or_b64 exec, exec, s[8:9]
	s_and_b64 s[4:5], s[4:5], exec
	s_or_saveexec_b64 s[6:7], s[6:7]
	v_mov_b32_e32 v6, s10
	s_xor_b64 exec, exec, s[6:7]
	s_cbranch_execz .LBB5_1614
.LBB5_3664:
	v_mov_b32_e32 v6, 0
	v_cmp_ne_u16_sdwa s[8:9], v3, v6 src0_sel:BYTE_0 src1_sel:DWORD
	s_andn2_b64 s[4:5], s[4:5], exec
	s_and_b64 s[8:9], s[8:9], exec
	s_or_b64 s[4:5], s[4:5], s[8:9]
	s_or_b64 exec, exec, s[6:7]
	s_and_saveexec_b64 s[6:7], s[4:5]
	s_cbranch_execnz .LBB5_1615
	s_branch .LBB5_1616
.LBB5_3665:
	s_movk_i32 s4, 0x80
	v_cmp_eq_u16_e32 vcc, s4, v3
	s_mov_b64 s[4:5], -1
                                        ; implicit-def: $sgpr10
	s_and_saveexec_b64 s[8:9], vcc
; %bb.3666:
	s_mov_b32 s10, 0x7f800001
	s_xor_b64 s[4:5], exec, -1
; %bb.3667:
	s_or_b64 exec, exec, s[8:9]
	s_and_b64 s[4:5], s[4:5], exec
                                        ; implicit-def: $vgpr3
	s_or_saveexec_b64 s[6:7], s[6:7]
	v_mov_b32_e32 v2, s10
	s_xor_b64 exec, exec, s[6:7]
	s_cbranch_execz .LBB5_1618
.LBB5_3668:
	v_cmp_ne_u16_e32 vcc, 0, v3
	s_andn2_b64 s[4:5], s[4:5], exec
	s_and_b64 s[8:9], vcc, exec
	v_mov_b32_e32 v2, 0
	s_or_b64 s[4:5], s[4:5], s[8:9]
	s_or_b64 exec, exec, s[6:7]
	s_and_saveexec_b64 s[6:7], s[4:5]
	s_cbranch_execnz .LBB5_1619
	s_branch .LBB5_1620
.LBB5_3669:
	s_movk_i32 s4, 0x80
	v_cmp_eq_u16_e32 vcc, s4, v3
	s_mov_b64 s[4:5], -1
                                        ; implicit-def: $sgpr10
	s_and_saveexec_b64 s[8:9], vcc
; %bb.3670:
	s_mov_b32 s10, 0x7f800001
	s_xor_b64 s[4:5], exec, -1
; %bb.3671:
	s_or_b64 exec, exec, s[8:9]
	s_and_b64 s[4:5], s[4:5], exec
                                        ; implicit-def: $vgpr3
	s_or_saveexec_b64 s[6:7], s[6:7]
	v_mov_b32_e32 v6, s10
	s_xor_b64 exec, exec, s[6:7]
	s_cbranch_execz .LBB5_1622
.LBB5_3672:
	v_cmp_ne_u16_e32 vcc, 0, v3
	s_andn2_b64 s[4:5], s[4:5], exec
	s_and_b64 s[8:9], vcc, exec
	v_mov_b32_e32 v6, 0
	s_or_b64 s[4:5], s[4:5], s[8:9]
	s_or_b64 exec, exec, s[6:7]
	s_and_saveexec_b64 s[6:7], s[4:5]
	s_cbranch_execnz .LBB5_1623
	s_branch .LBB5_1624
.LBB5_3673:
	s_movk_i32 s4, 0x80
	v_cmp_eq_u16_sdwa s[12:13], v8, s4 src0_sel:BYTE_3 src1_sel:DWORD
	s_mov_b64 s[4:5], -1
                                        ; implicit-def: $sgpr10
	s_and_saveexec_b64 s[8:9], s[12:13]
; %bb.3674:
	s_mov_b32 s10, 0x7f800001
	s_xor_b64 s[4:5], exec, -1
; %bb.3675:
	s_or_b64 exec, exec, s[8:9]
	s_and_b64 s[4:5], s[4:5], exec
	s_or_saveexec_b64 s[6:7], s[6:7]
	v_mov_b32_e32 v2, s10
	s_xor_b64 exec, exec, s[6:7]
	s_cbranch_execz .LBB5_1626
.LBB5_3676:
	v_mov_b32_e32 v2, 0
	v_cmp_ne_u16_sdwa s[8:9], v8, v2 src0_sel:BYTE_3 src1_sel:DWORD
	s_andn2_b64 s[4:5], s[4:5], exec
	s_and_b64 s[8:9], s[8:9], exec
	s_or_b64 s[4:5], s[4:5], s[8:9]
	s_or_b64 exec, exec, s[6:7]
	s_and_saveexec_b64 s[6:7], s[4:5]
	s_cbranch_execnz .LBB5_1627
	s_branch .LBB5_1628
.LBB5_3677:
	s_movk_i32 s4, 0x80
	v_cmp_eq_u16_sdwa s[12:13], v4, s4 src0_sel:BYTE_3 src1_sel:DWORD
	s_mov_b64 s[4:5], -1
                                        ; implicit-def: $sgpr10
	s_and_saveexec_b64 s[8:9], s[12:13]
; %bb.3678:
	s_mov_b32 s10, 0x7f800001
	s_xor_b64 s[4:5], exec, -1
; %bb.3679:
	s_or_b64 exec, exec, s[8:9]
	s_and_b64 s[4:5], s[4:5], exec
	s_or_saveexec_b64 s[6:7], s[6:7]
	v_mov_b32_e32 v3, s10
	s_xor_b64 exec, exec, s[6:7]
	s_cbranch_execz .LBB5_1630
.LBB5_3680:
	v_mov_b32_e32 v3, 0
	v_cmp_ne_u16_sdwa s[8:9], v4, v3 src0_sel:BYTE_3 src1_sel:DWORD
	s_andn2_b64 s[4:5], s[4:5], exec
	s_and_b64 s[8:9], s[8:9], exec
	s_or_b64 s[4:5], s[4:5], s[8:9]
	s_or_b64 exec, exec, s[6:7]
	s_and_saveexec_b64 s[6:7], s[4:5]
	s_cbranch_execnz .LBB5_1631
	s_branch .LBB5_1632
.LBB5_3681:
	s_movk_i32 s4, 0x80
	v_cmp_eq_u16_sdwa s[12:13], v9, s4 src0_sel:BYTE_0 src1_sel:DWORD
	s_mov_b64 s[4:5], -1
                                        ; implicit-def: $sgpr10
	s_and_saveexec_b64 s[8:9], s[12:13]
; %bb.3682:
	s_mov_b32 s10, 0x7f800001
	s_xor_b64 s[4:5], exec, -1
; %bb.3683:
	s_or_b64 exec, exec, s[8:9]
	s_and_b64 s[4:5], s[4:5], exec
	s_or_saveexec_b64 s[6:7], s[6:7]
	v_mov_b32_e32 v2, s10
	s_xor_b64 exec, exec, s[6:7]
	s_cbranch_execz .LBB5_1634
.LBB5_3684:
	v_mov_b32_e32 v2, 0
	v_cmp_ne_u16_sdwa s[8:9], v9, v2 src0_sel:BYTE_0 src1_sel:DWORD
	s_andn2_b64 s[4:5], s[4:5], exec
	s_and_b64 s[8:9], s[8:9], exec
	s_or_b64 s[4:5], s[4:5], s[8:9]
	s_or_b64 exec, exec, s[6:7]
	s_and_saveexec_b64 s[6:7], s[4:5]
	s_cbranch_execnz .LBB5_1635
	s_branch .LBB5_1636
.LBB5_3685:
	s_movk_i32 s4, 0x80
	v_cmp_eq_u16_sdwa s[12:13], v5, s4 src0_sel:BYTE_0 src1_sel:DWORD
	s_mov_b64 s[4:5], -1
                                        ; implicit-def: $sgpr10
	s_and_saveexec_b64 s[8:9], s[12:13]
; %bb.3686:
	s_mov_b32 s10, 0x7f800001
	s_xor_b64 s[4:5], exec, -1
; %bb.3687:
	s_or_b64 exec, exec, s[8:9]
	s_and_b64 s[4:5], s[4:5], exec
	s_or_saveexec_b64 s[6:7], s[6:7]
	v_mov_b32_e32 v3, s10
	s_xor_b64 exec, exec, s[6:7]
	s_cbranch_execz .LBB5_1638
.LBB5_3688:
	v_mov_b32_e32 v3, 0
	v_cmp_ne_u16_sdwa s[8:9], v5, v3 src0_sel:BYTE_0 src1_sel:DWORD
	s_andn2_b64 s[4:5], s[4:5], exec
	s_and_b64 s[8:9], s[8:9], exec
	s_or_b64 s[4:5], s[4:5], s[8:9]
	s_or_b64 exec, exec, s[6:7]
	s_and_saveexec_b64 s[6:7], s[4:5]
	s_cbranch_execnz .LBB5_1639
	s_branch .LBB5_1640
.LBB5_3689:
	s_movk_i32 s4, 0x80
	v_cmp_eq_u16_sdwa s[12:13], v3, s4 src0_sel:BYTE_0 src1_sel:DWORD
	s_mov_b64 s[4:5], -1
                                        ; implicit-def: $sgpr10
	s_and_saveexec_b64 s[8:9], s[12:13]
; %bb.3690:
	s_mov_b32 s10, 0x7f800001
	s_xor_b64 s[4:5], exec, -1
; %bb.3691:
	s_or_b64 exec, exec, s[8:9]
	s_and_b64 s[4:5], s[4:5], exec
	s_or_saveexec_b64 s[6:7], s[6:7]
	v_mov_b32_e32 v2, s10
	s_xor_b64 exec, exec, s[6:7]
	s_cbranch_execz .LBB5_1642
.LBB5_3692:
	v_mov_b32_e32 v2, 0
	v_cmp_ne_u16_sdwa s[8:9], v3, v2 src0_sel:BYTE_0 src1_sel:DWORD
	s_andn2_b64 s[4:5], s[4:5], exec
	s_and_b64 s[8:9], s[8:9], exec
	s_or_b64 s[4:5], s[4:5], s[8:9]
	s_or_b64 exec, exec, s[6:7]
	s_and_saveexec_b64 s[6:7], s[4:5]
	s_cbranch_execnz .LBB5_1643
	s_branch .LBB5_1644
.LBB5_3693:
	s_movk_i32 s4, 0x80
	v_cmp_eq_u16_sdwa s[12:13], v3, s4 src0_sel:BYTE_0 src1_sel:DWORD
	s_mov_b64 s[4:5], -1
                                        ; implicit-def: $sgpr10
	s_and_saveexec_b64 s[8:9], s[12:13]
; %bb.3694:
	s_mov_b32 s10, 0x7f800001
	s_xor_b64 s[4:5], exec, -1
; %bb.3695:
	s_or_b64 exec, exec, s[8:9]
	s_and_b64 s[4:5], s[4:5], exec
	s_or_saveexec_b64 s[6:7], s[6:7]
	v_mov_b32_e32 v4, s10
	s_xor_b64 exec, exec, s[6:7]
	s_cbranch_execz .LBB5_1646
.LBB5_3696:
	v_mov_b32_e32 v4, 0
	v_cmp_ne_u16_sdwa s[8:9], v3, v4 src0_sel:BYTE_0 src1_sel:DWORD
	s_andn2_b64 s[4:5], s[4:5], exec
	s_and_b64 s[8:9], s[8:9], exec
	s_or_b64 s[4:5], s[4:5], s[8:9]
	s_or_b64 exec, exec, s[6:7]
	s_and_saveexec_b64 s[6:7], s[4:5]
	s_cbranch_execnz .LBB5_1647
	s_branch .LBB5_1648
.LBB5_3697:
	s_movk_i32 s4, 0x80
	v_cmp_eq_u16_e32 vcc, s4, v3
	s_mov_b64 s[4:5], -1
                                        ; implicit-def: $sgpr10
	s_and_saveexec_b64 s[8:9], vcc
; %bb.3698:
	s_mov_b32 s10, 0x7f800001
	s_xor_b64 s[4:5], exec, -1
; %bb.3699:
	s_or_b64 exec, exec, s[8:9]
	s_and_b64 s[4:5], s[4:5], exec
                                        ; implicit-def: $vgpr3
	s_or_saveexec_b64 s[6:7], s[6:7]
	v_mov_b32_e32 v2, s10
	s_xor_b64 exec, exec, s[6:7]
	s_cbranch_execz .LBB5_1650
.LBB5_3700:
	v_cmp_ne_u16_e32 vcc, 0, v3
	s_andn2_b64 s[4:5], s[4:5], exec
	s_and_b64 s[8:9], vcc, exec
	v_mov_b32_e32 v2, 0
	s_or_b64 s[4:5], s[4:5], s[8:9]
	s_or_b64 exec, exec, s[6:7]
	s_and_saveexec_b64 s[6:7], s[4:5]
	s_cbranch_execnz .LBB5_1651
	s_branch .LBB5_1652
.LBB5_3701:
	s_movk_i32 s4, 0x80
	v_cmp_eq_u16_e32 vcc, s4, v3
	s_mov_b64 s[4:5], -1
                                        ; implicit-def: $sgpr10
	s_and_saveexec_b64 s[8:9], vcc
; %bb.3702:
	s_mov_b32 s10, 0x7f800001
	s_xor_b64 s[4:5], exec, -1
; %bb.3703:
	s_or_b64 exec, exec, s[8:9]
	s_and_b64 s[4:5], s[4:5], exec
                                        ; implicit-def: $vgpr3
	s_or_saveexec_b64 s[6:7], s[6:7]
	v_mov_b32_e32 v4, s10
	s_xor_b64 exec, exec, s[6:7]
	s_cbranch_execz .LBB5_1654
.LBB5_3704:
	v_cmp_ne_u16_e32 vcc, 0, v3
	s_andn2_b64 s[4:5], s[4:5], exec
	s_and_b64 s[8:9], vcc, exec
	v_mov_b32_e32 v4, 0
	s_or_b64 s[4:5], s[4:5], s[8:9]
	s_or_b64 exec, exec, s[6:7]
	s_and_saveexec_b64 s[6:7], s[4:5]
	s_cbranch_execnz .LBB5_1655
	s_branch .LBB5_1656
.LBB5_3705:
	s_movk_i32 s4, 0x80
	v_cmp_eq_u16_sdwa s[12:13], v9, s4 src0_sel:BYTE_3 src1_sel:DWORD
	s_mov_b64 s[4:5], -1
                                        ; implicit-def: $sgpr10
	s_and_saveexec_b64 s[8:9], s[12:13]
; %bb.3706:
	s_mov_b32 s10, 0x7f800001
	s_xor_b64 s[4:5], exec, -1
; %bb.3707:
	s_or_b64 exec, exec, s[8:9]
	s_and_b64 s[4:5], s[4:5], exec
	s_or_saveexec_b64 s[6:7], s[6:7]
	v_mov_b32_e32 v2, s10
	s_xor_b64 exec, exec, s[6:7]
	s_cbranch_execz .LBB5_1658
.LBB5_3708:
	v_mov_b32_e32 v2, 0
	v_cmp_ne_u16_sdwa s[8:9], v9, v2 src0_sel:BYTE_3 src1_sel:DWORD
	s_andn2_b64 s[4:5], s[4:5], exec
	s_and_b64 s[8:9], s[8:9], exec
	s_or_b64 s[4:5], s[4:5], s[8:9]
	s_or_b64 exec, exec, s[6:7]
	s_and_saveexec_b64 s[6:7], s[4:5]
	s_cbranch_execnz .LBB5_1659
	s_branch .LBB5_1660
.LBB5_3709:
	s_movk_i32 s4, 0x80
	v_cmp_eq_u16_sdwa s[12:13], v5, s4 src0_sel:BYTE_3 src1_sel:DWORD
	s_mov_b64 s[4:5], -1
                                        ; implicit-def: $sgpr10
	s_and_saveexec_b64 s[8:9], s[12:13]
; %bb.3710:
	s_mov_b32 s10, 0x7f800001
	s_xor_b64 s[4:5], exec, -1
; %bb.3711:
	s_or_b64 exec, exec, s[8:9]
	s_and_b64 s[4:5], s[4:5], exec
	s_or_saveexec_b64 s[6:7], s[6:7]
	v_mov_b32_e32 v3, s10
	s_xor_b64 exec, exec, s[6:7]
	s_cbranch_execz .LBB5_1662
.LBB5_3712:
	v_mov_b32_e32 v3, 0
	v_cmp_ne_u16_sdwa s[8:9], v5, v3 src0_sel:BYTE_3 src1_sel:DWORD
	s_andn2_b64 s[4:5], s[4:5], exec
	s_and_b64 s[8:9], s[8:9], exec
	s_or_b64 s[4:5], s[4:5], s[8:9]
	s_or_b64 exec, exec, s[6:7]
	s_and_saveexec_b64 s[6:7], s[4:5]
	s_cbranch_execnz .LBB5_1663
	s_branch .LBB5_1664
.LBB5_3713:
	s_movk_i32 s4, 0x80
	v_cmp_eq_u16_sdwa s[12:13], v6, s4 src0_sel:BYTE_0 src1_sel:DWORD
	s_mov_b64 s[4:5], -1
                                        ; implicit-def: $sgpr10
	s_and_saveexec_b64 s[8:9], s[12:13]
; %bb.3714:
	s_mov_b32 s10, 0x7f800001
	s_xor_b64 s[4:5], exec, -1
; %bb.3715:
	s_or_b64 exec, exec, s[8:9]
	s_and_b64 s[4:5], s[4:5], exec
	s_or_saveexec_b64 s[6:7], s[6:7]
	v_mov_b32_e32 v12, s10
	s_xor_b64 exec, exec, s[6:7]
	s_cbranch_execz .LBB5_1666
.LBB5_3716:
	v_mov_b32_e32 v12, 0
	v_cmp_ne_u16_sdwa s[8:9], v6, v12 src0_sel:BYTE_0 src1_sel:DWORD
	s_andn2_b64 s[4:5], s[4:5], exec
	s_and_b64 s[8:9], s[8:9], exec
	s_or_b64 s[4:5], s[4:5], s[8:9]
	s_or_b64 exec, exec, s[6:7]
	s_and_saveexec_b64 s[6:7], s[4:5]
	s_cbranch_execnz .LBB5_1667
	s_branch .LBB5_1668
.LBB5_3717:
	s_movk_i32 s4, 0x80
	v_cmp_eq_u16_sdwa s[12:13], v2, s4 src0_sel:BYTE_0 src1_sel:DWORD
	s_mov_b64 s[4:5], -1
                                        ; implicit-def: $sgpr10
	s_and_saveexec_b64 s[8:9], s[12:13]
; %bb.3718:
	s_mov_b32 s10, 0x7f800001
	s_xor_b64 s[4:5], exec, -1
; %bb.3719:
	s_or_b64 exec, exec, s[8:9]
	s_and_b64 s[4:5], s[4:5], exec
	s_or_saveexec_b64 s[6:7], s[6:7]
	v_mov_b32_e32 v13, s10
	s_xor_b64 exec, exec, s[6:7]
	s_cbranch_execz .LBB5_1670
.LBB5_3720:
	v_mov_b32_e32 v13, 0
	v_cmp_ne_u16_sdwa s[8:9], v2, v13 src0_sel:BYTE_0 src1_sel:DWORD
	s_andn2_b64 s[4:5], s[4:5], exec
	s_and_b64 s[8:9], s[8:9], exec
	s_or_b64 s[4:5], s[4:5], s[8:9]
	s_or_b64 exec, exec, s[6:7]
	s_and_saveexec_b64 s[6:7], s[4:5]
	s_cbranch_execnz .LBB5_1671
	s_branch .LBB5_1672
.LBB5_3721:
	s_movk_i32 s4, 0x80
	v_cmp_eq_u16_sdwa s[12:13], v13, s4 src0_sel:BYTE_0 src1_sel:DWORD
	s_mov_b64 s[4:5], -1
                                        ; implicit-def: $sgpr10
	s_and_saveexec_b64 s[8:9], s[12:13]
; %bb.3722:
	s_mov_b32 s10, 0x7f800001
	s_xor_b64 s[4:5], exec, -1
; %bb.3723:
	s_or_b64 exec, exec, s[8:9]
	s_and_b64 s[4:5], s[4:5], exec
	s_or_saveexec_b64 s[6:7], s[6:7]
	v_mov_b32_e32 v12, s10
	s_xor_b64 exec, exec, s[6:7]
	s_cbranch_execz .LBB5_1674
.LBB5_3724:
	v_mov_b32_e32 v12, 0
	v_cmp_ne_u16_sdwa s[8:9], v13, v12 src0_sel:BYTE_0 src1_sel:DWORD
	s_andn2_b64 s[4:5], s[4:5], exec
	s_and_b64 s[8:9], s[8:9], exec
	s_or_b64 s[4:5], s[4:5], s[8:9]
	s_or_b64 exec, exec, s[6:7]
	s_and_saveexec_b64 s[6:7], s[4:5]
	s_cbranch_execnz .LBB5_1675
	s_branch .LBB5_1676
.LBB5_3725:
	s_movk_i32 s4, 0x80
	v_cmp_eq_u16_sdwa s[12:13], v13, s4 src0_sel:BYTE_0 src1_sel:DWORD
	s_mov_b64 s[4:5], -1
                                        ; implicit-def: $sgpr10
	s_and_saveexec_b64 s[8:9], s[12:13]
; %bb.3726:
	s_mov_b32 s10, 0x7f800001
	s_xor_b64 s[4:5], exec, -1
; %bb.3727:
	s_or_b64 exec, exec, s[8:9]
	s_and_b64 s[4:5], s[4:5], exec
	s_or_saveexec_b64 s[6:7], s[6:7]
	v_mov_b32_e32 v14, s10
	s_xor_b64 exec, exec, s[6:7]
	s_cbranch_execz .LBB5_1678
.LBB5_3728:
	v_mov_b32_e32 v14, 0
	v_cmp_ne_u16_sdwa s[8:9], v13, v14 src0_sel:BYTE_0 src1_sel:DWORD
	s_andn2_b64 s[4:5], s[4:5], exec
	s_and_b64 s[8:9], s[8:9], exec
	s_or_b64 s[4:5], s[4:5], s[8:9]
	s_or_b64 exec, exec, s[6:7]
	s_and_saveexec_b64 s[6:7], s[4:5]
	s_cbranch_execnz .LBB5_1679
	s_branch .LBB5_1680
.LBB5_3729:
	s_movk_i32 s4, 0x80
	v_cmp_eq_u16_e32 vcc, s4, v13
	s_mov_b64 s[4:5], -1
                                        ; implicit-def: $sgpr10
	s_and_saveexec_b64 s[8:9], vcc
; %bb.3730:
	s_mov_b32 s10, 0x7f800001
	s_xor_b64 s[4:5], exec, -1
; %bb.3731:
	s_or_b64 exec, exec, s[8:9]
	s_and_b64 s[4:5], s[4:5], exec
                                        ; implicit-def: $vgpr13
	s_or_saveexec_b64 s[6:7], s[6:7]
	v_mov_b32_e32 v12, s10
	s_xor_b64 exec, exec, s[6:7]
	s_cbranch_execz .LBB5_1682
.LBB5_3732:
	v_cmp_ne_u16_e32 vcc, 0, v13
	s_andn2_b64 s[4:5], s[4:5], exec
	s_and_b64 s[8:9], vcc, exec
	v_mov_b32_e32 v12, 0
	s_or_b64 s[4:5], s[4:5], s[8:9]
	s_or_b64 exec, exec, s[6:7]
	s_and_saveexec_b64 s[6:7], s[4:5]
	s_cbranch_execnz .LBB5_1683
	s_branch .LBB5_1684
.LBB5_3733:
	s_movk_i32 s4, 0x80
	v_cmp_eq_u16_e32 vcc, s4, v13
	s_mov_b64 s[4:5], -1
                                        ; implicit-def: $sgpr10
	s_and_saveexec_b64 s[8:9], vcc
; %bb.3734:
	s_mov_b32 s10, 0x7f800001
	s_xor_b64 s[4:5], exec, -1
; %bb.3735:
	s_or_b64 exec, exec, s[8:9]
	s_and_b64 s[4:5], s[4:5], exec
                                        ; implicit-def: $vgpr13
	s_or_saveexec_b64 s[6:7], s[6:7]
	v_mov_b32_e32 v14, s10
	s_xor_b64 exec, exec, s[6:7]
	s_cbranch_execz .LBB5_1686
.LBB5_3736:
	v_cmp_ne_u16_e32 vcc, 0, v13
	s_andn2_b64 s[4:5], s[4:5], exec
	s_and_b64 s[8:9], vcc, exec
	v_mov_b32_e32 v14, 0
	s_or_b64 s[4:5], s[4:5], s[8:9]
	s_or_b64 exec, exec, s[6:7]
	s_and_saveexec_b64 s[6:7], s[4:5]
	s_cbranch_execnz .LBB5_1687
	s_branch .LBB5_1688
.LBB5_3737:
	s_movk_i32 s4, 0x80
	v_cmp_eq_u16_sdwa s[12:13], v6, s4 src0_sel:BYTE_3 src1_sel:DWORD
	s_mov_b64 s[4:5], -1
                                        ; implicit-def: $sgpr10
	s_and_saveexec_b64 s[8:9], s[12:13]
; %bb.3738:
	s_mov_b32 s10, 0x7f800001
	s_xor_b64 s[4:5], exec, -1
; %bb.3739:
	s_or_b64 exec, exec, s[8:9]
	s_and_b64 s[4:5], s[4:5], exec
	s_or_saveexec_b64 s[6:7], s[6:7]
	v_mov_b32_e32 v12, s10
	s_xor_b64 exec, exec, s[6:7]
	s_cbranch_execz .LBB5_1690
.LBB5_3740:
	v_mov_b32_e32 v12, 0
	v_cmp_ne_u16_sdwa s[8:9], v6, v12 src0_sel:BYTE_3 src1_sel:DWORD
	s_andn2_b64 s[4:5], s[4:5], exec
	s_and_b64 s[8:9], s[8:9], exec
	s_or_b64 s[4:5], s[4:5], s[8:9]
	s_or_b64 exec, exec, s[6:7]
	s_and_saveexec_b64 s[6:7], s[4:5]
	s_cbranch_execnz .LBB5_1691
	s_branch .LBB5_1692
.LBB5_3741:
	s_movk_i32 s4, 0x80
	v_cmp_eq_u16_sdwa s[12:13], v2, s4 src0_sel:BYTE_3 src1_sel:DWORD
	s_mov_b64 s[4:5], -1
                                        ; implicit-def: $sgpr10
	s_and_saveexec_b64 s[8:9], s[12:13]
; %bb.3742:
	s_mov_b32 s10, 0x7f800001
	s_xor_b64 s[4:5], exec, -1
; %bb.3743:
	s_or_b64 exec, exec, s[8:9]
	s_and_b64 s[4:5], s[4:5], exec
	s_or_saveexec_b64 s[6:7], s[6:7]
	v_mov_b32_e32 v6, s10
	s_xor_b64 exec, exec, s[6:7]
	s_cbranch_execz .LBB5_1694
.LBB5_3744:
	v_mov_b32_e32 v6, 0
	v_cmp_ne_u16_sdwa s[8:9], v2, v6 src0_sel:BYTE_3 src1_sel:DWORD
	s_andn2_b64 s[4:5], s[4:5], exec
	s_and_b64 s[8:9], s[8:9], exec
	s_or_b64 s[4:5], s[4:5], s[8:9]
	s_or_b64 exec, exec, s[6:7]
	s_and_saveexec_b64 s[6:7], s[4:5]
	s_cbranch_execnz .LBB5_1695
	s_branch .LBB5_1696
.LBB5_3745:
	s_movk_i32 s4, 0x80
	v_cmp_eq_u16_sdwa s[12:13], v7, s4 src0_sel:BYTE_0 src1_sel:DWORD
	s_mov_b64 s[4:5], -1
                                        ; implicit-def: $sgpr10
	s_and_saveexec_b64 s[8:9], s[12:13]
; %bb.3746:
	s_mov_b32 s10, 0x7f800001
	s_xor_b64 s[4:5], exec, -1
; %bb.3747:
	s_or_b64 exec, exec, s[8:9]
	s_and_b64 s[4:5], s[4:5], exec
	s_or_saveexec_b64 s[6:7], s[6:7]
	v_mov_b32_e32 v2, s10
	s_xor_b64 exec, exec, s[6:7]
	s_cbranch_execz .LBB5_1698
.LBB5_3748:
	v_mov_b32_e32 v2, 0
	v_cmp_ne_u16_sdwa s[8:9], v7, v2 src0_sel:BYTE_0 src1_sel:DWORD
	s_andn2_b64 s[4:5], s[4:5], exec
	s_and_b64 s[8:9], s[8:9], exec
	s_or_b64 s[4:5], s[4:5], s[8:9]
	s_or_b64 exec, exec, s[6:7]
	s_and_saveexec_b64 s[6:7], s[4:5]
	s_cbranch_execnz .LBB5_1699
	s_branch .LBB5_1700
.LBB5_3749:
	s_movk_i32 s4, 0x80
	v_cmp_eq_u16_sdwa s[12:13], v3, s4 src0_sel:BYTE_0 src1_sel:DWORD
	s_mov_b64 s[4:5], -1
                                        ; implicit-def: $sgpr10
	s_and_saveexec_b64 s[8:9], s[12:13]
; %bb.3750:
	s_mov_b32 s10, 0x7f800001
	s_xor_b64 s[4:5], exec, -1
; %bb.3751:
	s_or_b64 exec, exec, s[8:9]
	s_and_b64 s[4:5], s[4:5], exec
	s_or_saveexec_b64 s[6:7], s[6:7]
	v_mov_b32_e32 v6, s10
	s_xor_b64 exec, exec, s[6:7]
	s_cbranch_execz .LBB5_1702
.LBB5_3752:
	v_mov_b32_e32 v6, 0
	v_cmp_ne_u16_sdwa s[8:9], v3, v6 src0_sel:BYTE_0 src1_sel:DWORD
	s_andn2_b64 s[4:5], s[4:5], exec
	s_and_b64 s[8:9], s[8:9], exec
	s_or_b64 s[4:5], s[4:5], s[8:9]
	s_or_b64 exec, exec, s[6:7]
	s_and_saveexec_b64 s[6:7], s[4:5]
	s_cbranch_execnz .LBB5_1703
	s_branch .LBB5_1704
.LBB5_3753:
	s_movk_i32 s4, 0x80
	v_cmp_eq_u16_sdwa s[12:13], v6, s4 src0_sel:BYTE_0 src1_sel:DWORD
	s_mov_b64 s[4:5], -1
                                        ; implicit-def: $sgpr10
	s_and_saveexec_b64 s[8:9], s[12:13]
; %bb.3754:
	s_mov_b32 s10, 0x7f800001
	s_xor_b64 s[4:5], exec, -1
; %bb.3755:
	s_or_b64 exec, exec, s[8:9]
	s_and_b64 s[4:5], s[4:5], exec
	s_or_saveexec_b64 s[6:7], s[6:7]
	v_mov_b32_e32 v2, s10
	s_xor_b64 exec, exec, s[6:7]
	s_cbranch_execz .LBB5_1706
.LBB5_3756:
	v_mov_b32_e32 v2, 0
	v_cmp_ne_u16_sdwa s[8:9], v6, v2 src0_sel:BYTE_0 src1_sel:DWORD
	s_andn2_b64 s[4:5], s[4:5], exec
	s_and_b64 s[8:9], s[8:9], exec
	s_or_b64 s[4:5], s[4:5], s[8:9]
	s_or_b64 exec, exec, s[6:7]
	s_and_saveexec_b64 s[6:7], s[4:5]
	s_cbranch_execnz .LBB5_1707
	s_branch .LBB5_1708
.LBB5_3757:
	s_movk_i32 s4, 0x80
	v_cmp_eq_u16_sdwa s[12:13], v6, s4 src0_sel:BYTE_0 src1_sel:DWORD
	s_mov_b64 s[4:5], -1
                                        ; implicit-def: $sgpr10
	s_and_saveexec_b64 s[8:9], s[12:13]
; %bb.3758:
	s_mov_b32 s10, 0x7f800001
	s_xor_b64 s[4:5], exec, -1
; %bb.3759:
	s_or_b64 exec, exec, s[8:9]
	s_and_b64 s[4:5], s[4:5], exec
	s_or_saveexec_b64 s[6:7], s[6:7]
	v_mov_b32_e32 v12, s10
	s_xor_b64 exec, exec, s[6:7]
	s_cbranch_execz .LBB5_1710
.LBB5_3760:
	v_mov_b32_e32 v12, 0
	v_cmp_ne_u16_sdwa s[8:9], v6, v12 src0_sel:BYTE_0 src1_sel:DWORD
	s_andn2_b64 s[4:5], s[4:5], exec
	s_and_b64 s[8:9], s[8:9], exec
	s_or_b64 s[4:5], s[4:5], s[8:9]
	s_or_b64 exec, exec, s[6:7]
	s_and_saveexec_b64 s[6:7], s[4:5]
	s_cbranch_execnz .LBB5_1711
	s_branch .LBB5_1712
.LBB5_3761:
	s_movk_i32 s4, 0x80
	v_cmp_eq_u16_e32 vcc, s4, v6
	s_mov_b64 s[4:5], -1
                                        ; implicit-def: $sgpr10
	s_and_saveexec_b64 s[8:9], vcc
; %bb.3762:
	s_mov_b32 s10, 0x7f800001
	s_xor_b64 s[4:5], exec, -1
; %bb.3763:
	s_or_b64 exec, exec, s[8:9]
	s_and_b64 s[4:5], s[4:5], exec
                                        ; implicit-def: $vgpr6
	s_or_saveexec_b64 s[6:7], s[6:7]
	v_mov_b32_e32 v2, s10
	s_xor_b64 exec, exec, s[6:7]
	s_cbranch_execz .LBB5_1714
.LBB5_3764:
	v_cmp_ne_u16_e32 vcc, 0, v6
	s_andn2_b64 s[4:5], s[4:5], exec
	s_and_b64 s[8:9], vcc, exec
	v_mov_b32_e32 v2, 0
	s_or_b64 s[4:5], s[4:5], s[8:9]
	s_or_b64 exec, exec, s[6:7]
	s_and_saveexec_b64 s[6:7], s[4:5]
	s_cbranch_execnz .LBB5_1715
	s_branch .LBB5_1716
.LBB5_3765:
	s_movk_i32 s4, 0x80
	v_cmp_eq_u16_e32 vcc, s4, v6
	s_mov_b64 s[4:5], -1
                                        ; implicit-def: $sgpr10
	s_and_saveexec_b64 s[8:9], vcc
; %bb.3766:
	s_mov_b32 s10, 0x7f800001
	s_xor_b64 s[4:5], exec, -1
; %bb.3767:
	s_or_b64 exec, exec, s[8:9]
	s_and_b64 s[4:5], s[4:5], exec
                                        ; implicit-def: $vgpr6
	s_or_saveexec_b64 s[6:7], s[6:7]
	v_mov_b32_e32 v12, s10
	s_xor_b64 exec, exec, s[6:7]
	s_cbranch_execz .LBB5_1718
.LBB5_3768:
	v_cmp_ne_u16_e32 vcc, 0, v6
	s_andn2_b64 s[4:5], s[4:5], exec
	s_and_b64 s[8:9], vcc, exec
	v_mov_b32_e32 v12, 0
	s_or_b64 s[4:5], s[4:5], s[8:9]
	s_or_b64 exec, exec, s[6:7]
	s_and_saveexec_b64 s[6:7], s[4:5]
	s_cbranch_execnz .LBB5_1719
	s_branch .LBB5_1720
.LBB5_3769:
	s_movk_i32 s4, 0x80
	v_cmp_eq_u16_sdwa s[12:13], v7, s4 src0_sel:BYTE_3 src1_sel:DWORD
	s_mov_b64 s[4:5], -1
                                        ; implicit-def: $sgpr10
	s_and_saveexec_b64 s[8:9], s[12:13]
; %bb.3770:
	s_mov_b32 s10, 0x7f800001
	s_xor_b64 s[4:5], exec, -1
; %bb.3771:
	s_or_b64 exec, exec, s[8:9]
	s_and_b64 s[4:5], s[4:5], exec
	s_or_saveexec_b64 s[6:7], s[6:7]
	v_mov_b32_e32 v2, s10
	s_xor_b64 exec, exec, s[6:7]
	s_cbranch_execz .LBB5_1722
.LBB5_3772:
	v_mov_b32_e32 v2, 0
	v_cmp_ne_u16_sdwa s[8:9], v7, v2 src0_sel:BYTE_3 src1_sel:DWORD
	s_andn2_b64 s[4:5], s[4:5], exec
	s_and_b64 s[8:9], s[8:9], exec
	s_or_b64 s[4:5], s[4:5], s[8:9]
	s_or_b64 exec, exec, s[6:7]
	s_and_saveexec_b64 s[6:7], s[4:5]
	s_cbranch_execnz .LBB5_1723
	s_branch .LBB5_1724
.LBB5_3773:
	s_movk_i32 s4, 0x80
	v_cmp_eq_u16_sdwa s[12:13], v3, s4 src0_sel:BYTE_3 src1_sel:DWORD
	s_mov_b64 s[4:5], -1
                                        ; implicit-def: $sgpr10
	s_and_saveexec_b64 s[8:9], s[12:13]
; %bb.3774:
	s_mov_b32 s10, 0x7f800001
	s_xor_b64 s[4:5], exec, -1
; %bb.3775:
	s_or_b64 exec, exec, s[8:9]
	s_and_b64 s[4:5], s[4:5], exec
	s_or_saveexec_b64 s[6:7], s[6:7]
	v_mov_b32_e32 v6, s10
	s_xor_b64 exec, exec, s[6:7]
	s_cbranch_execz .LBB5_1726
.LBB5_3776:
	v_mov_b32_e32 v6, 0
	v_cmp_ne_u16_sdwa s[8:9], v3, v6 src0_sel:BYTE_3 src1_sel:DWORD
	s_andn2_b64 s[4:5], s[4:5], exec
	s_and_b64 s[8:9], s[8:9], exec
	s_or_b64 s[4:5], s[4:5], s[8:9]
	s_or_b64 exec, exec, s[6:7]
	s_and_saveexec_b64 s[6:7], s[4:5]
	s_cbranch_execnz .LBB5_1727
	s_branch .LBB5_1728
.LBB5_3777:
	s_movk_i32 s4, 0x80
	v_cmp_eq_u16_sdwa s[12:13], v8, s4 src0_sel:BYTE_0 src1_sel:DWORD
	s_mov_b64 s[4:5], -1
                                        ; implicit-def: $sgpr10
	s_and_saveexec_b64 s[8:9], s[12:13]
; %bb.3778:
	s_mov_b32 s10, 0x7f800001
	s_xor_b64 s[4:5], exec, -1
; %bb.3779:
	s_or_b64 exec, exec, s[8:9]
	s_and_b64 s[4:5], s[4:5], exec
	s_or_saveexec_b64 s[6:7], s[6:7]
	v_mov_b32_e32 v2, s10
	s_xor_b64 exec, exec, s[6:7]
	s_cbranch_execz .LBB5_1730
.LBB5_3780:
	v_mov_b32_e32 v2, 0
	v_cmp_ne_u16_sdwa s[8:9], v8, v2 src0_sel:BYTE_0 src1_sel:DWORD
	s_andn2_b64 s[4:5], s[4:5], exec
	s_and_b64 s[8:9], s[8:9], exec
	s_or_b64 s[4:5], s[4:5], s[8:9]
	s_or_b64 exec, exec, s[6:7]
	s_and_saveexec_b64 s[6:7], s[4:5]
	s_cbranch_execnz .LBB5_1731
	s_branch .LBB5_1732
.LBB5_3781:
	s_movk_i32 s4, 0x80
	v_cmp_eq_u16_sdwa s[12:13], v4, s4 src0_sel:BYTE_0 src1_sel:DWORD
	s_mov_b64 s[4:5], -1
                                        ; implicit-def: $sgpr10
	s_and_saveexec_b64 s[8:9], s[12:13]
; %bb.3782:
	s_mov_b32 s10, 0x7f800001
	s_xor_b64 s[4:5], exec, -1
; %bb.3783:
	s_or_b64 exec, exec, s[8:9]
	s_and_b64 s[4:5], s[4:5], exec
	s_or_saveexec_b64 s[6:7], s[6:7]
	v_mov_b32_e32 v3, s10
	s_xor_b64 exec, exec, s[6:7]
	s_cbranch_execz .LBB5_1734
.LBB5_3784:
	v_mov_b32_e32 v3, 0
	v_cmp_ne_u16_sdwa s[8:9], v4, v3 src0_sel:BYTE_0 src1_sel:DWORD
	s_andn2_b64 s[4:5], s[4:5], exec
	s_and_b64 s[8:9], s[8:9], exec
	s_or_b64 s[4:5], s[4:5], s[8:9]
	s_or_b64 exec, exec, s[6:7]
	s_and_saveexec_b64 s[6:7], s[4:5]
	s_cbranch_execnz .LBB5_1735
	s_branch .LBB5_1736
.LBB5_3785:
	s_movk_i32 s4, 0x80
	v_cmp_eq_u16_sdwa s[12:13], v3, s4 src0_sel:BYTE_0 src1_sel:DWORD
	s_mov_b64 s[4:5], -1
                                        ; implicit-def: $sgpr10
	s_and_saveexec_b64 s[8:9], s[12:13]
; %bb.3786:
	s_mov_b32 s10, 0x7f800001
	s_xor_b64 s[4:5], exec, -1
; %bb.3787:
	s_or_b64 exec, exec, s[8:9]
	s_and_b64 s[4:5], s[4:5], exec
	s_or_saveexec_b64 s[6:7], s[6:7]
	v_mov_b32_e32 v2, s10
	s_xor_b64 exec, exec, s[6:7]
	s_cbranch_execz .LBB5_1738
.LBB5_3788:
	v_mov_b32_e32 v2, 0
	v_cmp_ne_u16_sdwa s[8:9], v3, v2 src0_sel:BYTE_0 src1_sel:DWORD
	s_andn2_b64 s[4:5], s[4:5], exec
	s_and_b64 s[8:9], s[8:9], exec
	s_or_b64 s[4:5], s[4:5], s[8:9]
	s_or_b64 exec, exec, s[6:7]
	s_and_saveexec_b64 s[6:7], s[4:5]
	s_cbranch_execnz .LBB5_1739
	s_branch .LBB5_1740
.LBB5_3789:
	s_movk_i32 s4, 0x80
	v_cmp_eq_u16_sdwa s[12:13], v3, s4 src0_sel:BYTE_0 src1_sel:DWORD
	s_mov_b64 s[4:5], -1
                                        ; implicit-def: $sgpr10
	s_and_saveexec_b64 s[8:9], s[12:13]
; %bb.3790:
	s_mov_b32 s10, 0x7f800001
	s_xor_b64 s[4:5], exec, -1
; %bb.3791:
	s_or_b64 exec, exec, s[8:9]
	s_and_b64 s[4:5], s[4:5], exec
	s_or_saveexec_b64 s[6:7], s[6:7]
	v_mov_b32_e32 v6, s10
	s_xor_b64 exec, exec, s[6:7]
	s_cbranch_execz .LBB5_1742
.LBB5_3792:
	v_mov_b32_e32 v6, 0
	v_cmp_ne_u16_sdwa s[8:9], v3, v6 src0_sel:BYTE_0 src1_sel:DWORD
	s_andn2_b64 s[4:5], s[4:5], exec
	s_and_b64 s[8:9], s[8:9], exec
	s_or_b64 s[4:5], s[4:5], s[8:9]
	s_or_b64 exec, exec, s[6:7]
	s_and_saveexec_b64 s[6:7], s[4:5]
	s_cbranch_execnz .LBB5_1743
	s_branch .LBB5_1744
.LBB5_3793:
	s_movk_i32 s4, 0x80
	v_cmp_eq_u16_e32 vcc, s4, v3
	s_mov_b64 s[4:5], -1
                                        ; implicit-def: $sgpr10
	s_and_saveexec_b64 s[8:9], vcc
; %bb.3794:
	s_mov_b32 s10, 0x7f800001
	s_xor_b64 s[4:5], exec, -1
; %bb.3795:
	s_or_b64 exec, exec, s[8:9]
	s_and_b64 s[4:5], s[4:5], exec
                                        ; implicit-def: $vgpr3
	s_or_saveexec_b64 s[6:7], s[6:7]
	v_mov_b32_e32 v2, s10
	s_xor_b64 exec, exec, s[6:7]
	s_cbranch_execz .LBB5_1746
.LBB5_3796:
	v_cmp_ne_u16_e32 vcc, 0, v3
	s_andn2_b64 s[4:5], s[4:5], exec
	s_and_b64 s[8:9], vcc, exec
	v_mov_b32_e32 v2, 0
	s_or_b64 s[4:5], s[4:5], s[8:9]
	s_or_b64 exec, exec, s[6:7]
	s_and_saveexec_b64 s[6:7], s[4:5]
	s_cbranch_execnz .LBB5_1747
	s_branch .LBB5_1748
.LBB5_3797:
	s_movk_i32 s4, 0x80
	v_cmp_eq_u16_e32 vcc, s4, v3
	s_mov_b64 s[4:5], -1
                                        ; implicit-def: $sgpr10
	s_and_saveexec_b64 s[8:9], vcc
; %bb.3798:
	s_mov_b32 s10, 0x7f800001
	s_xor_b64 s[4:5], exec, -1
; %bb.3799:
	s_or_b64 exec, exec, s[8:9]
	s_and_b64 s[4:5], s[4:5], exec
                                        ; implicit-def: $vgpr3
	s_or_saveexec_b64 s[6:7], s[6:7]
	v_mov_b32_e32 v6, s10
	s_xor_b64 exec, exec, s[6:7]
	s_cbranch_execz .LBB5_1750
.LBB5_3800:
	v_cmp_ne_u16_e32 vcc, 0, v3
	s_andn2_b64 s[4:5], s[4:5], exec
	s_and_b64 s[8:9], vcc, exec
	v_mov_b32_e32 v6, 0
	s_or_b64 s[4:5], s[4:5], s[8:9]
	s_or_b64 exec, exec, s[6:7]
	s_and_saveexec_b64 s[6:7], s[4:5]
	s_cbranch_execnz .LBB5_1751
	s_branch .LBB5_1752
.LBB5_3801:
	s_movk_i32 s4, 0x80
	v_cmp_eq_u16_sdwa s[12:13], v8, s4 src0_sel:BYTE_3 src1_sel:DWORD
	s_mov_b64 s[4:5], -1
                                        ; implicit-def: $sgpr10
	s_and_saveexec_b64 s[8:9], s[12:13]
; %bb.3802:
	s_mov_b32 s10, 0x7f800001
	s_xor_b64 s[4:5], exec, -1
; %bb.3803:
	s_or_b64 exec, exec, s[8:9]
	s_and_b64 s[4:5], s[4:5], exec
	s_or_saveexec_b64 s[6:7], s[6:7]
	v_mov_b32_e32 v2, s10
	s_xor_b64 exec, exec, s[6:7]
	s_cbranch_execz .LBB5_1754
.LBB5_3804:
	v_mov_b32_e32 v2, 0
	v_cmp_ne_u16_sdwa s[8:9], v8, v2 src0_sel:BYTE_3 src1_sel:DWORD
	s_andn2_b64 s[4:5], s[4:5], exec
	s_and_b64 s[8:9], s[8:9], exec
	s_or_b64 s[4:5], s[4:5], s[8:9]
	s_or_b64 exec, exec, s[6:7]
	s_and_saveexec_b64 s[6:7], s[4:5]
	s_cbranch_execnz .LBB5_1755
	s_branch .LBB5_1756
.LBB5_3805:
	s_movk_i32 s4, 0x80
	v_cmp_eq_u16_sdwa s[12:13], v4, s4 src0_sel:BYTE_3 src1_sel:DWORD
	s_mov_b64 s[4:5], -1
                                        ; implicit-def: $sgpr10
	s_and_saveexec_b64 s[8:9], s[12:13]
; %bb.3806:
	s_mov_b32 s10, 0x7f800001
	s_xor_b64 s[4:5], exec, -1
; %bb.3807:
	s_or_b64 exec, exec, s[8:9]
	s_and_b64 s[4:5], s[4:5], exec
	s_or_saveexec_b64 s[6:7], s[6:7]
	v_mov_b32_e32 v3, s10
	s_xor_b64 exec, exec, s[6:7]
	s_cbranch_execz .LBB5_1758
.LBB5_3808:
	v_mov_b32_e32 v3, 0
	v_cmp_ne_u16_sdwa s[8:9], v4, v3 src0_sel:BYTE_3 src1_sel:DWORD
	s_andn2_b64 s[4:5], s[4:5], exec
	s_and_b64 s[8:9], s[8:9], exec
	s_or_b64 s[4:5], s[4:5], s[8:9]
	s_or_b64 exec, exec, s[6:7]
	s_and_saveexec_b64 s[6:7], s[4:5]
	s_cbranch_execnz .LBB5_1759
	s_branch .LBB5_1760
.LBB5_3809:
	s_movk_i32 s4, 0x80
	v_cmp_eq_u16_sdwa s[12:13], v9, s4 src0_sel:BYTE_0 src1_sel:DWORD
	s_mov_b64 s[4:5], -1
                                        ; implicit-def: $sgpr10
	s_and_saveexec_b64 s[8:9], s[12:13]
; %bb.3810:
	s_mov_b32 s10, 0x7f800001
	s_xor_b64 s[4:5], exec, -1
; %bb.3811:
	s_or_b64 exec, exec, s[8:9]
	s_and_b64 s[4:5], s[4:5], exec
	s_or_saveexec_b64 s[6:7], s[6:7]
	v_mov_b32_e32 v2, s10
	s_xor_b64 exec, exec, s[6:7]
	s_cbranch_execz .LBB5_1762
.LBB5_3812:
	v_mov_b32_e32 v2, 0
	v_cmp_ne_u16_sdwa s[8:9], v9, v2 src0_sel:BYTE_0 src1_sel:DWORD
	s_andn2_b64 s[4:5], s[4:5], exec
	s_and_b64 s[8:9], s[8:9], exec
	s_or_b64 s[4:5], s[4:5], s[8:9]
	s_or_b64 exec, exec, s[6:7]
	s_and_saveexec_b64 s[6:7], s[4:5]
	s_cbranch_execnz .LBB5_1763
	s_branch .LBB5_1764
.LBB5_3813:
	s_movk_i32 s4, 0x80
	v_cmp_eq_u16_sdwa s[12:13], v5, s4 src0_sel:BYTE_0 src1_sel:DWORD
	s_mov_b64 s[4:5], -1
                                        ; implicit-def: $sgpr10
	s_and_saveexec_b64 s[8:9], s[12:13]
; %bb.3814:
	s_mov_b32 s10, 0x7f800001
	s_xor_b64 s[4:5], exec, -1
; %bb.3815:
	s_or_b64 exec, exec, s[8:9]
	s_and_b64 s[4:5], s[4:5], exec
	s_or_saveexec_b64 s[6:7], s[6:7]
	v_mov_b32_e32 v3, s10
	s_xor_b64 exec, exec, s[6:7]
	s_cbranch_execz .LBB5_1766
.LBB5_3816:
	v_mov_b32_e32 v3, 0
	v_cmp_ne_u16_sdwa s[8:9], v5, v3 src0_sel:BYTE_0 src1_sel:DWORD
	s_andn2_b64 s[4:5], s[4:5], exec
	s_and_b64 s[8:9], s[8:9], exec
	s_or_b64 s[4:5], s[4:5], s[8:9]
	s_or_b64 exec, exec, s[6:7]
	s_and_saveexec_b64 s[6:7], s[4:5]
	s_cbranch_execnz .LBB5_1767
	s_branch .LBB5_1768
.LBB5_3817:
	s_movk_i32 s4, 0x80
	v_cmp_eq_u16_sdwa s[12:13], v3, s4 src0_sel:BYTE_0 src1_sel:DWORD
	s_mov_b64 s[4:5], -1
                                        ; implicit-def: $sgpr10
	s_and_saveexec_b64 s[8:9], s[12:13]
; %bb.3818:
	s_mov_b32 s10, 0x7f800001
	s_xor_b64 s[4:5], exec, -1
; %bb.3819:
	s_or_b64 exec, exec, s[8:9]
	s_and_b64 s[4:5], s[4:5], exec
	s_or_saveexec_b64 s[6:7], s[6:7]
	v_mov_b32_e32 v2, s10
	s_xor_b64 exec, exec, s[6:7]
	s_cbranch_execz .LBB5_1770
.LBB5_3820:
	v_mov_b32_e32 v2, 0
	v_cmp_ne_u16_sdwa s[8:9], v3, v2 src0_sel:BYTE_0 src1_sel:DWORD
	s_andn2_b64 s[4:5], s[4:5], exec
	s_and_b64 s[8:9], s[8:9], exec
	s_or_b64 s[4:5], s[4:5], s[8:9]
	s_or_b64 exec, exec, s[6:7]
	s_and_saveexec_b64 s[6:7], s[4:5]
	s_cbranch_execnz .LBB5_1771
	s_branch .LBB5_1772
.LBB5_3821:
	s_movk_i32 s4, 0x80
	v_cmp_eq_u16_sdwa s[12:13], v3, s4 src0_sel:BYTE_0 src1_sel:DWORD
	s_mov_b64 s[4:5], -1
                                        ; implicit-def: $sgpr10
	s_and_saveexec_b64 s[8:9], s[12:13]
; %bb.3822:
	s_mov_b32 s10, 0x7f800001
	s_xor_b64 s[4:5], exec, -1
; %bb.3823:
	s_or_b64 exec, exec, s[8:9]
	s_and_b64 s[4:5], s[4:5], exec
	s_or_saveexec_b64 s[6:7], s[6:7]
	v_mov_b32_e32 v4, s10
	s_xor_b64 exec, exec, s[6:7]
	s_cbranch_execz .LBB5_1774
.LBB5_3824:
	v_mov_b32_e32 v4, 0
	v_cmp_ne_u16_sdwa s[8:9], v3, v4 src0_sel:BYTE_0 src1_sel:DWORD
	s_andn2_b64 s[4:5], s[4:5], exec
	s_and_b64 s[8:9], s[8:9], exec
	s_or_b64 s[4:5], s[4:5], s[8:9]
	s_or_b64 exec, exec, s[6:7]
	s_and_saveexec_b64 s[6:7], s[4:5]
	s_cbranch_execnz .LBB5_1775
	s_branch .LBB5_1776
.LBB5_3825:
	s_movk_i32 s4, 0x80
	v_cmp_eq_u16_e32 vcc, s4, v3
	s_mov_b64 s[4:5], -1
                                        ; implicit-def: $sgpr10
	s_and_saveexec_b64 s[8:9], vcc
; %bb.3826:
	s_mov_b32 s10, 0x7f800001
	s_xor_b64 s[4:5], exec, -1
; %bb.3827:
	s_or_b64 exec, exec, s[8:9]
	s_and_b64 s[4:5], s[4:5], exec
                                        ; implicit-def: $vgpr3
	s_or_saveexec_b64 s[6:7], s[6:7]
	v_mov_b32_e32 v2, s10
	s_xor_b64 exec, exec, s[6:7]
	s_cbranch_execz .LBB5_1778
.LBB5_3828:
	v_cmp_ne_u16_e32 vcc, 0, v3
	s_andn2_b64 s[4:5], s[4:5], exec
	s_and_b64 s[8:9], vcc, exec
	v_mov_b32_e32 v2, 0
	s_or_b64 s[4:5], s[4:5], s[8:9]
	s_or_b64 exec, exec, s[6:7]
	s_and_saveexec_b64 s[6:7], s[4:5]
	s_cbranch_execnz .LBB5_1779
	s_branch .LBB5_1780
.LBB5_3829:
	s_movk_i32 s4, 0x80
	v_cmp_eq_u16_e32 vcc, s4, v3
	s_mov_b64 s[4:5], -1
                                        ; implicit-def: $sgpr10
	s_and_saveexec_b64 s[8:9], vcc
; %bb.3830:
	s_mov_b32 s10, 0x7f800001
	s_xor_b64 s[4:5], exec, -1
; %bb.3831:
	s_or_b64 exec, exec, s[8:9]
	s_and_b64 s[4:5], s[4:5], exec
                                        ; implicit-def: $vgpr3
	s_or_saveexec_b64 s[6:7], s[6:7]
	v_mov_b32_e32 v4, s10
	s_xor_b64 exec, exec, s[6:7]
	s_cbranch_execz .LBB5_1782
.LBB5_3832:
	v_cmp_ne_u16_e32 vcc, 0, v3
	s_andn2_b64 s[4:5], s[4:5], exec
	s_and_b64 s[8:9], vcc, exec
	v_mov_b32_e32 v4, 0
	s_or_b64 s[4:5], s[4:5], s[8:9]
	s_or_b64 exec, exec, s[6:7]
	s_and_saveexec_b64 s[6:7], s[4:5]
	s_cbranch_execnz .LBB5_1783
	s_branch .LBB5_1784
.LBB5_3833:
	s_movk_i32 s4, 0x80
	v_cmp_eq_u16_sdwa s[12:13], v9, s4 src0_sel:BYTE_3 src1_sel:DWORD
	s_mov_b64 s[4:5], -1
                                        ; implicit-def: $sgpr10
	s_and_saveexec_b64 s[8:9], s[12:13]
; %bb.3834:
	s_mov_b32 s10, 0x7f800001
	s_xor_b64 s[4:5], exec, -1
; %bb.3835:
	s_or_b64 exec, exec, s[8:9]
	s_and_b64 s[4:5], s[4:5], exec
	s_or_saveexec_b64 s[6:7], s[6:7]
	v_mov_b32_e32 v2, s10
	s_xor_b64 exec, exec, s[6:7]
	s_cbranch_execz .LBB5_1786
.LBB5_3836:
	v_mov_b32_e32 v2, 0
	v_cmp_ne_u16_sdwa s[8:9], v9, v2 src0_sel:BYTE_3 src1_sel:DWORD
	s_andn2_b64 s[4:5], s[4:5], exec
	s_and_b64 s[8:9], s[8:9], exec
	s_or_b64 s[4:5], s[4:5], s[8:9]
	s_or_b64 exec, exec, s[6:7]
	s_and_saveexec_b64 s[6:7], s[4:5]
	s_cbranch_execnz .LBB5_1787
	s_branch .LBB5_1788
.LBB5_3837:
	s_movk_i32 s4, 0x80
	v_cmp_eq_u16_sdwa s[12:13], v5, s4 src0_sel:BYTE_3 src1_sel:DWORD
	s_mov_b64 s[4:5], -1
                                        ; implicit-def: $sgpr10
	s_and_saveexec_b64 s[8:9], s[12:13]
; %bb.3838:
	s_mov_b32 s10, 0x7f800001
	s_xor_b64 s[4:5], exec, -1
; %bb.3839:
	s_or_b64 exec, exec, s[8:9]
	s_and_b64 s[4:5], s[4:5], exec
	s_or_saveexec_b64 s[6:7], s[6:7]
	v_mov_b32_e32 v3, s10
	s_xor_b64 exec, exec, s[6:7]
	s_cbranch_execz .LBB5_1790
.LBB5_3840:
	v_mov_b32_e32 v3, 0
	v_cmp_ne_u16_sdwa s[8:9], v5, v3 src0_sel:BYTE_3 src1_sel:DWORD
	s_andn2_b64 s[4:5], s[4:5], exec
	s_and_b64 s[8:9], s[8:9], exec
	s_or_b64 s[4:5], s[4:5], s[8:9]
	s_or_b64 exec, exec, s[6:7]
	s_and_saveexec_b64 s[6:7], s[4:5]
	s_cbranch_execnz .LBB5_1791
	s_branch .LBB5_1792
.LBB5_3841:
	s_movk_i32 s4, 0x80
	v_cmp_eq_u16_sdwa s[12:13], v6, s4 src0_sel:BYTE_0 src1_sel:DWORD
	s_mov_b64 s[4:5], -1
                                        ; implicit-def: $sgpr10
	s_and_saveexec_b64 s[8:9], s[12:13]
; %bb.3842:
	s_mov_b32 s10, 0x7f800001
	s_xor_b64 s[4:5], exec, -1
; %bb.3843:
	s_or_b64 exec, exec, s[8:9]
	s_and_b64 s[4:5], s[4:5], exec
	s_or_saveexec_b64 s[6:7], s[6:7]
	v_mov_b32_e32 v12, s10
	s_xor_b64 exec, exec, s[6:7]
	s_cbranch_execz .LBB5_1794
.LBB5_3844:
	v_mov_b32_e32 v12, 0
	v_cmp_ne_u16_sdwa s[8:9], v6, v12 src0_sel:BYTE_0 src1_sel:DWORD
	s_andn2_b64 s[4:5], s[4:5], exec
	s_and_b64 s[8:9], s[8:9], exec
	s_or_b64 s[4:5], s[4:5], s[8:9]
	s_or_b64 exec, exec, s[6:7]
	s_and_saveexec_b64 s[6:7], s[4:5]
	s_cbranch_execnz .LBB5_1795
	s_branch .LBB5_1796
.LBB5_3845:
	s_movk_i32 s4, 0x80
	v_cmp_eq_u16_sdwa s[12:13], v2, s4 src0_sel:BYTE_0 src1_sel:DWORD
	s_mov_b64 s[4:5], -1
                                        ; implicit-def: $sgpr10
	s_and_saveexec_b64 s[8:9], s[12:13]
; %bb.3846:
	s_mov_b32 s10, 0x7f800001
	s_xor_b64 s[4:5], exec, -1
; %bb.3847:
	s_or_b64 exec, exec, s[8:9]
	s_and_b64 s[4:5], s[4:5], exec
	s_or_saveexec_b64 s[6:7], s[6:7]
	v_mov_b32_e32 v13, s10
	s_xor_b64 exec, exec, s[6:7]
	s_cbranch_execz .LBB5_1798
.LBB5_3848:
	v_mov_b32_e32 v13, 0
	v_cmp_ne_u16_sdwa s[8:9], v2, v13 src0_sel:BYTE_0 src1_sel:DWORD
	s_andn2_b64 s[4:5], s[4:5], exec
	s_and_b64 s[8:9], s[8:9], exec
	s_or_b64 s[4:5], s[4:5], s[8:9]
	s_or_b64 exec, exec, s[6:7]
	s_and_saveexec_b64 s[6:7], s[4:5]
	s_cbranch_execnz .LBB5_1799
	s_branch .LBB5_1800
.LBB5_3849:
	s_movk_i32 s4, 0x80
	v_cmp_eq_u16_sdwa s[12:13], v13, s4 src0_sel:BYTE_0 src1_sel:DWORD
	s_mov_b64 s[4:5], -1
                                        ; implicit-def: $sgpr10
	s_and_saveexec_b64 s[8:9], s[12:13]
; %bb.3850:
	s_mov_b32 s10, 0x7f800001
	s_xor_b64 s[4:5], exec, -1
; %bb.3851:
	s_or_b64 exec, exec, s[8:9]
	s_and_b64 s[4:5], s[4:5], exec
	s_or_saveexec_b64 s[6:7], s[6:7]
	v_mov_b32_e32 v12, s10
	s_xor_b64 exec, exec, s[6:7]
	s_cbranch_execz .LBB5_1802
.LBB5_3852:
	v_mov_b32_e32 v12, 0
	v_cmp_ne_u16_sdwa s[8:9], v13, v12 src0_sel:BYTE_0 src1_sel:DWORD
	s_andn2_b64 s[4:5], s[4:5], exec
	s_and_b64 s[8:9], s[8:9], exec
	s_or_b64 s[4:5], s[4:5], s[8:9]
	s_or_b64 exec, exec, s[6:7]
	s_and_saveexec_b64 s[6:7], s[4:5]
	s_cbranch_execnz .LBB5_1803
	s_branch .LBB5_1804
.LBB5_3853:
	s_movk_i32 s4, 0x80
	v_cmp_eq_u16_sdwa s[12:13], v13, s4 src0_sel:BYTE_0 src1_sel:DWORD
	s_mov_b64 s[4:5], -1
                                        ; implicit-def: $sgpr10
	s_and_saveexec_b64 s[8:9], s[12:13]
; %bb.3854:
	s_mov_b32 s10, 0x7f800001
	s_xor_b64 s[4:5], exec, -1
; %bb.3855:
	s_or_b64 exec, exec, s[8:9]
	s_and_b64 s[4:5], s[4:5], exec
	s_or_saveexec_b64 s[6:7], s[6:7]
	v_mov_b32_e32 v14, s10
	s_xor_b64 exec, exec, s[6:7]
	s_cbranch_execz .LBB5_1806
.LBB5_3856:
	v_mov_b32_e32 v14, 0
	v_cmp_ne_u16_sdwa s[8:9], v13, v14 src0_sel:BYTE_0 src1_sel:DWORD
	s_andn2_b64 s[4:5], s[4:5], exec
	s_and_b64 s[8:9], s[8:9], exec
	s_or_b64 s[4:5], s[4:5], s[8:9]
	s_or_b64 exec, exec, s[6:7]
	s_and_saveexec_b64 s[6:7], s[4:5]
	s_cbranch_execnz .LBB5_1807
	s_branch .LBB5_1808
.LBB5_3857:
	s_movk_i32 s4, 0x80
	v_cmp_eq_u16_e32 vcc, s4, v13
	s_mov_b64 s[4:5], -1
                                        ; implicit-def: $sgpr10
	s_and_saveexec_b64 s[8:9], vcc
; %bb.3858:
	s_mov_b32 s10, 0x7f800001
	s_xor_b64 s[4:5], exec, -1
; %bb.3859:
	s_or_b64 exec, exec, s[8:9]
	s_and_b64 s[4:5], s[4:5], exec
                                        ; implicit-def: $vgpr13
	s_or_saveexec_b64 s[6:7], s[6:7]
	v_mov_b32_e32 v12, s10
	s_xor_b64 exec, exec, s[6:7]
	s_cbranch_execz .LBB5_1810
.LBB5_3860:
	v_cmp_ne_u16_e32 vcc, 0, v13
	s_andn2_b64 s[4:5], s[4:5], exec
	s_and_b64 s[8:9], vcc, exec
	v_mov_b32_e32 v12, 0
	s_or_b64 s[4:5], s[4:5], s[8:9]
	s_or_b64 exec, exec, s[6:7]
	s_and_saveexec_b64 s[6:7], s[4:5]
	s_cbranch_execnz .LBB5_1811
	s_branch .LBB5_1812
.LBB5_3861:
	s_movk_i32 s4, 0x80
	v_cmp_eq_u16_e32 vcc, s4, v13
	s_mov_b64 s[4:5], -1
                                        ; implicit-def: $sgpr10
	s_and_saveexec_b64 s[8:9], vcc
; %bb.3862:
	s_mov_b32 s10, 0x7f800001
	s_xor_b64 s[4:5], exec, -1
; %bb.3863:
	s_or_b64 exec, exec, s[8:9]
	s_and_b64 s[4:5], s[4:5], exec
                                        ; implicit-def: $vgpr13
	s_or_saveexec_b64 s[6:7], s[6:7]
	v_mov_b32_e32 v14, s10
	s_xor_b64 exec, exec, s[6:7]
	s_cbranch_execz .LBB5_1814
.LBB5_3864:
	v_cmp_ne_u16_e32 vcc, 0, v13
	s_andn2_b64 s[4:5], s[4:5], exec
	s_and_b64 s[8:9], vcc, exec
	v_mov_b32_e32 v14, 0
	s_or_b64 s[4:5], s[4:5], s[8:9]
	s_or_b64 exec, exec, s[6:7]
	s_and_saveexec_b64 s[6:7], s[4:5]
	s_cbranch_execnz .LBB5_1815
	s_branch .LBB5_1816
.LBB5_3865:
	s_movk_i32 s4, 0x80
	v_cmp_eq_u16_sdwa s[12:13], v6, s4 src0_sel:BYTE_3 src1_sel:DWORD
	s_mov_b64 s[4:5], -1
                                        ; implicit-def: $sgpr10
	s_and_saveexec_b64 s[8:9], s[12:13]
; %bb.3866:
	s_mov_b32 s10, 0x7f800001
	s_xor_b64 s[4:5], exec, -1
; %bb.3867:
	s_or_b64 exec, exec, s[8:9]
	s_and_b64 s[4:5], s[4:5], exec
	s_or_saveexec_b64 s[6:7], s[6:7]
	v_mov_b32_e32 v12, s10
	s_xor_b64 exec, exec, s[6:7]
	s_cbranch_execz .LBB5_1818
.LBB5_3868:
	v_mov_b32_e32 v12, 0
	v_cmp_ne_u16_sdwa s[8:9], v6, v12 src0_sel:BYTE_3 src1_sel:DWORD
	s_andn2_b64 s[4:5], s[4:5], exec
	s_and_b64 s[8:9], s[8:9], exec
	s_or_b64 s[4:5], s[4:5], s[8:9]
	s_or_b64 exec, exec, s[6:7]
	s_and_saveexec_b64 s[6:7], s[4:5]
	s_cbranch_execnz .LBB5_1819
	s_branch .LBB5_1820
.LBB5_3869:
	s_movk_i32 s4, 0x80
	v_cmp_eq_u16_sdwa s[12:13], v2, s4 src0_sel:BYTE_3 src1_sel:DWORD
	s_mov_b64 s[4:5], -1
                                        ; implicit-def: $sgpr10
	s_and_saveexec_b64 s[8:9], s[12:13]
; %bb.3870:
	s_mov_b32 s10, 0x7f800001
	s_xor_b64 s[4:5], exec, -1
; %bb.3871:
	s_or_b64 exec, exec, s[8:9]
	s_and_b64 s[4:5], s[4:5], exec
	s_or_saveexec_b64 s[6:7], s[6:7]
	v_mov_b32_e32 v6, s10
	s_xor_b64 exec, exec, s[6:7]
	s_cbranch_execz .LBB5_1822
.LBB5_3872:
	v_mov_b32_e32 v6, 0
	v_cmp_ne_u16_sdwa s[8:9], v2, v6 src0_sel:BYTE_3 src1_sel:DWORD
	s_andn2_b64 s[4:5], s[4:5], exec
	s_and_b64 s[8:9], s[8:9], exec
	s_or_b64 s[4:5], s[4:5], s[8:9]
	s_or_b64 exec, exec, s[6:7]
	s_and_saveexec_b64 s[6:7], s[4:5]
	s_cbranch_execnz .LBB5_1823
	s_branch .LBB5_1824
.LBB5_3873:
	s_movk_i32 s4, 0x80
	v_cmp_eq_u16_sdwa s[12:13], v7, s4 src0_sel:BYTE_0 src1_sel:DWORD
	s_mov_b64 s[4:5], -1
                                        ; implicit-def: $sgpr10
	s_and_saveexec_b64 s[8:9], s[12:13]
; %bb.3874:
	s_mov_b32 s10, 0x7f800001
	s_xor_b64 s[4:5], exec, -1
; %bb.3875:
	s_or_b64 exec, exec, s[8:9]
	s_and_b64 s[4:5], s[4:5], exec
	s_or_saveexec_b64 s[6:7], s[6:7]
	v_mov_b32_e32 v2, s10
	s_xor_b64 exec, exec, s[6:7]
	s_cbranch_execz .LBB5_1826
.LBB5_3876:
	v_mov_b32_e32 v2, 0
	v_cmp_ne_u16_sdwa s[8:9], v7, v2 src0_sel:BYTE_0 src1_sel:DWORD
	s_andn2_b64 s[4:5], s[4:5], exec
	s_and_b64 s[8:9], s[8:9], exec
	s_or_b64 s[4:5], s[4:5], s[8:9]
	s_or_b64 exec, exec, s[6:7]
	s_and_saveexec_b64 s[6:7], s[4:5]
	s_cbranch_execnz .LBB5_1827
	s_branch .LBB5_1828
.LBB5_3877:
	s_movk_i32 s4, 0x80
	v_cmp_eq_u16_sdwa s[12:13], v3, s4 src0_sel:BYTE_0 src1_sel:DWORD
	s_mov_b64 s[4:5], -1
                                        ; implicit-def: $sgpr10
	s_and_saveexec_b64 s[8:9], s[12:13]
; %bb.3878:
	s_mov_b32 s10, 0x7f800001
	s_xor_b64 s[4:5], exec, -1
; %bb.3879:
	s_or_b64 exec, exec, s[8:9]
	s_and_b64 s[4:5], s[4:5], exec
	s_or_saveexec_b64 s[6:7], s[6:7]
	v_mov_b32_e32 v6, s10
	s_xor_b64 exec, exec, s[6:7]
	s_cbranch_execz .LBB5_1830
.LBB5_3880:
	v_mov_b32_e32 v6, 0
	v_cmp_ne_u16_sdwa s[8:9], v3, v6 src0_sel:BYTE_0 src1_sel:DWORD
	s_andn2_b64 s[4:5], s[4:5], exec
	s_and_b64 s[8:9], s[8:9], exec
	s_or_b64 s[4:5], s[4:5], s[8:9]
	s_or_b64 exec, exec, s[6:7]
	s_and_saveexec_b64 s[6:7], s[4:5]
	s_cbranch_execnz .LBB5_1831
	s_branch .LBB5_1832
.LBB5_3881:
	s_movk_i32 s4, 0x80
	v_cmp_eq_u16_sdwa s[12:13], v6, s4 src0_sel:BYTE_0 src1_sel:DWORD
	s_mov_b64 s[4:5], -1
                                        ; implicit-def: $sgpr10
	s_and_saveexec_b64 s[8:9], s[12:13]
; %bb.3882:
	s_mov_b32 s10, 0x7f800001
	s_xor_b64 s[4:5], exec, -1
; %bb.3883:
	s_or_b64 exec, exec, s[8:9]
	s_and_b64 s[4:5], s[4:5], exec
	s_or_saveexec_b64 s[6:7], s[6:7]
	v_mov_b32_e32 v2, s10
	s_xor_b64 exec, exec, s[6:7]
	s_cbranch_execz .LBB5_1834
.LBB5_3884:
	v_mov_b32_e32 v2, 0
	v_cmp_ne_u16_sdwa s[8:9], v6, v2 src0_sel:BYTE_0 src1_sel:DWORD
	s_andn2_b64 s[4:5], s[4:5], exec
	s_and_b64 s[8:9], s[8:9], exec
	s_or_b64 s[4:5], s[4:5], s[8:9]
	s_or_b64 exec, exec, s[6:7]
	s_and_saveexec_b64 s[6:7], s[4:5]
	s_cbranch_execnz .LBB5_1835
	s_branch .LBB5_1836
.LBB5_3885:
	s_movk_i32 s4, 0x80
	v_cmp_eq_u16_sdwa s[12:13], v6, s4 src0_sel:BYTE_0 src1_sel:DWORD
	s_mov_b64 s[4:5], -1
                                        ; implicit-def: $sgpr10
	s_and_saveexec_b64 s[8:9], s[12:13]
; %bb.3886:
	s_mov_b32 s10, 0x7f800001
	s_xor_b64 s[4:5], exec, -1
; %bb.3887:
	s_or_b64 exec, exec, s[8:9]
	s_and_b64 s[4:5], s[4:5], exec
	s_or_saveexec_b64 s[6:7], s[6:7]
	v_mov_b32_e32 v12, s10
	s_xor_b64 exec, exec, s[6:7]
	s_cbranch_execz .LBB5_1838
.LBB5_3888:
	v_mov_b32_e32 v12, 0
	v_cmp_ne_u16_sdwa s[8:9], v6, v12 src0_sel:BYTE_0 src1_sel:DWORD
	s_andn2_b64 s[4:5], s[4:5], exec
	s_and_b64 s[8:9], s[8:9], exec
	s_or_b64 s[4:5], s[4:5], s[8:9]
	s_or_b64 exec, exec, s[6:7]
	s_and_saveexec_b64 s[6:7], s[4:5]
	s_cbranch_execnz .LBB5_1839
	s_branch .LBB5_1840
.LBB5_3889:
	s_movk_i32 s4, 0x80
	v_cmp_eq_u16_e32 vcc, s4, v6
	s_mov_b64 s[4:5], -1
                                        ; implicit-def: $sgpr10
	s_and_saveexec_b64 s[8:9], vcc
; %bb.3890:
	s_mov_b32 s10, 0x7f800001
	s_xor_b64 s[4:5], exec, -1
; %bb.3891:
	s_or_b64 exec, exec, s[8:9]
	s_and_b64 s[4:5], s[4:5], exec
                                        ; implicit-def: $vgpr6
	s_or_saveexec_b64 s[6:7], s[6:7]
	v_mov_b32_e32 v2, s10
	s_xor_b64 exec, exec, s[6:7]
	s_cbranch_execz .LBB5_1842
.LBB5_3892:
	v_cmp_ne_u16_e32 vcc, 0, v6
	s_andn2_b64 s[4:5], s[4:5], exec
	s_and_b64 s[8:9], vcc, exec
	v_mov_b32_e32 v2, 0
	s_or_b64 s[4:5], s[4:5], s[8:9]
	s_or_b64 exec, exec, s[6:7]
	s_and_saveexec_b64 s[6:7], s[4:5]
	s_cbranch_execnz .LBB5_1843
	s_branch .LBB5_1844
.LBB5_3893:
	s_movk_i32 s4, 0x80
	v_cmp_eq_u16_e32 vcc, s4, v6
	s_mov_b64 s[4:5], -1
                                        ; implicit-def: $sgpr10
	s_and_saveexec_b64 s[8:9], vcc
; %bb.3894:
	s_mov_b32 s10, 0x7f800001
	s_xor_b64 s[4:5], exec, -1
; %bb.3895:
	s_or_b64 exec, exec, s[8:9]
	s_and_b64 s[4:5], s[4:5], exec
                                        ; implicit-def: $vgpr6
	s_or_saveexec_b64 s[6:7], s[6:7]
	v_mov_b32_e32 v12, s10
	s_xor_b64 exec, exec, s[6:7]
	s_cbranch_execz .LBB5_1846
.LBB5_3896:
	v_cmp_ne_u16_e32 vcc, 0, v6
	s_andn2_b64 s[4:5], s[4:5], exec
	s_and_b64 s[8:9], vcc, exec
	v_mov_b32_e32 v12, 0
	s_or_b64 s[4:5], s[4:5], s[8:9]
	s_or_b64 exec, exec, s[6:7]
	s_and_saveexec_b64 s[6:7], s[4:5]
	s_cbranch_execnz .LBB5_1847
	s_branch .LBB5_1848
.LBB5_3897:
	s_movk_i32 s4, 0x80
	v_cmp_eq_u16_sdwa s[12:13], v7, s4 src0_sel:BYTE_3 src1_sel:DWORD
	s_mov_b64 s[4:5], -1
                                        ; implicit-def: $sgpr10
	s_and_saveexec_b64 s[8:9], s[12:13]
; %bb.3898:
	s_mov_b32 s10, 0x7f800001
	s_xor_b64 s[4:5], exec, -1
; %bb.3899:
	s_or_b64 exec, exec, s[8:9]
	s_and_b64 s[4:5], s[4:5], exec
	s_or_saveexec_b64 s[6:7], s[6:7]
	v_mov_b32_e32 v2, s10
	s_xor_b64 exec, exec, s[6:7]
	s_cbranch_execz .LBB5_1850
.LBB5_3900:
	v_mov_b32_e32 v2, 0
	v_cmp_ne_u16_sdwa s[8:9], v7, v2 src0_sel:BYTE_3 src1_sel:DWORD
	s_andn2_b64 s[4:5], s[4:5], exec
	s_and_b64 s[8:9], s[8:9], exec
	s_or_b64 s[4:5], s[4:5], s[8:9]
	s_or_b64 exec, exec, s[6:7]
	s_and_saveexec_b64 s[6:7], s[4:5]
	s_cbranch_execnz .LBB5_1851
	s_branch .LBB5_1852
.LBB5_3901:
	s_movk_i32 s4, 0x80
	v_cmp_eq_u16_sdwa s[12:13], v3, s4 src0_sel:BYTE_3 src1_sel:DWORD
	s_mov_b64 s[4:5], -1
                                        ; implicit-def: $sgpr10
	s_and_saveexec_b64 s[8:9], s[12:13]
; %bb.3902:
	s_mov_b32 s10, 0x7f800001
	s_xor_b64 s[4:5], exec, -1
; %bb.3903:
	s_or_b64 exec, exec, s[8:9]
	s_and_b64 s[4:5], s[4:5], exec
	s_or_saveexec_b64 s[6:7], s[6:7]
	v_mov_b32_e32 v6, s10
	s_xor_b64 exec, exec, s[6:7]
	s_cbranch_execz .LBB5_1854
.LBB5_3904:
	v_mov_b32_e32 v6, 0
	v_cmp_ne_u16_sdwa s[8:9], v3, v6 src0_sel:BYTE_3 src1_sel:DWORD
	s_andn2_b64 s[4:5], s[4:5], exec
	s_and_b64 s[8:9], s[8:9], exec
	s_or_b64 s[4:5], s[4:5], s[8:9]
	s_or_b64 exec, exec, s[6:7]
	s_and_saveexec_b64 s[6:7], s[4:5]
	s_cbranch_execnz .LBB5_1855
	s_branch .LBB5_1856
.LBB5_3905:
	s_movk_i32 s4, 0x80
	v_cmp_eq_u16_sdwa s[12:13], v8, s4 src0_sel:BYTE_0 src1_sel:DWORD
	s_mov_b64 s[4:5], -1
                                        ; implicit-def: $sgpr10
	s_and_saveexec_b64 s[8:9], s[12:13]
; %bb.3906:
	s_mov_b32 s10, 0x7f800001
	s_xor_b64 s[4:5], exec, -1
; %bb.3907:
	s_or_b64 exec, exec, s[8:9]
	s_and_b64 s[4:5], s[4:5], exec
	s_or_saveexec_b64 s[6:7], s[6:7]
	v_mov_b32_e32 v2, s10
	s_xor_b64 exec, exec, s[6:7]
	s_cbranch_execz .LBB5_1858
.LBB5_3908:
	v_mov_b32_e32 v2, 0
	v_cmp_ne_u16_sdwa s[8:9], v8, v2 src0_sel:BYTE_0 src1_sel:DWORD
	s_andn2_b64 s[4:5], s[4:5], exec
	s_and_b64 s[8:9], s[8:9], exec
	s_or_b64 s[4:5], s[4:5], s[8:9]
	s_or_b64 exec, exec, s[6:7]
	s_and_saveexec_b64 s[6:7], s[4:5]
	s_cbranch_execnz .LBB5_1859
	s_branch .LBB5_1860
.LBB5_3909:
	s_movk_i32 s4, 0x80
	v_cmp_eq_u16_sdwa s[12:13], v4, s4 src0_sel:BYTE_0 src1_sel:DWORD
	s_mov_b64 s[4:5], -1
                                        ; implicit-def: $sgpr10
	s_and_saveexec_b64 s[8:9], s[12:13]
; %bb.3910:
	s_mov_b32 s10, 0x7f800001
	s_xor_b64 s[4:5], exec, -1
; %bb.3911:
	s_or_b64 exec, exec, s[8:9]
	s_and_b64 s[4:5], s[4:5], exec
	s_or_saveexec_b64 s[6:7], s[6:7]
	v_mov_b32_e32 v3, s10
	s_xor_b64 exec, exec, s[6:7]
	s_cbranch_execz .LBB5_1862
.LBB5_3912:
	v_mov_b32_e32 v3, 0
	v_cmp_ne_u16_sdwa s[8:9], v4, v3 src0_sel:BYTE_0 src1_sel:DWORD
	s_andn2_b64 s[4:5], s[4:5], exec
	s_and_b64 s[8:9], s[8:9], exec
	s_or_b64 s[4:5], s[4:5], s[8:9]
	s_or_b64 exec, exec, s[6:7]
	s_and_saveexec_b64 s[6:7], s[4:5]
	s_cbranch_execnz .LBB5_1863
	s_branch .LBB5_1864
.LBB5_3913:
	s_movk_i32 s4, 0x80
	v_cmp_eq_u16_sdwa s[12:13], v3, s4 src0_sel:BYTE_0 src1_sel:DWORD
	s_mov_b64 s[4:5], -1
                                        ; implicit-def: $sgpr10
	s_and_saveexec_b64 s[8:9], s[12:13]
; %bb.3914:
	s_mov_b32 s10, 0x7f800001
	s_xor_b64 s[4:5], exec, -1
; %bb.3915:
	s_or_b64 exec, exec, s[8:9]
	s_and_b64 s[4:5], s[4:5], exec
	s_or_saveexec_b64 s[6:7], s[6:7]
	v_mov_b32_e32 v2, s10
	s_xor_b64 exec, exec, s[6:7]
	s_cbranch_execz .LBB5_1866
.LBB5_3916:
	v_mov_b32_e32 v2, 0
	v_cmp_ne_u16_sdwa s[8:9], v3, v2 src0_sel:BYTE_0 src1_sel:DWORD
	s_andn2_b64 s[4:5], s[4:5], exec
	s_and_b64 s[8:9], s[8:9], exec
	s_or_b64 s[4:5], s[4:5], s[8:9]
	s_or_b64 exec, exec, s[6:7]
	s_and_saveexec_b64 s[6:7], s[4:5]
	s_cbranch_execnz .LBB5_1867
	s_branch .LBB5_1868
.LBB5_3917:
	s_movk_i32 s4, 0x80
	v_cmp_eq_u16_sdwa s[12:13], v3, s4 src0_sel:BYTE_0 src1_sel:DWORD
	s_mov_b64 s[4:5], -1
                                        ; implicit-def: $sgpr10
	s_and_saveexec_b64 s[8:9], s[12:13]
; %bb.3918:
	s_mov_b32 s10, 0x7f800001
	s_xor_b64 s[4:5], exec, -1
; %bb.3919:
	s_or_b64 exec, exec, s[8:9]
	s_and_b64 s[4:5], s[4:5], exec
	s_or_saveexec_b64 s[6:7], s[6:7]
	v_mov_b32_e32 v6, s10
	s_xor_b64 exec, exec, s[6:7]
	s_cbranch_execz .LBB5_1870
.LBB5_3920:
	v_mov_b32_e32 v6, 0
	v_cmp_ne_u16_sdwa s[8:9], v3, v6 src0_sel:BYTE_0 src1_sel:DWORD
	s_andn2_b64 s[4:5], s[4:5], exec
	s_and_b64 s[8:9], s[8:9], exec
	s_or_b64 s[4:5], s[4:5], s[8:9]
	s_or_b64 exec, exec, s[6:7]
	s_and_saveexec_b64 s[6:7], s[4:5]
	s_cbranch_execnz .LBB5_1871
	s_branch .LBB5_1872
.LBB5_3921:
	s_movk_i32 s4, 0x80
	v_cmp_eq_u16_e32 vcc, s4, v3
	s_mov_b64 s[4:5], -1
                                        ; implicit-def: $sgpr10
	s_and_saveexec_b64 s[8:9], vcc
; %bb.3922:
	s_mov_b32 s10, 0x7f800001
	s_xor_b64 s[4:5], exec, -1
; %bb.3923:
	s_or_b64 exec, exec, s[8:9]
	s_and_b64 s[4:5], s[4:5], exec
                                        ; implicit-def: $vgpr3
	s_or_saveexec_b64 s[6:7], s[6:7]
	v_mov_b32_e32 v2, s10
	s_xor_b64 exec, exec, s[6:7]
	s_cbranch_execz .LBB5_1874
.LBB5_3924:
	v_cmp_ne_u16_e32 vcc, 0, v3
	s_andn2_b64 s[4:5], s[4:5], exec
	s_and_b64 s[8:9], vcc, exec
	v_mov_b32_e32 v2, 0
	s_or_b64 s[4:5], s[4:5], s[8:9]
	s_or_b64 exec, exec, s[6:7]
	s_and_saveexec_b64 s[6:7], s[4:5]
	s_cbranch_execnz .LBB5_1875
	s_branch .LBB5_1876
.LBB5_3925:
	s_movk_i32 s4, 0x80
	v_cmp_eq_u16_e32 vcc, s4, v3
	s_mov_b64 s[4:5], -1
                                        ; implicit-def: $sgpr10
	s_and_saveexec_b64 s[8:9], vcc
; %bb.3926:
	s_mov_b32 s10, 0x7f800001
	s_xor_b64 s[4:5], exec, -1
; %bb.3927:
	s_or_b64 exec, exec, s[8:9]
	s_and_b64 s[4:5], s[4:5], exec
                                        ; implicit-def: $vgpr3
	s_or_saveexec_b64 s[6:7], s[6:7]
	v_mov_b32_e32 v6, s10
	s_xor_b64 exec, exec, s[6:7]
	s_cbranch_execz .LBB5_1878
.LBB5_3928:
	v_cmp_ne_u16_e32 vcc, 0, v3
	s_andn2_b64 s[4:5], s[4:5], exec
	s_and_b64 s[8:9], vcc, exec
	v_mov_b32_e32 v6, 0
	s_or_b64 s[4:5], s[4:5], s[8:9]
	s_or_b64 exec, exec, s[6:7]
	s_and_saveexec_b64 s[6:7], s[4:5]
	s_cbranch_execnz .LBB5_1879
	s_branch .LBB5_1880
.LBB5_3929:
	s_movk_i32 s4, 0x80
	v_cmp_eq_u16_sdwa s[12:13], v8, s4 src0_sel:BYTE_3 src1_sel:DWORD
	s_mov_b64 s[4:5], -1
                                        ; implicit-def: $sgpr10
	s_and_saveexec_b64 s[8:9], s[12:13]
; %bb.3930:
	s_mov_b32 s10, 0x7f800001
	s_xor_b64 s[4:5], exec, -1
; %bb.3931:
	s_or_b64 exec, exec, s[8:9]
	s_and_b64 s[4:5], s[4:5], exec
	s_or_saveexec_b64 s[6:7], s[6:7]
	v_mov_b32_e32 v2, s10
	s_xor_b64 exec, exec, s[6:7]
	s_cbranch_execz .LBB5_1882
.LBB5_3932:
	v_mov_b32_e32 v2, 0
	v_cmp_ne_u16_sdwa s[8:9], v8, v2 src0_sel:BYTE_3 src1_sel:DWORD
	s_andn2_b64 s[4:5], s[4:5], exec
	s_and_b64 s[8:9], s[8:9], exec
	s_or_b64 s[4:5], s[4:5], s[8:9]
	s_or_b64 exec, exec, s[6:7]
	s_and_saveexec_b64 s[6:7], s[4:5]
	s_cbranch_execnz .LBB5_1883
	s_branch .LBB5_1884
.LBB5_3933:
	s_movk_i32 s4, 0x80
	v_cmp_eq_u16_sdwa s[12:13], v4, s4 src0_sel:BYTE_3 src1_sel:DWORD
	s_mov_b64 s[4:5], -1
                                        ; implicit-def: $sgpr10
	s_and_saveexec_b64 s[8:9], s[12:13]
; %bb.3934:
	s_mov_b32 s10, 0x7f800001
	s_xor_b64 s[4:5], exec, -1
; %bb.3935:
	s_or_b64 exec, exec, s[8:9]
	s_and_b64 s[4:5], s[4:5], exec
	s_or_saveexec_b64 s[6:7], s[6:7]
	v_mov_b32_e32 v3, s10
	s_xor_b64 exec, exec, s[6:7]
	s_cbranch_execz .LBB5_1886
.LBB5_3936:
	v_mov_b32_e32 v3, 0
	v_cmp_ne_u16_sdwa s[8:9], v4, v3 src0_sel:BYTE_3 src1_sel:DWORD
	s_andn2_b64 s[4:5], s[4:5], exec
	s_and_b64 s[8:9], s[8:9], exec
	s_or_b64 s[4:5], s[4:5], s[8:9]
	s_or_b64 exec, exec, s[6:7]
	s_and_saveexec_b64 s[6:7], s[4:5]
	s_cbranch_execnz .LBB5_1887
	s_branch .LBB5_1888
.LBB5_3937:
	s_movk_i32 s4, 0x80
	v_cmp_eq_u16_sdwa s[12:13], v9, s4 src0_sel:BYTE_0 src1_sel:DWORD
	s_mov_b64 s[4:5], -1
                                        ; implicit-def: $sgpr10
	s_and_saveexec_b64 s[8:9], s[12:13]
; %bb.3938:
	s_mov_b32 s10, 0x7f800001
	s_xor_b64 s[4:5], exec, -1
; %bb.3939:
	s_or_b64 exec, exec, s[8:9]
	s_and_b64 s[4:5], s[4:5], exec
	s_or_saveexec_b64 s[6:7], s[6:7]
	v_mov_b32_e32 v2, s10
	s_xor_b64 exec, exec, s[6:7]
	s_cbranch_execz .LBB5_1890
.LBB5_3940:
	v_mov_b32_e32 v2, 0
	v_cmp_ne_u16_sdwa s[8:9], v9, v2 src0_sel:BYTE_0 src1_sel:DWORD
	s_andn2_b64 s[4:5], s[4:5], exec
	s_and_b64 s[8:9], s[8:9], exec
	s_or_b64 s[4:5], s[4:5], s[8:9]
	s_or_b64 exec, exec, s[6:7]
	s_and_saveexec_b64 s[6:7], s[4:5]
	s_cbranch_execnz .LBB5_1891
	s_branch .LBB5_1892
.LBB5_3941:
	s_movk_i32 s4, 0x80
	v_cmp_eq_u16_sdwa s[12:13], v5, s4 src0_sel:BYTE_0 src1_sel:DWORD
	s_mov_b64 s[4:5], -1
                                        ; implicit-def: $sgpr10
	s_and_saveexec_b64 s[8:9], s[12:13]
; %bb.3942:
	s_mov_b32 s10, 0x7f800001
	s_xor_b64 s[4:5], exec, -1
; %bb.3943:
	s_or_b64 exec, exec, s[8:9]
	s_and_b64 s[4:5], s[4:5], exec
	s_or_saveexec_b64 s[6:7], s[6:7]
	v_mov_b32_e32 v3, s10
	s_xor_b64 exec, exec, s[6:7]
	s_cbranch_execz .LBB5_1894
.LBB5_3944:
	v_mov_b32_e32 v3, 0
	v_cmp_ne_u16_sdwa s[8:9], v5, v3 src0_sel:BYTE_0 src1_sel:DWORD
	s_andn2_b64 s[4:5], s[4:5], exec
	s_and_b64 s[8:9], s[8:9], exec
	s_or_b64 s[4:5], s[4:5], s[8:9]
	s_or_b64 exec, exec, s[6:7]
	s_and_saveexec_b64 s[6:7], s[4:5]
	s_cbranch_execnz .LBB5_1895
	s_branch .LBB5_1896
.LBB5_3945:
	s_movk_i32 s4, 0x80
	v_cmp_eq_u16_sdwa s[12:13], v3, s4 src0_sel:BYTE_0 src1_sel:DWORD
	s_mov_b64 s[4:5], -1
                                        ; implicit-def: $sgpr10
	s_and_saveexec_b64 s[8:9], s[12:13]
; %bb.3946:
	s_mov_b32 s10, 0x7f800001
	s_xor_b64 s[4:5], exec, -1
; %bb.3947:
	s_or_b64 exec, exec, s[8:9]
	s_and_b64 s[4:5], s[4:5], exec
	s_or_saveexec_b64 s[6:7], s[6:7]
	v_mov_b32_e32 v2, s10
	s_xor_b64 exec, exec, s[6:7]
	s_cbranch_execz .LBB5_1898
.LBB5_3948:
	v_mov_b32_e32 v2, 0
	v_cmp_ne_u16_sdwa s[8:9], v3, v2 src0_sel:BYTE_0 src1_sel:DWORD
	s_andn2_b64 s[4:5], s[4:5], exec
	s_and_b64 s[8:9], s[8:9], exec
	s_or_b64 s[4:5], s[4:5], s[8:9]
	s_or_b64 exec, exec, s[6:7]
	s_and_saveexec_b64 s[6:7], s[4:5]
	s_cbranch_execnz .LBB5_1899
	s_branch .LBB5_1900
.LBB5_3949:
	s_movk_i32 s4, 0x80
	v_cmp_eq_u16_sdwa s[12:13], v3, s4 src0_sel:BYTE_0 src1_sel:DWORD
	s_mov_b64 s[4:5], -1
                                        ; implicit-def: $sgpr10
	s_and_saveexec_b64 s[8:9], s[12:13]
; %bb.3950:
	s_mov_b32 s10, 0x7f800001
	s_xor_b64 s[4:5], exec, -1
; %bb.3951:
	s_or_b64 exec, exec, s[8:9]
	s_and_b64 s[4:5], s[4:5], exec
	s_or_saveexec_b64 s[6:7], s[6:7]
	v_mov_b32_e32 v4, s10
	s_xor_b64 exec, exec, s[6:7]
	s_cbranch_execz .LBB5_1902
.LBB5_3952:
	v_mov_b32_e32 v4, 0
	v_cmp_ne_u16_sdwa s[8:9], v3, v4 src0_sel:BYTE_0 src1_sel:DWORD
	s_andn2_b64 s[4:5], s[4:5], exec
	s_and_b64 s[8:9], s[8:9], exec
	s_or_b64 s[4:5], s[4:5], s[8:9]
	s_or_b64 exec, exec, s[6:7]
	s_and_saveexec_b64 s[6:7], s[4:5]
	s_cbranch_execnz .LBB5_1903
	s_branch .LBB5_1904
.LBB5_3953:
	s_movk_i32 s4, 0x80
	v_cmp_eq_u16_e32 vcc, s4, v3
	s_mov_b64 s[4:5], -1
                                        ; implicit-def: $sgpr10
	s_and_saveexec_b64 s[8:9], vcc
; %bb.3954:
	s_mov_b32 s10, 0x7f800001
	s_xor_b64 s[4:5], exec, -1
; %bb.3955:
	s_or_b64 exec, exec, s[8:9]
	s_and_b64 s[4:5], s[4:5], exec
                                        ; implicit-def: $vgpr3
	s_or_saveexec_b64 s[6:7], s[6:7]
	v_mov_b32_e32 v2, s10
	s_xor_b64 exec, exec, s[6:7]
	s_cbranch_execz .LBB5_1906
.LBB5_3956:
	v_cmp_ne_u16_e32 vcc, 0, v3
	s_andn2_b64 s[4:5], s[4:5], exec
	s_and_b64 s[8:9], vcc, exec
	v_mov_b32_e32 v2, 0
	s_or_b64 s[4:5], s[4:5], s[8:9]
	s_or_b64 exec, exec, s[6:7]
	s_and_saveexec_b64 s[6:7], s[4:5]
	s_cbranch_execnz .LBB5_1907
	s_branch .LBB5_1908
.LBB5_3957:
	s_movk_i32 s4, 0x80
	v_cmp_eq_u16_e32 vcc, s4, v3
	s_mov_b64 s[4:5], -1
                                        ; implicit-def: $sgpr10
	s_and_saveexec_b64 s[8:9], vcc
; %bb.3958:
	s_mov_b32 s10, 0x7f800001
	s_xor_b64 s[4:5], exec, -1
; %bb.3959:
	s_or_b64 exec, exec, s[8:9]
	s_and_b64 s[4:5], s[4:5], exec
                                        ; implicit-def: $vgpr3
	s_or_saveexec_b64 s[6:7], s[6:7]
	v_mov_b32_e32 v4, s10
	s_xor_b64 exec, exec, s[6:7]
	s_cbranch_execz .LBB5_1910
.LBB5_3960:
	v_cmp_ne_u16_e32 vcc, 0, v3
	s_andn2_b64 s[4:5], s[4:5], exec
	s_and_b64 s[8:9], vcc, exec
	v_mov_b32_e32 v4, 0
	s_or_b64 s[4:5], s[4:5], s[8:9]
	s_or_b64 exec, exec, s[6:7]
	s_and_saveexec_b64 s[6:7], s[4:5]
	s_cbranch_execnz .LBB5_1911
	s_branch .LBB5_1912
.LBB5_3961:
	s_movk_i32 s4, 0x80
	v_cmp_eq_u16_sdwa s[12:13], v9, s4 src0_sel:BYTE_3 src1_sel:DWORD
	s_mov_b64 s[4:5], -1
                                        ; implicit-def: $sgpr10
	s_and_saveexec_b64 s[8:9], s[12:13]
; %bb.3962:
	s_mov_b32 s10, 0x7f800001
	s_xor_b64 s[4:5], exec, -1
; %bb.3963:
	s_or_b64 exec, exec, s[8:9]
	s_and_b64 s[4:5], s[4:5], exec
	s_or_saveexec_b64 s[6:7], s[6:7]
	v_mov_b32_e32 v2, s10
	s_xor_b64 exec, exec, s[6:7]
	s_cbranch_execz .LBB5_1914
.LBB5_3964:
	v_mov_b32_e32 v2, 0
	v_cmp_ne_u16_sdwa s[8:9], v9, v2 src0_sel:BYTE_3 src1_sel:DWORD
	s_andn2_b64 s[4:5], s[4:5], exec
	s_and_b64 s[8:9], s[8:9], exec
	s_or_b64 s[4:5], s[4:5], s[8:9]
	s_or_b64 exec, exec, s[6:7]
	s_and_saveexec_b64 s[6:7], s[4:5]
	s_cbranch_execnz .LBB5_1915
	s_branch .LBB5_1916
.LBB5_3965:
	s_movk_i32 s4, 0x80
	v_cmp_eq_u16_sdwa s[12:13], v5, s4 src0_sel:BYTE_3 src1_sel:DWORD
	s_mov_b64 s[4:5], -1
                                        ; implicit-def: $sgpr10
	s_and_saveexec_b64 s[8:9], s[12:13]
; %bb.3966:
	s_mov_b32 s10, 0x7f800001
	s_xor_b64 s[4:5], exec, -1
; %bb.3967:
	s_or_b64 exec, exec, s[8:9]
	s_and_b64 s[4:5], s[4:5], exec
	s_or_saveexec_b64 s[6:7], s[6:7]
	v_mov_b32_e32 v3, s10
	s_xor_b64 exec, exec, s[6:7]
	s_cbranch_execz .LBB5_1918
.LBB5_3968:
	v_mov_b32_e32 v3, 0
	v_cmp_ne_u16_sdwa s[8:9], v5, v3 src0_sel:BYTE_3 src1_sel:DWORD
	s_andn2_b64 s[4:5], s[4:5], exec
	s_and_b64 s[8:9], s[8:9], exec
	s_or_b64 s[4:5], s[4:5], s[8:9]
	s_or_b64 exec, exec, s[6:7]
	s_and_saveexec_b64 s[6:7], s[4:5]
	s_cbranch_execnz .LBB5_1919
	s_branch .LBB5_1920
.LBB5_3969:
	s_movk_i32 s4, 0x80
	v_cmp_eq_u16_sdwa s[12:13], v4, s4 src0_sel:BYTE_0 src1_sel:DWORD
	s_mov_b64 s[4:5], -1
                                        ; implicit-def: $sgpr10
	s_and_saveexec_b64 s[8:9], s[12:13]
; %bb.3970:
	s_mov_b32 s10, 0x7f800001
	s_xor_b64 s[4:5], exec, -1
; %bb.3971:
	s_or_b64 exec, exec, s[8:9]
	s_and_b64 s[4:5], s[4:5], exec
	s_or_saveexec_b64 s[6:7], s[6:7]
	v_mov_b32_e32 v10, s10
	s_xor_b64 exec, exec, s[6:7]
	s_cbranch_execz .LBB5_1922
.LBB5_3972:
	v_mov_b32_e32 v10, 0
	v_cmp_ne_u16_sdwa s[8:9], v4, v10 src0_sel:BYTE_0 src1_sel:DWORD
	s_andn2_b64 s[4:5], s[4:5], exec
	s_and_b64 s[8:9], s[8:9], exec
	s_or_b64 s[4:5], s[4:5], s[8:9]
	s_or_b64 exec, exec, s[6:7]
	s_and_saveexec_b64 s[6:7], s[4:5]
	s_cbranch_execnz .LBB5_1923
	s_branch .LBB5_1924
.LBB5_3973:
	s_movk_i32 s4, 0x80
	v_cmp_eq_u16_sdwa s[12:13], v0, s4 src0_sel:BYTE_0 src1_sel:DWORD
	s_mov_b64 s[4:5], -1
                                        ; implicit-def: $sgpr10
	s_and_saveexec_b64 s[8:9], s[12:13]
; %bb.3974:
	s_mov_b32 s10, 0x7f800001
	s_xor_b64 s[4:5], exec, -1
; %bb.3975:
	s_or_b64 exec, exec, s[8:9]
	s_and_b64 s[4:5], s[4:5], exec
	s_or_saveexec_b64 s[6:7], s[6:7]
	v_mov_b32_e32 v11, s10
	s_xor_b64 exec, exec, s[6:7]
	s_cbranch_execz .LBB5_1926
.LBB5_3976:
	v_mov_b32_e32 v11, 0
	v_cmp_ne_u16_sdwa s[8:9], v0, v11 src0_sel:BYTE_0 src1_sel:DWORD
	s_andn2_b64 s[4:5], s[4:5], exec
	s_and_b64 s[8:9], s[8:9], exec
	s_or_b64 s[4:5], s[4:5], s[8:9]
	s_or_b64 exec, exec, s[6:7]
	s_and_saveexec_b64 s[6:7], s[4:5]
	s_cbranch_execnz .LBB5_1927
	s_branch .LBB5_1928
.LBB5_3977:
	s_movk_i32 s4, 0x80
	v_cmp_eq_u16_sdwa s[12:13], v11, s4 src0_sel:BYTE_0 src1_sel:DWORD
	s_mov_b64 s[4:5], -1
                                        ; implicit-def: $sgpr10
	s_and_saveexec_b64 s[8:9], s[12:13]
; %bb.3978:
	s_mov_b32 s10, 0x7f800001
	s_xor_b64 s[4:5], exec, -1
; %bb.3979:
	s_or_b64 exec, exec, s[8:9]
	s_and_b64 s[4:5], s[4:5], exec
	s_or_saveexec_b64 s[6:7], s[6:7]
	v_mov_b32_e32 v10, s10
	s_xor_b64 exec, exec, s[6:7]
	s_cbranch_execz .LBB5_1930
.LBB5_3980:
	v_mov_b32_e32 v10, 0
	v_cmp_ne_u16_sdwa s[8:9], v11, v10 src0_sel:BYTE_0 src1_sel:DWORD
	s_andn2_b64 s[4:5], s[4:5], exec
	s_and_b64 s[8:9], s[8:9], exec
	s_or_b64 s[4:5], s[4:5], s[8:9]
	s_or_b64 exec, exec, s[6:7]
	s_and_saveexec_b64 s[6:7], s[4:5]
	s_cbranch_execnz .LBB5_1931
	s_branch .LBB5_1932
.LBB5_3981:
	s_movk_i32 s4, 0x80
	v_cmp_eq_u16_sdwa s[12:13], v11, s4 src0_sel:BYTE_0 src1_sel:DWORD
	s_mov_b64 s[4:5], -1
                                        ; implicit-def: $sgpr10
	s_and_saveexec_b64 s[8:9], s[12:13]
; %bb.3982:
	s_mov_b32 s10, 0x7f800001
	s_xor_b64 s[4:5], exec, -1
; %bb.3983:
	s_or_b64 exec, exec, s[8:9]
	s_and_b64 s[4:5], s[4:5], exec
	s_or_saveexec_b64 s[6:7], s[6:7]
	v_mov_b32_e32 v12, s10
	s_xor_b64 exec, exec, s[6:7]
	s_cbranch_execz .LBB5_1934
.LBB5_3984:
	v_mov_b32_e32 v12, 0
	v_cmp_ne_u16_sdwa s[8:9], v11, v12 src0_sel:BYTE_0 src1_sel:DWORD
	s_andn2_b64 s[4:5], s[4:5], exec
	s_and_b64 s[8:9], s[8:9], exec
	s_or_b64 s[4:5], s[4:5], s[8:9]
	s_or_b64 exec, exec, s[6:7]
	s_and_saveexec_b64 s[6:7], s[4:5]
	s_cbranch_execnz .LBB5_1935
	s_branch .LBB5_1936
.LBB5_3985:
	s_movk_i32 s4, 0x80
	v_cmp_eq_u16_e32 vcc, s4, v11
	s_mov_b64 s[4:5], -1
                                        ; implicit-def: $sgpr10
	s_and_saveexec_b64 s[8:9], vcc
; %bb.3986:
	s_mov_b32 s10, 0x7f800001
	s_xor_b64 s[4:5], exec, -1
; %bb.3987:
	s_or_b64 exec, exec, s[8:9]
	s_and_b64 s[4:5], s[4:5], exec
                                        ; implicit-def: $vgpr11
	s_or_saveexec_b64 s[6:7], s[6:7]
	v_mov_b32_e32 v10, s10
	s_xor_b64 exec, exec, s[6:7]
	s_cbranch_execz .LBB5_1938
.LBB5_3988:
	v_cmp_ne_u16_e32 vcc, 0, v11
	s_andn2_b64 s[4:5], s[4:5], exec
	s_and_b64 s[8:9], vcc, exec
	v_mov_b32_e32 v10, 0
	s_or_b64 s[4:5], s[4:5], s[8:9]
	s_or_b64 exec, exec, s[6:7]
	s_and_saveexec_b64 s[6:7], s[4:5]
	s_cbranch_execnz .LBB5_1939
	s_branch .LBB5_1940
.LBB5_3989:
	s_movk_i32 s4, 0x80
	v_cmp_eq_u16_e32 vcc, s4, v11
	s_mov_b64 s[4:5], -1
                                        ; implicit-def: $sgpr10
	s_and_saveexec_b64 s[8:9], vcc
; %bb.3990:
	s_mov_b32 s10, 0x7f800001
	s_xor_b64 s[4:5], exec, -1
; %bb.3991:
	s_or_b64 exec, exec, s[8:9]
	s_and_b64 s[4:5], s[4:5], exec
                                        ; implicit-def: $vgpr11
	s_or_saveexec_b64 s[6:7], s[6:7]
	v_mov_b32_e32 v12, s10
	s_xor_b64 exec, exec, s[6:7]
	s_cbranch_execz .LBB5_1942
.LBB5_3992:
	v_cmp_ne_u16_e32 vcc, 0, v11
	s_andn2_b64 s[4:5], s[4:5], exec
	s_and_b64 s[8:9], vcc, exec
	v_mov_b32_e32 v12, 0
	s_or_b64 s[4:5], s[4:5], s[8:9]
	s_or_b64 exec, exec, s[6:7]
	s_and_saveexec_b64 s[6:7], s[4:5]
	s_cbranch_execnz .LBB5_1943
	s_branch .LBB5_1944
.LBB5_3993:
	s_movk_i32 s4, 0x80
	v_cmp_eq_u16_sdwa s[12:13], v4, s4 src0_sel:BYTE_3 src1_sel:DWORD
	s_mov_b64 s[4:5], -1
                                        ; implicit-def: $sgpr10
	s_and_saveexec_b64 s[8:9], s[12:13]
; %bb.3994:
	s_mov_b32 s10, 0x7f800001
	s_xor_b64 s[4:5], exec, -1
; %bb.3995:
	s_or_b64 exec, exec, s[8:9]
	s_and_b64 s[4:5], s[4:5], exec
	s_or_saveexec_b64 s[6:7], s[6:7]
	v_mov_b32_e32 v10, s10
	s_xor_b64 exec, exec, s[6:7]
	s_cbranch_execz .LBB5_1946
.LBB5_3996:
	v_mov_b32_e32 v10, 0
	v_cmp_ne_u16_sdwa s[8:9], v4, v10 src0_sel:BYTE_3 src1_sel:DWORD
	s_andn2_b64 s[4:5], s[4:5], exec
	s_and_b64 s[8:9], s[8:9], exec
	s_or_b64 s[4:5], s[4:5], s[8:9]
	s_or_b64 exec, exec, s[6:7]
	s_and_saveexec_b64 s[6:7], s[4:5]
	s_cbranch_execnz .LBB5_1947
	s_branch .LBB5_1948
.LBB5_3997:
	s_movk_i32 s4, 0x80
	v_cmp_eq_u16_sdwa s[12:13], v0, s4 src0_sel:BYTE_3 src1_sel:DWORD
	s_mov_b64 s[4:5], -1
                                        ; implicit-def: $sgpr10
	s_and_saveexec_b64 s[8:9], s[12:13]
; %bb.3998:
	s_mov_b32 s10, 0x7f800001
	s_xor_b64 s[4:5], exec, -1
; %bb.3999:
	s_or_b64 exec, exec, s[8:9]
	s_and_b64 s[4:5], s[4:5], exec
	s_or_saveexec_b64 s[6:7], s[6:7]
	v_mov_b32_e32 v4, s10
	s_xor_b64 exec, exec, s[6:7]
	s_cbranch_execz .LBB5_1950
.LBB5_4000:
	v_mov_b32_e32 v4, 0
	v_cmp_ne_u16_sdwa s[8:9], v0, v4 src0_sel:BYTE_3 src1_sel:DWORD
	s_andn2_b64 s[4:5], s[4:5], exec
	s_and_b64 s[8:9], s[8:9], exec
	s_or_b64 s[4:5], s[4:5], s[8:9]
	s_or_b64 exec, exec, s[6:7]
	s_and_saveexec_b64 s[6:7], s[4:5]
	s_cbranch_execnz .LBB5_1951
	s_branch .LBB5_1952
.LBB5_4001:
	s_movk_i32 s4, 0x80
	v_cmp_eq_u16_sdwa s[12:13], v5, s4 src0_sel:BYTE_0 src1_sel:DWORD
	s_mov_b64 s[4:5], -1
                                        ; implicit-def: $sgpr10
	s_and_saveexec_b64 s[8:9], s[12:13]
; %bb.4002:
	s_mov_b32 s10, 0x7f800001
	s_xor_b64 s[4:5], exec, -1
; %bb.4003:
	s_or_b64 exec, exec, s[8:9]
	s_and_b64 s[4:5], s[4:5], exec
	s_or_saveexec_b64 s[6:7], s[6:7]
	v_mov_b32_e32 v0, s10
	s_xor_b64 exec, exec, s[6:7]
	s_cbranch_execz .LBB5_1954
.LBB5_4004:
	v_mov_b32_e32 v0, 0
	v_cmp_ne_u16_sdwa s[8:9], v5, v0 src0_sel:BYTE_0 src1_sel:DWORD
	s_andn2_b64 s[4:5], s[4:5], exec
	s_and_b64 s[8:9], s[8:9], exec
	s_or_b64 s[4:5], s[4:5], s[8:9]
	s_or_b64 exec, exec, s[6:7]
	s_and_saveexec_b64 s[6:7], s[4:5]
	s_cbranch_execnz .LBB5_1955
	s_branch .LBB5_1956
.LBB5_4005:
	s_movk_i32 s4, 0x80
	v_cmp_eq_u16_sdwa s[12:13], v1, s4 src0_sel:BYTE_0 src1_sel:DWORD
	s_mov_b64 s[4:5], -1
                                        ; implicit-def: $sgpr10
	s_and_saveexec_b64 s[8:9], s[12:13]
; %bb.4006:
	s_mov_b32 s10, 0x7f800001
	s_xor_b64 s[4:5], exec, -1
; %bb.4007:
	s_or_b64 exec, exec, s[8:9]
	s_and_b64 s[4:5], s[4:5], exec
	s_or_saveexec_b64 s[6:7], s[6:7]
	v_mov_b32_e32 v4, s10
	s_xor_b64 exec, exec, s[6:7]
	s_cbranch_execz .LBB5_1958
.LBB5_4008:
	v_mov_b32_e32 v4, 0
	v_cmp_ne_u16_sdwa s[8:9], v1, v4 src0_sel:BYTE_0 src1_sel:DWORD
	s_andn2_b64 s[4:5], s[4:5], exec
	s_and_b64 s[8:9], s[8:9], exec
	s_or_b64 s[4:5], s[4:5], s[8:9]
	s_or_b64 exec, exec, s[6:7]
	s_and_saveexec_b64 s[6:7], s[4:5]
	s_cbranch_execnz .LBB5_1959
	s_branch .LBB5_1960
.LBB5_4009:
	s_movk_i32 s4, 0x80
	v_cmp_eq_u16_sdwa s[12:13], v4, s4 src0_sel:BYTE_0 src1_sel:DWORD
	s_mov_b64 s[4:5], -1
                                        ; implicit-def: $sgpr10
	s_and_saveexec_b64 s[8:9], s[12:13]
; %bb.4010:
	s_mov_b32 s10, 0x7f800001
	s_xor_b64 s[4:5], exec, -1
; %bb.4011:
	s_or_b64 exec, exec, s[8:9]
	s_and_b64 s[4:5], s[4:5], exec
	s_or_saveexec_b64 s[6:7], s[6:7]
	v_mov_b32_e32 v0, s10
	s_xor_b64 exec, exec, s[6:7]
	s_cbranch_execz .LBB5_1962
.LBB5_4012:
	v_mov_b32_e32 v0, 0
	v_cmp_ne_u16_sdwa s[8:9], v4, v0 src0_sel:BYTE_0 src1_sel:DWORD
	s_andn2_b64 s[4:5], s[4:5], exec
	s_and_b64 s[8:9], s[8:9], exec
	s_or_b64 s[4:5], s[4:5], s[8:9]
	s_or_b64 exec, exec, s[6:7]
	s_and_saveexec_b64 s[6:7], s[4:5]
	s_cbranch_execnz .LBB5_1963
	s_branch .LBB5_1964
.LBB5_4013:
	s_movk_i32 s4, 0x80
	v_cmp_eq_u16_sdwa s[12:13], v4, s4 src0_sel:BYTE_0 src1_sel:DWORD
	s_mov_b64 s[4:5], -1
                                        ; implicit-def: $sgpr10
	s_and_saveexec_b64 s[8:9], s[12:13]
; %bb.4014:
	s_mov_b32 s10, 0x7f800001
	s_xor_b64 s[4:5], exec, -1
; %bb.4015:
	s_or_b64 exec, exec, s[8:9]
	s_and_b64 s[4:5], s[4:5], exec
	s_or_saveexec_b64 s[6:7], s[6:7]
	v_mov_b32_e32 v10, s10
	s_xor_b64 exec, exec, s[6:7]
	s_cbranch_execz .LBB5_1966
.LBB5_4016:
	v_mov_b32_e32 v10, 0
	v_cmp_ne_u16_sdwa s[8:9], v4, v10 src0_sel:BYTE_0 src1_sel:DWORD
	s_andn2_b64 s[4:5], s[4:5], exec
	s_and_b64 s[8:9], s[8:9], exec
	s_or_b64 s[4:5], s[4:5], s[8:9]
	s_or_b64 exec, exec, s[6:7]
	s_and_saveexec_b64 s[6:7], s[4:5]
	s_cbranch_execnz .LBB5_1967
	s_branch .LBB5_1968
.LBB5_4017:
	s_movk_i32 s4, 0x80
	v_cmp_eq_u16_e32 vcc, s4, v4
	s_mov_b64 s[4:5], -1
                                        ; implicit-def: $sgpr10
	s_and_saveexec_b64 s[8:9], vcc
; %bb.4018:
	s_mov_b32 s10, 0x7f800001
	s_xor_b64 s[4:5], exec, -1
; %bb.4019:
	s_or_b64 exec, exec, s[8:9]
	s_and_b64 s[4:5], s[4:5], exec
                                        ; implicit-def: $vgpr4
	s_or_saveexec_b64 s[6:7], s[6:7]
	v_mov_b32_e32 v0, s10
	s_xor_b64 exec, exec, s[6:7]
	s_cbranch_execz .LBB5_1970
.LBB5_4020:
	v_cmp_ne_u16_e32 vcc, 0, v4
	s_andn2_b64 s[4:5], s[4:5], exec
	s_and_b64 s[8:9], vcc, exec
	v_mov_b32_e32 v0, 0
	s_or_b64 s[4:5], s[4:5], s[8:9]
	s_or_b64 exec, exec, s[6:7]
	s_and_saveexec_b64 s[6:7], s[4:5]
	s_cbranch_execnz .LBB5_1971
	s_branch .LBB5_1972
.LBB5_4021:
	s_movk_i32 s4, 0x80
	v_cmp_eq_u16_e32 vcc, s4, v4
	s_mov_b64 s[4:5], -1
                                        ; implicit-def: $sgpr10
	s_and_saveexec_b64 s[8:9], vcc
; %bb.4022:
	s_mov_b32 s10, 0x7f800001
	s_xor_b64 s[4:5], exec, -1
; %bb.4023:
	s_or_b64 exec, exec, s[8:9]
	s_and_b64 s[4:5], s[4:5], exec
                                        ; implicit-def: $vgpr4
	s_or_saveexec_b64 s[6:7], s[6:7]
	v_mov_b32_e32 v10, s10
	s_xor_b64 exec, exec, s[6:7]
	s_cbranch_execz .LBB5_1974
.LBB5_4024:
	v_cmp_ne_u16_e32 vcc, 0, v4
	s_andn2_b64 s[4:5], s[4:5], exec
	s_and_b64 s[8:9], vcc, exec
	v_mov_b32_e32 v10, 0
	s_or_b64 s[4:5], s[4:5], s[8:9]
	s_or_b64 exec, exec, s[6:7]
	s_and_saveexec_b64 s[6:7], s[4:5]
	s_cbranch_execnz .LBB5_1975
	s_branch .LBB5_1976
.LBB5_4025:
	s_movk_i32 s4, 0x80
	v_cmp_eq_u16_sdwa s[12:13], v5, s4 src0_sel:BYTE_3 src1_sel:DWORD
	s_mov_b64 s[4:5], -1
                                        ; implicit-def: $sgpr10
	s_and_saveexec_b64 s[8:9], s[12:13]
; %bb.4026:
	s_mov_b32 s10, 0x7f800001
	s_xor_b64 s[4:5], exec, -1
; %bb.4027:
	s_or_b64 exec, exec, s[8:9]
	s_and_b64 s[4:5], s[4:5], exec
	s_or_saveexec_b64 s[6:7], s[6:7]
	v_mov_b32_e32 v0, s10
	s_xor_b64 exec, exec, s[6:7]
	s_cbranch_execz .LBB5_1978
.LBB5_4028:
	v_mov_b32_e32 v0, 0
	v_cmp_ne_u16_sdwa s[8:9], v5, v0 src0_sel:BYTE_3 src1_sel:DWORD
	s_andn2_b64 s[4:5], s[4:5], exec
	s_and_b64 s[8:9], s[8:9], exec
	s_or_b64 s[4:5], s[4:5], s[8:9]
	s_or_b64 exec, exec, s[6:7]
	s_and_saveexec_b64 s[6:7], s[4:5]
	s_cbranch_execnz .LBB5_1979
	s_branch .LBB5_1980
.LBB5_4029:
	s_movk_i32 s4, 0x80
	v_cmp_eq_u16_sdwa s[12:13], v1, s4 src0_sel:BYTE_3 src1_sel:DWORD
	s_mov_b64 s[4:5], -1
                                        ; implicit-def: $sgpr10
	s_and_saveexec_b64 s[8:9], s[12:13]
; %bb.4030:
	s_mov_b32 s10, 0x7f800001
	s_xor_b64 s[4:5], exec, -1
; %bb.4031:
	s_or_b64 exec, exec, s[8:9]
	s_and_b64 s[4:5], s[4:5], exec
	s_or_saveexec_b64 s[6:7], s[6:7]
	v_mov_b32_e32 v4, s10
	s_xor_b64 exec, exec, s[6:7]
	s_cbranch_execz .LBB5_1982
.LBB5_4032:
	v_mov_b32_e32 v4, 0
	v_cmp_ne_u16_sdwa s[8:9], v1, v4 src0_sel:BYTE_3 src1_sel:DWORD
	s_andn2_b64 s[4:5], s[4:5], exec
	s_and_b64 s[8:9], s[8:9], exec
	s_or_b64 s[4:5], s[4:5], s[8:9]
	s_or_b64 exec, exec, s[6:7]
	s_and_saveexec_b64 s[6:7], s[4:5]
	s_cbranch_execnz .LBB5_1983
	s_branch .LBB5_1984
.LBB5_4033:
	s_movk_i32 s4, 0x80
	v_cmp_eq_u16_sdwa s[12:13], v6, s4 src0_sel:BYTE_0 src1_sel:DWORD
	s_mov_b64 s[4:5], -1
                                        ; implicit-def: $sgpr10
	s_and_saveexec_b64 s[8:9], s[12:13]
; %bb.4034:
	s_mov_b32 s10, 0x7f800001
	s_xor_b64 s[4:5], exec, -1
; %bb.4035:
	s_or_b64 exec, exec, s[8:9]
	s_and_b64 s[4:5], s[4:5], exec
	s_or_saveexec_b64 s[6:7], s[6:7]
	v_mov_b32_e32 v0, s10
	s_xor_b64 exec, exec, s[6:7]
	s_cbranch_execz .LBB5_1986
.LBB5_4036:
	v_mov_b32_e32 v0, 0
	v_cmp_ne_u16_sdwa s[8:9], v6, v0 src0_sel:BYTE_0 src1_sel:DWORD
	s_andn2_b64 s[4:5], s[4:5], exec
	s_and_b64 s[8:9], s[8:9], exec
	s_or_b64 s[4:5], s[4:5], s[8:9]
	s_or_b64 exec, exec, s[6:7]
	s_and_saveexec_b64 s[6:7], s[4:5]
	s_cbranch_execnz .LBB5_1987
	s_branch .LBB5_1988
.LBB5_4037:
	s_movk_i32 s4, 0x80
	v_cmp_eq_u16_sdwa s[12:13], v2, s4 src0_sel:BYTE_0 src1_sel:DWORD
	s_mov_b64 s[4:5], -1
                                        ; implicit-def: $sgpr10
	s_and_saveexec_b64 s[8:9], s[12:13]
; %bb.4038:
	s_mov_b32 s10, 0x7f800001
	s_xor_b64 s[4:5], exec, -1
; %bb.4039:
	s_or_b64 exec, exec, s[8:9]
	s_and_b64 s[4:5], s[4:5], exec
	s_or_saveexec_b64 s[6:7], s[6:7]
	v_mov_b32_e32 v1, s10
	s_xor_b64 exec, exec, s[6:7]
	s_cbranch_execz .LBB5_1990
.LBB5_4040:
	v_mov_b32_e32 v1, 0
	v_cmp_ne_u16_sdwa s[8:9], v2, v1 src0_sel:BYTE_0 src1_sel:DWORD
	s_andn2_b64 s[4:5], s[4:5], exec
	s_and_b64 s[8:9], s[8:9], exec
	s_or_b64 s[4:5], s[4:5], s[8:9]
	s_or_b64 exec, exec, s[6:7]
	s_and_saveexec_b64 s[6:7], s[4:5]
	s_cbranch_execnz .LBB5_1991
	s_branch .LBB5_1992
.LBB5_4041:
	s_movk_i32 s4, 0x80
	v_cmp_eq_u16_sdwa s[12:13], v1, s4 src0_sel:BYTE_0 src1_sel:DWORD
	s_mov_b64 s[4:5], -1
                                        ; implicit-def: $sgpr10
	s_and_saveexec_b64 s[8:9], s[12:13]
; %bb.4042:
	s_mov_b32 s10, 0x7f800001
	s_xor_b64 s[4:5], exec, -1
; %bb.4043:
	s_or_b64 exec, exec, s[8:9]
	s_and_b64 s[4:5], s[4:5], exec
	s_or_saveexec_b64 s[6:7], s[6:7]
	v_mov_b32_e32 v0, s10
	s_xor_b64 exec, exec, s[6:7]
	s_cbranch_execz .LBB5_1994
.LBB5_4044:
	v_mov_b32_e32 v0, 0
	v_cmp_ne_u16_sdwa s[8:9], v1, v0 src0_sel:BYTE_0 src1_sel:DWORD
	s_andn2_b64 s[4:5], s[4:5], exec
	s_and_b64 s[8:9], s[8:9], exec
	s_or_b64 s[4:5], s[4:5], s[8:9]
	s_or_b64 exec, exec, s[6:7]
	s_and_saveexec_b64 s[6:7], s[4:5]
	s_cbranch_execnz .LBB5_1995
	s_branch .LBB5_1996
.LBB5_4045:
	s_movk_i32 s4, 0x80
	v_cmp_eq_u16_sdwa s[12:13], v1, s4 src0_sel:BYTE_0 src1_sel:DWORD
	s_mov_b64 s[4:5], -1
                                        ; implicit-def: $sgpr10
	s_and_saveexec_b64 s[8:9], s[12:13]
; %bb.4046:
	s_mov_b32 s10, 0x7f800001
	s_xor_b64 s[4:5], exec, -1
; %bb.4047:
	s_or_b64 exec, exec, s[8:9]
	s_and_b64 s[4:5], s[4:5], exec
	s_or_saveexec_b64 s[6:7], s[6:7]
	v_mov_b32_e32 v4, s10
	s_xor_b64 exec, exec, s[6:7]
	s_cbranch_execz .LBB5_1998
.LBB5_4048:
	v_mov_b32_e32 v4, 0
	v_cmp_ne_u16_sdwa s[8:9], v1, v4 src0_sel:BYTE_0 src1_sel:DWORD
	s_andn2_b64 s[4:5], s[4:5], exec
	s_and_b64 s[8:9], s[8:9], exec
	s_or_b64 s[4:5], s[4:5], s[8:9]
	s_or_b64 exec, exec, s[6:7]
	s_and_saveexec_b64 s[6:7], s[4:5]
	s_cbranch_execnz .LBB5_1999
	s_branch .LBB5_2000
.LBB5_4049:
	s_movk_i32 s4, 0x80
	v_cmp_eq_u16_e32 vcc, s4, v1
	s_mov_b64 s[4:5], -1
                                        ; implicit-def: $sgpr10
	s_and_saveexec_b64 s[8:9], vcc
; %bb.4050:
	s_mov_b32 s10, 0x7f800001
	s_xor_b64 s[4:5], exec, -1
; %bb.4051:
	s_or_b64 exec, exec, s[8:9]
	s_and_b64 s[4:5], s[4:5], exec
                                        ; implicit-def: $vgpr1
	s_or_saveexec_b64 s[6:7], s[6:7]
	v_mov_b32_e32 v0, s10
	s_xor_b64 exec, exec, s[6:7]
	s_cbranch_execz .LBB5_2002
.LBB5_4052:
	v_cmp_ne_u16_e32 vcc, 0, v1
	s_andn2_b64 s[4:5], s[4:5], exec
	s_and_b64 s[8:9], vcc, exec
	v_mov_b32_e32 v0, 0
	s_or_b64 s[4:5], s[4:5], s[8:9]
	s_or_b64 exec, exec, s[6:7]
	s_and_saveexec_b64 s[6:7], s[4:5]
	s_cbranch_execnz .LBB5_2003
	s_branch .LBB5_2004
.LBB5_4053:
	s_movk_i32 s4, 0x80
	v_cmp_eq_u16_e32 vcc, s4, v1
	s_mov_b64 s[4:5], -1
                                        ; implicit-def: $sgpr10
	s_and_saveexec_b64 s[8:9], vcc
; %bb.4054:
	s_mov_b32 s10, 0x7f800001
	s_xor_b64 s[4:5], exec, -1
; %bb.4055:
	s_or_b64 exec, exec, s[8:9]
	s_and_b64 s[4:5], s[4:5], exec
                                        ; implicit-def: $vgpr1
	s_or_saveexec_b64 s[6:7], s[6:7]
	v_mov_b32_e32 v4, s10
	s_xor_b64 exec, exec, s[6:7]
	s_cbranch_execz .LBB5_2006
.LBB5_4056:
	v_cmp_ne_u16_e32 vcc, 0, v1
	s_andn2_b64 s[4:5], s[4:5], exec
	s_and_b64 s[8:9], vcc, exec
	v_mov_b32_e32 v4, 0
	s_or_b64 s[4:5], s[4:5], s[8:9]
	s_or_b64 exec, exec, s[6:7]
	s_and_saveexec_b64 s[6:7], s[4:5]
	s_cbranch_execnz .LBB5_2007
	s_branch .LBB5_2008
.LBB5_4057:
	s_movk_i32 s4, 0x80
	v_cmp_eq_u16_sdwa s[12:13], v6, s4 src0_sel:BYTE_3 src1_sel:DWORD
	s_mov_b64 s[4:5], -1
                                        ; implicit-def: $sgpr10
	s_and_saveexec_b64 s[8:9], s[12:13]
; %bb.4058:
	s_mov_b32 s10, 0x7f800001
	s_xor_b64 s[4:5], exec, -1
; %bb.4059:
	s_or_b64 exec, exec, s[8:9]
	s_and_b64 s[4:5], s[4:5], exec
	s_or_saveexec_b64 s[6:7], s[6:7]
	v_mov_b32_e32 v0, s10
	s_xor_b64 exec, exec, s[6:7]
	s_cbranch_execz .LBB5_2010
.LBB5_4060:
	v_mov_b32_e32 v0, 0
	v_cmp_ne_u16_sdwa s[8:9], v6, v0 src0_sel:BYTE_3 src1_sel:DWORD
	s_andn2_b64 s[4:5], s[4:5], exec
	s_and_b64 s[8:9], s[8:9], exec
	s_or_b64 s[4:5], s[4:5], s[8:9]
	s_or_b64 exec, exec, s[6:7]
	s_and_saveexec_b64 s[6:7], s[4:5]
	s_cbranch_execnz .LBB5_2011
	s_branch .LBB5_2012
.LBB5_4061:
	s_movk_i32 s4, 0x80
	v_cmp_eq_u16_sdwa s[12:13], v2, s4 src0_sel:BYTE_3 src1_sel:DWORD
	s_mov_b64 s[4:5], -1
                                        ; implicit-def: $sgpr10
	s_and_saveexec_b64 s[8:9], s[12:13]
; %bb.4062:
	s_mov_b32 s10, 0x7f800001
	s_xor_b64 s[4:5], exec, -1
; %bb.4063:
	s_or_b64 exec, exec, s[8:9]
	s_and_b64 s[4:5], s[4:5], exec
	s_or_saveexec_b64 s[6:7], s[6:7]
	v_mov_b32_e32 v1, s10
	s_xor_b64 exec, exec, s[6:7]
	s_cbranch_execz .LBB5_2014
.LBB5_4064:
	v_mov_b32_e32 v1, 0
	v_cmp_ne_u16_sdwa s[8:9], v2, v1 src0_sel:BYTE_3 src1_sel:DWORD
	s_andn2_b64 s[4:5], s[4:5], exec
	s_and_b64 s[8:9], s[8:9], exec
	s_or_b64 s[4:5], s[4:5], s[8:9]
	s_or_b64 exec, exec, s[6:7]
	s_and_saveexec_b64 s[6:7], s[4:5]
	s_cbranch_execnz .LBB5_2015
	s_branch .LBB5_2016
.LBB5_4065:
	s_movk_i32 s4, 0x80
	v_cmp_eq_u16_sdwa s[12:13], v7, s4 src0_sel:BYTE_0 src1_sel:DWORD
	s_mov_b64 s[4:5], -1
                                        ; implicit-def: $sgpr10
	s_and_saveexec_b64 s[8:9], s[12:13]
; %bb.4066:
	s_mov_b32 s10, 0x7f800001
	s_xor_b64 s[4:5], exec, -1
; %bb.4067:
	s_or_b64 exec, exec, s[8:9]
	s_and_b64 s[4:5], s[4:5], exec
	s_or_saveexec_b64 s[6:7], s[6:7]
	v_mov_b32_e32 v0, s10
	s_xor_b64 exec, exec, s[6:7]
	s_cbranch_execz .LBB5_2018
.LBB5_4068:
	v_mov_b32_e32 v0, 0
	v_cmp_ne_u16_sdwa s[8:9], v7, v0 src0_sel:BYTE_0 src1_sel:DWORD
	s_andn2_b64 s[4:5], s[4:5], exec
	s_and_b64 s[8:9], s[8:9], exec
	s_or_b64 s[4:5], s[4:5], s[8:9]
	s_or_b64 exec, exec, s[6:7]
	s_and_saveexec_b64 s[6:7], s[4:5]
	s_cbranch_execnz .LBB5_2019
	s_branch .LBB5_2020
.LBB5_4069:
	s_movk_i32 s4, 0x80
	v_cmp_eq_u16_sdwa s[12:13], v3, s4 src0_sel:BYTE_0 src1_sel:DWORD
	s_mov_b64 s[4:5], -1
                                        ; implicit-def: $sgpr10
	s_and_saveexec_b64 s[8:9], s[12:13]
; %bb.4070:
	s_mov_b32 s10, 0x7f800001
	s_xor_b64 s[4:5], exec, -1
; %bb.4071:
	s_or_b64 exec, exec, s[8:9]
	s_and_b64 s[4:5], s[4:5], exec
	s_or_saveexec_b64 s[6:7], s[6:7]
	v_mov_b32_e32 v1, s10
	s_xor_b64 exec, exec, s[6:7]
	s_cbranch_execz .LBB5_2022
.LBB5_4072:
	v_mov_b32_e32 v1, 0
	v_cmp_ne_u16_sdwa s[8:9], v3, v1 src0_sel:BYTE_0 src1_sel:DWORD
	s_andn2_b64 s[4:5], s[4:5], exec
	s_and_b64 s[8:9], s[8:9], exec
	s_or_b64 s[4:5], s[4:5], s[8:9]
	s_or_b64 exec, exec, s[6:7]
	s_and_saveexec_b64 s[6:7], s[4:5]
	s_cbranch_execnz .LBB5_2023
	s_branch .LBB5_2024
.LBB5_4073:
	s_movk_i32 s4, 0x80
	v_cmp_eq_u16_sdwa s[12:13], v1, s4 src0_sel:BYTE_0 src1_sel:DWORD
	s_mov_b64 s[4:5], -1
                                        ; implicit-def: $sgpr10
	s_and_saveexec_b64 s[8:9], s[12:13]
; %bb.4074:
	s_mov_b32 s10, 0x7f800001
	s_xor_b64 s[4:5], exec, -1
; %bb.4075:
	s_or_b64 exec, exec, s[8:9]
	s_and_b64 s[4:5], s[4:5], exec
	s_or_saveexec_b64 s[6:7], s[6:7]
	v_mov_b32_e32 v0, s10
	s_xor_b64 exec, exec, s[6:7]
	s_cbranch_execz .LBB5_2026
.LBB5_4076:
	v_mov_b32_e32 v0, 0
	v_cmp_ne_u16_sdwa s[8:9], v1, v0 src0_sel:BYTE_0 src1_sel:DWORD
	s_andn2_b64 s[4:5], s[4:5], exec
	s_and_b64 s[8:9], s[8:9], exec
	s_or_b64 s[4:5], s[4:5], s[8:9]
	s_or_b64 exec, exec, s[6:7]
	s_and_saveexec_b64 s[6:7], s[4:5]
	s_cbranch_execnz .LBB5_2027
	s_branch .LBB5_2028
.LBB5_4077:
	s_movk_i32 s4, 0x80
	v_cmp_eq_u16_sdwa s[12:13], v1, s4 src0_sel:BYTE_0 src1_sel:DWORD
	s_mov_b64 s[4:5], -1
                                        ; implicit-def: $sgpr10
	s_and_saveexec_b64 s[8:9], s[12:13]
; %bb.4078:
	s_mov_b32 s10, 0x7f800001
	s_xor_b64 s[4:5], exec, -1
; %bb.4079:
	s_or_b64 exec, exec, s[8:9]
	s_and_b64 s[4:5], s[4:5], exec
	s_or_saveexec_b64 s[6:7], s[6:7]
	v_mov_b32_e32 v2, s10
	s_xor_b64 exec, exec, s[6:7]
	s_cbranch_execz .LBB5_2030
.LBB5_4080:
	v_mov_b32_e32 v2, 0
	v_cmp_ne_u16_sdwa s[8:9], v1, v2 src0_sel:BYTE_0 src1_sel:DWORD
	s_andn2_b64 s[4:5], s[4:5], exec
	s_and_b64 s[8:9], s[8:9], exec
	s_or_b64 s[4:5], s[4:5], s[8:9]
	s_or_b64 exec, exec, s[6:7]
	s_and_saveexec_b64 s[6:7], s[4:5]
	s_cbranch_execnz .LBB5_2031
	s_branch .LBB5_2032
.LBB5_4081:
	s_movk_i32 s4, 0x80
	v_cmp_eq_u16_e32 vcc, s4, v1
	s_mov_b64 s[4:5], -1
                                        ; implicit-def: $sgpr10
	s_and_saveexec_b64 s[8:9], vcc
; %bb.4082:
	s_mov_b32 s10, 0x7f800001
	s_xor_b64 s[4:5], exec, -1
; %bb.4083:
	s_or_b64 exec, exec, s[8:9]
	s_and_b64 s[4:5], s[4:5], exec
                                        ; implicit-def: $vgpr1
	s_or_saveexec_b64 s[6:7], s[6:7]
	v_mov_b32_e32 v0, s10
	s_xor_b64 exec, exec, s[6:7]
	s_cbranch_execz .LBB5_2034
.LBB5_4084:
	v_cmp_ne_u16_e32 vcc, 0, v1
	s_andn2_b64 s[4:5], s[4:5], exec
	s_and_b64 s[8:9], vcc, exec
	v_mov_b32_e32 v0, 0
	s_or_b64 s[4:5], s[4:5], s[8:9]
	s_or_b64 exec, exec, s[6:7]
	s_and_saveexec_b64 s[6:7], s[4:5]
	s_cbranch_execnz .LBB5_2035
	s_branch .LBB5_2036
.LBB5_4085:
	s_movk_i32 s4, 0x80
	v_cmp_eq_u16_e32 vcc, s4, v1
	s_mov_b64 s[4:5], -1
                                        ; implicit-def: $sgpr10
	s_and_saveexec_b64 s[8:9], vcc
; %bb.4086:
	s_mov_b32 s10, 0x7f800001
	s_xor_b64 s[4:5], exec, -1
; %bb.4087:
	s_or_b64 exec, exec, s[8:9]
	s_and_b64 s[4:5], s[4:5], exec
                                        ; implicit-def: $vgpr1
	s_or_saveexec_b64 s[6:7], s[6:7]
	v_mov_b32_e32 v2, s10
	s_xor_b64 exec, exec, s[6:7]
	s_cbranch_execz .LBB5_2038
.LBB5_4088:
	v_cmp_ne_u16_e32 vcc, 0, v1
	s_andn2_b64 s[4:5], s[4:5], exec
	s_and_b64 s[8:9], vcc, exec
	v_mov_b32_e32 v2, 0
	s_or_b64 s[4:5], s[4:5], s[8:9]
	s_or_b64 exec, exec, s[6:7]
	s_and_saveexec_b64 s[6:7], s[4:5]
	s_cbranch_execnz .LBB5_2039
	s_branch .LBB5_2040
.LBB5_4089:
	s_movk_i32 s4, 0x80
	v_cmp_eq_u16_sdwa s[12:13], v7, s4 src0_sel:BYTE_3 src1_sel:DWORD
	s_mov_b64 s[4:5], -1
                                        ; implicit-def: $sgpr10
	s_and_saveexec_b64 s[8:9], s[12:13]
; %bb.4090:
	s_mov_b32 s10, 0x7f800001
	s_xor_b64 s[4:5], exec, -1
; %bb.4091:
	s_or_b64 exec, exec, s[8:9]
	s_and_b64 s[4:5], s[4:5], exec
	s_or_saveexec_b64 s[6:7], s[6:7]
	v_mov_b32_e32 v0, s10
	s_xor_b64 exec, exec, s[6:7]
	s_cbranch_execz .LBB5_2042
.LBB5_4092:
	v_mov_b32_e32 v0, 0
	v_cmp_ne_u16_sdwa s[8:9], v7, v0 src0_sel:BYTE_3 src1_sel:DWORD
	s_andn2_b64 s[4:5], s[4:5], exec
	s_and_b64 s[8:9], s[8:9], exec
	s_or_b64 s[4:5], s[4:5], s[8:9]
	s_or_b64 exec, exec, s[6:7]
	s_and_saveexec_b64 s[6:7], s[4:5]
	s_cbranch_execnz .LBB5_2043
	s_branch .LBB5_2044
.LBB5_4093:
	s_movk_i32 s4, 0x80
	v_cmp_eq_u16_sdwa s[12:13], v3, s4 src0_sel:BYTE_3 src1_sel:DWORD
	s_mov_b64 s[4:5], -1
                                        ; implicit-def: $sgpr10
	s_and_saveexec_b64 s[8:9], s[12:13]
; %bb.4094:
	s_mov_b32 s10, 0x7f800001
	s_xor_b64 s[4:5], exec, -1
; %bb.4095:
	s_or_b64 exec, exec, s[8:9]
	s_and_b64 s[4:5], s[4:5], exec
	s_or_saveexec_b64 s[6:7], s[6:7]
	v_mov_b32_e32 v1, s10
	s_xor_b64 exec, exec, s[6:7]
	s_cbranch_execz .LBB5_2046
.LBB5_4096:
	v_mov_b32_e32 v1, 0
	v_cmp_ne_u16_sdwa s[8:9], v3, v1 src0_sel:BYTE_3 src1_sel:DWORD
	s_andn2_b64 s[4:5], s[4:5], exec
	s_and_b64 s[8:9], s[8:9], exec
	s_or_b64 s[4:5], s[4:5], s[8:9]
	s_or_b64 exec, exec, s[6:7]
	s_and_saveexec_b64 s[6:7], s[4:5]
	s_cbranch_execnz .LBB5_2047
	s_branch .LBB5_2048
.Lfunc_end5:
	.size	_ZNK2ck6detail7applierIiJLi0ELi1ELi2ELi3ELi4ELi5ELi6ELi7ELi8ELi9ELi10ELi11ELi12ELi13ELi14ELi15EEEclIZNKS_11static_fordINS_8SequenceIJLi4ELi4EEEENS5_IJLi0ELi1EEEEEclIZZZNKS_31BlockwiseGemmXdlops_pipeline_v2ILNS_26BlockGemmPipelineSchedulerE1ELi256ENS_9f8_fnuz_tENS_7pk_i4_tESC_fNS_16TensorDescriptorINS_5TupleIJNS_5EmbedINSF_IJNS_17integral_constantIiLi8EEENSH_IiLi128EEENSH_IiLi16EEEEEENSF_IJSK_SJ_NSH_IiLi1EEEEEELb0EEENS_3XorINSF_IJSJ_SI_EEELb1EEENS_11PassThroughISK_EENS_7UnMergeINSF_IJSI_SM_EEELb0EEENSS_ISJ_EEST_NSS_ISI_EENS_21Merge_v3_division_modINSF_IJSJ_SM_EEEEEST_EEENSF_IJNS5_IJLi0EEEENS5_IJLi2ELi1EEEENS5_IJLi3EEEENS5_IJLi5EEEENS5_IJLi4EEEENS5_IJLi6EEEENS5_IJLi7EEEENS5_IJLi9ELi8EEEENS5_IJLi10EEEEEEENSF_IJNS5_IJLi1ELi2ELi3EEEENS5_IJLi4ELi5EEEES18_NS5_IJLi7ELi8EEEENS5_IJLi9EEEES1B_NS5_IJLi11EEEENS5_IJLi12EEEENS5_IJLi13EEEEEEENS5_IJLi11ELi12ELi13EEEENSH_IlLl16384EEEEENSE_INSF_IJNSG_INSF_IJSK_NSH_IiLi64EEESK_EEENSF_IJSK_NSH_IiLi256EEESM_EEELb0EEENSP_INSF_IJS1O_SK_EEELb1EEEST_NSU_INSF_IJSI_NSH_IiLi2EEEEEELb0EEENSS_IS1O_EEST_SY_NSZ_INSF_IJS1O_S1V_EEEEEST_EEES1C_S1K_S1L_S1M_EENSE_INSF_IJSO_SR_ST_SW_SX_ST_SY_S11_ST_NSZ_INSF_IJSI_SK_EEEEENSU_INSF_IJNSH_IiLi4EEES1V_SK_EEELb0EEEEEENSF_IJS13_S14_S15_S16_S17_S18_S19_S1A_S1B_NS5_IJLi11ELi13EEEES1I_EEENSF_IJS1D_S1E_S18_S1F_S1G_S1B_S1H_S1I_S1J_NS5_IJLi14EEEENS5_IJLi15ELi16ELi17EEEEEEENS5_IJLi15ELi16ELi17ELi14EEEES1M_EENSE_INSF_IJS1S_S1U_ST_S1X_S1Y_ST_SY_S20_ST_S24_S27_EEES2A_S2D_S2E_S1M_EELi16ELi16ELi128ELi128ELi128ELi16ELi16ELi4ELi4ELi16ELb0EE3RunILb1ELNS_10TailNumberE2ENSE_INSF_IJNSG_INSF_IJiiEEENSF_IJiSM_EEELb0EEENSU_IS2L_Lb0EEENSS_IiEEEEENSF_IJS13_NS5_IJLi2EEEENS5_IJLi1EEEEEEENSF_IJNS5_IJLi1ELi2EEEENS5_IJLi3ELi4EEEES16_EEENS5_IJLi3ELi5ELi4EEEElEES1N_NS_35ThreadGroupTensorSliceTransfer_v4r1INS_15ThisThreadBlockILi256EEENS_16tensor_operation12element_wise11PassThroughES34_LNS_25InMemoryDataOperationEnumE0ENS5_IJLi8ELi128ELi16EEEENS5_IJLi8ELi32ELi1EEEENS5_IJLi1ELi0ELi2EEEESC_SC_RKS2Y_KS1N_S38_NS5_IJLi0ELi1ELi2EEEELi2ELi2ELi16ELi16ELi1ELi1ELb0ELb1ELi2EiEENS_13DynamicBufferILNS_16AddressSpaceEnumE1EKSC_lLb1ELNS_22AmdBufferCoherenceEnumE0EiEENS3E_ILS3F_2ESC_S1M_Lb1ELS3H_0EiEENSF_IJiiiEEENSE_INSF_IJNSU_INSF_IJiiiiEEELb0EEENS_23Merge_v2_magic_divisionIS2L_EENSS_INSF_IJiEEEEES2P_EEENSF_IJS13_NS5_IJLi1ELi3EEEES2R_S17_EEENSF_IJNS5_IJLi1ELi2ELi3ELi4EEEES16_S18_S19_EEENS5_IJLi5ELi6ELi7EEEElEES22_NS2Z_IS31_S34_S34_LS35_0ES36_NS5_IJLi4ELi64ELi1EEEES38_SD_SD_RKS3X_KS22_S38_S3C_Li2ELi2ELi16ELi16ELi1ELi1ELb0ELb1ELi2EiEENS3E_ILS3F_1EKSD_lLb1ELS3H_0EiEENS3E_ILS3F_2ESD_S1M_Lb1ELS3H_0EiEES3K_NS_25StaticBufferTupleOfVectorILS3F_4EfLi16ELi4ELb1ELb0EEEEEvRKT1_RKT2_RT3_RKT4_RT5_RKT6_RKT7_RKT8_RT9_RKT10_RT11_RKT12_RT13_iENKUlT_E2_clINSH_IiLi0EEEEEDaS56_ENKUlS56_E1_clIS59_EEDaS56_EUlS56_E_EEvS56_EUlS56_E_EEvS56_, .Lfunc_end5-_ZNK2ck6detail7applierIiJLi0ELi1ELi2ELi3ELi4ELi5ELi6ELi7ELi8ELi9ELi10ELi11ELi12ELi13ELi14ELi15EEEclIZNKS_11static_fordINS_8SequenceIJLi4ELi4EEEENS5_IJLi0ELi1EEEEEclIZZZNKS_31BlockwiseGemmXdlops_pipeline_v2ILNS_26BlockGemmPipelineSchedulerE1ELi256ENS_9f8_fnuz_tENS_7pk_i4_tESC_fNS_16TensorDescriptorINS_5TupleIJNS_5EmbedINSF_IJNS_17integral_constantIiLi8EEENSH_IiLi128EEENSH_IiLi16EEEEEENSF_IJSK_SJ_NSH_IiLi1EEEEEELb0EEENS_3XorINSF_IJSJ_SI_EEELb1EEENS_11PassThroughISK_EENS_7UnMergeINSF_IJSI_SM_EEELb0EEENSS_ISJ_EEST_NSS_ISI_EENS_21Merge_v3_division_modINSF_IJSJ_SM_EEEEEST_EEENSF_IJNS5_IJLi0EEEENS5_IJLi2ELi1EEEENS5_IJLi3EEEENS5_IJLi5EEEENS5_IJLi4EEEENS5_IJLi6EEEENS5_IJLi7EEEENS5_IJLi9ELi8EEEENS5_IJLi10EEEEEEENSF_IJNS5_IJLi1ELi2ELi3EEEENS5_IJLi4ELi5EEEES18_NS5_IJLi7ELi8EEEENS5_IJLi9EEEES1B_NS5_IJLi11EEEENS5_IJLi12EEEENS5_IJLi13EEEEEEENS5_IJLi11ELi12ELi13EEEENSH_IlLl16384EEEEENSE_INSF_IJNSG_INSF_IJSK_NSH_IiLi64EEESK_EEENSF_IJSK_NSH_IiLi256EEESM_EEELb0EEENSP_INSF_IJS1O_SK_EEELb1EEEST_NSU_INSF_IJSI_NSH_IiLi2EEEEEELb0EEENSS_IS1O_EEST_SY_NSZ_INSF_IJS1O_S1V_EEEEEST_EEES1C_S1K_S1L_S1M_EENSE_INSF_IJSO_SR_ST_SW_SX_ST_SY_S11_ST_NSZ_INSF_IJSI_SK_EEEEENSU_INSF_IJNSH_IiLi4EEES1V_SK_EEELb0EEEEEENSF_IJS13_S14_S15_S16_S17_S18_S19_S1A_S1B_NS5_IJLi11ELi13EEEES1I_EEENSF_IJS1D_S1E_S18_S1F_S1G_S1B_S1H_S1I_S1J_NS5_IJLi14EEEENS5_IJLi15ELi16ELi17EEEEEEENS5_IJLi15ELi16ELi17ELi14EEEES1M_EENSE_INSF_IJS1S_S1U_ST_S1X_S1Y_ST_SY_S20_ST_S24_S27_EEES2A_S2D_S2E_S1M_EELi16ELi16ELi128ELi128ELi128ELi16ELi16ELi4ELi4ELi16ELb0EE3RunILb1ELNS_10TailNumberE2ENSE_INSF_IJNSG_INSF_IJiiEEENSF_IJiSM_EEELb0EEENSU_IS2L_Lb0EEENSS_IiEEEEENSF_IJS13_NS5_IJLi2EEEENS5_IJLi1EEEEEEENSF_IJNS5_IJLi1ELi2EEEENS5_IJLi3ELi4EEEES16_EEENS5_IJLi3ELi5ELi4EEEElEES1N_NS_35ThreadGroupTensorSliceTransfer_v4r1INS_15ThisThreadBlockILi256EEENS_16tensor_operation12element_wise11PassThroughES34_LNS_25InMemoryDataOperationEnumE0ENS5_IJLi8ELi128ELi16EEEENS5_IJLi8ELi32ELi1EEEENS5_IJLi1ELi0ELi2EEEESC_SC_RKS2Y_KS1N_S38_NS5_IJLi0ELi1ELi2EEEELi2ELi2ELi16ELi16ELi1ELi1ELb0ELb1ELi2EiEENS_13DynamicBufferILNS_16AddressSpaceEnumE1EKSC_lLb1ELNS_22AmdBufferCoherenceEnumE0EiEENS3E_ILS3F_2ESC_S1M_Lb1ELS3H_0EiEENSF_IJiiiEEENSE_INSF_IJNSU_INSF_IJiiiiEEELb0EEENS_23Merge_v2_magic_divisionIS2L_EENSS_INSF_IJiEEEEES2P_EEENSF_IJS13_NS5_IJLi1ELi3EEEES2R_S17_EEENSF_IJNS5_IJLi1ELi2ELi3ELi4EEEES16_S18_S19_EEENS5_IJLi5ELi6ELi7EEEElEES22_NS2Z_IS31_S34_S34_LS35_0ES36_NS5_IJLi4ELi64ELi1EEEES38_SD_SD_RKS3X_KS22_S38_S3C_Li2ELi2ELi16ELi16ELi1ELi1ELb0ELb1ELi2EiEENS3E_ILS3F_1EKSD_lLb1ELS3H_0EiEENS3E_ILS3F_2ESD_S1M_Lb1ELS3H_0EiEES3K_NS_25StaticBufferTupleOfVectorILS3F_4EfLi16ELi4ELb1ELb0EEEEEvRKT1_RKT2_RT3_RKT4_RT5_RKT6_RKT7_RKT8_RT9_RKT10_RT11_RKT12_RT13_iENKUlT_E2_clINSH_IiLi0EEEEEDaS56_ENKUlS56_E1_clIS59_EEDaS56_EUlS56_E_EEvS56_EUlS56_E_EEvS56_
                                        ; -- End function
	.section	.AMDGPU.csdata,"",@progbits
; Function info:
; codeLenInByte = 134344
; NumSgprs: 36
; NumVgprs: 18
; NumAgprs: 4
; TotalNumVgprs: 24
; ScratchSize: 0
; MemoryBound: 1
	.text
	.p2align	2                               ; -- Begin function _ZNK2ck6detail7applierIiJLi0ELi1ELi2ELi3ELi4ELi5ELi6ELi7ELi8ELi9ELi10ELi11ELi12ELi13ELi14ELi15EEEclIZNKS_11static_fordINS_8SequenceIJLi4ELi4EEEENS5_IJLi0ELi1EEEEEclIZZZNKS_31BlockwiseGemmXdlops_pipeline_v2ILNS_26BlockGemmPipelineSchedulerE1ELi256ENS_9f8_fnuz_tENS_7pk_i4_tESC_fNS_16TensorDescriptorINS_5TupleIJNS_5EmbedINSF_IJNS_17integral_constantIiLi8EEENSH_IiLi128EEENSH_IiLi16EEEEEENSF_IJSK_SJ_NSH_IiLi1EEEEEELb0EEENS_3XorINSF_IJSJ_SI_EEELb1EEENS_11PassThroughISK_EENS_7UnMergeINSF_IJSI_SM_EEELb0EEENSS_ISJ_EEST_NSS_ISI_EENS_21Merge_v3_division_modINSF_IJSJ_SM_EEEEEST_EEENSF_IJNS5_IJLi0EEEENS5_IJLi2ELi1EEEENS5_IJLi3EEEENS5_IJLi5EEEENS5_IJLi4EEEENS5_IJLi6EEEENS5_IJLi7EEEENS5_IJLi9ELi8EEEENS5_IJLi10EEEEEEENSF_IJNS5_IJLi1ELi2ELi3EEEENS5_IJLi4ELi5EEEES18_NS5_IJLi7ELi8EEEENS5_IJLi9EEEES1B_NS5_IJLi11EEEENS5_IJLi12EEEENS5_IJLi13EEEEEEENS5_IJLi11ELi12ELi13EEEENSH_IlLl16384EEEEENSE_INSF_IJNSG_INSF_IJSK_NSH_IiLi64EEESK_EEENSF_IJSK_NSH_IiLi256EEESM_EEELb0EEENSP_INSF_IJS1O_SK_EEELb1EEEST_NSU_INSF_IJSI_NSH_IiLi2EEEEEELb0EEENSS_IS1O_EEST_SY_NSZ_INSF_IJS1O_S1V_EEEEEST_EEES1C_S1K_S1L_S1M_EENSE_INSF_IJSO_SR_ST_SW_SX_ST_SY_S11_ST_NSZ_INSF_IJSI_SK_EEEEENSU_INSF_IJNSH_IiLi4EEES1V_SK_EEELb0EEEEEENSF_IJS13_S14_S15_S16_S17_S18_S19_S1A_S1B_NS5_IJLi11ELi13EEEES1I_EEENSF_IJS1D_S1E_S18_S1F_S1G_S1B_S1H_S1I_S1J_NS5_IJLi14EEEENS5_IJLi15ELi16ELi17EEEEEEENS5_IJLi15ELi16ELi17ELi14EEEES1M_EENSE_INSF_IJS1S_S1U_ST_S1X_S1Y_ST_SY_S20_ST_S24_S27_EEES2A_S2D_S2E_S1M_EELi16ELi16ELi128ELi128ELi128ELi16ELi16ELi4ELi4ELi16ELb0EE3RunILb1ELNS_10TailNumberE2ENSE_INSF_IJNSG_INSF_IJiiEEENSF_IJiSM_EEELb0EEENSU_IS2L_Lb0EEENSS_IiEEEEENSF_IJS13_NS5_IJLi2EEEENS5_IJLi1EEEEEEENSF_IJNS5_IJLi1ELi2EEEENS5_IJLi3ELi4EEEES16_EEENS5_IJLi3ELi5ELi4EEEElEES1N_NS_35ThreadGroupTensorSliceTransfer_v4r1INS_15ThisThreadBlockILi256EEENS_16tensor_operation12element_wise11PassThroughES34_LNS_25InMemoryDataOperationEnumE0ENS5_IJLi8ELi128ELi16EEEENS5_IJLi8ELi32ELi1EEEENS5_IJLi1ELi0ELi2EEEESC_SC_RKS2Y_KS1N_S38_NS5_IJLi0ELi1ELi2EEEELi2ELi2ELi16ELi16ELi1ELi1ELb0ELb1ELi2EiEENS_13DynamicBufferILNS_16AddressSpaceEnumE1EKSC_lLb1ELNS_22AmdBufferCoherenceEnumE0EiEENS3E_ILS3F_2ESC_S1M_Lb1ELS3H_0EiEENSF_IJiiiEEENSE_INSF_IJNSU_INSF_IJiiiiEEELb0EEENS_23Merge_v2_magic_divisionIS2L_EENSS_INSF_IJiEEEEES2P_EEENSF_IJS13_NS5_IJLi1ELi3EEEES2R_S17_EEENSF_IJNS5_IJLi1ELi2ELi3ELi4EEEES16_S18_S19_EEENS5_IJLi5ELi6ELi7EEEElEES22_NS2Z_IS31_S34_S34_LS35_0ES36_NS5_IJLi4ELi64ELi1EEEES38_SD_SD_RKS3X_KS22_S38_S3C_Li2ELi2ELi16ELi16ELi1ELi1ELb0ELb1ELi2EiEENS3E_ILS3F_1EKSD_lLb1ELS3H_0EiEENS3E_ILS3F_2ESD_S1M_Lb1ELS3H_0EiEES3K_NS_25StaticBufferTupleOfVectorILS3F_4EfLi16ELi4ELb1ELb0EEEEEvRKT1_RKT2_RT3_RKT4_RT5_RKT6_RKT7_RKT8_RT9_RKT10_RT11_RKT12_RT13_iENKUlT_E2_clINSH_IiLi0EEEEEDaS56_ENKUlS56_E1_clISK_EEDaS56_EUlS56_E_EEvS56_EUlS56_E_EEvS56_
	.type	_ZNK2ck6detail7applierIiJLi0ELi1ELi2ELi3ELi4ELi5ELi6ELi7ELi8ELi9ELi10ELi11ELi12ELi13ELi14ELi15EEEclIZNKS_11static_fordINS_8SequenceIJLi4ELi4EEEENS5_IJLi0ELi1EEEEEclIZZZNKS_31BlockwiseGemmXdlops_pipeline_v2ILNS_26BlockGemmPipelineSchedulerE1ELi256ENS_9f8_fnuz_tENS_7pk_i4_tESC_fNS_16TensorDescriptorINS_5TupleIJNS_5EmbedINSF_IJNS_17integral_constantIiLi8EEENSH_IiLi128EEENSH_IiLi16EEEEEENSF_IJSK_SJ_NSH_IiLi1EEEEEELb0EEENS_3XorINSF_IJSJ_SI_EEELb1EEENS_11PassThroughISK_EENS_7UnMergeINSF_IJSI_SM_EEELb0EEENSS_ISJ_EEST_NSS_ISI_EENS_21Merge_v3_division_modINSF_IJSJ_SM_EEEEEST_EEENSF_IJNS5_IJLi0EEEENS5_IJLi2ELi1EEEENS5_IJLi3EEEENS5_IJLi5EEEENS5_IJLi4EEEENS5_IJLi6EEEENS5_IJLi7EEEENS5_IJLi9ELi8EEEENS5_IJLi10EEEEEEENSF_IJNS5_IJLi1ELi2ELi3EEEENS5_IJLi4ELi5EEEES18_NS5_IJLi7ELi8EEEENS5_IJLi9EEEES1B_NS5_IJLi11EEEENS5_IJLi12EEEENS5_IJLi13EEEEEEENS5_IJLi11ELi12ELi13EEEENSH_IlLl16384EEEEENSE_INSF_IJNSG_INSF_IJSK_NSH_IiLi64EEESK_EEENSF_IJSK_NSH_IiLi256EEESM_EEELb0EEENSP_INSF_IJS1O_SK_EEELb1EEEST_NSU_INSF_IJSI_NSH_IiLi2EEEEEELb0EEENSS_IS1O_EEST_SY_NSZ_INSF_IJS1O_S1V_EEEEEST_EEES1C_S1K_S1L_S1M_EENSE_INSF_IJSO_SR_ST_SW_SX_ST_SY_S11_ST_NSZ_INSF_IJSI_SK_EEEEENSU_INSF_IJNSH_IiLi4EEES1V_SK_EEELb0EEEEEENSF_IJS13_S14_S15_S16_S17_S18_S19_S1A_S1B_NS5_IJLi11ELi13EEEES1I_EEENSF_IJS1D_S1E_S18_S1F_S1G_S1B_S1H_S1I_S1J_NS5_IJLi14EEEENS5_IJLi15ELi16ELi17EEEEEEENS5_IJLi15ELi16ELi17ELi14EEEES1M_EENSE_INSF_IJS1S_S1U_ST_S1X_S1Y_ST_SY_S20_ST_S24_S27_EEES2A_S2D_S2E_S1M_EELi16ELi16ELi128ELi128ELi128ELi16ELi16ELi4ELi4ELi16ELb0EE3RunILb1ELNS_10TailNumberE2ENSE_INSF_IJNSG_INSF_IJiiEEENSF_IJiSM_EEELb0EEENSU_IS2L_Lb0EEENSS_IiEEEEENSF_IJS13_NS5_IJLi2EEEENS5_IJLi1EEEEEEENSF_IJNS5_IJLi1ELi2EEEENS5_IJLi3ELi4EEEES16_EEENS5_IJLi3ELi5ELi4EEEElEES1N_NS_35ThreadGroupTensorSliceTransfer_v4r1INS_15ThisThreadBlockILi256EEENS_16tensor_operation12element_wise11PassThroughES34_LNS_25InMemoryDataOperationEnumE0ENS5_IJLi8ELi128ELi16EEEENS5_IJLi8ELi32ELi1EEEENS5_IJLi1ELi0ELi2EEEESC_SC_RKS2Y_KS1N_S38_NS5_IJLi0ELi1ELi2EEEELi2ELi2ELi16ELi16ELi1ELi1ELb0ELb1ELi2EiEENS_13DynamicBufferILNS_16AddressSpaceEnumE1EKSC_lLb1ELNS_22AmdBufferCoherenceEnumE0EiEENS3E_ILS3F_2ESC_S1M_Lb1ELS3H_0EiEENSF_IJiiiEEENSE_INSF_IJNSU_INSF_IJiiiiEEELb0EEENS_23Merge_v2_magic_divisionIS2L_EENSS_INSF_IJiEEEEES2P_EEENSF_IJS13_NS5_IJLi1ELi3EEEES2R_S17_EEENSF_IJNS5_IJLi1ELi2ELi3ELi4EEEES16_S18_S19_EEENS5_IJLi5ELi6ELi7EEEElEES22_NS2Z_IS31_S34_S34_LS35_0ES36_NS5_IJLi4ELi64ELi1EEEES38_SD_SD_RKS3X_KS22_S38_S3C_Li2ELi2ELi16ELi16ELi1ELi1ELb0ELb1ELi2EiEENS3E_ILS3F_1EKSD_lLb1ELS3H_0EiEENS3E_ILS3F_2ESD_S1M_Lb1ELS3H_0EiEES3K_NS_25StaticBufferTupleOfVectorILS3F_4EfLi16ELi4ELb1ELb0EEEEEvRKT1_RKT2_RT3_RKT4_RT5_RKT6_RKT7_RKT8_RT9_RKT10_RT11_RKT12_RT13_iENKUlT_E2_clINSH_IiLi0EEEEEDaS56_ENKUlS56_E1_clISK_EEDaS56_EUlS56_E_EEvS56_EUlS56_E_EEvS56_,@function
_ZNK2ck6detail7applierIiJLi0ELi1ELi2ELi3ELi4ELi5ELi6ELi7ELi8ELi9ELi10ELi11ELi12ELi13ELi14ELi15EEEclIZNKS_11static_fordINS_8SequenceIJLi4ELi4EEEENS5_IJLi0ELi1EEEEEclIZZZNKS_31BlockwiseGemmXdlops_pipeline_v2ILNS_26BlockGemmPipelineSchedulerE1ELi256ENS_9f8_fnuz_tENS_7pk_i4_tESC_fNS_16TensorDescriptorINS_5TupleIJNS_5EmbedINSF_IJNS_17integral_constantIiLi8EEENSH_IiLi128EEENSH_IiLi16EEEEEENSF_IJSK_SJ_NSH_IiLi1EEEEEELb0EEENS_3XorINSF_IJSJ_SI_EEELb1EEENS_11PassThroughISK_EENS_7UnMergeINSF_IJSI_SM_EEELb0EEENSS_ISJ_EEST_NSS_ISI_EENS_21Merge_v3_division_modINSF_IJSJ_SM_EEEEEST_EEENSF_IJNS5_IJLi0EEEENS5_IJLi2ELi1EEEENS5_IJLi3EEEENS5_IJLi5EEEENS5_IJLi4EEEENS5_IJLi6EEEENS5_IJLi7EEEENS5_IJLi9ELi8EEEENS5_IJLi10EEEEEEENSF_IJNS5_IJLi1ELi2ELi3EEEENS5_IJLi4ELi5EEEES18_NS5_IJLi7ELi8EEEENS5_IJLi9EEEES1B_NS5_IJLi11EEEENS5_IJLi12EEEENS5_IJLi13EEEEEEENS5_IJLi11ELi12ELi13EEEENSH_IlLl16384EEEEENSE_INSF_IJNSG_INSF_IJSK_NSH_IiLi64EEESK_EEENSF_IJSK_NSH_IiLi256EEESM_EEELb0EEENSP_INSF_IJS1O_SK_EEELb1EEEST_NSU_INSF_IJSI_NSH_IiLi2EEEEEELb0EEENSS_IS1O_EEST_SY_NSZ_INSF_IJS1O_S1V_EEEEEST_EEES1C_S1K_S1L_S1M_EENSE_INSF_IJSO_SR_ST_SW_SX_ST_SY_S11_ST_NSZ_INSF_IJSI_SK_EEEEENSU_INSF_IJNSH_IiLi4EEES1V_SK_EEELb0EEEEEENSF_IJS13_S14_S15_S16_S17_S18_S19_S1A_S1B_NS5_IJLi11ELi13EEEES1I_EEENSF_IJS1D_S1E_S18_S1F_S1G_S1B_S1H_S1I_S1J_NS5_IJLi14EEEENS5_IJLi15ELi16ELi17EEEEEEENS5_IJLi15ELi16ELi17ELi14EEEES1M_EENSE_INSF_IJS1S_S1U_ST_S1X_S1Y_ST_SY_S20_ST_S24_S27_EEES2A_S2D_S2E_S1M_EELi16ELi16ELi128ELi128ELi128ELi16ELi16ELi4ELi4ELi16ELb0EE3RunILb1ELNS_10TailNumberE2ENSE_INSF_IJNSG_INSF_IJiiEEENSF_IJiSM_EEELb0EEENSU_IS2L_Lb0EEENSS_IiEEEEENSF_IJS13_NS5_IJLi2EEEENS5_IJLi1EEEEEEENSF_IJNS5_IJLi1ELi2EEEENS5_IJLi3ELi4EEEES16_EEENS5_IJLi3ELi5ELi4EEEElEES1N_NS_35ThreadGroupTensorSliceTransfer_v4r1INS_15ThisThreadBlockILi256EEENS_16tensor_operation12element_wise11PassThroughES34_LNS_25InMemoryDataOperationEnumE0ENS5_IJLi8ELi128ELi16EEEENS5_IJLi8ELi32ELi1EEEENS5_IJLi1ELi0ELi2EEEESC_SC_RKS2Y_KS1N_S38_NS5_IJLi0ELi1ELi2EEEELi2ELi2ELi16ELi16ELi1ELi1ELb0ELb1ELi2EiEENS_13DynamicBufferILNS_16AddressSpaceEnumE1EKSC_lLb1ELNS_22AmdBufferCoherenceEnumE0EiEENS3E_ILS3F_2ESC_S1M_Lb1ELS3H_0EiEENSF_IJiiiEEENSE_INSF_IJNSU_INSF_IJiiiiEEELb0EEENS_23Merge_v2_magic_divisionIS2L_EENSS_INSF_IJiEEEEES2P_EEENSF_IJS13_NS5_IJLi1ELi3EEEES2R_S17_EEENSF_IJNS5_IJLi1ELi2ELi3ELi4EEEES16_S18_S19_EEENS5_IJLi5ELi6ELi7EEEElEES22_NS2Z_IS31_S34_S34_LS35_0ES36_NS5_IJLi4ELi64ELi1EEEES38_SD_SD_RKS3X_KS22_S38_S3C_Li2ELi2ELi16ELi16ELi1ELi1ELb0ELb1ELi2EiEENS3E_ILS3F_1EKSD_lLb1ELS3H_0EiEENS3E_ILS3F_2ESD_S1M_Lb1ELS3H_0EiEES3K_NS_25StaticBufferTupleOfVectorILS3F_4EfLi16ELi4ELb1ELb0EEEEEvRKT1_RKT2_RT3_RKT4_RT5_RKT6_RKT7_RKT8_RT9_RKT10_RT11_RKT12_RT13_iENKUlT_E2_clINSH_IiLi0EEEEEDaS56_ENKUlS56_E1_clISK_EEDaS56_EUlS56_E_EEvS56_EUlS56_E_EEvS56_: ; @_ZNK2ck6detail7applierIiJLi0ELi1ELi2ELi3ELi4ELi5ELi6ELi7ELi8ELi9ELi10ELi11ELi12ELi13ELi14ELi15EEEclIZNKS_11static_fordINS_8SequenceIJLi4ELi4EEEENS5_IJLi0ELi1EEEEEclIZZZNKS_31BlockwiseGemmXdlops_pipeline_v2ILNS_26BlockGemmPipelineSchedulerE1ELi256ENS_9f8_fnuz_tENS_7pk_i4_tESC_fNS_16TensorDescriptorINS_5TupleIJNS_5EmbedINSF_IJNS_17integral_constantIiLi8EEENSH_IiLi128EEENSH_IiLi16EEEEEENSF_IJSK_SJ_NSH_IiLi1EEEEEELb0EEENS_3XorINSF_IJSJ_SI_EEELb1EEENS_11PassThroughISK_EENS_7UnMergeINSF_IJSI_SM_EEELb0EEENSS_ISJ_EEST_NSS_ISI_EENS_21Merge_v3_division_modINSF_IJSJ_SM_EEEEEST_EEENSF_IJNS5_IJLi0EEEENS5_IJLi2ELi1EEEENS5_IJLi3EEEENS5_IJLi5EEEENS5_IJLi4EEEENS5_IJLi6EEEENS5_IJLi7EEEENS5_IJLi9ELi8EEEENS5_IJLi10EEEEEEENSF_IJNS5_IJLi1ELi2ELi3EEEENS5_IJLi4ELi5EEEES18_NS5_IJLi7ELi8EEEENS5_IJLi9EEEES1B_NS5_IJLi11EEEENS5_IJLi12EEEENS5_IJLi13EEEEEEENS5_IJLi11ELi12ELi13EEEENSH_IlLl16384EEEEENSE_INSF_IJNSG_INSF_IJSK_NSH_IiLi64EEESK_EEENSF_IJSK_NSH_IiLi256EEESM_EEELb0EEENSP_INSF_IJS1O_SK_EEELb1EEEST_NSU_INSF_IJSI_NSH_IiLi2EEEEEELb0EEENSS_IS1O_EEST_SY_NSZ_INSF_IJS1O_S1V_EEEEEST_EEES1C_S1K_S1L_S1M_EENSE_INSF_IJSO_SR_ST_SW_SX_ST_SY_S11_ST_NSZ_INSF_IJSI_SK_EEEEENSU_INSF_IJNSH_IiLi4EEES1V_SK_EEELb0EEEEEENSF_IJS13_S14_S15_S16_S17_S18_S19_S1A_S1B_NS5_IJLi11ELi13EEEES1I_EEENSF_IJS1D_S1E_S18_S1F_S1G_S1B_S1H_S1I_S1J_NS5_IJLi14EEEENS5_IJLi15ELi16ELi17EEEEEEENS5_IJLi15ELi16ELi17ELi14EEEES1M_EENSE_INSF_IJS1S_S1U_ST_S1X_S1Y_ST_SY_S20_ST_S24_S27_EEES2A_S2D_S2E_S1M_EELi16ELi16ELi128ELi128ELi128ELi16ELi16ELi4ELi4ELi16ELb0EE3RunILb1ELNS_10TailNumberE2ENSE_INSF_IJNSG_INSF_IJiiEEENSF_IJiSM_EEELb0EEENSU_IS2L_Lb0EEENSS_IiEEEEENSF_IJS13_NS5_IJLi2EEEENS5_IJLi1EEEEEEENSF_IJNS5_IJLi1ELi2EEEENS5_IJLi3ELi4EEEES16_EEENS5_IJLi3ELi5ELi4EEEElEES1N_NS_35ThreadGroupTensorSliceTransfer_v4r1INS_15ThisThreadBlockILi256EEENS_16tensor_operation12element_wise11PassThroughES34_LNS_25InMemoryDataOperationEnumE0ENS5_IJLi8ELi128ELi16EEEENS5_IJLi8ELi32ELi1EEEENS5_IJLi1ELi0ELi2EEEESC_SC_RKS2Y_KS1N_S38_NS5_IJLi0ELi1ELi2EEEELi2ELi2ELi16ELi16ELi1ELi1ELb0ELb1ELi2EiEENS_13DynamicBufferILNS_16AddressSpaceEnumE1EKSC_lLb1ELNS_22AmdBufferCoherenceEnumE0EiEENS3E_ILS3F_2ESC_S1M_Lb1ELS3H_0EiEENSF_IJiiiEEENSE_INSF_IJNSU_INSF_IJiiiiEEELb0EEENS_23Merge_v2_magic_divisionIS2L_EENSS_INSF_IJiEEEEES2P_EEENSF_IJS13_NS5_IJLi1ELi3EEEES2R_S17_EEENSF_IJNS5_IJLi1ELi2ELi3ELi4EEEES16_S18_S19_EEENS5_IJLi5ELi6ELi7EEEElEES22_NS2Z_IS31_S34_S34_LS35_0ES36_NS5_IJLi4ELi64ELi1EEEES38_SD_SD_RKS3X_KS22_S38_S3C_Li2ELi2ELi16ELi16ELi1ELi1ELb0ELb1ELi2EiEENS3E_ILS3F_1EKSD_lLb1ELS3H_0EiEENS3E_ILS3F_2ESD_S1M_Lb1ELS3H_0EiEES3K_NS_25StaticBufferTupleOfVectorILS3F_4EfLi16ELi4ELb1ELb0EEEEEvRKT1_RKT2_RT3_RKT4_RT5_RKT6_RKT7_RKT8_RT9_RKT10_RT11_RKT12_RT13_iENKUlT_E2_clINSH_IiLi0EEEEEDaS56_ENKUlS56_E1_clISK_EEDaS56_EUlS56_E_EEvS56_EUlS56_E_EEvS56_
; %bb.0:
	s_waitcnt vmcnt(0) expcnt(0) lgkmcnt(0)
	flat_load_dwordx4 v[12:15], v[0:1] offset:8
	flat_load_dwordx2 v[10:11], v[0:1] offset:32
	s_movk_i32 s4, 0x7f
                                        ; implicit-def: $sgpr10
	s_waitcnt vmcnt(0) lgkmcnt(0)
	flat_load_dwordx4 v[6:9], v[12:13] offset:16
	flat_load_dwordx4 v[2:5], v[14:15] offset:16
	s_waitcnt vmcnt(0) lgkmcnt(0)
	v_cmp_gt_i16_sdwa s[6:7], v6, s4 src0_sel:BYTE_0 src1_sel:DWORD
	s_mov_b64 s[4:5], 0
	s_and_saveexec_b64 s[8:9], s[6:7]
	s_xor_b64 s[6:7], exec, s[8:9]
	s_cbranch_execnz .LBB6_2049
; %bb.1:
	s_or_saveexec_b64 s[6:7], s[6:7]
	v_mov_b32_e32 v12, s10
	s_xor_b64 exec, exec, s[6:7]
	s_cbranch_execnz .LBB6_2052
.LBB6_2:
	s_or_b64 exec, exec, s[6:7]
	s_and_saveexec_b64 s[6:7], s[4:5]
	s_cbranch_execz .LBB6_4
.LBB6_3:
	v_and_b32_e32 v12, 7, v6
	v_ffbh_u32_e32 v14, v12
	v_min_u32_e32 v14, 32, v14
	v_lshrrev_b16_e32 v13, 3, v6
	v_subrev_u32_e32 v15, 28, v14
	v_and_b32_e32 v13, 15, v13
	v_lshlrev_b32_e32 v15, v15, v6
	v_sub_u32_e32 v14, 29, v14
	v_and_b32_e32 v15, 7, v15
	v_cmp_eq_u16_e32 vcc, 0, v13
	v_cndmask_b32_e32 v12, v12, v15, vcc
	v_cndmask_b32_e32 v13, v13, v14, vcc
	v_lshlrev_b32_e32 v14, 24, v6
	v_mov_b32_e32 v15, 0x3b800000
	v_lshlrev_b32_e32 v12, 20, v12
	v_and_b32_e32 v14, 0x80000000, v14
	v_lshl_add_u32 v13, v13, 23, v15
	v_or3_b32 v12, v14, v13, v12
.LBB6_4:
	s_or_b64 exec, exec, s[6:7]
	s_movk_i32 s4, 0x7f
	v_cmp_gt_i16_sdwa s[6:7], v2, s4 src0_sel:BYTE_0 src1_sel:DWORD
	s_mov_b64 s[4:5], 0
                                        ; implicit-def: $sgpr10
	s_and_saveexec_b64 s[8:9], s[6:7]
	s_xor_b64 s[6:7], exec, s[8:9]
	s_cbranch_execnz .LBB6_2053
; %bb.5:
	s_or_saveexec_b64 s[6:7], s[6:7]
	v_mov_b32_e32 v13, s10
	s_xor_b64 exec, exec, s[6:7]
	s_cbranch_execnz .LBB6_2056
.LBB6_6:
	s_or_b64 exec, exec, s[6:7]
	s_and_saveexec_b64 s[6:7], s[4:5]
	s_cbranch_execz .LBB6_8
.LBB6_7:
	v_and_b32_e32 v13, 7, v2
	v_ffbh_u32_e32 v15, v13
	v_min_u32_e32 v15, 32, v15
	v_lshrrev_b16_e32 v14, 3, v2
	v_subrev_u32_e32 v16, 28, v15
	v_and_b32_e32 v14, 15, v14
	v_lshlrev_b32_e32 v16, v16, v2
	v_sub_u32_e32 v15, 29, v15
	v_and_b32_e32 v16, 7, v16
	v_cmp_eq_u16_e32 vcc, 0, v14
	v_cndmask_b32_e32 v13, v13, v16, vcc
	v_cndmask_b32_e32 v14, v14, v15, vcc
	v_lshlrev_b32_e32 v15, 24, v2
	v_mov_b32_e32 v16, 0x3b800000
	v_lshlrev_b32_e32 v13, 20, v13
	v_and_b32_e32 v15, 0x80000000, v15
	v_lshl_add_u32 v14, v14, 23, v16
	v_or3_b32 v13, v15, v14, v13
.LBB6_8:
	s_or_b64 exec, exec, s[6:7]
	flat_load_dwordx4 a[0:3], v[10:11]
	s_movk_i32 s4, 0x7f
                                        ; implicit-def: $sgpr10
	s_waitcnt vmcnt(0) lgkmcnt(0)
	v_mfma_f32_16x16x4f32 a[0:3], v12, v13, a[0:3]
	v_lshrrev_b32_e32 v13, 8, v6
	v_cmp_gt_i16_sdwa s[6:7], v13, s4 src0_sel:BYTE_0 src1_sel:DWORD
	s_mov_b64 s[4:5], 0
	s_and_saveexec_b64 s[8:9], s[6:7]
	s_xor_b64 s[6:7], exec, s[8:9]
	s_cbranch_execnz .LBB6_2057
; %bb.9:
	s_or_saveexec_b64 s[6:7], s[6:7]
	v_mov_b32_e32 v12, s10
	s_xor_b64 exec, exec, s[6:7]
	s_cbranch_execnz .LBB6_2060
.LBB6_10:
	s_or_b64 exec, exec, s[6:7]
	s_and_saveexec_b64 s[6:7], s[4:5]
	s_cbranch_execz .LBB6_12
.LBB6_11:
	v_bfe_u32 v12, v6, 8, 3
	v_ffbh_u32_e32 v15, v12
	v_min_u32_e32 v15, 32, v15
	v_lshrrev_b16_e32 v14, 3, v13
	v_subrev_u32_e32 v16, 28, v15
	v_and_b32_e32 v14, 15, v14
	v_lshlrev_b32_e32 v13, v16, v13
	v_sub_u32_e32 v15, 29, v15
	v_and_b32_e32 v13, 7, v13
	v_cmp_eq_u16_e32 vcc, 0, v14
	v_cndmask_b32_e32 v12, v12, v13, vcc
	v_cndmask_b32_e32 v13, v14, v15, vcc
	v_lshlrev_b32_e32 v14, 16, v6
	v_mov_b32_e32 v15, 0x3b800000
	v_lshlrev_b32_e32 v12, 20, v12
	v_and_b32_e32 v14, 0x80000000, v14
	v_lshl_add_u32 v13, v13, 23, v15
	v_or3_b32 v12, v14, v13, v12
.LBB6_12:
	s_or_b64 exec, exec, s[6:7]
	v_lshrrev_b32_e32 v13, 8, v2
	s_movk_i32 s4, 0x7f
	v_cmp_gt_i16_sdwa s[6:7], v13, s4 src0_sel:BYTE_0 src1_sel:DWORD
	s_mov_b64 s[4:5], 0
                                        ; implicit-def: $sgpr10
	s_and_saveexec_b64 s[8:9], s[6:7]
	s_xor_b64 s[6:7], exec, s[8:9]
	s_cbranch_execnz .LBB6_2061
; %bb.13:
	s_or_saveexec_b64 s[6:7], s[6:7]
	v_mov_b32_e32 v14, s10
	s_xor_b64 exec, exec, s[6:7]
	s_cbranch_execnz .LBB6_2064
.LBB6_14:
	s_or_b64 exec, exec, s[6:7]
	s_and_saveexec_b64 s[6:7], s[4:5]
	s_cbranch_execz .LBB6_16
.LBB6_15:
	v_bfe_u32 v14, v2, 8, 3
	v_ffbh_u32_e32 v16, v14
	v_min_u32_e32 v16, 32, v16
	v_lshrrev_b16_e32 v15, 3, v13
	v_subrev_u32_e32 v17, 28, v16
	v_and_b32_e32 v15, 15, v15
	v_lshlrev_b32_e32 v13, v17, v13
	v_sub_u32_e32 v16, 29, v16
	v_and_b32_e32 v13, 7, v13
	v_cmp_eq_u16_e32 vcc, 0, v15
	v_cndmask_b32_e32 v13, v14, v13, vcc
	v_cndmask_b32_e32 v14, v15, v16, vcc
	v_lshlrev_b32_e32 v15, 16, v2
	v_mov_b32_e32 v16, 0x3b800000
	v_lshlrev_b32_e32 v13, 20, v13
	v_and_b32_e32 v15, 0x80000000, v15
	v_lshl_add_u32 v14, v14, 23, v16
	v_or3_b32 v14, v15, v14, v13
.LBB6_16:
	s_or_b64 exec, exec, s[6:7]
	s_nop 0
	v_mfma_f32_16x16x4f32 a[0:3], v12, v14, a[0:3]
	s_movk_i32 s4, 0xff
	v_and_b32_sdwa v13, v6, s4 dst_sel:DWORD dst_unused:UNUSED_PAD src0_sel:WORD_1 src1_sel:DWORD
	s_movk_i32 s4, 0x7f
	v_cmp_lt_i16_e32 vcc, s4, v13
	s_mov_b64 s[4:5], 0
                                        ; implicit-def: $sgpr10
	s_and_saveexec_b64 s[6:7], vcc
	s_xor_b64 s[6:7], exec, s[6:7]
	s_cbranch_execnz .LBB6_2065
; %bb.17:
	s_or_saveexec_b64 s[6:7], s[6:7]
	v_mov_b32_e32 v12, s10
	s_xor_b64 exec, exec, s[6:7]
	s_cbranch_execnz .LBB6_2068
.LBB6_18:
	s_or_b64 exec, exec, s[6:7]
	s_and_saveexec_b64 s[6:7], s[4:5]
	s_cbranch_execz .LBB6_20
.LBB6_19:
	v_bfe_u32 v12, v6, 16, 3
	v_ffbh_u32_e32 v15, v12
	v_min_u32_e32 v15, 32, v15
	v_lshrrev_b32_e32 v13, 19, v6
	v_subrev_u32_e32 v16, 28, v15
	v_and_b32_e32 v13, 15, v13
	v_lshlrev_b32_sdwa v16, v16, v6 dst_sel:DWORD dst_unused:UNUSED_PAD src0_sel:DWORD src1_sel:WORD_1
	v_bfe_u32 v14, v6, 19, 4
	v_sub_u32_e32 v15, 29, v15
	v_and_b32_e32 v16, 7, v16
	v_cmp_eq_u16_e32 vcc, 0, v13
	v_cndmask_b32_e32 v12, v12, v16, vcc
	v_cndmask_b32_e32 v13, v14, v15, vcc
	v_lshlrev_b32_e32 v14, 8, v6
	v_mov_b32_e32 v15, 0x3b800000
	v_lshlrev_b32_e32 v12, 20, v12
	v_and_b32_e32 v14, 0x80000000, v14
	v_lshl_add_u32 v13, v13, 23, v15
	v_or3_b32 v12, v14, v13, v12
.LBB6_20:
	s_or_b64 exec, exec, s[6:7]
	s_movk_i32 s4, 0xff
	v_and_b32_sdwa v13, v2, s4 dst_sel:DWORD dst_unused:UNUSED_PAD src0_sel:WORD_1 src1_sel:DWORD
	s_movk_i32 s4, 0x7f
	v_cmp_lt_i16_e32 vcc, s4, v13
	s_mov_b64 s[4:5], 0
                                        ; implicit-def: $sgpr10
	s_and_saveexec_b64 s[6:7], vcc
	s_xor_b64 s[6:7], exec, s[6:7]
	s_cbranch_execnz .LBB6_2069
; %bb.21:
	s_or_saveexec_b64 s[6:7], s[6:7]
	v_mov_b32_e32 v14, s10
	s_xor_b64 exec, exec, s[6:7]
	s_cbranch_execnz .LBB6_2072
.LBB6_22:
	s_or_b64 exec, exec, s[6:7]
	s_and_saveexec_b64 s[6:7], s[4:5]
	s_cbranch_execz .LBB6_24
.LBB6_23:
	v_bfe_u32 v13, v2, 16, 3
	v_ffbh_u32_e32 v16, v13
	v_min_u32_e32 v16, 32, v16
	v_lshrrev_b32_e32 v14, 19, v2
	v_subrev_u32_e32 v17, 28, v16
	v_and_b32_e32 v14, 15, v14
	v_lshlrev_b32_sdwa v17, v17, v2 dst_sel:DWORD dst_unused:UNUSED_PAD src0_sel:DWORD src1_sel:WORD_1
	v_bfe_u32 v15, v2, 19, 4
	v_sub_u32_e32 v16, 29, v16
	v_and_b32_e32 v17, 7, v17
	v_cmp_eq_u16_e32 vcc, 0, v14
	v_cndmask_b32_e32 v13, v13, v17, vcc
	v_cndmask_b32_e32 v14, v15, v16, vcc
	v_lshlrev_b32_e32 v15, 8, v2
	v_mov_b32_e32 v16, 0x3b800000
	v_lshlrev_b32_e32 v13, 20, v13
	v_and_b32_e32 v15, 0x80000000, v15
	v_lshl_add_u32 v14, v14, 23, v16
	v_or3_b32 v14, v15, v14, v13
.LBB6_24:
	s_or_b64 exec, exec, s[6:7]
	s_nop 0
	v_mfma_f32_16x16x4f32 a[0:3], v12, v14, a[0:3]
	s_movk_i32 s4, 0x7f
	v_cmp_gt_i16_sdwa s[6:7], v6, s4 src0_sel:BYTE_3 src1_sel:DWORD
	s_mov_b64 s[4:5], 0
                                        ; implicit-def: $sgpr10
	s_and_saveexec_b64 s[8:9], s[6:7]
	s_xor_b64 s[6:7], exec, s[8:9]
	s_cbranch_execnz .LBB6_2073
; %bb.25:
	s_or_saveexec_b64 s[6:7], s[6:7]
	v_mov_b32_e32 v12, s10
	s_xor_b64 exec, exec, s[6:7]
	s_cbranch_execnz .LBB6_2076
.LBB6_26:
	s_or_b64 exec, exec, s[6:7]
	s_and_saveexec_b64 s[6:7], s[4:5]
	s_cbranch_execz .LBB6_28
.LBB6_27:
	v_bfe_u32 v12, v6, 24, 3
	v_ffbh_u32_e32 v16, v12
	v_min_u32_e32 v16, 32, v16
	v_lshrrev_b32_e32 v14, 27, v6
	v_subrev_u32_e32 v17, 28, v16
	v_and_b32_e32 v13, 0x80000000, v6
	v_and_b32_e32 v14, 15, v14
	v_bfe_u32 v15, v6, 27, 4
	v_lshlrev_b32_sdwa v6, v17, v6 dst_sel:DWORD dst_unused:UNUSED_PAD src0_sel:DWORD src1_sel:BYTE_3
	v_sub_u32_e32 v16, 29, v16
	v_and_b32_e32 v6, 7, v6
	v_cmp_eq_u16_e32 vcc, 0, v14
	v_cndmask_b32_e32 v6, v12, v6, vcc
	v_cndmask_b32_e32 v12, v15, v16, vcc
	v_mov_b32_e32 v14, 0x3b800000
	v_lshlrev_b32_e32 v6, 20, v6
	v_lshl_add_u32 v12, v12, 23, v14
	v_or3_b32 v12, v13, v12, v6
.LBB6_28:
	s_or_b64 exec, exec, s[6:7]
	s_movk_i32 s4, 0x7f
	v_cmp_gt_i16_sdwa s[6:7], v2, s4 src0_sel:BYTE_3 src1_sel:DWORD
	s_mov_b64 s[4:5], 0
                                        ; implicit-def: $sgpr10
	s_and_saveexec_b64 s[8:9], s[6:7]
	s_xor_b64 s[6:7], exec, s[8:9]
	s_cbranch_execnz .LBB6_2077
; %bb.29:
	s_or_saveexec_b64 s[6:7], s[6:7]
	v_mov_b32_e32 v6, s10
	s_xor_b64 exec, exec, s[6:7]
	s_cbranch_execnz .LBB6_2080
.LBB6_30:
	s_or_b64 exec, exec, s[6:7]
	s_and_saveexec_b64 s[6:7], s[4:5]
	s_cbranch_execz .LBB6_32
.LBB6_31:
	v_bfe_u32 v6, v2, 24, 3
	v_ffbh_u32_e32 v16, v6
	v_min_u32_e32 v16, 32, v16
	v_lshrrev_b32_e32 v14, 27, v2
	v_subrev_u32_e32 v17, 28, v16
	v_and_b32_e32 v13, 0x80000000, v2
	v_and_b32_e32 v14, 15, v14
	v_bfe_u32 v15, v2, 27, 4
	v_lshlrev_b32_sdwa v2, v17, v2 dst_sel:DWORD dst_unused:UNUSED_PAD src0_sel:DWORD src1_sel:BYTE_3
	v_sub_u32_e32 v16, 29, v16
	v_and_b32_e32 v2, 7, v2
	v_cmp_eq_u16_e32 vcc, 0, v14
	v_cndmask_b32_e32 v2, v6, v2, vcc
	v_cndmask_b32_e32 v6, v15, v16, vcc
	v_mov_b32_e32 v14, 0x3b800000
	v_lshlrev_b32_e32 v2, 20, v2
	v_lshl_add_u32 v6, v6, 23, v14
	v_or3_b32 v6, v13, v6, v2
.LBB6_32:
	s_or_b64 exec, exec, s[6:7]
	s_nop 0
	v_mfma_f32_16x16x4f32 a[0:3], v12, v6, a[0:3]
	s_movk_i32 s4, 0x7f
	v_cmp_gt_i16_sdwa s[6:7], v7, s4 src0_sel:BYTE_0 src1_sel:DWORD
	s_mov_b64 s[4:5], 0
                                        ; implicit-def: $sgpr10
	s_and_saveexec_b64 s[8:9], s[6:7]
	s_xor_b64 s[6:7], exec, s[8:9]
	s_cbranch_execnz .LBB6_2081
; %bb.33:
	s_or_saveexec_b64 s[6:7], s[6:7]
	v_mov_b32_e32 v2, s10
	s_xor_b64 exec, exec, s[6:7]
	s_cbranch_execnz .LBB6_2084
.LBB6_34:
	s_or_b64 exec, exec, s[6:7]
	s_and_saveexec_b64 s[6:7], s[4:5]
	s_cbranch_execz .LBB6_36
.LBB6_35:
	v_and_b32_e32 v2, 7, v7
	v_ffbh_u32_e32 v12, v2
	v_min_u32_e32 v12, 32, v12
	v_lshrrev_b16_e32 v6, 3, v7
	v_subrev_u32_e32 v13, 28, v12
	v_and_b32_e32 v6, 15, v6
	v_lshlrev_b32_e32 v13, v13, v7
	v_sub_u32_e32 v12, 29, v12
	v_and_b32_e32 v13, 7, v13
	v_cmp_eq_u16_e32 vcc, 0, v6
	v_cndmask_b32_e32 v2, v2, v13, vcc
	v_cndmask_b32_e32 v6, v6, v12, vcc
	v_lshlrev_b32_e32 v12, 24, v7
	v_mov_b32_e32 v13, 0x3b800000
	v_lshlrev_b32_e32 v2, 20, v2
	v_and_b32_e32 v12, 0x80000000, v12
	v_lshl_add_u32 v6, v6, 23, v13
	v_or3_b32 v2, v12, v6, v2
.LBB6_36:
	s_or_b64 exec, exec, s[6:7]
	s_movk_i32 s4, 0x7f
	v_cmp_gt_i16_sdwa s[6:7], v3, s4 src0_sel:BYTE_0 src1_sel:DWORD
	s_mov_b64 s[4:5], 0
                                        ; implicit-def: $sgpr10
	s_and_saveexec_b64 s[8:9], s[6:7]
	s_xor_b64 s[6:7], exec, s[8:9]
	s_cbranch_execnz .LBB6_2085
; %bb.37:
	s_or_saveexec_b64 s[6:7], s[6:7]
	v_mov_b32_e32 v6, s10
	s_xor_b64 exec, exec, s[6:7]
	s_cbranch_execnz .LBB6_2088
.LBB6_38:
	s_or_b64 exec, exec, s[6:7]
	s_and_saveexec_b64 s[6:7], s[4:5]
	s_cbranch_execz .LBB6_40
.LBB6_39:
	v_and_b32_e32 v6, 7, v3
	v_ffbh_u32_e32 v13, v6
	v_min_u32_e32 v13, 32, v13
	v_lshrrev_b16_e32 v12, 3, v3
	v_subrev_u32_e32 v14, 28, v13
	v_and_b32_e32 v12, 15, v12
	v_lshlrev_b32_e32 v14, v14, v3
	v_sub_u32_e32 v13, 29, v13
	v_and_b32_e32 v14, 7, v14
	v_cmp_eq_u16_e32 vcc, 0, v12
	v_cndmask_b32_e32 v6, v6, v14, vcc
	v_cndmask_b32_e32 v12, v12, v13, vcc
	v_lshlrev_b32_e32 v13, 24, v3
	v_mov_b32_e32 v14, 0x3b800000
	v_lshlrev_b32_e32 v6, 20, v6
	v_and_b32_e32 v13, 0x80000000, v13
	v_lshl_add_u32 v12, v12, 23, v14
	v_or3_b32 v6, v13, v12, v6
.LBB6_40:
	s_or_b64 exec, exec, s[6:7]
	s_nop 0
	v_mfma_f32_16x16x4f32 a[0:3], v2, v6, a[0:3]
	v_lshrrev_b32_e32 v6, 8, v7
	s_movk_i32 s4, 0x7f
	v_cmp_gt_i16_sdwa s[6:7], v6, s4 src0_sel:BYTE_0 src1_sel:DWORD
	s_mov_b64 s[4:5], 0
                                        ; implicit-def: $sgpr10
	s_and_saveexec_b64 s[8:9], s[6:7]
	s_xor_b64 s[6:7], exec, s[8:9]
	s_cbranch_execnz .LBB6_2089
; %bb.41:
	s_or_saveexec_b64 s[6:7], s[6:7]
	v_mov_b32_e32 v2, s10
	s_xor_b64 exec, exec, s[6:7]
	s_cbranch_execnz .LBB6_2092
.LBB6_42:
	s_or_b64 exec, exec, s[6:7]
	s_and_saveexec_b64 s[6:7], s[4:5]
	s_cbranch_execz .LBB6_44
.LBB6_43:
	v_bfe_u32 v2, v7, 8, 3
	v_ffbh_u32_e32 v13, v2
	v_min_u32_e32 v13, 32, v13
	v_lshrrev_b16_e32 v12, 3, v6
	v_subrev_u32_e32 v14, 28, v13
	v_and_b32_e32 v12, 15, v12
	v_lshlrev_b32_e32 v6, v14, v6
	v_sub_u32_e32 v13, 29, v13
	v_and_b32_e32 v6, 7, v6
	v_cmp_eq_u16_e32 vcc, 0, v12
	v_cndmask_b32_e32 v2, v2, v6, vcc
	v_cndmask_b32_e32 v6, v12, v13, vcc
	v_lshlrev_b32_e32 v12, 16, v7
	v_mov_b32_e32 v13, 0x3b800000
	v_lshlrev_b32_e32 v2, 20, v2
	v_and_b32_e32 v12, 0x80000000, v12
	v_lshl_add_u32 v6, v6, 23, v13
	v_or3_b32 v2, v12, v6, v2
.LBB6_44:
	s_or_b64 exec, exec, s[6:7]
	v_lshrrev_b32_e32 v6, 8, v3
	s_movk_i32 s4, 0x7f
	v_cmp_gt_i16_sdwa s[6:7], v6, s4 src0_sel:BYTE_0 src1_sel:DWORD
	s_mov_b64 s[4:5], 0
                                        ; implicit-def: $sgpr10
	s_and_saveexec_b64 s[8:9], s[6:7]
	s_xor_b64 s[6:7], exec, s[8:9]
	s_cbranch_execnz .LBB6_2093
; %bb.45:
	s_or_saveexec_b64 s[6:7], s[6:7]
	v_mov_b32_e32 v12, s10
	s_xor_b64 exec, exec, s[6:7]
	s_cbranch_execnz .LBB6_2096
.LBB6_46:
	s_or_b64 exec, exec, s[6:7]
	s_and_saveexec_b64 s[6:7], s[4:5]
	s_cbranch_execz .LBB6_48
.LBB6_47:
	v_bfe_u32 v12, v3, 8, 3
	v_ffbh_u32_e32 v14, v12
	v_min_u32_e32 v14, 32, v14
	v_lshrrev_b16_e32 v13, 3, v6
	v_subrev_u32_e32 v15, 28, v14
	v_and_b32_e32 v13, 15, v13
	v_lshlrev_b32_e32 v6, v15, v6
	v_sub_u32_e32 v14, 29, v14
	v_and_b32_e32 v6, 7, v6
	v_cmp_eq_u16_e32 vcc, 0, v13
	v_cndmask_b32_e32 v6, v12, v6, vcc
	v_cndmask_b32_e32 v12, v13, v14, vcc
	v_lshlrev_b32_e32 v13, 16, v3
	v_mov_b32_e32 v14, 0x3b800000
	v_lshlrev_b32_e32 v6, 20, v6
	v_and_b32_e32 v13, 0x80000000, v13
	v_lshl_add_u32 v12, v12, 23, v14
	v_or3_b32 v12, v13, v12, v6
.LBB6_48:
	s_or_b64 exec, exec, s[6:7]
	s_nop 0
	v_mfma_f32_16x16x4f32 a[0:3], v2, v12, a[0:3]
	s_movk_i32 s4, 0xff
	v_and_b32_sdwa v6, v7, s4 dst_sel:DWORD dst_unused:UNUSED_PAD src0_sel:WORD_1 src1_sel:DWORD
	s_movk_i32 s4, 0x7f
	v_cmp_lt_i16_e32 vcc, s4, v6
	s_mov_b64 s[4:5], 0
                                        ; implicit-def: $sgpr10
	s_and_saveexec_b64 s[6:7], vcc
	s_xor_b64 s[6:7], exec, s[6:7]
	s_cbranch_execnz .LBB6_2097
; %bb.49:
	s_or_saveexec_b64 s[6:7], s[6:7]
	v_mov_b32_e32 v2, s10
	s_xor_b64 exec, exec, s[6:7]
	s_cbranch_execnz .LBB6_2100
.LBB6_50:
	s_or_b64 exec, exec, s[6:7]
	s_and_saveexec_b64 s[6:7], s[4:5]
	s_cbranch_execz .LBB6_52
.LBB6_51:
	v_bfe_u32 v2, v7, 16, 3
	v_ffbh_u32_e32 v13, v2
	v_min_u32_e32 v13, 32, v13
	v_lshrrev_b32_e32 v6, 19, v7
	v_subrev_u32_e32 v14, 28, v13
	v_and_b32_e32 v6, 15, v6
	v_lshlrev_b32_sdwa v14, v14, v7 dst_sel:DWORD dst_unused:UNUSED_PAD src0_sel:DWORD src1_sel:WORD_1
	v_bfe_u32 v12, v7, 19, 4
	v_sub_u32_e32 v13, 29, v13
	v_and_b32_e32 v14, 7, v14
	v_cmp_eq_u16_e32 vcc, 0, v6
	v_cndmask_b32_e32 v2, v2, v14, vcc
	v_cndmask_b32_e32 v6, v12, v13, vcc
	v_lshlrev_b32_e32 v12, 8, v7
	v_mov_b32_e32 v13, 0x3b800000
	v_lshlrev_b32_e32 v2, 20, v2
	v_and_b32_e32 v12, 0x80000000, v12
	v_lshl_add_u32 v6, v6, 23, v13
	v_or3_b32 v2, v12, v6, v2
.LBB6_52:
	s_or_b64 exec, exec, s[6:7]
	s_movk_i32 s4, 0xff
	v_and_b32_sdwa v6, v3, s4 dst_sel:DWORD dst_unused:UNUSED_PAD src0_sel:WORD_1 src1_sel:DWORD
	s_movk_i32 s4, 0x7f
	v_cmp_lt_i16_e32 vcc, s4, v6
	s_mov_b64 s[4:5], 0
                                        ; implicit-def: $sgpr10
	s_and_saveexec_b64 s[6:7], vcc
	s_xor_b64 s[6:7], exec, s[6:7]
	s_cbranch_execnz .LBB6_2101
; %bb.53:
	s_or_saveexec_b64 s[6:7], s[6:7]
	v_mov_b32_e32 v12, s10
	s_xor_b64 exec, exec, s[6:7]
	s_cbranch_execnz .LBB6_2104
.LBB6_54:
	s_or_b64 exec, exec, s[6:7]
	s_and_saveexec_b64 s[6:7], s[4:5]
	s_cbranch_execz .LBB6_56
.LBB6_55:
	v_bfe_u32 v6, v3, 16, 3
	v_ffbh_u32_e32 v14, v6
	v_min_u32_e32 v14, 32, v14
	v_lshrrev_b32_e32 v12, 19, v3
	v_subrev_u32_e32 v15, 28, v14
	v_and_b32_e32 v12, 15, v12
	v_lshlrev_b32_sdwa v15, v15, v3 dst_sel:DWORD dst_unused:UNUSED_PAD src0_sel:DWORD src1_sel:WORD_1
	v_bfe_u32 v13, v3, 19, 4
	v_sub_u32_e32 v14, 29, v14
	v_and_b32_e32 v15, 7, v15
	v_cmp_eq_u16_e32 vcc, 0, v12
	v_cndmask_b32_e32 v6, v6, v15, vcc
	v_cndmask_b32_e32 v12, v13, v14, vcc
	v_lshlrev_b32_e32 v13, 8, v3
	v_mov_b32_e32 v14, 0x3b800000
	v_lshlrev_b32_e32 v6, 20, v6
	v_and_b32_e32 v13, 0x80000000, v13
	v_lshl_add_u32 v12, v12, 23, v14
	v_or3_b32 v12, v13, v12, v6
.LBB6_56:
	s_or_b64 exec, exec, s[6:7]
	s_nop 0
	v_mfma_f32_16x16x4f32 a[0:3], v2, v12, a[0:3]
	s_movk_i32 s4, 0x7f
	v_cmp_gt_i16_sdwa s[6:7], v7, s4 src0_sel:BYTE_3 src1_sel:DWORD
	s_mov_b64 s[4:5], 0
                                        ; implicit-def: $sgpr10
	s_and_saveexec_b64 s[8:9], s[6:7]
	s_xor_b64 s[6:7], exec, s[8:9]
	s_cbranch_execnz .LBB6_2105
; %bb.57:
	s_or_saveexec_b64 s[6:7], s[6:7]
	v_mov_b32_e32 v2, s10
	s_xor_b64 exec, exec, s[6:7]
	s_cbranch_execnz .LBB6_2108
.LBB6_58:
	s_or_b64 exec, exec, s[6:7]
	s_and_saveexec_b64 s[6:7], s[4:5]
	s_cbranch_execz .LBB6_60
.LBB6_59:
	v_bfe_u32 v2, v7, 24, 3
	v_ffbh_u32_e32 v14, v2
	v_min_u32_e32 v14, 32, v14
	v_lshrrev_b32_e32 v12, 27, v7
	v_subrev_u32_e32 v15, 28, v14
	v_and_b32_e32 v6, 0x80000000, v7
	v_and_b32_e32 v12, 15, v12
	v_bfe_u32 v13, v7, 27, 4
	v_lshlrev_b32_sdwa v7, v15, v7 dst_sel:DWORD dst_unused:UNUSED_PAD src0_sel:DWORD src1_sel:BYTE_3
	v_sub_u32_e32 v14, 29, v14
	v_and_b32_e32 v7, 7, v7
	v_cmp_eq_u16_e32 vcc, 0, v12
	v_cndmask_b32_e32 v2, v2, v7, vcc
	v_cndmask_b32_e32 v7, v13, v14, vcc
	v_mov_b32_e32 v12, 0x3b800000
	v_lshlrev_b32_e32 v2, 20, v2
	v_lshl_add_u32 v7, v7, 23, v12
	v_or3_b32 v2, v6, v7, v2
.LBB6_60:
	s_or_b64 exec, exec, s[6:7]
	s_movk_i32 s4, 0x7f
	v_cmp_gt_i16_sdwa s[6:7], v3, s4 src0_sel:BYTE_3 src1_sel:DWORD
	s_mov_b64 s[4:5], 0
                                        ; implicit-def: $sgpr10
	s_and_saveexec_b64 s[8:9], s[6:7]
	s_xor_b64 s[6:7], exec, s[8:9]
	s_cbranch_execnz .LBB6_2109
; %bb.61:
	s_or_saveexec_b64 s[6:7], s[6:7]
	v_mov_b32_e32 v6, s10
	s_xor_b64 exec, exec, s[6:7]
	s_cbranch_execnz .LBB6_2112
.LBB6_62:
	s_or_b64 exec, exec, s[6:7]
	s_and_saveexec_b64 s[6:7], s[4:5]
	s_cbranch_execz .LBB6_64
.LBB6_63:
	v_bfe_u32 v6, v3, 24, 3
	v_ffbh_u32_e32 v14, v6
	v_min_u32_e32 v14, 32, v14
	v_lshrrev_b32_e32 v12, 27, v3
	v_subrev_u32_e32 v15, 28, v14
	v_and_b32_e32 v7, 0x80000000, v3
	v_and_b32_e32 v12, 15, v12
	v_bfe_u32 v13, v3, 27, 4
	v_lshlrev_b32_sdwa v3, v15, v3 dst_sel:DWORD dst_unused:UNUSED_PAD src0_sel:DWORD src1_sel:BYTE_3
	v_sub_u32_e32 v14, 29, v14
	v_and_b32_e32 v3, 7, v3
	v_cmp_eq_u16_e32 vcc, 0, v12
	v_cndmask_b32_e32 v3, v6, v3, vcc
	v_cndmask_b32_e32 v6, v13, v14, vcc
	v_mov_b32_e32 v12, 0x3b800000
	v_lshlrev_b32_e32 v3, 20, v3
	v_lshl_add_u32 v6, v6, 23, v12
	v_or3_b32 v6, v7, v6, v3
.LBB6_64:
	s_or_b64 exec, exec, s[6:7]
	s_nop 0
	v_mfma_f32_16x16x4f32 a[0:3], v2, v6, a[0:3]
	s_movk_i32 s4, 0x7f
	v_cmp_gt_i16_sdwa s[6:7], v8, s4 src0_sel:BYTE_0 src1_sel:DWORD
	s_mov_b64 s[4:5], 0
                                        ; implicit-def: $sgpr10
	s_and_saveexec_b64 s[8:9], s[6:7]
	s_xor_b64 s[6:7], exec, s[8:9]
	s_cbranch_execnz .LBB6_2113
; %bb.65:
	s_or_saveexec_b64 s[6:7], s[6:7]
	v_mov_b32_e32 v2, s10
	s_xor_b64 exec, exec, s[6:7]
	s_cbranch_execnz .LBB6_2116
.LBB6_66:
	s_or_b64 exec, exec, s[6:7]
	s_and_saveexec_b64 s[6:7], s[4:5]
	s_cbranch_execz .LBB6_68
.LBB6_67:
	v_and_b32_e32 v2, 7, v8
	v_ffbh_u32_e32 v6, v2
	v_min_u32_e32 v6, 32, v6
	v_lshrrev_b16_e32 v3, 3, v8
	v_subrev_u32_e32 v7, 28, v6
	v_and_b32_e32 v3, 15, v3
	v_lshlrev_b32_e32 v7, v7, v8
	v_sub_u32_e32 v6, 29, v6
	v_and_b32_e32 v7, 7, v7
	v_cmp_eq_u16_e32 vcc, 0, v3
	v_cndmask_b32_e32 v2, v2, v7, vcc
	v_cndmask_b32_e32 v3, v3, v6, vcc
	v_lshlrev_b32_e32 v6, 24, v8
	v_mov_b32_e32 v7, 0x3b800000
	v_lshlrev_b32_e32 v2, 20, v2
	v_and_b32_e32 v6, 0x80000000, v6
	v_lshl_add_u32 v3, v3, 23, v7
	v_or3_b32 v2, v6, v3, v2
.LBB6_68:
	s_or_b64 exec, exec, s[6:7]
	s_movk_i32 s4, 0x7f
	v_cmp_gt_i16_sdwa s[6:7], v4, s4 src0_sel:BYTE_0 src1_sel:DWORD
	s_mov_b64 s[4:5], 0
                                        ; implicit-def: $sgpr10
	s_and_saveexec_b64 s[8:9], s[6:7]
	s_xor_b64 s[6:7], exec, s[8:9]
	s_cbranch_execnz .LBB6_2117
; %bb.69:
	s_or_saveexec_b64 s[6:7], s[6:7]
	v_mov_b32_e32 v3, s10
	s_xor_b64 exec, exec, s[6:7]
	s_cbranch_execnz .LBB6_2120
.LBB6_70:
	s_or_b64 exec, exec, s[6:7]
	s_and_saveexec_b64 s[6:7], s[4:5]
	s_cbranch_execz .LBB6_72
.LBB6_71:
	v_and_b32_e32 v3, 7, v4
	v_ffbh_u32_e32 v7, v3
	v_min_u32_e32 v7, 32, v7
	v_lshrrev_b16_e32 v6, 3, v4
	v_subrev_u32_e32 v12, 28, v7
	v_and_b32_e32 v6, 15, v6
	v_lshlrev_b32_e32 v12, v12, v4
	v_sub_u32_e32 v7, 29, v7
	v_and_b32_e32 v12, 7, v12
	v_cmp_eq_u16_e32 vcc, 0, v6
	v_cndmask_b32_e32 v3, v3, v12, vcc
	v_cndmask_b32_e32 v6, v6, v7, vcc
	v_lshlrev_b32_e32 v7, 24, v4
	v_mov_b32_e32 v12, 0x3b800000
	v_lshlrev_b32_e32 v3, 20, v3
	v_and_b32_e32 v7, 0x80000000, v7
	v_lshl_add_u32 v6, v6, 23, v12
	v_or3_b32 v3, v7, v6, v3
.LBB6_72:
	s_or_b64 exec, exec, s[6:7]
	s_nop 0
	v_mfma_f32_16x16x4f32 a[0:3], v2, v3, a[0:3]
	v_lshrrev_b32_e32 v3, 8, v8
	s_movk_i32 s4, 0x7f
	v_cmp_gt_i16_sdwa s[6:7], v3, s4 src0_sel:BYTE_0 src1_sel:DWORD
	s_mov_b64 s[4:5], 0
                                        ; implicit-def: $sgpr10
	s_and_saveexec_b64 s[8:9], s[6:7]
	s_xor_b64 s[6:7], exec, s[8:9]
	s_cbranch_execnz .LBB6_2121
; %bb.73:
	s_or_saveexec_b64 s[6:7], s[6:7]
	v_mov_b32_e32 v2, s10
	s_xor_b64 exec, exec, s[6:7]
	s_cbranch_execnz .LBB6_2124
.LBB6_74:
	s_or_b64 exec, exec, s[6:7]
	s_and_saveexec_b64 s[6:7], s[4:5]
	s_cbranch_execz .LBB6_76
.LBB6_75:
	v_bfe_u32 v2, v8, 8, 3
	v_ffbh_u32_e32 v7, v2
	v_min_u32_e32 v7, 32, v7
	v_lshrrev_b16_e32 v6, 3, v3
	v_subrev_u32_e32 v12, 28, v7
	v_and_b32_e32 v6, 15, v6
	v_lshlrev_b32_e32 v3, v12, v3
	v_sub_u32_e32 v7, 29, v7
	v_and_b32_e32 v3, 7, v3
	v_cmp_eq_u16_e32 vcc, 0, v6
	v_cndmask_b32_e32 v2, v2, v3, vcc
	v_cndmask_b32_e32 v3, v6, v7, vcc
	v_lshlrev_b32_e32 v6, 16, v8
	v_mov_b32_e32 v7, 0x3b800000
	v_lshlrev_b32_e32 v2, 20, v2
	v_and_b32_e32 v6, 0x80000000, v6
	v_lshl_add_u32 v3, v3, 23, v7
	v_or3_b32 v2, v6, v3, v2
.LBB6_76:
	s_or_b64 exec, exec, s[6:7]
	v_lshrrev_b32_e32 v3, 8, v4
	s_movk_i32 s4, 0x7f
	v_cmp_gt_i16_sdwa s[6:7], v3, s4 src0_sel:BYTE_0 src1_sel:DWORD
	s_mov_b64 s[4:5], 0
                                        ; implicit-def: $sgpr10
	s_and_saveexec_b64 s[8:9], s[6:7]
	s_xor_b64 s[6:7], exec, s[8:9]
	s_cbranch_execnz .LBB6_2125
; %bb.77:
	s_or_saveexec_b64 s[6:7], s[6:7]
	v_mov_b32_e32 v6, s10
	s_xor_b64 exec, exec, s[6:7]
	s_cbranch_execnz .LBB6_2128
.LBB6_78:
	s_or_b64 exec, exec, s[6:7]
	s_and_saveexec_b64 s[6:7], s[4:5]
	s_cbranch_execz .LBB6_80
.LBB6_79:
	v_bfe_u32 v6, v4, 8, 3
	v_ffbh_u32_e32 v12, v6
	v_min_u32_e32 v12, 32, v12
	v_lshrrev_b16_e32 v7, 3, v3
	v_subrev_u32_e32 v13, 28, v12
	v_and_b32_e32 v7, 15, v7
	v_lshlrev_b32_e32 v3, v13, v3
	v_sub_u32_e32 v12, 29, v12
	v_and_b32_e32 v3, 7, v3
	v_cmp_eq_u16_e32 vcc, 0, v7
	v_cndmask_b32_e32 v3, v6, v3, vcc
	v_cndmask_b32_e32 v6, v7, v12, vcc
	v_lshlrev_b32_e32 v7, 16, v4
	v_mov_b32_e32 v12, 0x3b800000
	v_lshlrev_b32_e32 v3, 20, v3
	v_and_b32_e32 v7, 0x80000000, v7
	v_lshl_add_u32 v6, v6, 23, v12
	v_or3_b32 v6, v7, v6, v3
.LBB6_80:
	s_or_b64 exec, exec, s[6:7]
	s_nop 0
	v_mfma_f32_16x16x4f32 a[0:3], v2, v6, a[0:3]
	s_movk_i32 s4, 0xff
	v_and_b32_sdwa v3, v8, s4 dst_sel:DWORD dst_unused:UNUSED_PAD src0_sel:WORD_1 src1_sel:DWORD
	s_movk_i32 s4, 0x7f
	v_cmp_lt_i16_e32 vcc, s4, v3
	s_mov_b64 s[4:5], 0
                                        ; implicit-def: $sgpr10
	s_and_saveexec_b64 s[6:7], vcc
	s_xor_b64 s[6:7], exec, s[6:7]
	s_cbranch_execnz .LBB6_2129
; %bb.81:
	s_or_saveexec_b64 s[6:7], s[6:7]
	v_mov_b32_e32 v2, s10
	s_xor_b64 exec, exec, s[6:7]
	s_cbranch_execnz .LBB6_2132
.LBB6_82:
	s_or_b64 exec, exec, s[6:7]
	s_and_saveexec_b64 s[6:7], s[4:5]
	s_cbranch_execz .LBB6_84
.LBB6_83:
	v_bfe_u32 v2, v8, 16, 3
	v_ffbh_u32_e32 v7, v2
	v_min_u32_e32 v7, 32, v7
	v_lshrrev_b32_e32 v3, 19, v8
	v_subrev_u32_e32 v12, 28, v7
	v_and_b32_e32 v3, 15, v3
	v_lshlrev_b32_sdwa v12, v12, v8 dst_sel:DWORD dst_unused:UNUSED_PAD src0_sel:DWORD src1_sel:WORD_1
	v_bfe_u32 v6, v8, 19, 4
	v_sub_u32_e32 v7, 29, v7
	v_and_b32_e32 v12, 7, v12
	v_cmp_eq_u16_e32 vcc, 0, v3
	v_cndmask_b32_e32 v2, v2, v12, vcc
	v_cndmask_b32_e32 v3, v6, v7, vcc
	v_lshlrev_b32_e32 v6, 8, v8
	v_mov_b32_e32 v7, 0x3b800000
	v_lshlrev_b32_e32 v2, 20, v2
	v_and_b32_e32 v6, 0x80000000, v6
	v_lshl_add_u32 v3, v3, 23, v7
	v_or3_b32 v2, v6, v3, v2
.LBB6_84:
	s_or_b64 exec, exec, s[6:7]
	s_movk_i32 s4, 0xff
	v_and_b32_sdwa v3, v4, s4 dst_sel:DWORD dst_unused:UNUSED_PAD src0_sel:WORD_1 src1_sel:DWORD
	s_movk_i32 s4, 0x7f
	v_cmp_lt_i16_e32 vcc, s4, v3
	s_mov_b64 s[4:5], 0
                                        ; implicit-def: $sgpr10
	s_and_saveexec_b64 s[6:7], vcc
	s_xor_b64 s[6:7], exec, s[6:7]
	s_cbranch_execnz .LBB6_2133
; %bb.85:
	s_or_saveexec_b64 s[6:7], s[6:7]
	v_mov_b32_e32 v6, s10
	s_xor_b64 exec, exec, s[6:7]
	s_cbranch_execnz .LBB6_2136
.LBB6_86:
	s_or_b64 exec, exec, s[6:7]
	s_and_saveexec_b64 s[6:7], s[4:5]
	s_cbranch_execz .LBB6_88
.LBB6_87:
	v_bfe_u32 v3, v4, 16, 3
	v_ffbh_u32_e32 v12, v3
	v_min_u32_e32 v12, 32, v12
	v_lshrrev_b32_e32 v6, 19, v4
	v_subrev_u32_e32 v13, 28, v12
	v_and_b32_e32 v6, 15, v6
	v_lshlrev_b32_sdwa v13, v13, v4 dst_sel:DWORD dst_unused:UNUSED_PAD src0_sel:DWORD src1_sel:WORD_1
	v_bfe_u32 v7, v4, 19, 4
	v_sub_u32_e32 v12, 29, v12
	v_and_b32_e32 v13, 7, v13
	v_cmp_eq_u16_e32 vcc, 0, v6
	v_cndmask_b32_e32 v3, v3, v13, vcc
	v_cndmask_b32_e32 v6, v7, v12, vcc
	v_lshlrev_b32_e32 v7, 8, v4
	v_mov_b32_e32 v12, 0x3b800000
	v_lshlrev_b32_e32 v3, 20, v3
	v_and_b32_e32 v7, 0x80000000, v7
	v_lshl_add_u32 v6, v6, 23, v12
	v_or3_b32 v6, v7, v6, v3
.LBB6_88:
	s_or_b64 exec, exec, s[6:7]
	s_nop 0
	v_mfma_f32_16x16x4f32 a[0:3], v2, v6, a[0:3]
	s_movk_i32 s4, 0x7f
	v_cmp_gt_i16_sdwa s[6:7], v8, s4 src0_sel:BYTE_3 src1_sel:DWORD
	s_mov_b64 s[4:5], 0
                                        ; implicit-def: $sgpr10
	s_and_saveexec_b64 s[8:9], s[6:7]
	s_xor_b64 s[6:7], exec, s[8:9]
	s_cbranch_execnz .LBB6_2137
; %bb.89:
	s_or_saveexec_b64 s[6:7], s[6:7]
	v_mov_b32_e32 v2, s10
	s_xor_b64 exec, exec, s[6:7]
	s_cbranch_execnz .LBB6_2140
.LBB6_90:
	s_or_b64 exec, exec, s[6:7]
	s_and_saveexec_b64 s[6:7], s[4:5]
	s_cbranch_execz .LBB6_92
.LBB6_91:
	v_bfe_u32 v2, v8, 24, 3
	v_ffbh_u32_e32 v12, v2
	v_min_u32_e32 v12, 32, v12
	v_lshrrev_b32_e32 v6, 27, v8
	v_subrev_u32_e32 v13, 28, v12
	v_and_b32_e32 v3, 0x80000000, v8
	v_and_b32_e32 v6, 15, v6
	v_bfe_u32 v7, v8, 27, 4
	v_lshlrev_b32_sdwa v8, v13, v8 dst_sel:DWORD dst_unused:UNUSED_PAD src0_sel:DWORD src1_sel:BYTE_3
	v_sub_u32_e32 v12, 29, v12
	v_and_b32_e32 v8, 7, v8
	v_cmp_eq_u16_e32 vcc, 0, v6
	v_cndmask_b32_e32 v2, v2, v8, vcc
	v_cndmask_b32_e32 v6, v7, v12, vcc
	v_mov_b32_e32 v7, 0x3b800000
	v_lshlrev_b32_e32 v2, 20, v2
	v_lshl_add_u32 v6, v6, 23, v7
	v_or3_b32 v2, v3, v6, v2
.LBB6_92:
	s_or_b64 exec, exec, s[6:7]
	s_movk_i32 s4, 0x7f
	v_cmp_gt_i16_sdwa s[6:7], v4, s4 src0_sel:BYTE_3 src1_sel:DWORD
	s_mov_b64 s[4:5], 0
                                        ; implicit-def: $sgpr10
	s_and_saveexec_b64 s[8:9], s[6:7]
	s_xor_b64 s[6:7], exec, s[8:9]
	s_cbranch_execnz .LBB6_2141
; %bb.93:
	s_or_saveexec_b64 s[6:7], s[6:7]
	v_mov_b32_e32 v3, s10
	s_xor_b64 exec, exec, s[6:7]
	s_cbranch_execnz .LBB6_2144
.LBB6_94:
	s_or_b64 exec, exec, s[6:7]
	s_and_saveexec_b64 s[6:7], s[4:5]
	s_cbranch_execz .LBB6_96
.LBB6_95:
	v_bfe_u32 v3, v4, 24, 3
	v_ffbh_u32_e32 v12, v3
	v_min_u32_e32 v12, 32, v12
	v_lshrrev_b32_e32 v7, 27, v4
	v_subrev_u32_e32 v13, 28, v12
	v_and_b32_e32 v6, 0x80000000, v4
	v_and_b32_e32 v7, 15, v7
	v_bfe_u32 v8, v4, 27, 4
	v_lshlrev_b32_sdwa v4, v13, v4 dst_sel:DWORD dst_unused:UNUSED_PAD src0_sel:DWORD src1_sel:BYTE_3
	v_sub_u32_e32 v12, 29, v12
	v_and_b32_e32 v4, 7, v4
	v_cmp_eq_u16_e32 vcc, 0, v7
	v_cndmask_b32_e32 v3, v3, v4, vcc
	v_cndmask_b32_e32 v4, v8, v12, vcc
	v_mov_b32_e32 v7, 0x3b800000
	v_lshlrev_b32_e32 v3, 20, v3
	v_lshl_add_u32 v4, v4, 23, v7
	v_or3_b32 v3, v6, v4, v3
.LBB6_96:
	s_or_b64 exec, exec, s[6:7]
	s_nop 0
	v_mfma_f32_16x16x4f32 a[0:3], v2, v3, a[0:3]
	s_movk_i32 s4, 0x7f
	v_cmp_gt_i16_sdwa s[6:7], v9, s4 src0_sel:BYTE_0 src1_sel:DWORD
	s_mov_b64 s[4:5], 0
                                        ; implicit-def: $sgpr10
	s_and_saveexec_b64 s[8:9], s[6:7]
	s_xor_b64 s[6:7], exec, s[8:9]
	s_cbranch_execnz .LBB6_2145
; %bb.97:
	s_or_saveexec_b64 s[6:7], s[6:7]
	v_mov_b32_e32 v2, s10
	s_xor_b64 exec, exec, s[6:7]
	s_cbranch_execnz .LBB6_2148
.LBB6_98:
	s_or_b64 exec, exec, s[6:7]
	s_and_saveexec_b64 s[6:7], s[4:5]
	s_cbranch_execz .LBB6_100
.LBB6_99:
	v_mov_b32_e32 v2, 8
	v_and_b32_e32 v3, 7, v9
	v_lshrrev_b32_sdwa v2, v2, v9 dst_sel:BYTE_1 dst_unused:UNUSED_PAD src0_sel:DWORD src1_sel:DWORD
	v_ffbh_u32_e32 v4, v3
	v_or_b32_sdwa v2, v9, v2 dst_sel:DWORD dst_unused:UNUSED_PAD src0_sel:BYTE_0 src1_sel:DWORD
	v_min_u32_e32 v4, 32, v4
	v_lshrrev_b16_e32 v2, 3, v2
	v_subrev_u32_e32 v6, 28, v4
	v_and_b32_e32 v2, 15, v2
	v_lshlrev_b32_e32 v6, v6, v9
	v_sub_u32_e32 v4, 29, v4
	v_and_b32_e32 v6, 7, v6
	v_cmp_eq_u16_e32 vcc, 0, v2
	v_cndmask_b32_e32 v3, v3, v6, vcc
	v_cndmask_b32_e32 v2, v2, v4, vcc
	v_lshlrev_b32_e32 v4, 24, v9
	v_mov_b32_e32 v6, 0x3b800000
	v_lshlrev_b32_e32 v3, 20, v3
	v_and_b32_e32 v4, 0x80000000, v4
	v_lshl_add_u32 v2, v2, 23, v6
	v_or3_b32 v2, v4, v2, v3
.LBB6_100:
	s_or_b64 exec, exec, s[6:7]
	s_movk_i32 s4, 0x7f
	v_cmp_gt_i16_sdwa s[6:7], v5, s4 src0_sel:BYTE_0 src1_sel:DWORD
	s_mov_b64 s[4:5], 0
                                        ; implicit-def: $sgpr10
	s_and_saveexec_b64 s[8:9], s[6:7]
	s_xor_b64 s[6:7], exec, s[8:9]
	s_cbranch_execnz .LBB6_2149
; %bb.101:
	s_or_saveexec_b64 s[6:7], s[6:7]
	v_mov_b32_e32 v3, s10
	s_xor_b64 exec, exec, s[6:7]
	s_cbranch_execnz .LBB6_2152
.LBB6_102:
	s_or_b64 exec, exec, s[6:7]
	s_and_saveexec_b64 s[6:7], s[4:5]
	s_cbranch_execz .LBB6_104
.LBB6_103:
	v_mov_b32_e32 v3, 8
	v_and_b32_e32 v4, 7, v5
	v_lshrrev_b32_sdwa v3, v3, v5 dst_sel:BYTE_1 dst_unused:UNUSED_PAD src0_sel:DWORD src1_sel:DWORD
	v_ffbh_u32_e32 v6, v4
	v_or_b32_sdwa v3, v5, v3 dst_sel:DWORD dst_unused:UNUSED_PAD src0_sel:BYTE_0 src1_sel:DWORD
	v_min_u32_e32 v6, 32, v6
	v_lshrrev_b16_e32 v3, 3, v3
	v_subrev_u32_e32 v7, 28, v6
	v_and_b32_e32 v3, 15, v3
	v_lshlrev_b32_e32 v7, v7, v5
	v_sub_u32_e32 v6, 29, v6
	v_and_b32_e32 v7, 7, v7
	v_cmp_eq_u16_e32 vcc, 0, v3
	v_cndmask_b32_e32 v4, v4, v7, vcc
	v_cndmask_b32_e32 v3, v3, v6, vcc
	v_lshlrev_b32_e32 v6, 24, v5
	v_mov_b32_e32 v7, 0x3b800000
	v_lshlrev_b32_e32 v4, 20, v4
	v_and_b32_e32 v6, 0x80000000, v6
	v_lshl_add_u32 v3, v3, 23, v7
	v_or3_b32 v3, v6, v3, v4
.LBB6_104:
	s_or_b64 exec, exec, s[6:7]
	s_nop 0
	v_mfma_f32_16x16x4f32 a[0:3], v2, v3, a[0:3]
	v_lshrrev_b32_e32 v3, 8, v9
	s_movk_i32 s4, 0x7f
	v_cmp_gt_i16_sdwa s[6:7], v3, s4 src0_sel:BYTE_0 src1_sel:DWORD
	s_mov_b64 s[4:5], 0
                                        ; implicit-def: $sgpr10
	s_and_saveexec_b64 s[8:9], s[6:7]
	s_xor_b64 s[6:7], exec, s[8:9]
	s_cbranch_execnz .LBB6_2153
; %bb.105:
	s_or_saveexec_b64 s[6:7], s[6:7]
	v_mov_b32_e32 v2, s10
	s_xor_b64 exec, exec, s[6:7]
	s_cbranch_execnz .LBB6_2156
.LBB6_106:
	s_or_b64 exec, exec, s[6:7]
	s_and_saveexec_b64 s[6:7], s[4:5]
	s_cbranch_execz .LBB6_108
.LBB6_107:
	v_bfe_u32 v2, v9, 8, 3
	v_ffbh_u32_e32 v6, v2
	v_min_u32_e32 v6, 32, v6
	v_lshrrev_b16_e32 v4, 3, v3
	v_subrev_u32_e32 v7, 28, v6
	v_and_b32_e32 v4, 15, v4
	v_lshlrev_b32_e32 v3, v7, v3
	v_sub_u32_e32 v6, 29, v6
	v_and_b32_e32 v3, 7, v3
	v_cmp_eq_u16_e32 vcc, 0, v4
	v_cndmask_b32_e32 v2, v2, v3, vcc
	v_cndmask_b32_e32 v3, v4, v6, vcc
	v_lshlrev_b32_e32 v4, 16, v9
	v_mov_b32_e32 v6, 0x3b800000
	v_lshlrev_b32_e32 v2, 20, v2
	v_and_b32_e32 v4, 0x80000000, v4
	v_lshl_add_u32 v3, v3, 23, v6
	v_or3_b32 v2, v4, v3, v2
.LBB6_108:
	s_or_b64 exec, exec, s[6:7]
	v_lshrrev_b32_e32 v3, 8, v5
	s_movk_i32 s4, 0x7f
	v_cmp_gt_i16_sdwa s[6:7], v3, s4 src0_sel:BYTE_0 src1_sel:DWORD
	s_mov_b64 s[4:5], 0
                                        ; implicit-def: $sgpr10
	s_and_saveexec_b64 s[8:9], s[6:7]
	s_xor_b64 s[6:7], exec, s[8:9]
	s_cbranch_execnz .LBB6_2157
; %bb.109:
	s_or_saveexec_b64 s[6:7], s[6:7]
	v_mov_b32_e32 v4, s10
	s_xor_b64 exec, exec, s[6:7]
	s_cbranch_execnz .LBB6_2160
.LBB6_110:
	s_or_b64 exec, exec, s[6:7]
	s_and_saveexec_b64 s[6:7], s[4:5]
	s_cbranch_execz .LBB6_112
.LBB6_111:
	v_bfe_u32 v4, v5, 8, 3
	v_ffbh_u32_e32 v7, v4
	v_min_u32_e32 v7, 32, v7
	v_lshrrev_b16_e32 v6, 3, v3
	v_subrev_u32_e32 v8, 28, v7
	v_and_b32_e32 v6, 15, v6
	v_lshlrev_b32_e32 v3, v8, v3
	v_sub_u32_e32 v7, 29, v7
	v_and_b32_e32 v3, 7, v3
	v_cmp_eq_u16_e32 vcc, 0, v6
	v_cndmask_b32_e32 v3, v4, v3, vcc
	v_cndmask_b32_e32 v4, v6, v7, vcc
	v_lshlrev_b32_e32 v6, 16, v5
	v_mov_b32_e32 v7, 0x3b800000
	v_lshlrev_b32_e32 v3, 20, v3
	v_and_b32_e32 v6, 0x80000000, v6
	v_lshl_add_u32 v4, v4, 23, v7
	v_or3_b32 v4, v6, v4, v3
.LBB6_112:
	s_or_b64 exec, exec, s[6:7]
	s_nop 0
	v_mfma_f32_16x16x4f32 a[0:3], v2, v4, a[0:3]
	s_movk_i32 s4, 0xff
	v_and_b32_sdwa v3, v9, s4 dst_sel:DWORD dst_unused:UNUSED_PAD src0_sel:WORD_1 src1_sel:DWORD
	s_movk_i32 s4, 0x7f
	v_cmp_lt_i16_e32 vcc, s4, v3
	s_mov_b64 s[4:5], 0
                                        ; implicit-def: $sgpr10
	s_and_saveexec_b64 s[6:7], vcc
	s_xor_b64 s[6:7], exec, s[6:7]
	s_cbranch_execnz .LBB6_2161
; %bb.113:
	s_or_saveexec_b64 s[6:7], s[6:7]
	v_mov_b32_e32 v2, s10
	s_xor_b64 exec, exec, s[6:7]
	s_cbranch_execnz .LBB6_2164
.LBB6_114:
	s_or_b64 exec, exec, s[6:7]
	s_and_saveexec_b64 s[6:7], s[4:5]
	s_cbranch_execz .LBB6_116
.LBB6_115:
	v_bfe_u32 v2, v9, 16, 3
	v_ffbh_u32_e32 v6, v2
	v_min_u32_e32 v6, 32, v6
	v_lshrrev_b32_e32 v3, 19, v9
	v_subrev_u32_e32 v7, 28, v6
	v_and_b32_e32 v3, 15, v3
	v_lshlrev_b32_sdwa v7, v7, v9 dst_sel:DWORD dst_unused:UNUSED_PAD src0_sel:DWORD src1_sel:WORD_1
	v_bfe_u32 v4, v9, 19, 4
	v_sub_u32_e32 v6, 29, v6
	v_and_b32_e32 v7, 7, v7
	v_cmp_eq_u16_e32 vcc, 0, v3
	v_cndmask_b32_e32 v2, v2, v7, vcc
	v_cndmask_b32_e32 v3, v4, v6, vcc
	v_lshlrev_b32_e32 v4, 8, v9
	v_mov_b32_e32 v6, 0x3b800000
	v_lshlrev_b32_e32 v2, 20, v2
	v_and_b32_e32 v4, 0x80000000, v4
	v_lshl_add_u32 v3, v3, 23, v6
	v_or3_b32 v2, v4, v3, v2
.LBB6_116:
	s_or_b64 exec, exec, s[6:7]
	s_movk_i32 s4, 0xff
	v_and_b32_sdwa v3, v5, s4 dst_sel:DWORD dst_unused:UNUSED_PAD src0_sel:WORD_1 src1_sel:DWORD
	s_movk_i32 s4, 0x7f
	v_cmp_lt_i16_e32 vcc, s4, v3
	s_mov_b64 s[4:5], 0
                                        ; implicit-def: $sgpr10
	s_and_saveexec_b64 s[6:7], vcc
	s_xor_b64 s[6:7], exec, s[6:7]
	s_cbranch_execnz .LBB6_2165
; %bb.117:
	s_or_saveexec_b64 s[6:7], s[6:7]
	v_mov_b32_e32 v4, s10
	s_xor_b64 exec, exec, s[6:7]
	s_cbranch_execnz .LBB6_2168
.LBB6_118:
	s_or_b64 exec, exec, s[6:7]
	s_and_saveexec_b64 s[6:7], s[4:5]
	s_cbranch_execz .LBB6_120
.LBB6_119:
	v_bfe_u32 v3, v5, 16, 3
	v_ffbh_u32_e32 v7, v3
	v_min_u32_e32 v7, 32, v7
	v_lshrrev_b32_e32 v4, 19, v5
	v_subrev_u32_e32 v8, 28, v7
	v_and_b32_e32 v4, 15, v4
	v_lshlrev_b32_sdwa v8, v8, v5 dst_sel:DWORD dst_unused:UNUSED_PAD src0_sel:DWORD src1_sel:WORD_1
	v_bfe_u32 v6, v5, 19, 4
	v_sub_u32_e32 v7, 29, v7
	v_and_b32_e32 v8, 7, v8
	v_cmp_eq_u16_e32 vcc, 0, v4
	v_cndmask_b32_e32 v3, v3, v8, vcc
	v_cndmask_b32_e32 v4, v6, v7, vcc
	v_lshlrev_b32_e32 v6, 8, v5
	v_mov_b32_e32 v7, 0x3b800000
	v_lshlrev_b32_e32 v3, 20, v3
	v_and_b32_e32 v6, 0x80000000, v6
	v_lshl_add_u32 v4, v4, 23, v7
	v_or3_b32 v4, v6, v4, v3
.LBB6_120:
	s_or_b64 exec, exec, s[6:7]
	s_nop 0
	v_mfma_f32_16x16x4f32 a[0:3], v2, v4, a[0:3]
	s_movk_i32 s4, 0x7f
	v_cmp_gt_i16_sdwa s[6:7], v9, s4 src0_sel:BYTE_3 src1_sel:DWORD
	s_mov_b64 s[4:5], 0
                                        ; implicit-def: $sgpr10
	s_and_saveexec_b64 s[8:9], s[6:7]
	s_xor_b64 s[6:7], exec, s[8:9]
	s_cbranch_execnz .LBB6_2169
; %bb.121:
	s_or_saveexec_b64 s[6:7], s[6:7]
	v_mov_b32_e32 v2, s10
	s_xor_b64 exec, exec, s[6:7]
	s_cbranch_execnz .LBB6_2172
.LBB6_122:
	s_or_b64 exec, exec, s[6:7]
	s_and_saveexec_b64 s[6:7], s[4:5]
	s_cbranch_execz .LBB6_124
.LBB6_123:
	v_bfe_u32 v2, v9, 24, 3
	v_ffbh_u32_e32 v7, v2
	v_min_u32_e32 v7, 32, v7
	v_lshrrev_b32_e32 v4, 27, v9
	v_subrev_u32_e32 v8, 28, v7
	v_and_b32_e32 v4, 15, v4
	v_lshlrev_b32_sdwa v8, v8, v9 dst_sel:DWORD dst_unused:UNUSED_PAD src0_sel:DWORD src1_sel:BYTE_3
	v_bfe_u32 v6, v9, 27, 4
	v_sub_u32_e32 v7, 29, v7
	v_and_b32_e32 v8, 7, v8
	v_cmp_eq_u16_e32 vcc, 0, v4
	v_cndmask_b32_e32 v2, v2, v8, vcc
	v_cndmask_b32_e32 v4, v6, v7, vcc
	v_mov_b32_e32 v6, 0x3b800000
	v_and_b32_e32 v3, 0x80000000, v9
	v_lshlrev_b32_e32 v2, 20, v2
	v_lshl_add_u32 v4, v4, 23, v6
	v_or3_b32 v2, v3, v4, v2
.LBB6_124:
	s_or_b64 exec, exec, s[6:7]
	s_movk_i32 s4, 0x7f
	v_cmp_gt_i16_sdwa s[6:7], v5, s4 src0_sel:BYTE_3 src1_sel:DWORD
	s_mov_b64 s[4:5], 0
                                        ; implicit-def: $sgpr10
	s_and_saveexec_b64 s[8:9], s[6:7]
	s_xor_b64 s[6:7], exec, s[8:9]
	s_cbranch_execnz .LBB6_2173
; %bb.125:
	s_or_saveexec_b64 s[6:7], s[6:7]
	v_mov_b32_e32 v3, s10
	s_xor_b64 exec, exec, s[6:7]
	s_cbranch_execnz .LBB6_2176
.LBB6_126:
	s_or_b64 exec, exec, s[6:7]
	s_and_saveexec_b64 s[6:7], s[4:5]
	s_cbranch_execz .LBB6_128
.LBB6_127:
	v_bfe_u32 v3, v5, 24, 3
	v_ffbh_u32_e32 v8, v3
	v_min_u32_e32 v8, 32, v8
	v_lshrrev_b32_e32 v6, 27, v5
	v_subrev_u32_e32 v9, 28, v8
	v_and_b32_e32 v4, 0x80000000, v5
	v_and_b32_e32 v6, 15, v6
	v_bfe_u32 v7, v5, 27, 4
	v_lshlrev_b32_sdwa v5, v9, v5 dst_sel:DWORD dst_unused:UNUSED_PAD src0_sel:DWORD src1_sel:BYTE_3
	v_sub_u32_e32 v8, 29, v8
	v_and_b32_e32 v5, 7, v5
	v_cmp_eq_u16_e32 vcc, 0, v6
	v_cndmask_b32_e32 v3, v3, v5, vcc
	v_cndmask_b32_e32 v5, v7, v8, vcc
	v_mov_b32_e32 v6, 0x3b800000
	v_lshlrev_b32_e32 v3, 20, v3
	v_lshl_add_u32 v5, v5, 23, v6
	v_or3_b32 v3, v4, v5, v3
.LBB6_128:
	s_or_b64 exec, exec, s[6:7]
	s_nop 0
	v_mfma_f32_16x16x4f32 a[0:3], v2, v3, a[0:3]
	s_movk_i32 s4, 0x7f
                                        ; implicit-def: $sgpr10
	s_nop 7
	s_nop 1
	flat_store_dwordx4 v[10:11], a[0:3]
	flat_load_dwordx4 v[12:15], v[0:1] offset:8
	s_nop 0
	flat_load_dwordx2 v[10:11], v[0:1] offset:32
	s_waitcnt vmcnt(0) lgkmcnt(0)
	flat_load_dwordx4 v[6:9], v[12:13] offset:16
	flat_load_dwordx4 v[2:5], v[14:15] offset:48
	s_waitcnt vmcnt(0) lgkmcnt(0)
	v_cmp_gt_i16_sdwa s[6:7], v6, s4 src0_sel:BYTE_0 src1_sel:DWORD
	s_mov_b64 s[4:5], 0
	s_and_saveexec_b64 s[8:9], s[6:7]
	s_xor_b64 s[6:7], exec, s[8:9]
	s_cbranch_execnz .LBB6_2177
; %bb.129:
	s_or_saveexec_b64 s[6:7], s[6:7]
	v_mov_b32_e32 v12, s10
	s_xor_b64 exec, exec, s[6:7]
	s_cbranch_execnz .LBB6_2180
.LBB6_130:
	s_or_b64 exec, exec, s[6:7]
	s_and_saveexec_b64 s[6:7], s[4:5]
	s_cbranch_execz .LBB6_132
.LBB6_131:
	v_and_b32_e32 v12, 7, v6
	v_ffbh_u32_e32 v14, v12
	v_min_u32_e32 v14, 32, v14
	v_lshrrev_b16_e32 v13, 3, v6
	v_subrev_u32_e32 v15, 28, v14
	v_and_b32_e32 v13, 15, v13
	v_lshlrev_b32_e32 v15, v15, v6
	v_sub_u32_e32 v14, 29, v14
	v_and_b32_e32 v15, 7, v15
	v_cmp_eq_u16_e32 vcc, 0, v13
	v_cndmask_b32_e32 v12, v12, v15, vcc
	v_cndmask_b32_e32 v13, v13, v14, vcc
	v_lshlrev_b32_e32 v14, 24, v6
	v_mov_b32_e32 v15, 0x3b800000
	v_lshlrev_b32_e32 v12, 20, v12
	v_and_b32_e32 v14, 0x80000000, v14
	v_lshl_add_u32 v13, v13, 23, v15
	v_or3_b32 v12, v14, v13, v12
.LBB6_132:
	s_or_b64 exec, exec, s[6:7]
	s_movk_i32 s4, 0x7f
	v_cmp_gt_i16_sdwa s[6:7], v2, s4 src0_sel:BYTE_0 src1_sel:DWORD
	s_mov_b64 s[4:5], 0
                                        ; implicit-def: $sgpr10
	s_and_saveexec_b64 s[8:9], s[6:7]
	s_xor_b64 s[6:7], exec, s[8:9]
	s_cbranch_execnz .LBB6_2181
; %bb.133:
	s_or_saveexec_b64 s[6:7], s[6:7]
	v_mov_b32_e32 v13, s10
	s_xor_b64 exec, exec, s[6:7]
	s_cbranch_execnz .LBB6_2184
.LBB6_134:
	s_or_b64 exec, exec, s[6:7]
	s_and_saveexec_b64 s[6:7], s[4:5]
	s_cbranch_execz .LBB6_136
.LBB6_135:
	v_and_b32_e32 v13, 7, v2
	v_ffbh_u32_e32 v15, v13
	v_min_u32_e32 v15, 32, v15
	v_lshrrev_b16_e32 v14, 3, v2
	v_subrev_u32_e32 v16, 28, v15
	v_and_b32_e32 v14, 15, v14
	v_lshlrev_b32_e32 v16, v16, v2
	v_sub_u32_e32 v15, 29, v15
	v_and_b32_e32 v16, 7, v16
	v_cmp_eq_u16_e32 vcc, 0, v14
	v_cndmask_b32_e32 v13, v13, v16, vcc
	v_cndmask_b32_e32 v14, v14, v15, vcc
	v_lshlrev_b32_e32 v15, 24, v2
	v_mov_b32_e32 v16, 0x3b800000
	v_lshlrev_b32_e32 v13, 20, v13
	v_and_b32_e32 v15, 0x80000000, v15
	v_lshl_add_u32 v14, v14, 23, v16
	v_or3_b32 v13, v15, v14, v13
.LBB6_136:
	s_or_b64 exec, exec, s[6:7]
	flat_load_dwordx4 a[0:3], v[10:11] offset:16
	s_movk_i32 s4, 0x7f
                                        ; implicit-def: $sgpr10
	s_waitcnt vmcnt(0) lgkmcnt(0)
	v_mfma_f32_16x16x4f32 a[0:3], v12, v13, a[0:3]
	v_lshrrev_b32_e32 v13, 8, v6
	v_cmp_gt_i16_sdwa s[6:7], v13, s4 src0_sel:BYTE_0 src1_sel:DWORD
	s_mov_b64 s[4:5], 0
	s_and_saveexec_b64 s[8:9], s[6:7]
	s_xor_b64 s[6:7], exec, s[8:9]
	s_cbranch_execnz .LBB6_2185
; %bb.137:
	s_or_saveexec_b64 s[6:7], s[6:7]
	v_mov_b32_e32 v12, s10
	s_xor_b64 exec, exec, s[6:7]
	s_cbranch_execnz .LBB6_2188
.LBB6_138:
	s_or_b64 exec, exec, s[6:7]
	s_and_saveexec_b64 s[6:7], s[4:5]
	s_cbranch_execz .LBB6_140
.LBB6_139:
	v_bfe_u32 v12, v6, 8, 3
	v_ffbh_u32_e32 v15, v12
	v_min_u32_e32 v15, 32, v15
	v_lshrrev_b16_e32 v14, 3, v13
	v_subrev_u32_e32 v16, 28, v15
	v_and_b32_e32 v14, 15, v14
	v_lshlrev_b32_e32 v13, v16, v13
	v_sub_u32_e32 v15, 29, v15
	v_and_b32_e32 v13, 7, v13
	v_cmp_eq_u16_e32 vcc, 0, v14
	v_cndmask_b32_e32 v12, v12, v13, vcc
	v_cndmask_b32_e32 v13, v14, v15, vcc
	v_lshlrev_b32_e32 v14, 16, v6
	v_mov_b32_e32 v15, 0x3b800000
	v_lshlrev_b32_e32 v12, 20, v12
	v_and_b32_e32 v14, 0x80000000, v14
	v_lshl_add_u32 v13, v13, 23, v15
	v_or3_b32 v12, v14, v13, v12
.LBB6_140:
	s_or_b64 exec, exec, s[6:7]
	v_lshrrev_b32_e32 v13, 8, v2
	s_movk_i32 s4, 0x7f
	v_cmp_gt_i16_sdwa s[6:7], v13, s4 src0_sel:BYTE_0 src1_sel:DWORD
	s_mov_b64 s[4:5], 0
                                        ; implicit-def: $sgpr10
	s_and_saveexec_b64 s[8:9], s[6:7]
	s_xor_b64 s[6:7], exec, s[8:9]
	s_cbranch_execnz .LBB6_2189
; %bb.141:
	s_or_saveexec_b64 s[6:7], s[6:7]
	v_mov_b32_e32 v14, s10
	s_xor_b64 exec, exec, s[6:7]
	s_cbranch_execnz .LBB6_2192
.LBB6_142:
	s_or_b64 exec, exec, s[6:7]
	s_and_saveexec_b64 s[6:7], s[4:5]
	s_cbranch_execz .LBB6_144
.LBB6_143:
	v_bfe_u32 v14, v2, 8, 3
	v_ffbh_u32_e32 v16, v14
	v_min_u32_e32 v16, 32, v16
	v_lshrrev_b16_e32 v15, 3, v13
	v_subrev_u32_e32 v17, 28, v16
	v_and_b32_e32 v15, 15, v15
	v_lshlrev_b32_e32 v13, v17, v13
	v_sub_u32_e32 v16, 29, v16
	v_and_b32_e32 v13, 7, v13
	v_cmp_eq_u16_e32 vcc, 0, v15
	v_cndmask_b32_e32 v13, v14, v13, vcc
	v_cndmask_b32_e32 v14, v15, v16, vcc
	v_lshlrev_b32_e32 v15, 16, v2
	v_mov_b32_e32 v16, 0x3b800000
	v_lshlrev_b32_e32 v13, 20, v13
	v_and_b32_e32 v15, 0x80000000, v15
	v_lshl_add_u32 v14, v14, 23, v16
	v_or3_b32 v14, v15, v14, v13
.LBB6_144:
	s_or_b64 exec, exec, s[6:7]
	s_nop 0
	v_mfma_f32_16x16x4f32 a[0:3], v12, v14, a[0:3]
	s_movk_i32 s4, 0xff
	v_and_b32_sdwa v13, v6, s4 dst_sel:DWORD dst_unused:UNUSED_PAD src0_sel:WORD_1 src1_sel:DWORD
	s_movk_i32 s4, 0x7f
	v_cmp_lt_i16_e32 vcc, s4, v13
	s_mov_b64 s[4:5], 0
                                        ; implicit-def: $sgpr10
	s_and_saveexec_b64 s[6:7], vcc
	s_xor_b64 s[6:7], exec, s[6:7]
	s_cbranch_execnz .LBB6_2193
; %bb.145:
	s_or_saveexec_b64 s[6:7], s[6:7]
	v_mov_b32_e32 v12, s10
	s_xor_b64 exec, exec, s[6:7]
	s_cbranch_execnz .LBB6_2196
.LBB6_146:
	s_or_b64 exec, exec, s[6:7]
	s_and_saveexec_b64 s[6:7], s[4:5]
	s_cbranch_execz .LBB6_148
.LBB6_147:
	v_bfe_u32 v12, v6, 16, 3
	v_ffbh_u32_e32 v15, v12
	v_min_u32_e32 v15, 32, v15
	v_lshrrev_b32_e32 v13, 19, v6
	v_subrev_u32_e32 v16, 28, v15
	v_and_b32_e32 v13, 15, v13
	v_lshlrev_b32_sdwa v16, v16, v6 dst_sel:DWORD dst_unused:UNUSED_PAD src0_sel:DWORD src1_sel:WORD_1
	v_bfe_u32 v14, v6, 19, 4
	v_sub_u32_e32 v15, 29, v15
	v_and_b32_e32 v16, 7, v16
	v_cmp_eq_u16_e32 vcc, 0, v13
	v_cndmask_b32_e32 v12, v12, v16, vcc
	v_cndmask_b32_e32 v13, v14, v15, vcc
	v_lshlrev_b32_e32 v14, 8, v6
	v_mov_b32_e32 v15, 0x3b800000
	v_lshlrev_b32_e32 v12, 20, v12
	v_and_b32_e32 v14, 0x80000000, v14
	v_lshl_add_u32 v13, v13, 23, v15
	v_or3_b32 v12, v14, v13, v12
.LBB6_148:
	s_or_b64 exec, exec, s[6:7]
	s_movk_i32 s4, 0xff
	v_and_b32_sdwa v13, v2, s4 dst_sel:DWORD dst_unused:UNUSED_PAD src0_sel:WORD_1 src1_sel:DWORD
	s_movk_i32 s4, 0x7f
	v_cmp_lt_i16_e32 vcc, s4, v13
	s_mov_b64 s[4:5], 0
                                        ; implicit-def: $sgpr10
	s_and_saveexec_b64 s[6:7], vcc
	s_xor_b64 s[6:7], exec, s[6:7]
	s_cbranch_execnz .LBB6_2197
; %bb.149:
	s_or_saveexec_b64 s[6:7], s[6:7]
	v_mov_b32_e32 v14, s10
	s_xor_b64 exec, exec, s[6:7]
	s_cbranch_execnz .LBB6_2200
.LBB6_150:
	s_or_b64 exec, exec, s[6:7]
	s_and_saveexec_b64 s[6:7], s[4:5]
	s_cbranch_execz .LBB6_152
.LBB6_151:
	v_bfe_u32 v13, v2, 16, 3
	v_ffbh_u32_e32 v16, v13
	v_min_u32_e32 v16, 32, v16
	v_lshrrev_b32_e32 v14, 19, v2
	v_subrev_u32_e32 v17, 28, v16
	v_and_b32_e32 v14, 15, v14
	v_lshlrev_b32_sdwa v17, v17, v2 dst_sel:DWORD dst_unused:UNUSED_PAD src0_sel:DWORD src1_sel:WORD_1
	v_bfe_u32 v15, v2, 19, 4
	v_sub_u32_e32 v16, 29, v16
	v_and_b32_e32 v17, 7, v17
	v_cmp_eq_u16_e32 vcc, 0, v14
	v_cndmask_b32_e32 v13, v13, v17, vcc
	v_cndmask_b32_e32 v14, v15, v16, vcc
	v_lshlrev_b32_e32 v15, 8, v2
	v_mov_b32_e32 v16, 0x3b800000
	v_lshlrev_b32_e32 v13, 20, v13
	v_and_b32_e32 v15, 0x80000000, v15
	v_lshl_add_u32 v14, v14, 23, v16
	v_or3_b32 v14, v15, v14, v13
.LBB6_152:
	s_or_b64 exec, exec, s[6:7]
	s_nop 0
	v_mfma_f32_16x16x4f32 a[0:3], v12, v14, a[0:3]
	s_movk_i32 s4, 0x7f
	v_cmp_gt_i16_sdwa s[6:7], v6, s4 src0_sel:BYTE_3 src1_sel:DWORD
	s_mov_b64 s[4:5], 0
                                        ; implicit-def: $sgpr10
	s_and_saveexec_b64 s[8:9], s[6:7]
	s_xor_b64 s[6:7], exec, s[8:9]
	s_cbranch_execnz .LBB6_2201
; %bb.153:
	s_or_saveexec_b64 s[6:7], s[6:7]
	v_mov_b32_e32 v12, s10
	s_xor_b64 exec, exec, s[6:7]
	s_cbranch_execnz .LBB6_2204
.LBB6_154:
	s_or_b64 exec, exec, s[6:7]
	s_and_saveexec_b64 s[6:7], s[4:5]
	s_cbranch_execz .LBB6_156
.LBB6_155:
	v_bfe_u32 v12, v6, 24, 3
	v_ffbh_u32_e32 v16, v12
	v_min_u32_e32 v16, 32, v16
	v_lshrrev_b32_e32 v14, 27, v6
	v_subrev_u32_e32 v17, 28, v16
	v_and_b32_e32 v13, 0x80000000, v6
	v_and_b32_e32 v14, 15, v14
	v_bfe_u32 v15, v6, 27, 4
	v_lshlrev_b32_sdwa v6, v17, v6 dst_sel:DWORD dst_unused:UNUSED_PAD src0_sel:DWORD src1_sel:BYTE_3
	v_sub_u32_e32 v16, 29, v16
	v_and_b32_e32 v6, 7, v6
	v_cmp_eq_u16_e32 vcc, 0, v14
	v_cndmask_b32_e32 v6, v12, v6, vcc
	v_cndmask_b32_e32 v12, v15, v16, vcc
	v_mov_b32_e32 v14, 0x3b800000
	v_lshlrev_b32_e32 v6, 20, v6
	v_lshl_add_u32 v12, v12, 23, v14
	v_or3_b32 v12, v13, v12, v6
.LBB6_156:
	s_or_b64 exec, exec, s[6:7]
	s_movk_i32 s4, 0x7f
	v_cmp_gt_i16_sdwa s[6:7], v2, s4 src0_sel:BYTE_3 src1_sel:DWORD
	s_mov_b64 s[4:5], 0
                                        ; implicit-def: $sgpr10
	s_and_saveexec_b64 s[8:9], s[6:7]
	s_xor_b64 s[6:7], exec, s[8:9]
	s_cbranch_execnz .LBB6_2205
; %bb.157:
	s_or_saveexec_b64 s[6:7], s[6:7]
	v_mov_b32_e32 v6, s10
	s_xor_b64 exec, exec, s[6:7]
	s_cbranch_execnz .LBB6_2208
.LBB6_158:
	s_or_b64 exec, exec, s[6:7]
	s_and_saveexec_b64 s[6:7], s[4:5]
	s_cbranch_execz .LBB6_160
.LBB6_159:
	v_bfe_u32 v6, v2, 24, 3
	v_ffbh_u32_e32 v16, v6
	v_min_u32_e32 v16, 32, v16
	v_lshrrev_b32_e32 v14, 27, v2
	v_subrev_u32_e32 v17, 28, v16
	v_and_b32_e32 v13, 0x80000000, v2
	v_and_b32_e32 v14, 15, v14
	v_bfe_u32 v15, v2, 27, 4
	v_lshlrev_b32_sdwa v2, v17, v2 dst_sel:DWORD dst_unused:UNUSED_PAD src0_sel:DWORD src1_sel:BYTE_3
	v_sub_u32_e32 v16, 29, v16
	v_and_b32_e32 v2, 7, v2
	v_cmp_eq_u16_e32 vcc, 0, v14
	v_cndmask_b32_e32 v2, v6, v2, vcc
	v_cndmask_b32_e32 v6, v15, v16, vcc
	v_mov_b32_e32 v14, 0x3b800000
	v_lshlrev_b32_e32 v2, 20, v2
	v_lshl_add_u32 v6, v6, 23, v14
	v_or3_b32 v6, v13, v6, v2
.LBB6_160:
	s_or_b64 exec, exec, s[6:7]
	s_nop 0
	v_mfma_f32_16x16x4f32 a[0:3], v12, v6, a[0:3]
	s_movk_i32 s4, 0x7f
	v_cmp_gt_i16_sdwa s[6:7], v7, s4 src0_sel:BYTE_0 src1_sel:DWORD
	s_mov_b64 s[4:5], 0
                                        ; implicit-def: $sgpr10
	s_and_saveexec_b64 s[8:9], s[6:7]
	s_xor_b64 s[6:7], exec, s[8:9]
	s_cbranch_execnz .LBB6_2209
; %bb.161:
	s_or_saveexec_b64 s[6:7], s[6:7]
	v_mov_b32_e32 v2, s10
	s_xor_b64 exec, exec, s[6:7]
	s_cbranch_execnz .LBB6_2212
.LBB6_162:
	s_or_b64 exec, exec, s[6:7]
	s_and_saveexec_b64 s[6:7], s[4:5]
	s_cbranch_execz .LBB6_164
.LBB6_163:
	v_and_b32_e32 v2, 7, v7
	v_ffbh_u32_e32 v12, v2
	v_min_u32_e32 v12, 32, v12
	v_lshrrev_b16_e32 v6, 3, v7
	v_subrev_u32_e32 v13, 28, v12
	v_and_b32_e32 v6, 15, v6
	v_lshlrev_b32_e32 v13, v13, v7
	v_sub_u32_e32 v12, 29, v12
	v_and_b32_e32 v13, 7, v13
	v_cmp_eq_u16_e32 vcc, 0, v6
	v_cndmask_b32_e32 v2, v2, v13, vcc
	v_cndmask_b32_e32 v6, v6, v12, vcc
	v_lshlrev_b32_e32 v12, 24, v7
	v_mov_b32_e32 v13, 0x3b800000
	v_lshlrev_b32_e32 v2, 20, v2
	v_and_b32_e32 v12, 0x80000000, v12
	v_lshl_add_u32 v6, v6, 23, v13
	v_or3_b32 v2, v12, v6, v2
.LBB6_164:
	s_or_b64 exec, exec, s[6:7]
	s_movk_i32 s4, 0x7f
	v_cmp_gt_i16_sdwa s[6:7], v3, s4 src0_sel:BYTE_0 src1_sel:DWORD
	s_mov_b64 s[4:5], 0
                                        ; implicit-def: $sgpr10
	s_and_saveexec_b64 s[8:9], s[6:7]
	s_xor_b64 s[6:7], exec, s[8:9]
	s_cbranch_execnz .LBB6_2213
; %bb.165:
	s_or_saveexec_b64 s[6:7], s[6:7]
	v_mov_b32_e32 v6, s10
	s_xor_b64 exec, exec, s[6:7]
	s_cbranch_execnz .LBB6_2216
.LBB6_166:
	s_or_b64 exec, exec, s[6:7]
	s_and_saveexec_b64 s[6:7], s[4:5]
	s_cbranch_execz .LBB6_168
.LBB6_167:
	v_and_b32_e32 v6, 7, v3
	v_ffbh_u32_e32 v13, v6
	v_min_u32_e32 v13, 32, v13
	v_lshrrev_b16_e32 v12, 3, v3
	v_subrev_u32_e32 v14, 28, v13
	v_and_b32_e32 v12, 15, v12
	v_lshlrev_b32_e32 v14, v14, v3
	v_sub_u32_e32 v13, 29, v13
	v_and_b32_e32 v14, 7, v14
	v_cmp_eq_u16_e32 vcc, 0, v12
	v_cndmask_b32_e32 v6, v6, v14, vcc
	v_cndmask_b32_e32 v12, v12, v13, vcc
	v_lshlrev_b32_e32 v13, 24, v3
	v_mov_b32_e32 v14, 0x3b800000
	v_lshlrev_b32_e32 v6, 20, v6
	v_and_b32_e32 v13, 0x80000000, v13
	v_lshl_add_u32 v12, v12, 23, v14
	v_or3_b32 v6, v13, v12, v6
.LBB6_168:
	s_or_b64 exec, exec, s[6:7]
	s_nop 0
	v_mfma_f32_16x16x4f32 a[0:3], v2, v6, a[0:3]
	v_lshrrev_b32_e32 v6, 8, v7
	s_movk_i32 s4, 0x7f
	v_cmp_gt_i16_sdwa s[6:7], v6, s4 src0_sel:BYTE_0 src1_sel:DWORD
	s_mov_b64 s[4:5], 0
                                        ; implicit-def: $sgpr10
	s_and_saveexec_b64 s[8:9], s[6:7]
	s_xor_b64 s[6:7], exec, s[8:9]
	s_cbranch_execnz .LBB6_2217
; %bb.169:
	s_or_saveexec_b64 s[6:7], s[6:7]
	v_mov_b32_e32 v2, s10
	s_xor_b64 exec, exec, s[6:7]
	s_cbranch_execnz .LBB6_2220
.LBB6_170:
	s_or_b64 exec, exec, s[6:7]
	s_and_saveexec_b64 s[6:7], s[4:5]
	s_cbranch_execz .LBB6_172
.LBB6_171:
	v_bfe_u32 v2, v7, 8, 3
	v_ffbh_u32_e32 v13, v2
	v_min_u32_e32 v13, 32, v13
	v_lshrrev_b16_e32 v12, 3, v6
	v_subrev_u32_e32 v14, 28, v13
	v_and_b32_e32 v12, 15, v12
	v_lshlrev_b32_e32 v6, v14, v6
	v_sub_u32_e32 v13, 29, v13
	v_and_b32_e32 v6, 7, v6
	v_cmp_eq_u16_e32 vcc, 0, v12
	v_cndmask_b32_e32 v2, v2, v6, vcc
	v_cndmask_b32_e32 v6, v12, v13, vcc
	v_lshlrev_b32_e32 v12, 16, v7
	v_mov_b32_e32 v13, 0x3b800000
	v_lshlrev_b32_e32 v2, 20, v2
	v_and_b32_e32 v12, 0x80000000, v12
	v_lshl_add_u32 v6, v6, 23, v13
	v_or3_b32 v2, v12, v6, v2
.LBB6_172:
	s_or_b64 exec, exec, s[6:7]
	v_lshrrev_b32_e32 v6, 8, v3
	s_movk_i32 s4, 0x7f
	v_cmp_gt_i16_sdwa s[6:7], v6, s4 src0_sel:BYTE_0 src1_sel:DWORD
	s_mov_b64 s[4:5], 0
                                        ; implicit-def: $sgpr10
	s_and_saveexec_b64 s[8:9], s[6:7]
	s_xor_b64 s[6:7], exec, s[8:9]
	s_cbranch_execnz .LBB6_2221
; %bb.173:
	s_or_saveexec_b64 s[6:7], s[6:7]
	v_mov_b32_e32 v12, s10
	s_xor_b64 exec, exec, s[6:7]
	s_cbranch_execnz .LBB6_2224
.LBB6_174:
	s_or_b64 exec, exec, s[6:7]
	s_and_saveexec_b64 s[6:7], s[4:5]
	s_cbranch_execz .LBB6_176
.LBB6_175:
	v_bfe_u32 v12, v3, 8, 3
	v_ffbh_u32_e32 v14, v12
	v_min_u32_e32 v14, 32, v14
	v_lshrrev_b16_e32 v13, 3, v6
	v_subrev_u32_e32 v15, 28, v14
	v_and_b32_e32 v13, 15, v13
	v_lshlrev_b32_e32 v6, v15, v6
	v_sub_u32_e32 v14, 29, v14
	v_and_b32_e32 v6, 7, v6
	v_cmp_eq_u16_e32 vcc, 0, v13
	v_cndmask_b32_e32 v6, v12, v6, vcc
	v_cndmask_b32_e32 v12, v13, v14, vcc
	v_lshlrev_b32_e32 v13, 16, v3
	v_mov_b32_e32 v14, 0x3b800000
	v_lshlrev_b32_e32 v6, 20, v6
	v_and_b32_e32 v13, 0x80000000, v13
	v_lshl_add_u32 v12, v12, 23, v14
	v_or3_b32 v12, v13, v12, v6
.LBB6_176:
	s_or_b64 exec, exec, s[6:7]
	s_nop 0
	v_mfma_f32_16x16x4f32 a[0:3], v2, v12, a[0:3]
	s_movk_i32 s4, 0xff
	v_and_b32_sdwa v6, v7, s4 dst_sel:DWORD dst_unused:UNUSED_PAD src0_sel:WORD_1 src1_sel:DWORD
	s_movk_i32 s4, 0x7f
	v_cmp_lt_i16_e32 vcc, s4, v6
	s_mov_b64 s[4:5], 0
                                        ; implicit-def: $sgpr10
	s_and_saveexec_b64 s[6:7], vcc
	s_xor_b64 s[6:7], exec, s[6:7]
	s_cbranch_execnz .LBB6_2225
; %bb.177:
	s_or_saveexec_b64 s[6:7], s[6:7]
	v_mov_b32_e32 v2, s10
	s_xor_b64 exec, exec, s[6:7]
	s_cbranch_execnz .LBB6_2228
.LBB6_178:
	s_or_b64 exec, exec, s[6:7]
	s_and_saveexec_b64 s[6:7], s[4:5]
	s_cbranch_execz .LBB6_180
.LBB6_179:
	v_bfe_u32 v2, v7, 16, 3
	v_ffbh_u32_e32 v13, v2
	v_min_u32_e32 v13, 32, v13
	v_lshrrev_b32_e32 v6, 19, v7
	v_subrev_u32_e32 v14, 28, v13
	v_and_b32_e32 v6, 15, v6
	v_lshlrev_b32_sdwa v14, v14, v7 dst_sel:DWORD dst_unused:UNUSED_PAD src0_sel:DWORD src1_sel:WORD_1
	v_bfe_u32 v12, v7, 19, 4
	v_sub_u32_e32 v13, 29, v13
	v_and_b32_e32 v14, 7, v14
	v_cmp_eq_u16_e32 vcc, 0, v6
	v_cndmask_b32_e32 v2, v2, v14, vcc
	v_cndmask_b32_e32 v6, v12, v13, vcc
	v_lshlrev_b32_e32 v12, 8, v7
	v_mov_b32_e32 v13, 0x3b800000
	v_lshlrev_b32_e32 v2, 20, v2
	v_and_b32_e32 v12, 0x80000000, v12
	v_lshl_add_u32 v6, v6, 23, v13
	v_or3_b32 v2, v12, v6, v2
.LBB6_180:
	s_or_b64 exec, exec, s[6:7]
	s_movk_i32 s4, 0xff
	v_and_b32_sdwa v6, v3, s4 dst_sel:DWORD dst_unused:UNUSED_PAD src0_sel:WORD_1 src1_sel:DWORD
	s_movk_i32 s4, 0x7f
	v_cmp_lt_i16_e32 vcc, s4, v6
	s_mov_b64 s[4:5], 0
                                        ; implicit-def: $sgpr10
	s_and_saveexec_b64 s[6:7], vcc
	s_xor_b64 s[6:7], exec, s[6:7]
	s_cbranch_execnz .LBB6_2229
; %bb.181:
	s_or_saveexec_b64 s[6:7], s[6:7]
	v_mov_b32_e32 v12, s10
	s_xor_b64 exec, exec, s[6:7]
	s_cbranch_execnz .LBB6_2232
.LBB6_182:
	s_or_b64 exec, exec, s[6:7]
	s_and_saveexec_b64 s[6:7], s[4:5]
	s_cbranch_execz .LBB6_184
.LBB6_183:
	v_bfe_u32 v6, v3, 16, 3
	v_ffbh_u32_e32 v14, v6
	v_min_u32_e32 v14, 32, v14
	v_lshrrev_b32_e32 v12, 19, v3
	v_subrev_u32_e32 v15, 28, v14
	v_and_b32_e32 v12, 15, v12
	v_lshlrev_b32_sdwa v15, v15, v3 dst_sel:DWORD dst_unused:UNUSED_PAD src0_sel:DWORD src1_sel:WORD_1
	v_bfe_u32 v13, v3, 19, 4
	v_sub_u32_e32 v14, 29, v14
	v_and_b32_e32 v15, 7, v15
	v_cmp_eq_u16_e32 vcc, 0, v12
	v_cndmask_b32_e32 v6, v6, v15, vcc
	v_cndmask_b32_e32 v12, v13, v14, vcc
	v_lshlrev_b32_e32 v13, 8, v3
	v_mov_b32_e32 v14, 0x3b800000
	v_lshlrev_b32_e32 v6, 20, v6
	v_and_b32_e32 v13, 0x80000000, v13
	v_lshl_add_u32 v12, v12, 23, v14
	v_or3_b32 v12, v13, v12, v6
.LBB6_184:
	s_or_b64 exec, exec, s[6:7]
	s_nop 0
	v_mfma_f32_16x16x4f32 a[0:3], v2, v12, a[0:3]
	s_movk_i32 s4, 0x7f
	v_cmp_gt_i16_sdwa s[6:7], v7, s4 src0_sel:BYTE_3 src1_sel:DWORD
	s_mov_b64 s[4:5], 0
                                        ; implicit-def: $sgpr10
	s_and_saveexec_b64 s[8:9], s[6:7]
	s_xor_b64 s[6:7], exec, s[8:9]
	s_cbranch_execnz .LBB6_2233
; %bb.185:
	s_or_saveexec_b64 s[6:7], s[6:7]
	v_mov_b32_e32 v2, s10
	s_xor_b64 exec, exec, s[6:7]
	s_cbranch_execnz .LBB6_2236
.LBB6_186:
	s_or_b64 exec, exec, s[6:7]
	s_and_saveexec_b64 s[6:7], s[4:5]
	s_cbranch_execz .LBB6_188
.LBB6_187:
	v_bfe_u32 v2, v7, 24, 3
	v_ffbh_u32_e32 v14, v2
	v_min_u32_e32 v14, 32, v14
	v_lshrrev_b32_e32 v12, 27, v7
	v_subrev_u32_e32 v15, 28, v14
	v_and_b32_e32 v6, 0x80000000, v7
	v_and_b32_e32 v12, 15, v12
	v_bfe_u32 v13, v7, 27, 4
	v_lshlrev_b32_sdwa v7, v15, v7 dst_sel:DWORD dst_unused:UNUSED_PAD src0_sel:DWORD src1_sel:BYTE_3
	v_sub_u32_e32 v14, 29, v14
	v_and_b32_e32 v7, 7, v7
	v_cmp_eq_u16_e32 vcc, 0, v12
	v_cndmask_b32_e32 v2, v2, v7, vcc
	v_cndmask_b32_e32 v7, v13, v14, vcc
	v_mov_b32_e32 v12, 0x3b800000
	v_lshlrev_b32_e32 v2, 20, v2
	v_lshl_add_u32 v7, v7, 23, v12
	v_or3_b32 v2, v6, v7, v2
.LBB6_188:
	s_or_b64 exec, exec, s[6:7]
	s_movk_i32 s4, 0x7f
	v_cmp_gt_i16_sdwa s[6:7], v3, s4 src0_sel:BYTE_3 src1_sel:DWORD
	s_mov_b64 s[4:5], 0
                                        ; implicit-def: $sgpr10
	s_and_saveexec_b64 s[8:9], s[6:7]
	s_xor_b64 s[6:7], exec, s[8:9]
	s_cbranch_execnz .LBB6_2237
; %bb.189:
	s_or_saveexec_b64 s[6:7], s[6:7]
	v_mov_b32_e32 v6, s10
	s_xor_b64 exec, exec, s[6:7]
	s_cbranch_execnz .LBB6_2240
.LBB6_190:
	s_or_b64 exec, exec, s[6:7]
	s_and_saveexec_b64 s[6:7], s[4:5]
	s_cbranch_execz .LBB6_192
.LBB6_191:
	v_bfe_u32 v6, v3, 24, 3
	v_ffbh_u32_e32 v14, v6
	v_min_u32_e32 v14, 32, v14
	v_lshrrev_b32_e32 v12, 27, v3
	v_subrev_u32_e32 v15, 28, v14
	v_and_b32_e32 v7, 0x80000000, v3
	v_and_b32_e32 v12, 15, v12
	v_bfe_u32 v13, v3, 27, 4
	v_lshlrev_b32_sdwa v3, v15, v3 dst_sel:DWORD dst_unused:UNUSED_PAD src0_sel:DWORD src1_sel:BYTE_3
	v_sub_u32_e32 v14, 29, v14
	v_and_b32_e32 v3, 7, v3
	v_cmp_eq_u16_e32 vcc, 0, v12
	v_cndmask_b32_e32 v3, v6, v3, vcc
	v_cndmask_b32_e32 v6, v13, v14, vcc
	v_mov_b32_e32 v12, 0x3b800000
	v_lshlrev_b32_e32 v3, 20, v3
	v_lshl_add_u32 v6, v6, 23, v12
	v_or3_b32 v6, v7, v6, v3
.LBB6_192:
	s_or_b64 exec, exec, s[6:7]
	s_nop 0
	v_mfma_f32_16x16x4f32 a[0:3], v2, v6, a[0:3]
	s_movk_i32 s4, 0x7f
	v_cmp_gt_i16_sdwa s[6:7], v8, s4 src0_sel:BYTE_0 src1_sel:DWORD
	s_mov_b64 s[4:5], 0
                                        ; implicit-def: $sgpr10
	s_and_saveexec_b64 s[8:9], s[6:7]
	s_xor_b64 s[6:7], exec, s[8:9]
	s_cbranch_execnz .LBB6_2241
; %bb.193:
	s_or_saveexec_b64 s[6:7], s[6:7]
	v_mov_b32_e32 v2, s10
	s_xor_b64 exec, exec, s[6:7]
	s_cbranch_execnz .LBB6_2244
.LBB6_194:
	s_or_b64 exec, exec, s[6:7]
	s_and_saveexec_b64 s[6:7], s[4:5]
	s_cbranch_execz .LBB6_196
.LBB6_195:
	v_and_b32_e32 v2, 7, v8
	v_ffbh_u32_e32 v6, v2
	v_min_u32_e32 v6, 32, v6
	v_lshrrev_b16_e32 v3, 3, v8
	v_subrev_u32_e32 v7, 28, v6
	v_and_b32_e32 v3, 15, v3
	v_lshlrev_b32_e32 v7, v7, v8
	v_sub_u32_e32 v6, 29, v6
	v_and_b32_e32 v7, 7, v7
	v_cmp_eq_u16_e32 vcc, 0, v3
	v_cndmask_b32_e32 v2, v2, v7, vcc
	v_cndmask_b32_e32 v3, v3, v6, vcc
	v_lshlrev_b32_e32 v6, 24, v8
	v_mov_b32_e32 v7, 0x3b800000
	v_lshlrev_b32_e32 v2, 20, v2
	v_and_b32_e32 v6, 0x80000000, v6
	v_lshl_add_u32 v3, v3, 23, v7
	v_or3_b32 v2, v6, v3, v2
.LBB6_196:
	s_or_b64 exec, exec, s[6:7]
	s_movk_i32 s4, 0x7f
	v_cmp_gt_i16_sdwa s[6:7], v4, s4 src0_sel:BYTE_0 src1_sel:DWORD
	s_mov_b64 s[4:5], 0
                                        ; implicit-def: $sgpr10
	s_and_saveexec_b64 s[8:9], s[6:7]
	s_xor_b64 s[6:7], exec, s[8:9]
	s_cbranch_execnz .LBB6_2245
; %bb.197:
	s_or_saveexec_b64 s[6:7], s[6:7]
	v_mov_b32_e32 v3, s10
	s_xor_b64 exec, exec, s[6:7]
	s_cbranch_execnz .LBB6_2248
.LBB6_198:
	s_or_b64 exec, exec, s[6:7]
	s_and_saveexec_b64 s[6:7], s[4:5]
	s_cbranch_execz .LBB6_200
.LBB6_199:
	v_and_b32_e32 v3, 7, v4
	v_ffbh_u32_e32 v7, v3
	v_min_u32_e32 v7, 32, v7
	v_lshrrev_b16_e32 v6, 3, v4
	v_subrev_u32_e32 v12, 28, v7
	v_and_b32_e32 v6, 15, v6
	v_lshlrev_b32_e32 v12, v12, v4
	v_sub_u32_e32 v7, 29, v7
	v_and_b32_e32 v12, 7, v12
	v_cmp_eq_u16_e32 vcc, 0, v6
	v_cndmask_b32_e32 v3, v3, v12, vcc
	v_cndmask_b32_e32 v6, v6, v7, vcc
	v_lshlrev_b32_e32 v7, 24, v4
	v_mov_b32_e32 v12, 0x3b800000
	v_lshlrev_b32_e32 v3, 20, v3
	v_and_b32_e32 v7, 0x80000000, v7
	v_lshl_add_u32 v6, v6, 23, v12
	v_or3_b32 v3, v7, v6, v3
.LBB6_200:
	s_or_b64 exec, exec, s[6:7]
	s_nop 0
	v_mfma_f32_16x16x4f32 a[0:3], v2, v3, a[0:3]
	v_lshrrev_b32_e32 v3, 8, v8
	s_movk_i32 s4, 0x7f
	v_cmp_gt_i16_sdwa s[6:7], v3, s4 src0_sel:BYTE_0 src1_sel:DWORD
	s_mov_b64 s[4:5], 0
                                        ; implicit-def: $sgpr10
	s_and_saveexec_b64 s[8:9], s[6:7]
	s_xor_b64 s[6:7], exec, s[8:9]
	s_cbranch_execnz .LBB6_2249
; %bb.201:
	s_or_saveexec_b64 s[6:7], s[6:7]
	v_mov_b32_e32 v2, s10
	s_xor_b64 exec, exec, s[6:7]
	s_cbranch_execnz .LBB6_2252
.LBB6_202:
	s_or_b64 exec, exec, s[6:7]
	s_and_saveexec_b64 s[6:7], s[4:5]
	s_cbranch_execz .LBB6_204
.LBB6_203:
	v_bfe_u32 v2, v8, 8, 3
	v_ffbh_u32_e32 v7, v2
	v_min_u32_e32 v7, 32, v7
	v_lshrrev_b16_e32 v6, 3, v3
	v_subrev_u32_e32 v12, 28, v7
	v_and_b32_e32 v6, 15, v6
	v_lshlrev_b32_e32 v3, v12, v3
	v_sub_u32_e32 v7, 29, v7
	v_and_b32_e32 v3, 7, v3
	v_cmp_eq_u16_e32 vcc, 0, v6
	v_cndmask_b32_e32 v2, v2, v3, vcc
	v_cndmask_b32_e32 v3, v6, v7, vcc
	v_lshlrev_b32_e32 v6, 16, v8
	v_mov_b32_e32 v7, 0x3b800000
	v_lshlrev_b32_e32 v2, 20, v2
	v_and_b32_e32 v6, 0x80000000, v6
	v_lshl_add_u32 v3, v3, 23, v7
	v_or3_b32 v2, v6, v3, v2
.LBB6_204:
	s_or_b64 exec, exec, s[6:7]
	v_lshrrev_b32_e32 v3, 8, v4
	s_movk_i32 s4, 0x7f
	v_cmp_gt_i16_sdwa s[6:7], v3, s4 src0_sel:BYTE_0 src1_sel:DWORD
	s_mov_b64 s[4:5], 0
                                        ; implicit-def: $sgpr10
	s_and_saveexec_b64 s[8:9], s[6:7]
	s_xor_b64 s[6:7], exec, s[8:9]
	s_cbranch_execnz .LBB6_2253
; %bb.205:
	s_or_saveexec_b64 s[6:7], s[6:7]
	v_mov_b32_e32 v6, s10
	s_xor_b64 exec, exec, s[6:7]
	s_cbranch_execnz .LBB6_2256
.LBB6_206:
	s_or_b64 exec, exec, s[6:7]
	s_and_saveexec_b64 s[6:7], s[4:5]
	s_cbranch_execz .LBB6_208
.LBB6_207:
	v_bfe_u32 v6, v4, 8, 3
	v_ffbh_u32_e32 v12, v6
	v_min_u32_e32 v12, 32, v12
	v_lshrrev_b16_e32 v7, 3, v3
	v_subrev_u32_e32 v13, 28, v12
	v_and_b32_e32 v7, 15, v7
	v_lshlrev_b32_e32 v3, v13, v3
	v_sub_u32_e32 v12, 29, v12
	v_and_b32_e32 v3, 7, v3
	v_cmp_eq_u16_e32 vcc, 0, v7
	v_cndmask_b32_e32 v3, v6, v3, vcc
	v_cndmask_b32_e32 v6, v7, v12, vcc
	v_lshlrev_b32_e32 v7, 16, v4
	v_mov_b32_e32 v12, 0x3b800000
	v_lshlrev_b32_e32 v3, 20, v3
	v_and_b32_e32 v7, 0x80000000, v7
	v_lshl_add_u32 v6, v6, 23, v12
	v_or3_b32 v6, v7, v6, v3
.LBB6_208:
	s_or_b64 exec, exec, s[6:7]
	s_nop 0
	v_mfma_f32_16x16x4f32 a[0:3], v2, v6, a[0:3]
	s_movk_i32 s4, 0xff
	v_and_b32_sdwa v3, v8, s4 dst_sel:DWORD dst_unused:UNUSED_PAD src0_sel:WORD_1 src1_sel:DWORD
	s_movk_i32 s4, 0x7f
	v_cmp_lt_i16_e32 vcc, s4, v3
	s_mov_b64 s[4:5], 0
                                        ; implicit-def: $sgpr10
	s_and_saveexec_b64 s[6:7], vcc
	s_xor_b64 s[6:7], exec, s[6:7]
	s_cbranch_execnz .LBB6_2257
; %bb.209:
	s_or_saveexec_b64 s[6:7], s[6:7]
	v_mov_b32_e32 v2, s10
	s_xor_b64 exec, exec, s[6:7]
	s_cbranch_execnz .LBB6_2260
.LBB6_210:
	s_or_b64 exec, exec, s[6:7]
	s_and_saveexec_b64 s[6:7], s[4:5]
	s_cbranch_execz .LBB6_212
.LBB6_211:
	v_bfe_u32 v2, v8, 16, 3
	v_ffbh_u32_e32 v7, v2
	v_min_u32_e32 v7, 32, v7
	v_lshrrev_b32_e32 v3, 19, v8
	v_subrev_u32_e32 v12, 28, v7
	v_and_b32_e32 v3, 15, v3
	v_lshlrev_b32_sdwa v12, v12, v8 dst_sel:DWORD dst_unused:UNUSED_PAD src0_sel:DWORD src1_sel:WORD_1
	v_bfe_u32 v6, v8, 19, 4
	v_sub_u32_e32 v7, 29, v7
	v_and_b32_e32 v12, 7, v12
	v_cmp_eq_u16_e32 vcc, 0, v3
	v_cndmask_b32_e32 v2, v2, v12, vcc
	v_cndmask_b32_e32 v3, v6, v7, vcc
	v_lshlrev_b32_e32 v6, 8, v8
	v_mov_b32_e32 v7, 0x3b800000
	v_lshlrev_b32_e32 v2, 20, v2
	v_and_b32_e32 v6, 0x80000000, v6
	v_lshl_add_u32 v3, v3, 23, v7
	v_or3_b32 v2, v6, v3, v2
.LBB6_212:
	s_or_b64 exec, exec, s[6:7]
	s_movk_i32 s4, 0xff
	v_and_b32_sdwa v3, v4, s4 dst_sel:DWORD dst_unused:UNUSED_PAD src0_sel:WORD_1 src1_sel:DWORD
	s_movk_i32 s4, 0x7f
	v_cmp_lt_i16_e32 vcc, s4, v3
	s_mov_b64 s[4:5], 0
                                        ; implicit-def: $sgpr10
	s_and_saveexec_b64 s[6:7], vcc
	s_xor_b64 s[6:7], exec, s[6:7]
	s_cbranch_execnz .LBB6_2261
; %bb.213:
	s_or_saveexec_b64 s[6:7], s[6:7]
	v_mov_b32_e32 v6, s10
	s_xor_b64 exec, exec, s[6:7]
	s_cbranch_execnz .LBB6_2264
.LBB6_214:
	s_or_b64 exec, exec, s[6:7]
	s_and_saveexec_b64 s[6:7], s[4:5]
	s_cbranch_execz .LBB6_216
.LBB6_215:
	v_bfe_u32 v3, v4, 16, 3
	v_ffbh_u32_e32 v12, v3
	v_min_u32_e32 v12, 32, v12
	v_lshrrev_b32_e32 v6, 19, v4
	v_subrev_u32_e32 v13, 28, v12
	v_and_b32_e32 v6, 15, v6
	v_lshlrev_b32_sdwa v13, v13, v4 dst_sel:DWORD dst_unused:UNUSED_PAD src0_sel:DWORD src1_sel:WORD_1
	v_bfe_u32 v7, v4, 19, 4
	v_sub_u32_e32 v12, 29, v12
	v_and_b32_e32 v13, 7, v13
	v_cmp_eq_u16_e32 vcc, 0, v6
	v_cndmask_b32_e32 v3, v3, v13, vcc
	v_cndmask_b32_e32 v6, v7, v12, vcc
	v_lshlrev_b32_e32 v7, 8, v4
	v_mov_b32_e32 v12, 0x3b800000
	v_lshlrev_b32_e32 v3, 20, v3
	v_and_b32_e32 v7, 0x80000000, v7
	v_lshl_add_u32 v6, v6, 23, v12
	v_or3_b32 v6, v7, v6, v3
.LBB6_216:
	s_or_b64 exec, exec, s[6:7]
	s_nop 0
	v_mfma_f32_16x16x4f32 a[0:3], v2, v6, a[0:3]
	s_movk_i32 s4, 0x7f
	v_cmp_gt_i16_sdwa s[6:7], v8, s4 src0_sel:BYTE_3 src1_sel:DWORD
	s_mov_b64 s[4:5], 0
                                        ; implicit-def: $sgpr10
	s_and_saveexec_b64 s[8:9], s[6:7]
	s_xor_b64 s[6:7], exec, s[8:9]
	s_cbranch_execnz .LBB6_2265
; %bb.217:
	s_or_saveexec_b64 s[6:7], s[6:7]
	v_mov_b32_e32 v2, s10
	s_xor_b64 exec, exec, s[6:7]
	s_cbranch_execnz .LBB6_2268
.LBB6_218:
	s_or_b64 exec, exec, s[6:7]
	s_and_saveexec_b64 s[6:7], s[4:5]
	s_cbranch_execz .LBB6_220
.LBB6_219:
	v_bfe_u32 v2, v8, 24, 3
	v_ffbh_u32_e32 v12, v2
	v_min_u32_e32 v12, 32, v12
	v_lshrrev_b32_e32 v6, 27, v8
	v_subrev_u32_e32 v13, 28, v12
	v_and_b32_e32 v3, 0x80000000, v8
	v_and_b32_e32 v6, 15, v6
	v_bfe_u32 v7, v8, 27, 4
	v_lshlrev_b32_sdwa v8, v13, v8 dst_sel:DWORD dst_unused:UNUSED_PAD src0_sel:DWORD src1_sel:BYTE_3
	v_sub_u32_e32 v12, 29, v12
	v_and_b32_e32 v8, 7, v8
	v_cmp_eq_u16_e32 vcc, 0, v6
	v_cndmask_b32_e32 v2, v2, v8, vcc
	v_cndmask_b32_e32 v6, v7, v12, vcc
	v_mov_b32_e32 v7, 0x3b800000
	v_lshlrev_b32_e32 v2, 20, v2
	v_lshl_add_u32 v6, v6, 23, v7
	v_or3_b32 v2, v3, v6, v2
.LBB6_220:
	s_or_b64 exec, exec, s[6:7]
	s_movk_i32 s4, 0x7f
	v_cmp_gt_i16_sdwa s[6:7], v4, s4 src0_sel:BYTE_3 src1_sel:DWORD
	s_mov_b64 s[4:5], 0
                                        ; implicit-def: $sgpr10
	s_and_saveexec_b64 s[8:9], s[6:7]
	s_xor_b64 s[6:7], exec, s[8:9]
	s_cbranch_execnz .LBB6_2269
; %bb.221:
	s_or_saveexec_b64 s[6:7], s[6:7]
	v_mov_b32_e32 v3, s10
	s_xor_b64 exec, exec, s[6:7]
	s_cbranch_execnz .LBB6_2272
.LBB6_222:
	s_or_b64 exec, exec, s[6:7]
	s_and_saveexec_b64 s[6:7], s[4:5]
	s_cbranch_execz .LBB6_224
.LBB6_223:
	v_bfe_u32 v3, v4, 24, 3
	v_ffbh_u32_e32 v12, v3
	v_min_u32_e32 v12, 32, v12
	v_lshrrev_b32_e32 v7, 27, v4
	v_subrev_u32_e32 v13, 28, v12
	v_and_b32_e32 v6, 0x80000000, v4
	v_and_b32_e32 v7, 15, v7
	v_bfe_u32 v8, v4, 27, 4
	v_lshlrev_b32_sdwa v4, v13, v4 dst_sel:DWORD dst_unused:UNUSED_PAD src0_sel:DWORD src1_sel:BYTE_3
	v_sub_u32_e32 v12, 29, v12
	v_and_b32_e32 v4, 7, v4
	v_cmp_eq_u16_e32 vcc, 0, v7
	v_cndmask_b32_e32 v3, v3, v4, vcc
	v_cndmask_b32_e32 v4, v8, v12, vcc
	v_mov_b32_e32 v7, 0x3b800000
	v_lshlrev_b32_e32 v3, 20, v3
	v_lshl_add_u32 v4, v4, 23, v7
	v_or3_b32 v3, v6, v4, v3
.LBB6_224:
	s_or_b64 exec, exec, s[6:7]
	s_nop 0
	v_mfma_f32_16x16x4f32 a[0:3], v2, v3, a[0:3]
	s_movk_i32 s4, 0x7f
	v_cmp_gt_i16_sdwa s[6:7], v9, s4 src0_sel:BYTE_0 src1_sel:DWORD
	s_mov_b64 s[4:5], 0
                                        ; implicit-def: $sgpr10
	s_and_saveexec_b64 s[8:9], s[6:7]
	s_xor_b64 s[6:7], exec, s[8:9]
	s_cbranch_execnz .LBB6_2273
; %bb.225:
	s_or_saveexec_b64 s[6:7], s[6:7]
	v_mov_b32_e32 v2, s10
	s_xor_b64 exec, exec, s[6:7]
	s_cbranch_execnz .LBB6_2276
.LBB6_226:
	s_or_b64 exec, exec, s[6:7]
	s_and_saveexec_b64 s[6:7], s[4:5]
	s_cbranch_execz .LBB6_228
.LBB6_227:
	v_mov_b32_e32 v2, 8
	v_and_b32_e32 v3, 7, v9
	v_lshrrev_b32_sdwa v2, v2, v9 dst_sel:BYTE_1 dst_unused:UNUSED_PAD src0_sel:DWORD src1_sel:DWORD
	v_ffbh_u32_e32 v4, v3
	v_or_b32_sdwa v2, v9, v2 dst_sel:DWORD dst_unused:UNUSED_PAD src0_sel:BYTE_0 src1_sel:DWORD
	v_min_u32_e32 v4, 32, v4
	v_lshrrev_b16_e32 v2, 3, v2
	v_subrev_u32_e32 v6, 28, v4
	v_and_b32_e32 v2, 15, v2
	v_lshlrev_b32_e32 v6, v6, v9
	v_sub_u32_e32 v4, 29, v4
	v_and_b32_e32 v6, 7, v6
	v_cmp_eq_u16_e32 vcc, 0, v2
	v_cndmask_b32_e32 v3, v3, v6, vcc
	v_cndmask_b32_e32 v2, v2, v4, vcc
	v_lshlrev_b32_e32 v4, 24, v9
	v_mov_b32_e32 v6, 0x3b800000
	v_lshlrev_b32_e32 v3, 20, v3
	v_and_b32_e32 v4, 0x80000000, v4
	v_lshl_add_u32 v2, v2, 23, v6
	v_or3_b32 v2, v4, v2, v3
.LBB6_228:
	s_or_b64 exec, exec, s[6:7]
	s_movk_i32 s4, 0x7f
	v_cmp_gt_i16_sdwa s[6:7], v5, s4 src0_sel:BYTE_0 src1_sel:DWORD
	s_mov_b64 s[4:5], 0
                                        ; implicit-def: $sgpr10
	s_and_saveexec_b64 s[8:9], s[6:7]
	s_xor_b64 s[6:7], exec, s[8:9]
	s_cbranch_execnz .LBB6_2277
; %bb.229:
	s_or_saveexec_b64 s[6:7], s[6:7]
	v_mov_b32_e32 v3, s10
	s_xor_b64 exec, exec, s[6:7]
	s_cbranch_execnz .LBB6_2280
.LBB6_230:
	s_or_b64 exec, exec, s[6:7]
	s_and_saveexec_b64 s[6:7], s[4:5]
	s_cbranch_execz .LBB6_232
.LBB6_231:
	v_mov_b32_e32 v3, 8
	v_and_b32_e32 v4, 7, v5
	v_lshrrev_b32_sdwa v3, v3, v5 dst_sel:BYTE_1 dst_unused:UNUSED_PAD src0_sel:DWORD src1_sel:DWORD
	v_ffbh_u32_e32 v6, v4
	v_or_b32_sdwa v3, v5, v3 dst_sel:DWORD dst_unused:UNUSED_PAD src0_sel:BYTE_0 src1_sel:DWORD
	v_min_u32_e32 v6, 32, v6
	v_lshrrev_b16_e32 v3, 3, v3
	v_subrev_u32_e32 v7, 28, v6
	v_and_b32_e32 v3, 15, v3
	v_lshlrev_b32_e32 v7, v7, v5
	v_sub_u32_e32 v6, 29, v6
	v_and_b32_e32 v7, 7, v7
	v_cmp_eq_u16_e32 vcc, 0, v3
	v_cndmask_b32_e32 v4, v4, v7, vcc
	v_cndmask_b32_e32 v3, v3, v6, vcc
	v_lshlrev_b32_e32 v6, 24, v5
	v_mov_b32_e32 v7, 0x3b800000
	v_lshlrev_b32_e32 v4, 20, v4
	v_and_b32_e32 v6, 0x80000000, v6
	v_lshl_add_u32 v3, v3, 23, v7
	v_or3_b32 v3, v6, v3, v4
.LBB6_232:
	s_or_b64 exec, exec, s[6:7]
	s_nop 0
	v_mfma_f32_16x16x4f32 a[0:3], v2, v3, a[0:3]
	v_lshrrev_b32_e32 v3, 8, v9
	s_movk_i32 s4, 0x7f
	v_cmp_gt_i16_sdwa s[6:7], v3, s4 src0_sel:BYTE_0 src1_sel:DWORD
	s_mov_b64 s[4:5], 0
                                        ; implicit-def: $sgpr10
	s_and_saveexec_b64 s[8:9], s[6:7]
	s_xor_b64 s[6:7], exec, s[8:9]
	s_cbranch_execnz .LBB6_2281
; %bb.233:
	s_or_saveexec_b64 s[6:7], s[6:7]
	v_mov_b32_e32 v2, s10
	s_xor_b64 exec, exec, s[6:7]
	s_cbranch_execnz .LBB6_2284
.LBB6_234:
	s_or_b64 exec, exec, s[6:7]
	s_and_saveexec_b64 s[6:7], s[4:5]
	s_cbranch_execz .LBB6_236
.LBB6_235:
	v_bfe_u32 v2, v9, 8, 3
	v_ffbh_u32_e32 v6, v2
	v_min_u32_e32 v6, 32, v6
	v_lshrrev_b16_e32 v4, 3, v3
	v_subrev_u32_e32 v7, 28, v6
	v_and_b32_e32 v4, 15, v4
	v_lshlrev_b32_e32 v3, v7, v3
	v_sub_u32_e32 v6, 29, v6
	v_and_b32_e32 v3, 7, v3
	v_cmp_eq_u16_e32 vcc, 0, v4
	v_cndmask_b32_e32 v2, v2, v3, vcc
	v_cndmask_b32_e32 v3, v4, v6, vcc
	v_lshlrev_b32_e32 v4, 16, v9
	v_mov_b32_e32 v6, 0x3b800000
	v_lshlrev_b32_e32 v2, 20, v2
	v_and_b32_e32 v4, 0x80000000, v4
	v_lshl_add_u32 v3, v3, 23, v6
	v_or3_b32 v2, v4, v3, v2
.LBB6_236:
	s_or_b64 exec, exec, s[6:7]
	v_lshrrev_b32_e32 v3, 8, v5
	s_movk_i32 s4, 0x7f
	v_cmp_gt_i16_sdwa s[6:7], v3, s4 src0_sel:BYTE_0 src1_sel:DWORD
	s_mov_b64 s[4:5], 0
                                        ; implicit-def: $sgpr10
	s_and_saveexec_b64 s[8:9], s[6:7]
	s_xor_b64 s[6:7], exec, s[8:9]
	s_cbranch_execnz .LBB6_2285
; %bb.237:
	s_or_saveexec_b64 s[6:7], s[6:7]
	v_mov_b32_e32 v4, s10
	s_xor_b64 exec, exec, s[6:7]
	s_cbranch_execnz .LBB6_2288
.LBB6_238:
	s_or_b64 exec, exec, s[6:7]
	s_and_saveexec_b64 s[6:7], s[4:5]
	s_cbranch_execz .LBB6_240
.LBB6_239:
	v_bfe_u32 v4, v5, 8, 3
	v_ffbh_u32_e32 v7, v4
	v_min_u32_e32 v7, 32, v7
	v_lshrrev_b16_e32 v6, 3, v3
	v_subrev_u32_e32 v8, 28, v7
	v_and_b32_e32 v6, 15, v6
	v_lshlrev_b32_e32 v3, v8, v3
	v_sub_u32_e32 v7, 29, v7
	v_and_b32_e32 v3, 7, v3
	v_cmp_eq_u16_e32 vcc, 0, v6
	v_cndmask_b32_e32 v3, v4, v3, vcc
	v_cndmask_b32_e32 v4, v6, v7, vcc
	v_lshlrev_b32_e32 v6, 16, v5
	v_mov_b32_e32 v7, 0x3b800000
	v_lshlrev_b32_e32 v3, 20, v3
	v_and_b32_e32 v6, 0x80000000, v6
	v_lshl_add_u32 v4, v4, 23, v7
	v_or3_b32 v4, v6, v4, v3
.LBB6_240:
	s_or_b64 exec, exec, s[6:7]
	s_nop 0
	v_mfma_f32_16x16x4f32 a[0:3], v2, v4, a[0:3]
	s_movk_i32 s4, 0xff
	v_and_b32_sdwa v3, v9, s4 dst_sel:DWORD dst_unused:UNUSED_PAD src0_sel:WORD_1 src1_sel:DWORD
	s_movk_i32 s4, 0x7f
	v_cmp_lt_i16_e32 vcc, s4, v3
	s_mov_b64 s[4:5], 0
                                        ; implicit-def: $sgpr10
	s_and_saveexec_b64 s[6:7], vcc
	s_xor_b64 s[6:7], exec, s[6:7]
	s_cbranch_execnz .LBB6_2289
; %bb.241:
	s_or_saveexec_b64 s[6:7], s[6:7]
	v_mov_b32_e32 v2, s10
	s_xor_b64 exec, exec, s[6:7]
	s_cbranch_execnz .LBB6_2292
.LBB6_242:
	s_or_b64 exec, exec, s[6:7]
	s_and_saveexec_b64 s[6:7], s[4:5]
	s_cbranch_execz .LBB6_244
.LBB6_243:
	v_bfe_u32 v2, v9, 16, 3
	v_ffbh_u32_e32 v6, v2
	v_min_u32_e32 v6, 32, v6
	v_lshrrev_b32_e32 v3, 19, v9
	v_subrev_u32_e32 v7, 28, v6
	v_and_b32_e32 v3, 15, v3
	v_lshlrev_b32_sdwa v7, v7, v9 dst_sel:DWORD dst_unused:UNUSED_PAD src0_sel:DWORD src1_sel:WORD_1
	v_bfe_u32 v4, v9, 19, 4
	v_sub_u32_e32 v6, 29, v6
	v_and_b32_e32 v7, 7, v7
	v_cmp_eq_u16_e32 vcc, 0, v3
	v_cndmask_b32_e32 v2, v2, v7, vcc
	v_cndmask_b32_e32 v3, v4, v6, vcc
	v_lshlrev_b32_e32 v4, 8, v9
	v_mov_b32_e32 v6, 0x3b800000
	v_lshlrev_b32_e32 v2, 20, v2
	v_and_b32_e32 v4, 0x80000000, v4
	v_lshl_add_u32 v3, v3, 23, v6
	v_or3_b32 v2, v4, v3, v2
.LBB6_244:
	s_or_b64 exec, exec, s[6:7]
	s_movk_i32 s4, 0xff
	v_and_b32_sdwa v3, v5, s4 dst_sel:DWORD dst_unused:UNUSED_PAD src0_sel:WORD_1 src1_sel:DWORD
	s_movk_i32 s4, 0x7f
	v_cmp_lt_i16_e32 vcc, s4, v3
	s_mov_b64 s[4:5], 0
                                        ; implicit-def: $sgpr10
	s_and_saveexec_b64 s[6:7], vcc
	s_xor_b64 s[6:7], exec, s[6:7]
	s_cbranch_execnz .LBB6_2293
; %bb.245:
	s_or_saveexec_b64 s[6:7], s[6:7]
	v_mov_b32_e32 v4, s10
	s_xor_b64 exec, exec, s[6:7]
	s_cbranch_execnz .LBB6_2296
.LBB6_246:
	s_or_b64 exec, exec, s[6:7]
	s_and_saveexec_b64 s[6:7], s[4:5]
	s_cbranch_execz .LBB6_248
.LBB6_247:
	v_bfe_u32 v3, v5, 16, 3
	v_ffbh_u32_e32 v7, v3
	v_min_u32_e32 v7, 32, v7
	v_lshrrev_b32_e32 v4, 19, v5
	v_subrev_u32_e32 v8, 28, v7
	v_and_b32_e32 v4, 15, v4
	v_lshlrev_b32_sdwa v8, v8, v5 dst_sel:DWORD dst_unused:UNUSED_PAD src0_sel:DWORD src1_sel:WORD_1
	v_bfe_u32 v6, v5, 19, 4
	v_sub_u32_e32 v7, 29, v7
	v_and_b32_e32 v8, 7, v8
	v_cmp_eq_u16_e32 vcc, 0, v4
	v_cndmask_b32_e32 v3, v3, v8, vcc
	v_cndmask_b32_e32 v4, v6, v7, vcc
	v_lshlrev_b32_e32 v6, 8, v5
	v_mov_b32_e32 v7, 0x3b800000
	v_lshlrev_b32_e32 v3, 20, v3
	v_and_b32_e32 v6, 0x80000000, v6
	v_lshl_add_u32 v4, v4, 23, v7
	v_or3_b32 v4, v6, v4, v3
.LBB6_248:
	s_or_b64 exec, exec, s[6:7]
	s_nop 0
	v_mfma_f32_16x16x4f32 a[0:3], v2, v4, a[0:3]
	s_movk_i32 s4, 0x7f
	v_cmp_gt_i16_sdwa s[6:7], v9, s4 src0_sel:BYTE_3 src1_sel:DWORD
	s_mov_b64 s[4:5], 0
                                        ; implicit-def: $sgpr10
	s_and_saveexec_b64 s[8:9], s[6:7]
	s_xor_b64 s[6:7], exec, s[8:9]
	s_cbranch_execnz .LBB6_2297
; %bb.249:
	s_or_saveexec_b64 s[6:7], s[6:7]
	v_mov_b32_e32 v2, s10
	s_xor_b64 exec, exec, s[6:7]
	s_cbranch_execnz .LBB6_2300
.LBB6_250:
	s_or_b64 exec, exec, s[6:7]
	s_and_saveexec_b64 s[6:7], s[4:5]
	s_cbranch_execz .LBB6_252
.LBB6_251:
	v_bfe_u32 v2, v9, 24, 3
	v_ffbh_u32_e32 v7, v2
	v_min_u32_e32 v7, 32, v7
	v_lshrrev_b32_e32 v4, 27, v9
	v_subrev_u32_e32 v8, 28, v7
	v_and_b32_e32 v4, 15, v4
	v_lshlrev_b32_sdwa v8, v8, v9 dst_sel:DWORD dst_unused:UNUSED_PAD src0_sel:DWORD src1_sel:BYTE_3
	v_bfe_u32 v6, v9, 27, 4
	v_sub_u32_e32 v7, 29, v7
	v_and_b32_e32 v8, 7, v8
	v_cmp_eq_u16_e32 vcc, 0, v4
	v_cndmask_b32_e32 v2, v2, v8, vcc
	v_cndmask_b32_e32 v4, v6, v7, vcc
	v_mov_b32_e32 v6, 0x3b800000
	v_and_b32_e32 v3, 0x80000000, v9
	v_lshlrev_b32_e32 v2, 20, v2
	v_lshl_add_u32 v4, v4, 23, v6
	v_or3_b32 v2, v3, v4, v2
.LBB6_252:
	s_or_b64 exec, exec, s[6:7]
	s_movk_i32 s4, 0x7f
	v_cmp_gt_i16_sdwa s[6:7], v5, s4 src0_sel:BYTE_3 src1_sel:DWORD
	s_mov_b64 s[4:5], 0
                                        ; implicit-def: $sgpr10
	s_and_saveexec_b64 s[8:9], s[6:7]
	s_xor_b64 s[6:7], exec, s[8:9]
	s_cbranch_execnz .LBB6_2301
; %bb.253:
	s_or_saveexec_b64 s[6:7], s[6:7]
	v_mov_b32_e32 v3, s10
	s_xor_b64 exec, exec, s[6:7]
	s_cbranch_execnz .LBB6_2304
.LBB6_254:
	s_or_b64 exec, exec, s[6:7]
	s_and_saveexec_b64 s[6:7], s[4:5]
	s_cbranch_execz .LBB6_256
.LBB6_255:
	v_bfe_u32 v3, v5, 24, 3
	v_ffbh_u32_e32 v8, v3
	v_min_u32_e32 v8, 32, v8
	v_lshrrev_b32_e32 v6, 27, v5
	v_subrev_u32_e32 v9, 28, v8
	v_and_b32_e32 v4, 0x80000000, v5
	v_and_b32_e32 v6, 15, v6
	v_bfe_u32 v7, v5, 27, 4
	v_lshlrev_b32_sdwa v5, v9, v5 dst_sel:DWORD dst_unused:UNUSED_PAD src0_sel:DWORD src1_sel:BYTE_3
	v_sub_u32_e32 v8, 29, v8
	v_and_b32_e32 v5, 7, v5
	v_cmp_eq_u16_e32 vcc, 0, v6
	v_cndmask_b32_e32 v3, v3, v5, vcc
	v_cndmask_b32_e32 v5, v7, v8, vcc
	v_mov_b32_e32 v6, 0x3b800000
	v_lshlrev_b32_e32 v3, 20, v3
	v_lshl_add_u32 v5, v5, 23, v6
	v_or3_b32 v3, v4, v5, v3
.LBB6_256:
	s_or_b64 exec, exec, s[6:7]
	s_nop 0
	v_mfma_f32_16x16x4f32 a[0:3], v2, v3, a[0:3]
	s_movk_i32 s4, 0x7f
                                        ; implicit-def: $sgpr10
	s_nop 7
	s_nop 1
	flat_store_dwordx4 v[10:11], a[0:3] offset:16
	flat_load_dwordx4 v[12:15], v[0:1] offset:8
	s_nop 0
	flat_load_dwordx2 v[10:11], v[0:1] offset:32
	s_waitcnt vmcnt(0) lgkmcnt(0)
	flat_load_dwordx4 v[6:9], v[12:13] offset:16
	flat_load_dwordx4 v[2:5], v[14:15] offset:80
	s_waitcnt vmcnt(0) lgkmcnt(0)
	v_cmp_gt_i16_sdwa s[6:7], v6, s4 src0_sel:BYTE_0 src1_sel:DWORD
	s_mov_b64 s[4:5], 0
	s_and_saveexec_b64 s[8:9], s[6:7]
	s_xor_b64 s[6:7], exec, s[8:9]
	s_cbranch_execnz .LBB6_2305
; %bb.257:
	s_or_saveexec_b64 s[6:7], s[6:7]
	v_mov_b32_e32 v12, s10
	s_xor_b64 exec, exec, s[6:7]
	s_cbranch_execnz .LBB6_2308
.LBB6_258:
	s_or_b64 exec, exec, s[6:7]
	s_and_saveexec_b64 s[6:7], s[4:5]
	s_cbranch_execz .LBB6_260
.LBB6_259:
	v_and_b32_e32 v12, 7, v6
	v_ffbh_u32_e32 v14, v12
	v_min_u32_e32 v14, 32, v14
	v_lshrrev_b16_e32 v13, 3, v6
	v_subrev_u32_e32 v15, 28, v14
	v_and_b32_e32 v13, 15, v13
	v_lshlrev_b32_e32 v15, v15, v6
	v_sub_u32_e32 v14, 29, v14
	v_and_b32_e32 v15, 7, v15
	v_cmp_eq_u16_e32 vcc, 0, v13
	v_cndmask_b32_e32 v12, v12, v15, vcc
	v_cndmask_b32_e32 v13, v13, v14, vcc
	v_lshlrev_b32_e32 v14, 24, v6
	v_mov_b32_e32 v15, 0x3b800000
	v_lshlrev_b32_e32 v12, 20, v12
	v_and_b32_e32 v14, 0x80000000, v14
	v_lshl_add_u32 v13, v13, 23, v15
	v_or3_b32 v12, v14, v13, v12
.LBB6_260:
	s_or_b64 exec, exec, s[6:7]
	s_movk_i32 s4, 0x7f
	v_cmp_gt_i16_sdwa s[6:7], v2, s4 src0_sel:BYTE_0 src1_sel:DWORD
	s_mov_b64 s[4:5], 0
                                        ; implicit-def: $sgpr10
	s_and_saveexec_b64 s[8:9], s[6:7]
	s_xor_b64 s[6:7], exec, s[8:9]
	s_cbranch_execnz .LBB6_2309
; %bb.261:
	s_or_saveexec_b64 s[6:7], s[6:7]
	v_mov_b32_e32 v13, s10
	s_xor_b64 exec, exec, s[6:7]
	s_cbranch_execnz .LBB6_2312
.LBB6_262:
	s_or_b64 exec, exec, s[6:7]
	s_and_saveexec_b64 s[6:7], s[4:5]
	s_cbranch_execz .LBB6_264
.LBB6_263:
	v_and_b32_e32 v13, 7, v2
	v_ffbh_u32_e32 v15, v13
	v_min_u32_e32 v15, 32, v15
	v_lshrrev_b16_e32 v14, 3, v2
	v_subrev_u32_e32 v16, 28, v15
	v_and_b32_e32 v14, 15, v14
	v_lshlrev_b32_e32 v16, v16, v2
	v_sub_u32_e32 v15, 29, v15
	v_and_b32_e32 v16, 7, v16
	v_cmp_eq_u16_e32 vcc, 0, v14
	v_cndmask_b32_e32 v13, v13, v16, vcc
	v_cndmask_b32_e32 v14, v14, v15, vcc
	v_lshlrev_b32_e32 v15, 24, v2
	v_mov_b32_e32 v16, 0x3b800000
	v_lshlrev_b32_e32 v13, 20, v13
	v_and_b32_e32 v15, 0x80000000, v15
	v_lshl_add_u32 v14, v14, 23, v16
	v_or3_b32 v13, v15, v14, v13
.LBB6_264:
	s_or_b64 exec, exec, s[6:7]
	flat_load_dwordx4 a[0:3], v[10:11] offset:32
	s_movk_i32 s4, 0x7f
                                        ; implicit-def: $sgpr10
	s_waitcnt vmcnt(0) lgkmcnt(0)
	v_mfma_f32_16x16x4f32 a[0:3], v12, v13, a[0:3]
	v_lshrrev_b32_e32 v13, 8, v6
	v_cmp_gt_i16_sdwa s[6:7], v13, s4 src0_sel:BYTE_0 src1_sel:DWORD
	s_mov_b64 s[4:5], 0
	s_and_saveexec_b64 s[8:9], s[6:7]
	s_xor_b64 s[6:7], exec, s[8:9]
	s_cbranch_execnz .LBB6_2313
; %bb.265:
	s_or_saveexec_b64 s[6:7], s[6:7]
	v_mov_b32_e32 v12, s10
	s_xor_b64 exec, exec, s[6:7]
	s_cbranch_execnz .LBB6_2316
.LBB6_266:
	s_or_b64 exec, exec, s[6:7]
	s_and_saveexec_b64 s[6:7], s[4:5]
	s_cbranch_execz .LBB6_268
.LBB6_267:
	v_bfe_u32 v12, v6, 8, 3
	v_ffbh_u32_e32 v15, v12
	v_min_u32_e32 v15, 32, v15
	v_lshrrev_b16_e32 v14, 3, v13
	v_subrev_u32_e32 v16, 28, v15
	v_and_b32_e32 v14, 15, v14
	v_lshlrev_b32_e32 v13, v16, v13
	v_sub_u32_e32 v15, 29, v15
	v_and_b32_e32 v13, 7, v13
	v_cmp_eq_u16_e32 vcc, 0, v14
	v_cndmask_b32_e32 v12, v12, v13, vcc
	v_cndmask_b32_e32 v13, v14, v15, vcc
	v_lshlrev_b32_e32 v14, 16, v6
	v_mov_b32_e32 v15, 0x3b800000
	v_lshlrev_b32_e32 v12, 20, v12
	v_and_b32_e32 v14, 0x80000000, v14
	v_lshl_add_u32 v13, v13, 23, v15
	v_or3_b32 v12, v14, v13, v12
.LBB6_268:
	s_or_b64 exec, exec, s[6:7]
	v_lshrrev_b32_e32 v13, 8, v2
	s_movk_i32 s4, 0x7f
	v_cmp_gt_i16_sdwa s[6:7], v13, s4 src0_sel:BYTE_0 src1_sel:DWORD
	s_mov_b64 s[4:5], 0
                                        ; implicit-def: $sgpr10
	s_and_saveexec_b64 s[8:9], s[6:7]
	s_xor_b64 s[6:7], exec, s[8:9]
	s_cbranch_execnz .LBB6_2317
; %bb.269:
	s_or_saveexec_b64 s[6:7], s[6:7]
	v_mov_b32_e32 v14, s10
	s_xor_b64 exec, exec, s[6:7]
	s_cbranch_execnz .LBB6_2320
.LBB6_270:
	s_or_b64 exec, exec, s[6:7]
	s_and_saveexec_b64 s[6:7], s[4:5]
	s_cbranch_execz .LBB6_272
.LBB6_271:
	v_bfe_u32 v14, v2, 8, 3
	v_ffbh_u32_e32 v16, v14
	v_min_u32_e32 v16, 32, v16
	v_lshrrev_b16_e32 v15, 3, v13
	v_subrev_u32_e32 v17, 28, v16
	v_and_b32_e32 v15, 15, v15
	v_lshlrev_b32_e32 v13, v17, v13
	v_sub_u32_e32 v16, 29, v16
	v_and_b32_e32 v13, 7, v13
	v_cmp_eq_u16_e32 vcc, 0, v15
	v_cndmask_b32_e32 v13, v14, v13, vcc
	v_cndmask_b32_e32 v14, v15, v16, vcc
	v_lshlrev_b32_e32 v15, 16, v2
	v_mov_b32_e32 v16, 0x3b800000
	v_lshlrev_b32_e32 v13, 20, v13
	v_and_b32_e32 v15, 0x80000000, v15
	v_lshl_add_u32 v14, v14, 23, v16
	v_or3_b32 v14, v15, v14, v13
.LBB6_272:
	s_or_b64 exec, exec, s[6:7]
	s_nop 0
	v_mfma_f32_16x16x4f32 a[0:3], v12, v14, a[0:3]
	s_movk_i32 s4, 0xff
	v_and_b32_sdwa v13, v6, s4 dst_sel:DWORD dst_unused:UNUSED_PAD src0_sel:WORD_1 src1_sel:DWORD
	s_movk_i32 s4, 0x7f
	v_cmp_lt_i16_e32 vcc, s4, v13
	s_mov_b64 s[4:5], 0
                                        ; implicit-def: $sgpr10
	s_and_saveexec_b64 s[6:7], vcc
	s_xor_b64 s[6:7], exec, s[6:7]
	s_cbranch_execnz .LBB6_2321
; %bb.273:
	s_or_saveexec_b64 s[6:7], s[6:7]
	v_mov_b32_e32 v12, s10
	s_xor_b64 exec, exec, s[6:7]
	s_cbranch_execnz .LBB6_2324
.LBB6_274:
	s_or_b64 exec, exec, s[6:7]
	s_and_saveexec_b64 s[6:7], s[4:5]
	s_cbranch_execz .LBB6_276
.LBB6_275:
	v_bfe_u32 v12, v6, 16, 3
	v_ffbh_u32_e32 v15, v12
	v_min_u32_e32 v15, 32, v15
	v_lshrrev_b32_e32 v13, 19, v6
	v_subrev_u32_e32 v16, 28, v15
	v_and_b32_e32 v13, 15, v13
	v_lshlrev_b32_sdwa v16, v16, v6 dst_sel:DWORD dst_unused:UNUSED_PAD src0_sel:DWORD src1_sel:WORD_1
	v_bfe_u32 v14, v6, 19, 4
	v_sub_u32_e32 v15, 29, v15
	v_and_b32_e32 v16, 7, v16
	v_cmp_eq_u16_e32 vcc, 0, v13
	v_cndmask_b32_e32 v12, v12, v16, vcc
	v_cndmask_b32_e32 v13, v14, v15, vcc
	v_lshlrev_b32_e32 v14, 8, v6
	v_mov_b32_e32 v15, 0x3b800000
	v_lshlrev_b32_e32 v12, 20, v12
	v_and_b32_e32 v14, 0x80000000, v14
	v_lshl_add_u32 v13, v13, 23, v15
	v_or3_b32 v12, v14, v13, v12
.LBB6_276:
	s_or_b64 exec, exec, s[6:7]
	s_movk_i32 s4, 0xff
	v_and_b32_sdwa v13, v2, s4 dst_sel:DWORD dst_unused:UNUSED_PAD src0_sel:WORD_1 src1_sel:DWORD
	s_movk_i32 s4, 0x7f
	v_cmp_lt_i16_e32 vcc, s4, v13
	s_mov_b64 s[4:5], 0
                                        ; implicit-def: $sgpr10
	s_and_saveexec_b64 s[6:7], vcc
	s_xor_b64 s[6:7], exec, s[6:7]
	s_cbranch_execnz .LBB6_2325
; %bb.277:
	s_or_saveexec_b64 s[6:7], s[6:7]
	v_mov_b32_e32 v14, s10
	s_xor_b64 exec, exec, s[6:7]
	s_cbranch_execnz .LBB6_2328
.LBB6_278:
	s_or_b64 exec, exec, s[6:7]
	s_and_saveexec_b64 s[6:7], s[4:5]
	s_cbranch_execz .LBB6_280
.LBB6_279:
	v_bfe_u32 v13, v2, 16, 3
	v_ffbh_u32_e32 v16, v13
	v_min_u32_e32 v16, 32, v16
	v_lshrrev_b32_e32 v14, 19, v2
	v_subrev_u32_e32 v17, 28, v16
	v_and_b32_e32 v14, 15, v14
	v_lshlrev_b32_sdwa v17, v17, v2 dst_sel:DWORD dst_unused:UNUSED_PAD src0_sel:DWORD src1_sel:WORD_1
	v_bfe_u32 v15, v2, 19, 4
	v_sub_u32_e32 v16, 29, v16
	v_and_b32_e32 v17, 7, v17
	v_cmp_eq_u16_e32 vcc, 0, v14
	v_cndmask_b32_e32 v13, v13, v17, vcc
	v_cndmask_b32_e32 v14, v15, v16, vcc
	v_lshlrev_b32_e32 v15, 8, v2
	v_mov_b32_e32 v16, 0x3b800000
	v_lshlrev_b32_e32 v13, 20, v13
	v_and_b32_e32 v15, 0x80000000, v15
	v_lshl_add_u32 v14, v14, 23, v16
	v_or3_b32 v14, v15, v14, v13
.LBB6_280:
	s_or_b64 exec, exec, s[6:7]
	s_nop 0
	v_mfma_f32_16x16x4f32 a[0:3], v12, v14, a[0:3]
	s_movk_i32 s4, 0x7f
	v_cmp_gt_i16_sdwa s[6:7], v6, s4 src0_sel:BYTE_3 src1_sel:DWORD
	s_mov_b64 s[4:5], 0
                                        ; implicit-def: $sgpr10
	s_and_saveexec_b64 s[8:9], s[6:7]
	s_xor_b64 s[6:7], exec, s[8:9]
	s_cbranch_execnz .LBB6_2329
; %bb.281:
	s_or_saveexec_b64 s[6:7], s[6:7]
	v_mov_b32_e32 v12, s10
	s_xor_b64 exec, exec, s[6:7]
	s_cbranch_execnz .LBB6_2332
.LBB6_282:
	s_or_b64 exec, exec, s[6:7]
	s_and_saveexec_b64 s[6:7], s[4:5]
	s_cbranch_execz .LBB6_284
.LBB6_283:
	v_bfe_u32 v12, v6, 24, 3
	v_ffbh_u32_e32 v16, v12
	v_min_u32_e32 v16, 32, v16
	v_lshrrev_b32_e32 v14, 27, v6
	v_subrev_u32_e32 v17, 28, v16
	v_and_b32_e32 v13, 0x80000000, v6
	v_and_b32_e32 v14, 15, v14
	v_bfe_u32 v15, v6, 27, 4
	v_lshlrev_b32_sdwa v6, v17, v6 dst_sel:DWORD dst_unused:UNUSED_PAD src0_sel:DWORD src1_sel:BYTE_3
	v_sub_u32_e32 v16, 29, v16
	v_and_b32_e32 v6, 7, v6
	v_cmp_eq_u16_e32 vcc, 0, v14
	v_cndmask_b32_e32 v6, v12, v6, vcc
	v_cndmask_b32_e32 v12, v15, v16, vcc
	v_mov_b32_e32 v14, 0x3b800000
	v_lshlrev_b32_e32 v6, 20, v6
	v_lshl_add_u32 v12, v12, 23, v14
	v_or3_b32 v12, v13, v12, v6
.LBB6_284:
	s_or_b64 exec, exec, s[6:7]
	s_movk_i32 s4, 0x7f
	v_cmp_gt_i16_sdwa s[6:7], v2, s4 src0_sel:BYTE_3 src1_sel:DWORD
	s_mov_b64 s[4:5], 0
                                        ; implicit-def: $sgpr10
	s_and_saveexec_b64 s[8:9], s[6:7]
	s_xor_b64 s[6:7], exec, s[8:9]
	s_cbranch_execnz .LBB6_2333
; %bb.285:
	s_or_saveexec_b64 s[6:7], s[6:7]
	v_mov_b32_e32 v6, s10
	s_xor_b64 exec, exec, s[6:7]
	s_cbranch_execnz .LBB6_2336
.LBB6_286:
	s_or_b64 exec, exec, s[6:7]
	s_and_saveexec_b64 s[6:7], s[4:5]
	s_cbranch_execz .LBB6_288
.LBB6_287:
	v_bfe_u32 v6, v2, 24, 3
	v_ffbh_u32_e32 v16, v6
	v_min_u32_e32 v16, 32, v16
	v_lshrrev_b32_e32 v14, 27, v2
	v_subrev_u32_e32 v17, 28, v16
	v_and_b32_e32 v13, 0x80000000, v2
	v_and_b32_e32 v14, 15, v14
	v_bfe_u32 v15, v2, 27, 4
	v_lshlrev_b32_sdwa v2, v17, v2 dst_sel:DWORD dst_unused:UNUSED_PAD src0_sel:DWORD src1_sel:BYTE_3
	v_sub_u32_e32 v16, 29, v16
	v_and_b32_e32 v2, 7, v2
	v_cmp_eq_u16_e32 vcc, 0, v14
	v_cndmask_b32_e32 v2, v6, v2, vcc
	v_cndmask_b32_e32 v6, v15, v16, vcc
	v_mov_b32_e32 v14, 0x3b800000
	v_lshlrev_b32_e32 v2, 20, v2
	v_lshl_add_u32 v6, v6, 23, v14
	v_or3_b32 v6, v13, v6, v2
.LBB6_288:
	s_or_b64 exec, exec, s[6:7]
	s_nop 0
	v_mfma_f32_16x16x4f32 a[0:3], v12, v6, a[0:3]
	s_movk_i32 s4, 0x7f
	v_cmp_gt_i16_sdwa s[6:7], v7, s4 src0_sel:BYTE_0 src1_sel:DWORD
	s_mov_b64 s[4:5], 0
                                        ; implicit-def: $sgpr10
	s_and_saveexec_b64 s[8:9], s[6:7]
	s_xor_b64 s[6:7], exec, s[8:9]
	s_cbranch_execnz .LBB6_2337
; %bb.289:
	s_or_saveexec_b64 s[6:7], s[6:7]
	v_mov_b32_e32 v2, s10
	s_xor_b64 exec, exec, s[6:7]
	s_cbranch_execnz .LBB6_2340
.LBB6_290:
	s_or_b64 exec, exec, s[6:7]
	s_and_saveexec_b64 s[6:7], s[4:5]
	s_cbranch_execz .LBB6_292
.LBB6_291:
	v_and_b32_e32 v2, 7, v7
	v_ffbh_u32_e32 v12, v2
	v_min_u32_e32 v12, 32, v12
	v_lshrrev_b16_e32 v6, 3, v7
	v_subrev_u32_e32 v13, 28, v12
	v_and_b32_e32 v6, 15, v6
	v_lshlrev_b32_e32 v13, v13, v7
	v_sub_u32_e32 v12, 29, v12
	v_and_b32_e32 v13, 7, v13
	v_cmp_eq_u16_e32 vcc, 0, v6
	v_cndmask_b32_e32 v2, v2, v13, vcc
	v_cndmask_b32_e32 v6, v6, v12, vcc
	v_lshlrev_b32_e32 v12, 24, v7
	v_mov_b32_e32 v13, 0x3b800000
	v_lshlrev_b32_e32 v2, 20, v2
	v_and_b32_e32 v12, 0x80000000, v12
	v_lshl_add_u32 v6, v6, 23, v13
	v_or3_b32 v2, v12, v6, v2
.LBB6_292:
	s_or_b64 exec, exec, s[6:7]
	s_movk_i32 s4, 0x7f
	v_cmp_gt_i16_sdwa s[6:7], v3, s4 src0_sel:BYTE_0 src1_sel:DWORD
	s_mov_b64 s[4:5], 0
                                        ; implicit-def: $sgpr10
	s_and_saveexec_b64 s[8:9], s[6:7]
	s_xor_b64 s[6:7], exec, s[8:9]
	s_cbranch_execnz .LBB6_2341
; %bb.293:
	s_or_saveexec_b64 s[6:7], s[6:7]
	v_mov_b32_e32 v6, s10
	s_xor_b64 exec, exec, s[6:7]
	s_cbranch_execnz .LBB6_2344
.LBB6_294:
	s_or_b64 exec, exec, s[6:7]
	s_and_saveexec_b64 s[6:7], s[4:5]
	s_cbranch_execz .LBB6_296
.LBB6_295:
	v_and_b32_e32 v6, 7, v3
	v_ffbh_u32_e32 v13, v6
	v_min_u32_e32 v13, 32, v13
	v_lshrrev_b16_e32 v12, 3, v3
	v_subrev_u32_e32 v14, 28, v13
	v_and_b32_e32 v12, 15, v12
	v_lshlrev_b32_e32 v14, v14, v3
	v_sub_u32_e32 v13, 29, v13
	v_and_b32_e32 v14, 7, v14
	v_cmp_eq_u16_e32 vcc, 0, v12
	v_cndmask_b32_e32 v6, v6, v14, vcc
	v_cndmask_b32_e32 v12, v12, v13, vcc
	v_lshlrev_b32_e32 v13, 24, v3
	v_mov_b32_e32 v14, 0x3b800000
	v_lshlrev_b32_e32 v6, 20, v6
	v_and_b32_e32 v13, 0x80000000, v13
	v_lshl_add_u32 v12, v12, 23, v14
	v_or3_b32 v6, v13, v12, v6
.LBB6_296:
	s_or_b64 exec, exec, s[6:7]
	s_nop 0
	v_mfma_f32_16x16x4f32 a[0:3], v2, v6, a[0:3]
	v_lshrrev_b32_e32 v6, 8, v7
	s_movk_i32 s4, 0x7f
	v_cmp_gt_i16_sdwa s[6:7], v6, s4 src0_sel:BYTE_0 src1_sel:DWORD
	s_mov_b64 s[4:5], 0
                                        ; implicit-def: $sgpr10
	s_and_saveexec_b64 s[8:9], s[6:7]
	s_xor_b64 s[6:7], exec, s[8:9]
	s_cbranch_execnz .LBB6_2345
; %bb.297:
	s_or_saveexec_b64 s[6:7], s[6:7]
	v_mov_b32_e32 v2, s10
	s_xor_b64 exec, exec, s[6:7]
	s_cbranch_execnz .LBB6_2348
.LBB6_298:
	s_or_b64 exec, exec, s[6:7]
	s_and_saveexec_b64 s[6:7], s[4:5]
	s_cbranch_execz .LBB6_300
.LBB6_299:
	v_bfe_u32 v2, v7, 8, 3
	v_ffbh_u32_e32 v13, v2
	v_min_u32_e32 v13, 32, v13
	v_lshrrev_b16_e32 v12, 3, v6
	v_subrev_u32_e32 v14, 28, v13
	v_and_b32_e32 v12, 15, v12
	v_lshlrev_b32_e32 v6, v14, v6
	v_sub_u32_e32 v13, 29, v13
	v_and_b32_e32 v6, 7, v6
	v_cmp_eq_u16_e32 vcc, 0, v12
	v_cndmask_b32_e32 v2, v2, v6, vcc
	v_cndmask_b32_e32 v6, v12, v13, vcc
	v_lshlrev_b32_e32 v12, 16, v7
	v_mov_b32_e32 v13, 0x3b800000
	v_lshlrev_b32_e32 v2, 20, v2
	v_and_b32_e32 v12, 0x80000000, v12
	v_lshl_add_u32 v6, v6, 23, v13
	v_or3_b32 v2, v12, v6, v2
.LBB6_300:
	s_or_b64 exec, exec, s[6:7]
	v_lshrrev_b32_e32 v6, 8, v3
	s_movk_i32 s4, 0x7f
	v_cmp_gt_i16_sdwa s[6:7], v6, s4 src0_sel:BYTE_0 src1_sel:DWORD
	s_mov_b64 s[4:5], 0
                                        ; implicit-def: $sgpr10
	s_and_saveexec_b64 s[8:9], s[6:7]
	s_xor_b64 s[6:7], exec, s[8:9]
	s_cbranch_execnz .LBB6_2349
; %bb.301:
	s_or_saveexec_b64 s[6:7], s[6:7]
	v_mov_b32_e32 v12, s10
	s_xor_b64 exec, exec, s[6:7]
	s_cbranch_execnz .LBB6_2352
.LBB6_302:
	s_or_b64 exec, exec, s[6:7]
	s_and_saveexec_b64 s[6:7], s[4:5]
	s_cbranch_execz .LBB6_304
.LBB6_303:
	v_bfe_u32 v12, v3, 8, 3
	v_ffbh_u32_e32 v14, v12
	v_min_u32_e32 v14, 32, v14
	v_lshrrev_b16_e32 v13, 3, v6
	v_subrev_u32_e32 v15, 28, v14
	v_and_b32_e32 v13, 15, v13
	v_lshlrev_b32_e32 v6, v15, v6
	v_sub_u32_e32 v14, 29, v14
	v_and_b32_e32 v6, 7, v6
	v_cmp_eq_u16_e32 vcc, 0, v13
	v_cndmask_b32_e32 v6, v12, v6, vcc
	v_cndmask_b32_e32 v12, v13, v14, vcc
	v_lshlrev_b32_e32 v13, 16, v3
	v_mov_b32_e32 v14, 0x3b800000
	v_lshlrev_b32_e32 v6, 20, v6
	v_and_b32_e32 v13, 0x80000000, v13
	v_lshl_add_u32 v12, v12, 23, v14
	v_or3_b32 v12, v13, v12, v6
.LBB6_304:
	s_or_b64 exec, exec, s[6:7]
	s_nop 0
	v_mfma_f32_16x16x4f32 a[0:3], v2, v12, a[0:3]
	s_movk_i32 s4, 0xff
	v_and_b32_sdwa v6, v7, s4 dst_sel:DWORD dst_unused:UNUSED_PAD src0_sel:WORD_1 src1_sel:DWORD
	s_movk_i32 s4, 0x7f
	v_cmp_lt_i16_e32 vcc, s4, v6
	s_mov_b64 s[4:5], 0
                                        ; implicit-def: $sgpr10
	s_and_saveexec_b64 s[6:7], vcc
	s_xor_b64 s[6:7], exec, s[6:7]
	s_cbranch_execnz .LBB6_2353
; %bb.305:
	s_or_saveexec_b64 s[6:7], s[6:7]
	v_mov_b32_e32 v2, s10
	s_xor_b64 exec, exec, s[6:7]
	s_cbranch_execnz .LBB6_2356
.LBB6_306:
	s_or_b64 exec, exec, s[6:7]
	s_and_saveexec_b64 s[6:7], s[4:5]
	s_cbranch_execz .LBB6_308
.LBB6_307:
	v_bfe_u32 v2, v7, 16, 3
	v_ffbh_u32_e32 v13, v2
	v_min_u32_e32 v13, 32, v13
	v_lshrrev_b32_e32 v6, 19, v7
	v_subrev_u32_e32 v14, 28, v13
	v_and_b32_e32 v6, 15, v6
	v_lshlrev_b32_sdwa v14, v14, v7 dst_sel:DWORD dst_unused:UNUSED_PAD src0_sel:DWORD src1_sel:WORD_1
	v_bfe_u32 v12, v7, 19, 4
	v_sub_u32_e32 v13, 29, v13
	v_and_b32_e32 v14, 7, v14
	v_cmp_eq_u16_e32 vcc, 0, v6
	v_cndmask_b32_e32 v2, v2, v14, vcc
	v_cndmask_b32_e32 v6, v12, v13, vcc
	v_lshlrev_b32_e32 v12, 8, v7
	v_mov_b32_e32 v13, 0x3b800000
	v_lshlrev_b32_e32 v2, 20, v2
	v_and_b32_e32 v12, 0x80000000, v12
	v_lshl_add_u32 v6, v6, 23, v13
	v_or3_b32 v2, v12, v6, v2
.LBB6_308:
	s_or_b64 exec, exec, s[6:7]
	s_movk_i32 s4, 0xff
	v_and_b32_sdwa v6, v3, s4 dst_sel:DWORD dst_unused:UNUSED_PAD src0_sel:WORD_1 src1_sel:DWORD
	s_movk_i32 s4, 0x7f
	v_cmp_lt_i16_e32 vcc, s4, v6
	s_mov_b64 s[4:5], 0
                                        ; implicit-def: $sgpr10
	s_and_saveexec_b64 s[6:7], vcc
	s_xor_b64 s[6:7], exec, s[6:7]
	s_cbranch_execnz .LBB6_2357
; %bb.309:
	s_or_saveexec_b64 s[6:7], s[6:7]
	v_mov_b32_e32 v12, s10
	s_xor_b64 exec, exec, s[6:7]
	s_cbranch_execnz .LBB6_2360
.LBB6_310:
	s_or_b64 exec, exec, s[6:7]
	s_and_saveexec_b64 s[6:7], s[4:5]
	s_cbranch_execz .LBB6_312
.LBB6_311:
	v_bfe_u32 v6, v3, 16, 3
	v_ffbh_u32_e32 v14, v6
	v_min_u32_e32 v14, 32, v14
	v_lshrrev_b32_e32 v12, 19, v3
	v_subrev_u32_e32 v15, 28, v14
	v_and_b32_e32 v12, 15, v12
	v_lshlrev_b32_sdwa v15, v15, v3 dst_sel:DWORD dst_unused:UNUSED_PAD src0_sel:DWORD src1_sel:WORD_1
	v_bfe_u32 v13, v3, 19, 4
	v_sub_u32_e32 v14, 29, v14
	v_and_b32_e32 v15, 7, v15
	v_cmp_eq_u16_e32 vcc, 0, v12
	v_cndmask_b32_e32 v6, v6, v15, vcc
	v_cndmask_b32_e32 v12, v13, v14, vcc
	v_lshlrev_b32_e32 v13, 8, v3
	v_mov_b32_e32 v14, 0x3b800000
	v_lshlrev_b32_e32 v6, 20, v6
	v_and_b32_e32 v13, 0x80000000, v13
	v_lshl_add_u32 v12, v12, 23, v14
	v_or3_b32 v12, v13, v12, v6
.LBB6_312:
	s_or_b64 exec, exec, s[6:7]
	s_nop 0
	v_mfma_f32_16x16x4f32 a[0:3], v2, v12, a[0:3]
	s_movk_i32 s4, 0x7f
	v_cmp_gt_i16_sdwa s[6:7], v7, s4 src0_sel:BYTE_3 src1_sel:DWORD
	s_mov_b64 s[4:5], 0
                                        ; implicit-def: $sgpr10
	s_and_saveexec_b64 s[8:9], s[6:7]
	s_xor_b64 s[6:7], exec, s[8:9]
	s_cbranch_execnz .LBB6_2361
; %bb.313:
	s_or_saveexec_b64 s[6:7], s[6:7]
	v_mov_b32_e32 v2, s10
	s_xor_b64 exec, exec, s[6:7]
	s_cbranch_execnz .LBB6_2364
.LBB6_314:
	s_or_b64 exec, exec, s[6:7]
	s_and_saveexec_b64 s[6:7], s[4:5]
	s_cbranch_execz .LBB6_316
.LBB6_315:
	v_bfe_u32 v2, v7, 24, 3
	v_ffbh_u32_e32 v14, v2
	v_min_u32_e32 v14, 32, v14
	v_lshrrev_b32_e32 v12, 27, v7
	v_subrev_u32_e32 v15, 28, v14
	v_and_b32_e32 v6, 0x80000000, v7
	v_and_b32_e32 v12, 15, v12
	v_bfe_u32 v13, v7, 27, 4
	v_lshlrev_b32_sdwa v7, v15, v7 dst_sel:DWORD dst_unused:UNUSED_PAD src0_sel:DWORD src1_sel:BYTE_3
	v_sub_u32_e32 v14, 29, v14
	v_and_b32_e32 v7, 7, v7
	v_cmp_eq_u16_e32 vcc, 0, v12
	v_cndmask_b32_e32 v2, v2, v7, vcc
	v_cndmask_b32_e32 v7, v13, v14, vcc
	v_mov_b32_e32 v12, 0x3b800000
	v_lshlrev_b32_e32 v2, 20, v2
	v_lshl_add_u32 v7, v7, 23, v12
	v_or3_b32 v2, v6, v7, v2
.LBB6_316:
	s_or_b64 exec, exec, s[6:7]
	s_movk_i32 s4, 0x7f
	v_cmp_gt_i16_sdwa s[6:7], v3, s4 src0_sel:BYTE_3 src1_sel:DWORD
	s_mov_b64 s[4:5], 0
                                        ; implicit-def: $sgpr10
	s_and_saveexec_b64 s[8:9], s[6:7]
	s_xor_b64 s[6:7], exec, s[8:9]
	s_cbranch_execnz .LBB6_2365
; %bb.317:
	s_or_saveexec_b64 s[6:7], s[6:7]
	v_mov_b32_e32 v6, s10
	s_xor_b64 exec, exec, s[6:7]
	s_cbranch_execnz .LBB6_2368
.LBB6_318:
	s_or_b64 exec, exec, s[6:7]
	s_and_saveexec_b64 s[6:7], s[4:5]
	s_cbranch_execz .LBB6_320
.LBB6_319:
	v_bfe_u32 v6, v3, 24, 3
	v_ffbh_u32_e32 v14, v6
	v_min_u32_e32 v14, 32, v14
	v_lshrrev_b32_e32 v12, 27, v3
	v_subrev_u32_e32 v15, 28, v14
	v_and_b32_e32 v7, 0x80000000, v3
	v_and_b32_e32 v12, 15, v12
	v_bfe_u32 v13, v3, 27, 4
	v_lshlrev_b32_sdwa v3, v15, v3 dst_sel:DWORD dst_unused:UNUSED_PAD src0_sel:DWORD src1_sel:BYTE_3
	v_sub_u32_e32 v14, 29, v14
	v_and_b32_e32 v3, 7, v3
	v_cmp_eq_u16_e32 vcc, 0, v12
	v_cndmask_b32_e32 v3, v6, v3, vcc
	v_cndmask_b32_e32 v6, v13, v14, vcc
	v_mov_b32_e32 v12, 0x3b800000
	v_lshlrev_b32_e32 v3, 20, v3
	v_lshl_add_u32 v6, v6, 23, v12
	v_or3_b32 v6, v7, v6, v3
.LBB6_320:
	s_or_b64 exec, exec, s[6:7]
	s_nop 0
	v_mfma_f32_16x16x4f32 a[0:3], v2, v6, a[0:3]
	s_movk_i32 s4, 0x7f
	v_cmp_gt_i16_sdwa s[6:7], v8, s4 src0_sel:BYTE_0 src1_sel:DWORD
	s_mov_b64 s[4:5], 0
                                        ; implicit-def: $sgpr10
	s_and_saveexec_b64 s[8:9], s[6:7]
	s_xor_b64 s[6:7], exec, s[8:9]
	s_cbranch_execnz .LBB6_2369
; %bb.321:
	s_or_saveexec_b64 s[6:7], s[6:7]
	v_mov_b32_e32 v2, s10
	s_xor_b64 exec, exec, s[6:7]
	s_cbranch_execnz .LBB6_2372
.LBB6_322:
	s_or_b64 exec, exec, s[6:7]
	s_and_saveexec_b64 s[6:7], s[4:5]
	s_cbranch_execz .LBB6_324
.LBB6_323:
	v_and_b32_e32 v2, 7, v8
	v_ffbh_u32_e32 v6, v2
	v_min_u32_e32 v6, 32, v6
	v_lshrrev_b16_e32 v3, 3, v8
	v_subrev_u32_e32 v7, 28, v6
	v_and_b32_e32 v3, 15, v3
	v_lshlrev_b32_e32 v7, v7, v8
	v_sub_u32_e32 v6, 29, v6
	v_and_b32_e32 v7, 7, v7
	v_cmp_eq_u16_e32 vcc, 0, v3
	v_cndmask_b32_e32 v2, v2, v7, vcc
	v_cndmask_b32_e32 v3, v3, v6, vcc
	v_lshlrev_b32_e32 v6, 24, v8
	v_mov_b32_e32 v7, 0x3b800000
	v_lshlrev_b32_e32 v2, 20, v2
	v_and_b32_e32 v6, 0x80000000, v6
	v_lshl_add_u32 v3, v3, 23, v7
	v_or3_b32 v2, v6, v3, v2
.LBB6_324:
	s_or_b64 exec, exec, s[6:7]
	s_movk_i32 s4, 0x7f
	v_cmp_gt_i16_sdwa s[6:7], v4, s4 src0_sel:BYTE_0 src1_sel:DWORD
	s_mov_b64 s[4:5], 0
                                        ; implicit-def: $sgpr10
	s_and_saveexec_b64 s[8:9], s[6:7]
	s_xor_b64 s[6:7], exec, s[8:9]
	s_cbranch_execnz .LBB6_2373
; %bb.325:
	s_or_saveexec_b64 s[6:7], s[6:7]
	v_mov_b32_e32 v3, s10
	s_xor_b64 exec, exec, s[6:7]
	s_cbranch_execnz .LBB6_2376
.LBB6_326:
	s_or_b64 exec, exec, s[6:7]
	s_and_saveexec_b64 s[6:7], s[4:5]
	s_cbranch_execz .LBB6_328
.LBB6_327:
	v_and_b32_e32 v3, 7, v4
	v_ffbh_u32_e32 v7, v3
	v_min_u32_e32 v7, 32, v7
	v_lshrrev_b16_e32 v6, 3, v4
	v_subrev_u32_e32 v12, 28, v7
	v_and_b32_e32 v6, 15, v6
	v_lshlrev_b32_e32 v12, v12, v4
	v_sub_u32_e32 v7, 29, v7
	v_and_b32_e32 v12, 7, v12
	v_cmp_eq_u16_e32 vcc, 0, v6
	v_cndmask_b32_e32 v3, v3, v12, vcc
	v_cndmask_b32_e32 v6, v6, v7, vcc
	v_lshlrev_b32_e32 v7, 24, v4
	v_mov_b32_e32 v12, 0x3b800000
	v_lshlrev_b32_e32 v3, 20, v3
	v_and_b32_e32 v7, 0x80000000, v7
	v_lshl_add_u32 v6, v6, 23, v12
	v_or3_b32 v3, v7, v6, v3
.LBB6_328:
	s_or_b64 exec, exec, s[6:7]
	s_nop 0
	v_mfma_f32_16x16x4f32 a[0:3], v2, v3, a[0:3]
	v_lshrrev_b32_e32 v3, 8, v8
	s_movk_i32 s4, 0x7f
	v_cmp_gt_i16_sdwa s[6:7], v3, s4 src0_sel:BYTE_0 src1_sel:DWORD
	s_mov_b64 s[4:5], 0
                                        ; implicit-def: $sgpr10
	s_and_saveexec_b64 s[8:9], s[6:7]
	s_xor_b64 s[6:7], exec, s[8:9]
	s_cbranch_execnz .LBB6_2377
; %bb.329:
	s_or_saveexec_b64 s[6:7], s[6:7]
	v_mov_b32_e32 v2, s10
	s_xor_b64 exec, exec, s[6:7]
	s_cbranch_execnz .LBB6_2380
.LBB6_330:
	s_or_b64 exec, exec, s[6:7]
	s_and_saveexec_b64 s[6:7], s[4:5]
	s_cbranch_execz .LBB6_332
.LBB6_331:
	v_bfe_u32 v2, v8, 8, 3
	v_ffbh_u32_e32 v7, v2
	v_min_u32_e32 v7, 32, v7
	v_lshrrev_b16_e32 v6, 3, v3
	v_subrev_u32_e32 v12, 28, v7
	v_and_b32_e32 v6, 15, v6
	v_lshlrev_b32_e32 v3, v12, v3
	v_sub_u32_e32 v7, 29, v7
	v_and_b32_e32 v3, 7, v3
	v_cmp_eq_u16_e32 vcc, 0, v6
	v_cndmask_b32_e32 v2, v2, v3, vcc
	v_cndmask_b32_e32 v3, v6, v7, vcc
	v_lshlrev_b32_e32 v6, 16, v8
	v_mov_b32_e32 v7, 0x3b800000
	v_lshlrev_b32_e32 v2, 20, v2
	v_and_b32_e32 v6, 0x80000000, v6
	v_lshl_add_u32 v3, v3, 23, v7
	v_or3_b32 v2, v6, v3, v2
.LBB6_332:
	s_or_b64 exec, exec, s[6:7]
	v_lshrrev_b32_e32 v3, 8, v4
	s_movk_i32 s4, 0x7f
	v_cmp_gt_i16_sdwa s[6:7], v3, s4 src0_sel:BYTE_0 src1_sel:DWORD
	s_mov_b64 s[4:5], 0
                                        ; implicit-def: $sgpr10
	s_and_saveexec_b64 s[8:9], s[6:7]
	s_xor_b64 s[6:7], exec, s[8:9]
	s_cbranch_execnz .LBB6_2381
; %bb.333:
	s_or_saveexec_b64 s[6:7], s[6:7]
	v_mov_b32_e32 v6, s10
	s_xor_b64 exec, exec, s[6:7]
	s_cbranch_execnz .LBB6_2384
.LBB6_334:
	s_or_b64 exec, exec, s[6:7]
	s_and_saveexec_b64 s[6:7], s[4:5]
	s_cbranch_execz .LBB6_336
.LBB6_335:
	v_bfe_u32 v6, v4, 8, 3
	v_ffbh_u32_e32 v12, v6
	v_min_u32_e32 v12, 32, v12
	v_lshrrev_b16_e32 v7, 3, v3
	v_subrev_u32_e32 v13, 28, v12
	v_and_b32_e32 v7, 15, v7
	v_lshlrev_b32_e32 v3, v13, v3
	v_sub_u32_e32 v12, 29, v12
	v_and_b32_e32 v3, 7, v3
	v_cmp_eq_u16_e32 vcc, 0, v7
	v_cndmask_b32_e32 v3, v6, v3, vcc
	v_cndmask_b32_e32 v6, v7, v12, vcc
	v_lshlrev_b32_e32 v7, 16, v4
	v_mov_b32_e32 v12, 0x3b800000
	v_lshlrev_b32_e32 v3, 20, v3
	v_and_b32_e32 v7, 0x80000000, v7
	v_lshl_add_u32 v6, v6, 23, v12
	v_or3_b32 v6, v7, v6, v3
.LBB6_336:
	s_or_b64 exec, exec, s[6:7]
	s_nop 0
	v_mfma_f32_16x16x4f32 a[0:3], v2, v6, a[0:3]
	s_movk_i32 s4, 0xff
	v_and_b32_sdwa v3, v8, s4 dst_sel:DWORD dst_unused:UNUSED_PAD src0_sel:WORD_1 src1_sel:DWORD
	s_movk_i32 s4, 0x7f
	v_cmp_lt_i16_e32 vcc, s4, v3
	s_mov_b64 s[4:5], 0
                                        ; implicit-def: $sgpr10
	s_and_saveexec_b64 s[6:7], vcc
	s_xor_b64 s[6:7], exec, s[6:7]
	s_cbranch_execnz .LBB6_2385
; %bb.337:
	s_or_saveexec_b64 s[6:7], s[6:7]
	v_mov_b32_e32 v2, s10
	s_xor_b64 exec, exec, s[6:7]
	s_cbranch_execnz .LBB6_2388
.LBB6_338:
	s_or_b64 exec, exec, s[6:7]
	s_and_saveexec_b64 s[6:7], s[4:5]
	s_cbranch_execz .LBB6_340
.LBB6_339:
	v_bfe_u32 v2, v8, 16, 3
	v_ffbh_u32_e32 v7, v2
	v_min_u32_e32 v7, 32, v7
	v_lshrrev_b32_e32 v3, 19, v8
	v_subrev_u32_e32 v12, 28, v7
	v_and_b32_e32 v3, 15, v3
	v_lshlrev_b32_sdwa v12, v12, v8 dst_sel:DWORD dst_unused:UNUSED_PAD src0_sel:DWORD src1_sel:WORD_1
	v_bfe_u32 v6, v8, 19, 4
	v_sub_u32_e32 v7, 29, v7
	v_and_b32_e32 v12, 7, v12
	v_cmp_eq_u16_e32 vcc, 0, v3
	v_cndmask_b32_e32 v2, v2, v12, vcc
	v_cndmask_b32_e32 v3, v6, v7, vcc
	v_lshlrev_b32_e32 v6, 8, v8
	v_mov_b32_e32 v7, 0x3b800000
	v_lshlrev_b32_e32 v2, 20, v2
	v_and_b32_e32 v6, 0x80000000, v6
	v_lshl_add_u32 v3, v3, 23, v7
	v_or3_b32 v2, v6, v3, v2
.LBB6_340:
	s_or_b64 exec, exec, s[6:7]
	s_movk_i32 s4, 0xff
	v_and_b32_sdwa v3, v4, s4 dst_sel:DWORD dst_unused:UNUSED_PAD src0_sel:WORD_1 src1_sel:DWORD
	s_movk_i32 s4, 0x7f
	v_cmp_lt_i16_e32 vcc, s4, v3
	s_mov_b64 s[4:5], 0
                                        ; implicit-def: $sgpr10
	s_and_saveexec_b64 s[6:7], vcc
	s_xor_b64 s[6:7], exec, s[6:7]
	s_cbranch_execnz .LBB6_2389
; %bb.341:
	s_or_saveexec_b64 s[6:7], s[6:7]
	v_mov_b32_e32 v6, s10
	s_xor_b64 exec, exec, s[6:7]
	s_cbranch_execnz .LBB6_2392
.LBB6_342:
	s_or_b64 exec, exec, s[6:7]
	s_and_saveexec_b64 s[6:7], s[4:5]
	s_cbranch_execz .LBB6_344
.LBB6_343:
	v_bfe_u32 v3, v4, 16, 3
	v_ffbh_u32_e32 v12, v3
	v_min_u32_e32 v12, 32, v12
	v_lshrrev_b32_e32 v6, 19, v4
	v_subrev_u32_e32 v13, 28, v12
	v_and_b32_e32 v6, 15, v6
	v_lshlrev_b32_sdwa v13, v13, v4 dst_sel:DWORD dst_unused:UNUSED_PAD src0_sel:DWORD src1_sel:WORD_1
	v_bfe_u32 v7, v4, 19, 4
	v_sub_u32_e32 v12, 29, v12
	v_and_b32_e32 v13, 7, v13
	v_cmp_eq_u16_e32 vcc, 0, v6
	v_cndmask_b32_e32 v3, v3, v13, vcc
	v_cndmask_b32_e32 v6, v7, v12, vcc
	v_lshlrev_b32_e32 v7, 8, v4
	v_mov_b32_e32 v12, 0x3b800000
	v_lshlrev_b32_e32 v3, 20, v3
	v_and_b32_e32 v7, 0x80000000, v7
	v_lshl_add_u32 v6, v6, 23, v12
	v_or3_b32 v6, v7, v6, v3
.LBB6_344:
	s_or_b64 exec, exec, s[6:7]
	s_nop 0
	v_mfma_f32_16x16x4f32 a[0:3], v2, v6, a[0:3]
	s_movk_i32 s4, 0x7f
	v_cmp_gt_i16_sdwa s[6:7], v8, s4 src0_sel:BYTE_3 src1_sel:DWORD
	s_mov_b64 s[4:5], 0
                                        ; implicit-def: $sgpr10
	s_and_saveexec_b64 s[8:9], s[6:7]
	s_xor_b64 s[6:7], exec, s[8:9]
	s_cbranch_execnz .LBB6_2393
; %bb.345:
	s_or_saveexec_b64 s[6:7], s[6:7]
	v_mov_b32_e32 v2, s10
	s_xor_b64 exec, exec, s[6:7]
	s_cbranch_execnz .LBB6_2396
.LBB6_346:
	s_or_b64 exec, exec, s[6:7]
	s_and_saveexec_b64 s[6:7], s[4:5]
	s_cbranch_execz .LBB6_348
.LBB6_347:
	v_bfe_u32 v2, v8, 24, 3
	v_ffbh_u32_e32 v12, v2
	v_min_u32_e32 v12, 32, v12
	v_lshrrev_b32_e32 v6, 27, v8
	v_subrev_u32_e32 v13, 28, v12
	v_and_b32_e32 v3, 0x80000000, v8
	v_and_b32_e32 v6, 15, v6
	v_bfe_u32 v7, v8, 27, 4
	v_lshlrev_b32_sdwa v8, v13, v8 dst_sel:DWORD dst_unused:UNUSED_PAD src0_sel:DWORD src1_sel:BYTE_3
	v_sub_u32_e32 v12, 29, v12
	v_and_b32_e32 v8, 7, v8
	v_cmp_eq_u16_e32 vcc, 0, v6
	v_cndmask_b32_e32 v2, v2, v8, vcc
	v_cndmask_b32_e32 v6, v7, v12, vcc
	v_mov_b32_e32 v7, 0x3b800000
	v_lshlrev_b32_e32 v2, 20, v2
	v_lshl_add_u32 v6, v6, 23, v7
	v_or3_b32 v2, v3, v6, v2
.LBB6_348:
	s_or_b64 exec, exec, s[6:7]
	s_movk_i32 s4, 0x7f
	v_cmp_gt_i16_sdwa s[6:7], v4, s4 src0_sel:BYTE_3 src1_sel:DWORD
	s_mov_b64 s[4:5], 0
                                        ; implicit-def: $sgpr10
	s_and_saveexec_b64 s[8:9], s[6:7]
	s_xor_b64 s[6:7], exec, s[8:9]
	s_cbranch_execnz .LBB6_2397
; %bb.349:
	s_or_saveexec_b64 s[6:7], s[6:7]
	v_mov_b32_e32 v3, s10
	s_xor_b64 exec, exec, s[6:7]
	s_cbranch_execnz .LBB6_2400
.LBB6_350:
	s_or_b64 exec, exec, s[6:7]
	s_and_saveexec_b64 s[6:7], s[4:5]
	s_cbranch_execz .LBB6_352
.LBB6_351:
	v_bfe_u32 v3, v4, 24, 3
	v_ffbh_u32_e32 v12, v3
	v_min_u32_e32 v12, 32, v12
	v_lshrrev_b32_e32 v7, 27, v4
	v_subrev_u32_e32 v13, 28, v12
	v_and_b32_e32 v6, 0x80000000, v4
	v_and_b32_e32 v7, 15, v7
	v_bfe_u32 v8, v4, 27, 4
	v_lshlrev_b32_sdwa v4, v13, v4 dst_sel:DWORD dst_unused:UNUSED_PAD src0_sel:DWORD src1_sel:BYTE_3
	v_sub_u32_e32 v12, 29, v12
	v_and_b32_e32 v4, 7, v4
	v_cmp_eq_u16_e32 vcc, 0, v7
	v_cndmask_b32_e32 v3, v3, v4, vcc
	v_cndmask_b32_e32 v4, v8, v12, vcc
	v_mov_b32_e32 v7, 0x3b800000
	v_lshlrev_b32_e32 v3, 20, v3
	v_lshl_add_u32 v4, v4, 23, v7
	v_or3_b32 v3, v6, v4, v3
.LBB6_352:
	s_or_b64 exec, exec, s[6:7]
	s_nop 0
	v_mfma_f32_16x16x4f32 a[0:3], v2, v3, a[0:3]
	s_movk_i32 s4, 0x7f
	v_cmp_gt_i16_sdwa s[6:7], v9, s4 src0_sel:BYTE_0 src1_sel:DWORD
	s_mov_b64 s[4:5], 0
                                        ; implicit-def: $sgpr10
	s_and_saveexec_b64 s[8:9], s[6:7]
	s_xor_b64 s[6:7], exec, s[8:9]
	s_cbranch_execnz .LBB6_2401
; %bb.353:
	s_or_saveexec_b64 s[6:7], s[6:7]
	v_mov_b32_e32 v2, s10
	s_xor_b64 exec, exec, s[6:7]
	s_cbranch_execnz .LBB6_2404
.LBB6_354:
	s_or_b64 exec, exec, s[6:7]
	s_and_saveexec_b64 s[6:7], s[4:5]
	s_cbranch_execz .LBB6_356
.LBB6_355:
	v_mov_b32_e32 v2, 8
	v_and_b32_e32 v3, 7, v9
	v_lshrrev_b32_sdwa v2, v2, v9 dst_sel:BYTE_1 dst_unused:UNUSED_PAD src0_sel:DWORD src1_sel:DWORD
	v_ffbh_u32_e32 v4, v3
	v_or_b32_sdwa v2, v9, v2 dst_sel:DWORD dst_unused:UNUSED_PAD src0_sel:BYTE_0 src1_sel:DWORD
	v_min_u32_e32 v4, 32, v4
	v_lshrrev_b16_e32 v2, 3, v2
	v_subrev_u32_e32 v6, 28, v4
	v_and_b32_e32 v2, 15, v2
	v_lshlrev_b32_e32 v6, v6, v9
	v_sub_u32_e32 v4, 29, v4
	v_and_b32_e32 v6, 7, v6
	v_cmp_eq_u16_e32 vcc, 0, v2
	v_cndmask_b32_e32 v3, v3, v6, vcc
	v_cndmask_b32_e32 v2, v2, v4, vcc
	v_lshlrev_b32_e32 v4, 24, v9
	v_mov_b32_e32 v6, 0x3b800000
	v_lshlrev_b32_e32 v3, 20, v3
	v_and_b32_e32 v4, 0x80000000, v4
	v_lshl_add_u32 v2, v2, 23, v6
	v_or3_b32 v2, v4, v2, v3
.LBB6_356:
	s_or_b64 exec, exec, s[6:7]
	s_movk_i32 s4, 0x7f
	v_cmp_gt_i16_sdwa s[6:7], v5, s4 src0_sel:BYTE_0 src1_sel:DWORD
	s_mov_b64 s[4:5], 0
                                        ; implicit-def: $sgpr10
	s_and_saveexec_b64 s[8:9], s[6:7]
	s_xor_b64 s[6:7], exec, s[8:9]
	s_cbranch_execnz .LBB6_2405
; %bb.357:
	s_or_saveexec_b64 s[6:7], s[6:7]
	v_mov_b32_e32 v3, s10
	s_xor_b64 exec, exec, s[6:7]
	s_cbranch_execnz .LBB6_2408
.LBB6_358:
	s_or_b64 exec, exec, s[6:7]
	s_and_saveexec_b64 s[6:7], s[4:5]
	s_cbranch_execz .LBB6_360
.LBB6_359:
	v_mov_b32_e32 v3, 8
	v_and_b32_e32 v4, 7, v5
	v_lshrrev_b32_sdwa v3, v3, v5 dst_sel:BYTE_1 dst_unused:UNUSED_PAD src0_sel:DWORD src1_sel:DWORD
	v_ffbh_u32_e32 v6, v4
	v_or_b32_sdwa v3, v5, v3 dst_sel:DWORD dst_unused:UNUSED_PAD src0_sel:BYTE_0 src1_sel:DWORD
	v_min_u32_e32 v6, 32, v6
	v_lshrrev_b16_e32 v3, 3, v3
	v_subrev_u32_e32 v7, 28, v6
	v_and_b32_e32 v3, 15, v3
	v_lshlrev_b32_e32 v7, v7, v5
	v_sub_u32_e32 v6, 29, v6
	v_and_b32_e32 v7, 7, v7
	v_cmp_eq_u16_e32 vcc, 0, v3
	v_cndmask_b32_e32 v4, v4, v7, vcc
	v_cndmask_b32_e32 v3, v3, v6, vcc
	v_lshlrev_b32_e32 v6, 24, v5
	v_mov_b32_e32 v7, 0x3b800000
	v_lshlrev_b32_e32 v4, 20, v4
	v_and_b32_e32 v6, 0x80000000, v6
	v_lshl_add_u32 v3, v3, 23, v7
	v_or3_b32 v3, v6, v3, v4
.LBB6_360:
	s_or_b64 exec, exec, s[6:7]
	s_nop 0
	v_mfma_f32_16x16x4f32 a[0:3], v2, v3, a[0:3]
	v_lshrrev_b32_e32 v3, 8, v9
	s_movk_i32 s4, 0x7f
	v_cmp_gt_i16_sdwa s[6:7], v3, s4 src0_sel:BYTE_0 src1_sel:DWORD
	s_mov_b64 s[4:5], 0
                                        ; implicit-def: $sgpr10
	s_and_saveexec_b64 s[8:9], s[6:7]
	s_xor_b64 s[6:7], exec, s[8:9]
	s_cbranch_execnz .LBB6_2409
; %bb.361:
	s_or_saveexec_b64 s[6:7], s[6:7]
	v_mov_b32_e32 v2, s10
	s_xor_b64 exec, exec, s[6:7]
	s_cbranch_execnz .LBB6_2412
.LBB6_362:
	s_or_b64 exec, exec, s[6:7]
	s_and_saveexec_b64 s[6:7], s[4:5]
	s_cbranch_execz .LBB6_364
.LBB6_363:
	v_bfe_u32 v2, v9, 8, 3
	v_ffbh_u32_e32 v6, v2
	v_min_u32_e32 v6, 32, v6
	v_lshrrev_b16_e32 v4, 3, v3
	v_subrev_u32_e32 v7, 28, v6
	v_and_b32_e32 v4, 15, v4
	v_lshlrev_b32_e32 v3, v7, v3
	v_sub_u32_e32 v6, 29, v6
	v_and_b32_e32 v3, 7, v3
	v_cmp_eq_u16_e32 vcc, 0, v4
	v_cndmask_b32_e32 v2, v2, v3, vcc
	v_cndmask_b32_e32 v3, v4, v6, vcc
	v_lshlrev_b32_e32 v4, 16, v9
	v_mov_b32_e32 v6, 0x3b800000
	v_lshlrev_b32_e32 v2, 20, v2
	v_and_b32_e32 v4, 0x80000000, v4
	v_lshl_add_u32 v3, v3, 23, v6
	v_or3_b32 v2, v4, v3, v2
.LBB6_364:
	s_or_b64 exec, exec, s[6:7]
	v_lshrrev_b32_e32 v3, 8, v5
	s_movk_i32 s4, 0x7f
	v_cmp_gt_i16_sdwa s[6:7], v3, s4 src0_sel:BYTE_0 src1_sel:DWORD
	s_mov_b64 s[4:5], 0
                                        ; implicit-def: $sgpr10
	s_and_saveexec_b64 s[8:9], s[6:7]
	s_xor_b64 s[6:7], exec, s[8:9]
	s_cbranch_execnz .LBB6_2413
; %bb.365:
	s_or_saveexec_b64 s[6:7], s[6:7]
	v_mov_b32_e32 v4, s10
	s_xor_b64 exec, exec, s[6:7]
	s_cbranch_execnz .LBB6_2416
.LBB6_366:
	s_or_b64 exec, exec, s[6:7]
	s_and_saveexec_b64 s[6:7], s[4:5]
	s_cbranch_execz .LBB6_368
.LBB6_367:
	v_bfe_u32 v4, v5, 8, 3
	v_ffbh_u32_e32 v7, v4
	v_min_u32_e32 v7, 32, v7
	v_lshrrev_b16_e32 v6, 3, v3
	v_subrev_u32_e32 v8, 28, v7
	v_and_b32_e32 v6, 15, v6
	v_lshlrev_b32_e32 v3, v8, v3
	v_sub_u32_e32 v7, 29, v7
	v_and_b32_e32 v3, 7, v3
	v_cmp_eq_u16_e32 vcc, 0, v6
	v_cndmask_b32_e32 v3, v4, v3, vcc
	v_cndmask_b32_e32 v4, v6, v7, vcc
	v_lshlrev_b32_e32 v6, 16, v5
	v_mov_b32_e32 v7, 0x3b800000
	v_lshlrev_b32_e32 v3, 20, v3
	v_and_b32_e32 v6, 0x80000000, v6
	v_lshl_add_u32 v4, v4, 23, v7
	v_or3_b32 v4, v6, v4, v3
.LBB6_368:
	s_or_b64 exec, exec, s[6:7]
	s_nop 0
	v_mfma_f32_16x16x4f32 a[0:3], v2, v4, a[0:3]
	s_movk_i32 s4, 0xff
	v_and_b32_sdwa v3, v9, s4 dst_sel:DWORD dst_unused:UNUSED_PAD src0_sel:WORD_1 src1_sel:DWORD
	s_movk_i32 s4, 0x7f
	v_cmp_lt_i16_e32 vcc, s4, v3
	s_mov_b64 s[4:5], 0
                                        ; implicit-def: $sgpr10
	s_and_saveexec_b64 s[6:7], vcc
	s_xor_b64 s[6:7], exec, s[6:7]
	s_cbranch_execnz .LBB6_2417
; %bb.369:
	s_or_saveexec_b64 s[6:7], s[6:7]
	v_mov_b32_e32 v2, s10
	s_xor_b64 exec, exec, s[6:7]
	s_cbranch_execnz .LBB6_2420
.LBB6_370:
	s_or_b64 exec, exec, s[6:7]
	s_and_saveexec_b64 s[6:7], s[4:5]
	s_cbranch_execz .LBB6_372
.LBB6_371:
	v_bfe_u32 v2, v9, 16, 3
	v_ffbh_u32_e32 v6, v2
	v_min_u32_e32 v6, 32, v6
	v_lshrrev_b32_e32 v3, 19, v9
	v_subrev_u32_e32 v7, 28, v6
	v_and_b32_e32 v3, 15, v3
	v_lshlrev_b32_sdwa v7, v7, v9 dst_sel:DWORD dst_unused:UNUSED_PAD src0_sel:DWORD src1_sel:WORD_1
	v_bfe_u32 v4, v9, 19, 4
	v_sub_u32_e32 v6, 29, v6
	v_and_b32_e32 v7, 7, v7
	v_cmp_eq_u16_e32 vcc, 0, v3
	v_cndmask_b32_e32 v2, v2, v7, vcc
	v_cndmask_b32_e32 v3, v4, v6, vcc
	v_lshlrev_b32_e32 v4, 8, v9
	v_mov_b32_e32 v6, 0x3b800000
	v_lshlrev_b32_e32 v2, 20, v2
	v_and_b32_e32 v4, 0x80000000, v4
	v_lshl_add_u32 v3, v3, 23, v6
	v_or3_b32 v2, v4, v3, v2
.LBB6_372:
	s_or_b64 exec, exec, s[6:7]
	s_movk_i32 s4, 0xff
	v_and_b32_sdwa v3, v5, s4 dst_sel:DWORD dst_unused:UNUSED_PAD src0_sel:WORD_1 src1_sel:DWORD
	s_movk_i32 s4, 0x7f
	v_cmp_lt_i16_e32 vcc, s4, v3
	s_mov_b64 s[4:5], 0
                                        ; implicit-def: $sgpr10
	s_and_saveexec_b64 s[6:7], vcc
	s_xor_b64 s[6:7], exec, s[6:7]
	s_cbranch_execnz .LBB6_2421
; %bb.373:
	s_or_saveexec_b64 s[6:7], s[6:7]
	v_mov_b32_e32 v4, s10
	s_xor_b64 exec, exec, s[6:7]
	s_cbranch_execnz .LBB6_2424
.LBB6_374:
	s_or_b64 exec, exec, s[6:7]
	s_and_saveexec_b64 s[6:7], s[4:5]
	s_cbranch_execz .LBB6_376
.LBB6_375:
	v_bfe_u32 v3, v5, 16, 3
	v_ffbh_u32_e32 v7, v3
	v_min_u32_e32 v7, 32, v7
	v_lshrrev_b32_e32 v4, 19, v5
	v_subrev_u32_e32 v8, 28, v7
	v_and_b32_e32 v4, 15, v4
	v_lshlrev_b32_sdwa v8, v8, v5 dst_sel:DWORD dst_unused:UNUSED_PAD src0_sel:DWORD src1_sel:WORD_1
	v_bfe_u32 v6, v5, 19, 4
	v_sub_u32_e32 v7, 29, v7
	v_and_b32_e32 v8, 7, v8
	v_cmp_eq_u16_e32 vcc, 0, v4
	v_cndmask_b32_e32 v3, v3, v8, vcc
	v_cndmask_b32_e32 v4, v6, v7, vcc
	v_lshlrev_b32_e32 v6, 8, v5
	v_mov_b32_e32 v7, 0x3b800000
	v_lshlrev_b32_e32 v3, 20, v3
	v_and_b32_e32 v6, 0x80000000, v6
	v_lshl_add_u32 v4, v4, 23, v7
	v_or3_b32 v4, v6, v4, v3
.LBB6_376:
	s_or_b64 exec, exec, s[6:7]
	s_nop 0
	v_mfma_f32_16x16x4f32 a[0:3], v2, v4, a[0:3]
	s_movk_i32 s4, 0x7f
	v_cmp_gt_i16_sdwa s[6:7], v9, s4 src0_sel:BYTE_3 src1_sel:DWORD
	s_mov_b64 s[4:5], 0
                                        ; implicit-def: $sgpr10
	s_and_saveexec_b64 s[8:9], s[6:7]
	s_xor_b64 s[6:7], exec, s[8:9]
	s_cbranch_execnz .LBB6_2425
; %bb.377:
	s_or_saveexec_b64 s[6:7], s[6:7]
	v_mov_b32_e32 v2, s10
	s_xor_b64 exec, exec, s[6:7]
	s_cbranch_execnz .LBB6_2428
.LBB6_378:
	s_or_b64 exec, exec, s[6:7]
	s_and_saveexec_b64 s[6:7], s[4:5]
	s_cbranch_execz .LBB6_380
.LBB6_379:
	v_bfe_u32 v2, v9, 24, 3
	v_ffbh_u32_e32 v7, v2
	v_min_u32_e32 v7, 32, v7
	v_lshrrev_b32_e32 v4, 27, v9
	v_subrev_u32_e32 v8, 28, v7
	v_and_b32_e32 v4, 15, v4
	v_lshlrev_b32_sdwa v8, v8, v9 dst_sel:DWORD dst_unused:UNUSED_PAD src0_sel:DWORD src1_sel:BYTE_3
	v_bfe_u32 v6, v9, 27, 4
	v_sub_u32_e32 v7, 29, v7
	v_and_b32_e32 v8, 7, v8
	v_cmp_eq_u16_e32 vcc, 0, v4
	v_cndmask_b32_e32 v2, v2, v8, vcc
	v_cndmask_b32_e32 v4, v6, v7, vcc
	v_mov_b32_e32 v6, 0x3b800000
	v_and_b32_e32 v3, 0x80000000, v9
	v_lshlrev_b32_e32 v2, 20, v2
	v_lshl_add_u32 v4, v4, 23, v6
	v_or3_b32 v2, v3, v4, v2
.LBB6_380:
	s_or_b64 exec, exec, s[6:7]
	s_movk_i32 s4, 0x7f
	v_cmp_gt_i16_sdwa s[6:7], v5, s4 src0_sel:BYTE_3 src1_sel:DWORD
	s_mov_b64 s[4:5], 0
                                        ; implicit-def: $sgpr10
	s_and_saveexec_b64 s[8:9], s[6:7]
	s_xor_b64 s[6:7], exec, s[8:9]
	s_cbranch_execnz .LBB6_2429
; %bb.381:
	s_or_saveexec_b64 s[6:7], s[6:7]
	v_mov_b32_e32 v3, s10
	s_xor_b64 exec, exec, s[6:7]
	s_cbranch_execnz .LBB6_2432
.LBB6_382:
	s_or_b64 exec, exec, s[6:7]
	s_and_saveexec_b64 s[6:7], s[4:5]
	s_cbranch_execz .LBB6_384
.LBB6_383:
	v_bfe_u32 v3, v5, 24, 3
	v_ffbh_u32_e32 v8, v3
	v_min_u32_e32 v8, 32, v8
	v_lshrrev_b32_e32 v6, 27, v5
	v_subrev_u32_e32 v9, 28, v8
	v_and_b32_e32 v4, 0x80000000, v5
	v_and_b32_e32 v6, 15, v6
	v_bfe_u32 v7, v5, 27, 4
	v_lshlrev_b32_sdwa v5, v9, v5 dst_sel:DWORD dst_unused:UNUSED_PAD src0_sel:DWORD src1_sel:BYTE_3
	v_sub_u32_e32 v8, 29, v8
	v_and_b32_e32 v5, 7, v5
	v_cmp_eq_u16_e32 vcc, 0, v6
	v_cndmask_b32_e32 v3, v3, v5, vcc
	v_cndmask_b32_e32 v5, v7, v8, vcc
	v_mov_b32_e32 v6, 0x3b800000
	v_lshlrev_b32_e32 v3, 20, v3
	v_lshl_add_u32 v5, v5, 23, v6
	v_or3_b32 v3, v4, v5, v3
.LBB6_384:
	s_or_b64 exec, exec, s[6:7]
	s_nop 0
	v_mfma_f32_16x16x4f32 a[0:3], v2, v3, a[0:3]
	s_movk_i32 s4, 0x7f
                                        ; implicit-def: $sgpr10
	s_nop 7
	s_nop 1
	flat_store_dwordx4 v[10:11], a[0:3] offset:32
	flat_load_dwordx4 v[12:15], v[0:1] offset:8
	s_nop 0
	flat_load_dwordx2 v[10:11], v[0:1] offset:32
	s_waitcnt vmcnt(0) lgkmcnt(0)
	flat_load_dwordx4 v[6:9], v[12:13] offset:16
	flat_load_dwordx4 v[2:5], v[14:15] offset:112
	s_waitcnt vmcnt(0) lgkmcnt(0)
	v_cmp_gt_i16_sdwa s[6:7], v6, s4 src0_sel:BYTE_0 src1_sel:DWORD
	s_mov_b64 s[4:5], 0
	s_and_saveexec_b64 s[8:9], s[6:7]
	s_xor_b64 s[6:7], exec, s[8:9]
	s_cbranch_execnz .LBB6_2433
; %bb.385:
	s_or_saveexec_b64 s[6:7], s[6:7]
	v_mov_b32_e32 v12, s10
	s_xor_b64 exec, exec, s[6:7]
	s_cbranch_execnz .LBB6_2436
.LBB6_386:
	s_or_b64 exec, exec, s[6:7]
	s_and_saveexec_b64 s[6:7], s[4:5]
	s_cbranch_execz .LBB6_388
.LBB6_387:
	v_and_b32_e32 v12, 7, v6
	v_ffbh_u32_e32 v14, v12
	v_min_u32_e32 v14, 32, v14
	v_lshrrev_b16_e32 v13, 3, v6
	v_subrev_u32_e32 v15, 28, v14
	v_and_b32_e32 v13, 15, v13
	v_lshlrev_b32_e32 v15, v15, v6
	v_sub_u32_e32 v14, 29, v14
	v_and_b32_e32 v15, 7, v15
	v_cmp_eq_u16_e32 vcc, 0, v13
	v_cndmask_b32_e32 v12, v12, v15, vcc
	v_cndmask_b32_e32 v13, v13, v14, vcc
	v_lshlrev_b32_e32 v14, 24, v6
	v_mov_b32_e32 v15, 0x3b800000
	v_lshlrev_b32_e32 v12, 20, v12
	v_and_b32_e32 v14, 0x80000000, v14
	v_lshl_add_u32 v13, v13, 23, v15
	v_or3_b32 v12, v14, v13, v12
.LBB6_388:
	s_or_b64 exec, exec, s[6:7]
	s_movk_i32 s4, 0x7f
	v_cmp_gt_i16_sdwa s[6:7], v2, s4 src0_sel:BYTE_0 src1_sel:DWORD
	s_mov_b64 s[4:5], 0
                                        ; implicit-def: $sgpr10
	s_and_saveexec_b64 s[8:9], s[6:7]
	s_xor_b64 s[6:7], exec, s[8:9]
	s_cbranch_execnz .LBB6_2437
; %bb.389:
	s_or_saveexec_b64 s[6:7], s[6:7]
	v_mov_b32_e32 v13, s10
	s_xor_b64 exec, exec, s[6:7]
	s_cbranch_execnz .LBB6_2440
.LBB6_390:
	s_or_b64 exec, exec, s[6:7]
	s_and_saveexec_b64 s[6:7], s[4:5]
	s_cbranch_execz .LBB6_392
.LBB6_391:
	v_and_b32_e32 v13, 7, v2
	v_ffbh_u32_e32 v15, v13
	v_min_u32_e32 v15, 32, v15
	v_lshrrev_b16_e32 v14, 3, v2
	v_subrev_u32_e32 v16, 28, v15
	v_and_b32_e32 v14, 15, v14
	v_lshlrev_b32_e32 v16, v16, v2
	v_sub_u32_e32 v15, 29, v15
	v_and_b32_e32 v16, 7, v16
	v_cmp_eq_u16_e32 vcc, 0, v14
	v_cndmask_b32_e32 v13, v13, v16, vcc
	v_cndmask_b32_e32 v14, v14, v15, vcc
	v_lshlrev_b32_e32 v15, 24, v2
	v_mov_b32_e32 v16, 0x3b800000
	v_lshlrev_b32_e32 v13, 20, v13
	v_and_b32_e32 v15, 0x80000000, v15
	v_lshl_add_u32 v14, v14, 23, v16
	v_or3_b32 v13, v15, v14, v13
.LBB6_392:
	s_or_b64 exec, exec, s[6:7]
	flat_load_dwordx4 a[0:3], v[10:11] offset:48
	s_movk_i32 s4, 0x7f
                                        ; implicit-def: $sgpr10
	s_waitcnt vmcnt(0) lgkmcnt(0)
	v_mfma_f32_16x16x4f32 a[0:3], v12, v13, a[0:3]
	v_lshrrev_b32_e32 v13, 8, v6
	v_cmp_gt_i16_sdwa s[6:7], v13, s4 src0_sel:BYTE_0 src1_sel:DWORD
	s_mov_b64 s[4:5], 0
	s_and_saveexec_b64 s[8:9], s[6:7]
	s_xor_b64 s[6:7], exec, s[8:9]
	s_cbranch_execnz .LBB6_2441
; %bb.393:
	s_or_saveexec_b64 s[6:7], s[6:7]
	v_mov_b32_e32 v12, s10
	s_xor_b64 exec, exec, s[6:7]
	s_cbranch_execnz .LBB6_2444
.LBB6_394:
	s_or_b64 exec, exec, s[6:7]
	s_and_saveexec_b64 s[6:7], s[4:5]
	s_cbranch_execz .LBB6_396
.LBB6_395:
	v_bfe_u32 v12, v6, 8, 3
	v_ffbh_u32_e32 v15, v12
	v_min_u32_e32 v15, 32, v15
	v_lshrrev_b16_e32 v14, 3, v13
	v_subrev_u32_e32 v16, 28, v15
	v_and_b32_e32 v14, 15, v14
	v_lshlrev_b32_e32 v13, v16, v13
	v_sub_u32_e32 v15, 29, v15
	v_and_b32_e32 v13, 7, v13
	v_cmp_eq_u16_e32 vcc, 0, v14
	v_cndmask_b32_e32 v12, v12, v13, vcc
	v_cndmask_b32_e32 v13, v14, v15, vcc
	v_lshlrev_b32_e32 v14, 16, v6
	v_mov_b32_e32 v15, 0x3b800000
	v_lshlrev_b32_e32 v12, 20, v12
	v_and_b32_e32 v14, 0x80000000, v14
	v_lshl_add_u32 v13, v13, 23, v15
	v_or3_b32 v12, v14, v13, v12
.LBB6_396:
	s_or_b64 exec, exec, s[6:7]
	v_lshrrev_b32_e32 v13, 8, v2
	s_movk_i32 s4, 0x7f
	v_cmp_gt_i16_sdwa s[6:7], v13, s4 src0_sel:BYTE_0 src1_sel:DWORD
	s_mov_b64 s[4:5], 0
                                        ; implicit-def: $sgpr10
	s_and_saveexec_b64 s[8:9], s[6:7]
	s_xor_b64 s[6:7], exec, s[8:9]
	s_cbranch_execnz .LBB6_2445
; %bb.397:
	s_or_saveexec_b64 s[6:7], s[6:7]
	v_mov_b32_e32 v14, s10
	s_xor_b64 exec, exec, s[6:7]
	s_cbranch_execnz .LBB6_2448
.LBB6_398:
	s_or_b64 exec, exec, s[6:7]
	s_and_saveexec_b64 s[6:7], s[4:5]
	s_cbranch_execz .LBB6_400
.LBB6_399:
	v_bfe_u32 v14, v2, 8, 3
	v_ffbh_u32_e32 v16, v14
	v_min_u32_e32 v16, 32, v16
	v_lshrrev_b16_e32 v15, 3, v13
	v_subrev_u32_e32 v17, 28, v16
	v_and_b32_e32 v15, 15, v15
	v_lshlrev_b32_e32 v13, v17, v13
	v_sub_u32_e32 v16, 29, v16
	v_and_b32_e32 v13, 7, v13
	v_cmp_eq_u16_e32 vcc, 0, v15
	v_cndmask_b32_e32 v13, v14, v13, vcc
	v_cndmask_b32_e32 v14, v15, v16, vcc
	v_lshlrev_b32_e32 v15, 16, v2
	v_mov_b32_e32 v16, 0x3b800000
	v_lshlrev_b32_e32 v13, 20, v13
	v_and_b32_e32 v15, 0x80000000, v15
	v_lshl_add_u32 v14, v14, 23, v16
	v_or3_b32 v14, v15, v14, v13
.LBB6_400:
	s_or_b64 exec, exec, s[6:7]
	s_nop 0
	v_mfma_f32_16x16x4f32 a[0:3], v12, v14, a[0:3]
	s_movk_i32 s4, 0xff
	v_and_b32_sdwa v13, v6, s4 dst_sel:DWORD dst_unused:UNUSED_PAD src0_sel:WORD_1 src1_sel:DWORD
	s_movk_i32 s4, 0x7f
	v_cmp_lt_i16_e32 vcc, s4, v13
	s_mov_b64 s[4:5], 0
                                        ; implicit-def: $sgpr10
	s_and_saveexec_b64 s[6:7], vcc
	s_xor_b64 s[6:7], exec, s[6:7]
	s_cbranch_execnz .LBB6_2449
; %bb.401:
	s_or_saveexec_b64 s[6:7], s[6:7]
	v_mov_b32_e32 v12, s10
	s_xor_b64 exec, exec, s[6:7]
	s_cbranch_execnz .LBB6_2452
.LBB6_402:
	s_or_b64 exec, exec, s[6:7]
	s_and_saveexec_b64 s[6:7], s[4:5]
	s_cbranch_execz .LBB6_404
.LBB6_403:
	v_bfe_u32 v12, v6, 16, 3
	v_ffbh_u32_e32 v15, v12
	v_min_u32_e32 v15, 32, v15
	v_lshrrev_b32_e32 v13, 19, v6
	v_subrev_u32_e32 v16, 28, v15
	v_and_b32_e32 v13, 15, v13
	v_lshlrev_b32_sdwa v16, v16, v6 dst_sel:DWORD dst_unused:UNUSED_PAD src0_sel:DWORD src1_sel:WORD_1
	v_bfe_u32 v14, v6, 19, 4
	v_sub_u32_e32 v15, 29, v15
	v_and_b32_e32 v16, 7, v16
	v_cmp_eq_u16_e32 vcc, 0, v13
	v_cndmask_b32_e32 v12, v12, v16, vcc
	v_cndmask_b32_e32 v13, v14, v15, vcc
	v_lshlrev_b32_e32 v14, 8, v6
	v_mov_b32_e32 v15, 0x3b800000
	v_lshlrev_b32_e32 v12, 20, v12
	v_and_b32_e32 v14, 0x80000000, v14
	v_lshl_add_u32 v13, v13, 23, v15
	v_or3_b32 v12, v14, v13, v12
.LBB6_404:
	s_or_b64 exec, exec, s[6:7]
	s_movk_i32 s4, 0xff
	v_and_b32_sdwa v13, v2, s4 dst_sel:DWORD dst_unused:UNUSED_PAD src0_sel:WORD_1 src1_sel:DWORD
	s_movk_i32 s4, 0x7f
	v_cmp_lt_i16_e32 vcc, s4, v13
	s_mov_b64 s[4:5], 0
                                        ; implicit-def: $sgpr10
	s_and_saveexec_b64 s[6:7], vcc
	s_xor_b64 s[6:7], exec, s[6:7]
	s_cbranch_execnz .LBB6_2453
; %bb.405:
	s_or_saveexec_b64 s[6:7], s[6:7]
	v_mov_b32_e32 v14, s10
	s_xor_b64 exec, exec, s[6:7]
	s_cbranch_execnz .LBB6_2456
.LBB6_406:
	s_or_b64 exec, exec, s[6:7]
	s_and_saveexec_b64 s[6:7], s[4:5]
	s_cbranch_execz .LBB6_408
.LBB6_407:
	v_bfe_u32 v13, v2, 16, 3
	v_ffbh_u32_e32 v16, v13
	v_min_u32_e32 v16, 32, v16
	v_lshrrev_b32_e32 v14, 19, v2
	v_subrev_u32_e32 v17, 28, v16
	v_and_b32_e32 v14, 15, v14
	v_lshlrev_b32_sdwa v17, v17, v2 dst_sel:DWORD dst_unused:UNUSED_PAD src0_sel:DWORD src1_sel:WORD_1
	v_bfe_u32 v15, v2, 19, 4
	v_sub_u32_e32 v16, 29, v16
	v_and_b32_e32 v17, 7, v17
	v_cmp_eq_u16_e32 vcc, 0, v14
	v_cndmask_b32_e32 v13, v13, v17, vcc
	v_cndmask_b32_e32 v14, v15, v16, vcc
	v_lshlrev_b32_e32 v15, 8, v2
	v_mov_b32_e32 v16, 0x3b800000
	v_lshlrev_b32_e32 v13, 20, v13
	v_and_b32_e32 v15, 0x80000000, v15
	v_lshl_add_u32 v14, v14, 23, v16
	v_or3_b32 v14, v15, v14, v13
.LBB6_408:
	s_or_b64 exec, exec, s[6:7]
	s_nop 0
	v_mfma_f32_16x16x4f32 a[0:3], v12, v14, a[0:3]
	s_movk_i32 s4, 0x7f
	v_cmp_gt_i16_sdwa s[6:7], v6, s4 src0_sel:BYTE_3 src1_sel:DWORD
	s_mov_b64 s[4:5], 0
                                        ; implicit-def: $sgpr10
	s_and_saveexec_b64 s[8:9], s[6:7]
	s_xor_b64 s[6:7], exec, s[8:9]
	s_cbranch_execnz .LBB6_2457
; %bb.409:
	s_or_saveexec_b64 s[6:7], s[6:7]
	v_mov_b32_e32 v12, s10
	s_xor_b64 exec, exec, s[6:7]
	s_cbranch_execnz .LBB6_2460
.LBB6_410:
	s_or_b64 exec, exec, s[6:7]
	s_and_saveexec_b64 s[6:7], s[4:5]
	s_cbranch_execz .LBB6_412
.LBB6_411:
	v_bfe_u32 v12, v6, 24, 3
	v_ffbh_u32_e32 v16, v12
	v_min_u32_e32 v16, 32, v16
	v_lshrrev_b32_e32 v14, 27, v6
	v_subrev_u32_e32 v17, 28, v16
	v_and_b32_e32 v13, 0x80000000, v6
	v_and_b32_e32 v14, 15, v14
	v_bfe_u32 v15, v6, 27, 4
	v_lshlrev_b32_sdwa v6, v17, v6 dst_sel:DWORD dst_unused:UNUSED_PAD src0_sel:DWORD src1_sel:BYTE_3
	v_sub_u32_e32 v16, 29, v16
	v_and_b32_e32 v6, 7, v6
	v_cmp_eq_u16_e32 vcc, 0, v14
	v_cndmask_b32_e32 v6, v12, v6, vcc
	v_cndmask_b32_e32 v12, v15, v16, vcc
	v_mov_b32_e32 v14, 0x3b800000
	v_lshlrev_b32_e32 v6, 20, v6
	v_lshl_add_u32 v12, v12, 23, v14
	v_or3_b32 v12, v13, v12, v6
.LBB6_412:
	s_or_b64 exec, exec, s[6:7]
	s_movk_i32 s4, 0x7f
	v_cmp_gt_i16_sdwa s[6:7], v2, s4 src0_sel:BYTE_3 src1_sel:DWORD
	s_mov_b64 s[4:5], 0
                                        ; implicit-def: $sgpr10
	s_and_saveexec_b64 s[8:9], s[6:7]
	s_xor_b64 s[6:7], exec, s[8:9]
	s_cbranch_execnz .LBB6_2461
; %bb.413:
	s_or_saveexec_b64 s[6:7], s[6:7]
	v_mov_b32_e32 v6, s10
	s_xor_b64 exec, exec, s[6:7]
	s_cbranch_execnz .LBB6_2464
.LBB6_414:
	s_or_b64 exec, exec, s[6:7]
	s_and_saveexec_b64 s[6:7], s[4:5]
	s_cbranch_execz .LBB6_416
.LBB6_415:
	v_bfe_u32 v6, v2, 24, 3
	v_ffbh_u32_e32 v16, v6
	v_min_u32_e32 v16, 32, v16
	v_lshrrev_b32_e32 v14, 27, v2
	v_subrev_u32_e32 v17, 28, v16
	v_and_b32_e32 v13, 0x80000000, v2
	v_and_b32_e32 v14, 15, v14
	v_bfe_u32 v15, v2, 27, 4
	v_lshlrev_b32_sdwa v2, v17, v2 dst_sel:DWORD dst_unused:UNUSED_PAD src0_sel:DWORD src1_sel:BYTE_3
	v_sub_u32_e32 v16, 29, v16
	v_and_b32_e32 v2, 7, v2
	v_cmp_eq_u16_e32 vcc, 0, v14
	v_cndmask_b32_e32 v2, v6, v2, vcc
	v_cndmask_b32_e32 v6, v15, v16, vcc
	v_mov_b32_e32 v14, 0x3b800000
	v_lshlrev_b32_e32 v2, 20, v2
	v_lshl_add_u32 v6, v6, 23, v14
	v_or3_b32 v6, v13, v6, v2
.LBB6_416:
	s_or_b64 exec, exec, s[6:7]
	s_nop 0
	v_mfma_f32_16x16x4f32 a[0:3], v12, v6, a[0:3]
	s_movk_i32 s4, 0x7f
	v_cmp_gt_i16_sdwa s[6:7], v7, s4 src0_sel:BYTE_0 src1_sel:DWORD
	s_mov_b64 s[4:5], 0
                                        ; implicit-def: $sgpr10
	s_and_saveexec_b64 s[8:9], s[6:7]
	s_xor_b64 s[6:7], exec, s[8:9]
	s_cbranch_execnz .LBB6_2465
; %bb.417:
	s_or_saveexec_b64 s[6:7], s[6:7]
	v_mov_b32_e32 v2, s10
	s_xor_b64 exec, exec, s[6:7]
	s_cbranch_execnz .LBB6_2468
.LBB6_418:
	s_or_b64 exec, exec, s[6:7]
	s_and_saveexec_b64 s[6:7], s[4:5]
	s_cbranch_execz .LBB6_420
.LBB6_419:
	v_and_b32_e32 v2, 7, v7
	v_ffbh_u32_e32 v12, v2
	v_min_u32_e32 v12, 32, v12
	v_lshrrev_b16_e32 v6, 3, v7
	v_subrev_u32_e32 v13, 28, v12
	v_and_b32_e32 v6, 15, v6
	v_lshlrev_b32_e32 v13, v13, v7
	v_sub_u32_e32 v12, 29, v12
	v_and_b32_e32 v13, 7, v13
	v_cmp_eq_u16_e32 vcc, 0, v6
	v_cndmask_b32_e32 v2, v2, v13, vcc
	v_cndmask_b32_e32 v6, v6, v12, vcc
	v_lshlrev_b32_e32 v12, 24, v7
	v_mov_b32_e32 v13, 0x3b800000
	v_lshlrev_b32_e32 v2, 20, v2
	v_and_b32_e32 v12, 0x80000000, v12
	v_lshl_add_u32 v6, v6, 23, v13
	v_or3_b32 v2, v12, v6, v2
.LBB6_420:
	s_or_b64 exec, exec, s[6:7]
	s_movk_i32 s4, 0x7f
	v_cmp_gt_i16_sdwa s[6:7], v3, s4 src0_sel:BYTE_0 src1_sel:DWORD
	s_mov_b64 s[4:5], 0
                                        ; implicit-def: $sgpr10
	s_and_saveexec_b64 s[8:9], s[6:7]
	s_xor_b64 s[6:7], exec, s[8:9]
	s_cbranch_execnz .LBB6_2469
; %bb.421:
	s_or_saveexec_b64 s[6:7], s[6:7]
	v_mov_b32_e32 v6, s10
	s_xor_b64 exec, exec, s[6:7]
	s_cbranch_execnz .LBB6_2472
.LBB6_422:
	s_or_b64 exec, exec, s[6:7]
	s_and_saveexec_b64 s[6:7], s[4:5]
	s_cbranch_execz .LBB6_424
.LBB6_423:
	v_and_b32_e32 v6, 7, v3
	v_ffbh_u32_e32 v13, v6
	v_min_u32_e32 v13, 32, v13
	v_lshrrev_b16_e32 v12, 3, v3
	v_subrev_u32_e32 v14, 28, v13
	v_and_b32_e32 v12, 15, v12
	v_lshlrev_b32_e32 v14, v14, v3
	v_sub_u32_e32 v13, 29, v13
	v_and_b32_e32 v14, 7, v14
	v_cmp_eq_u16_e32 vcc, 0, v12
	v_cndmask_b32_e32 v6, v6, v14, vcc
	v_cndmask_b32_e32 v12, v12, v13, vcc
	v_lshlrev_b32_e32 v13, 24, v3
	v_mov_b32_e32 v14, 0x3b800000
	v_lshlrev_b32_e32 v6, 20, v6
	v_and_b32_e32 v13, 0x80000000, v13
	v_lshl_add_u32 v12, v12, 23, v14
	v_or3_b32 v6, v13, v12, v6
.LBB6_424:
	s_or_b64 exec, exec, s[6:7]
	s_nop 0
	v_mfma_f32_16x16x4f32 a[0:3], v2, v6, a[0:3]
	v_lshrrev_b32_e32 v6, 8, v7
	s_movk_i32 s4, 0x7f
	v_cmp_gt_i16_sdwa s[6:7], v6, s4 src0_sel:BYTE_0 src1_sel:DWORD
	s_mov_b64 s[4:5], 0
                                        ; implicit-def: $sgpr10
	s_and_saveexec_b64 s[8:9], s[6:7]
	s_xor_b64 s[6:7], exec, s[8:9]
	s_cbranch_execnz .LBB6_2473
; %bb.425:
	s_or_saveexec_b64 s[6:7], s[6:7]
	v_mov_b32_e32 v2, s10
	s_xor_b64 exec, exec, s[6:7]
	s_cbranch_execnz .LBB6_2476
.LBB6_426:
	s_or_b64 exec, exec, s[6:7]
	s_and_saveexec_b64 s[6:7], s[4:5]
	s_cbranch_execz .LBB6_428
.LBB6_427:
	v_bfe_u32 v2, v7, 8, 3
	v_ffbh_u32_e32 v13, v2
	v_min_u32_e32 v13, 32, v13
	v_lshrrev_b16_e32 v12, 3, v6
	v_subrev_u32_e32 v14, 28, v13
	v_and_b32_e32 v12, 15, v12
	v_lshlrev_b32_e32 v6, v14, v6
	v_sub_u32_e32 v13, 29, v13
	v_and_b32_e32 v6, 7, v6
	v_cmp_eq_u16_e32 vcc, 0, v12
	v_cndmask_b32_e32 v2, v2, v6, vcc
	v_cndmask_b32_e32 v6, v12, v13, vcc
	v_lshlrev_b32_e32 v12, 16, v7
	v_mov_b32_e32 v13, 0x3b800000
	v_lshlrev_b32_e32 v2, 20, v2
	v_and_b32_e32 v12, 0x80000000, v12
	v_lshl_add_u32 v6, v6, 23, v13
	v_or3_b32 v2, v12, v6, v2
.LBB6_428:
	s_or_b64 exec, exec, s[6:7]
	v_lshrrev_b32_e32 v6, 8, v3
	s_movk_i32 s4, 0x7f
	v_cmp_gt_i16_sdwa s[6:7], v6, s4 src0_sel:BYTE_0 src1_sel:DWORD
	s_mov_b64 s[4:5], 0
                                        ; implicit-def: $sgpr10
	s_and_saveexec_b64 s[8:9], s[6:7]
	s_xor_b64 s[6:7], exec, s[8:9]
	s_cbranch_execnz .LBB6_2477
; %bb.429:
	s_or_saveexec_b64 s[6:7], s[6:7]
	v_mov_b32_e32 v12, s10
	s_xor_b64 exec, exec, s[6:7]
	s_cbranch_execnz .LBB6_2480
.LBB6_430:
	s_or_b64 exec, exec, s[6:7]
	s_and_saveexec_b64 s[6:7], s[4:5]
	s_cbranch_execz .LBB6_432
.LBB6_431:
	v_bfe_u32 v12, v3, 8, 3
	v_ffbh_u32_e32 v14, v12
	v_min_u32_e32 v14, 32, v14
	v_lshrrev_b16_e32 v13, 3, v6
	v_subrev_u32_e32 v15, 28, v14
	v_and_b32_e32 v13, 15, v13
	v_lshlrev_b32_e32 v6, v15, v6
	v_sub_u32_e32 v14, 29, v14
	v_and_b32_e32 v6, 7, v6
	v_cmp_eq_u16_e32 vcc, 0, v13
	v_cndmask_b32_e32 v6, v12, v6, vcc
	v_cndmask_b32_e32 v12, v13, v14, vcc
	v_lshlrev_b32_e32 v13, 16, v3
	v_mov_b32_e32 v14, 0x3b800000
	v_lshlrev_b32_e32 v6, 20, v6
	v_and_b32_e32 v13, 0x80000000, v13
	v_lshl_add_u32 v12, v12, 23, v14
	v_or3_b32 v12, v13, v12, v6
.LBB6_432:
	s_or_b64 exec, exec, s[6:7]
	s_nop 0
	v_mfma_f32_16x16x4f32 a[0:3], v2, v12, a[0:3]
	s_movk_i32 s4, 0xff
	v_and_b32_sdwa v6, v7, s4 dst_sel:DWORD dst_unused:UNUSED_PAD src0_sel:WORD_1 src1_sel:DWORD
	s_movk_i32 s4, 0x7f
	v_cmp_lt_i16_e32 vcc, s4, v6
	s_mov_b64 s[4:5], 0
                                        ; implicit-def: $sgpr10
	s_and_saveexec_b64 s[6:7], vcc
	s_xor_b64 s[6:7], exec, s[6:7]
	s_cbranch_execnz .LBB6_2481
; %bb.433:
	s_or_saveexec_b64 s[6:7], s[6:7]
	v_mov_b32_e32 v2, s10
	s_xor_b64 exec, exec, s[6:7]
	s_cbranch_execnz .LBB6_2484
.LBB6_434:
	s_or_b64 exec, exec, s[6:7]
	s_and_saveexec_b64 s[6:7], s[4:5]
	s_cbranch_execz .LBB6_436
.LBB6_435:
	v_bfe_u32 v2, v7, 16, 3
	v_ffbh_u32_e32 v13, v2
	v_min_u32_e32 v13, 32, v13
	v_lshrrev_b32_e32 v6, 19, v7
	v_subrev_u32_e32 v14, 28, v13
	v_and_b32_e32 v6, 15, v6
	v_lshlrev_b32_sdwa v14, v14, v7 dst_sel:DWORD dst_unused:UNUSED_PAD src0_sel:DWORD src1_sel:WORD_1
	v_bfe_u32 v12, v7, 19, 4
	v_sub_u32_e32 v13, 29, v13
	v_and_b32_e32 v14, 7, v14
	v_cmp_eq_u16_e32 vcc, 0, v6
	v_cndmask_b32_e32 v2, v2, v14, vcc
	v_cndmask_b32_e32 v6, v12, v13, vcc
	v_lshlrev_b32_e32 v12, 8, v7
	v_mov_b32_e32 v13, 0x3b800000
	v_lshlrev_b32_e32 v2, 20, v2
	v_and_b32_e32 v12, 0x80000000, v12
	v_lshl_add_u32 v6, v6, 23, v13
	v_or3_b32 v2, v12, v6, v2
.LBB6_436:
	s_or_b64 exec, exec, s[6:7]
	s_movk_i32 s4, 0xff
	v_and_b32_sdwa v6, v3, s4 dst_sel:DWORD dst_unused:UNUSED_PAD src0_sel:WORD_1 src1_sel:DWORD
	s_movk_i32 s4, 0x7f
	v_cmp_lt_i16_e32 vcc, s4, v6
	s_mov_b64 s[4:5], 0
                                        ; implicit-def: $sgpr10
	s_and_saveexec_b64 s[6:7], vcc
	s_xor_b64 s[6:7], exec, s[6:7]
	s_cbranch_execnz .LBB6_2485
; %bb.437:
	s_or_saveexec_b64 s[6:7], s[6:7]
	v_mov_b32_e32 v12, s10
	s_xor_b64 exec, exec, s[6:7]
	s_cbranch_execnz .LBB6_2488
.LBB6_438:
	s_or_b64 exec, exec, s[6:7]
	s_and_saveexec_b64 s[6:7], s[4:5]
	s_cbranch_execz .LBB6_440
.LBB6_439:
	v_bfe_u32 v6, v3, 16, 3
	v_ffbh_u32_e32 v14, v6
	v_min_u32_e32 v14, 32, v14
	v_lshrrev_b32_e32 v12, 19, v3
	v_subrev_u32_e32 v15, 28, v14
	v_and_b32_e32 v12, 15, v12
	v_lshlrev_b32_sdwa v15, v15, v3 dst_sel:DWORD dst_unused:UNUSED_PAD src0_sel:DWORD src1_sel:WORD_1
	v_bfe_u32 v13, v3, 19, 4
	v_sub_u32_e32 v14, 29, v14
	v_and_b32_e32 v15, 7, v15
	v_cmp_eq_u16_e32 vcc, 0, v12
	v_cndmask_b32_e32 v6, v6, v15, vcc
	v_cndmask_b32_e32 v12, v13, v14, vcc
	v_lshlrev_b32_e32 v13, 8, v3
	v_mov_b32_e32 v14, 0x3b800000
	v_lshlrev_b32_e32 v6, 20, v6
	v_and_b32_e32 v13, 0x80000000, v13
	v_lshl_add_u32 v12, v12, 23, v14
	v_or3_b32 v12, v13, v12, v6
.LBB6_440:
	s_or_b64 exec, exec, s[6:7]
	s_nop 0
	v_mfma_f32_16x16x4f32 a[0:3], v2, v12, a[0:3]
	s_movk_i32 s4, 0x7f
	v_cmp_gt_i16_sdwa s[6:7], v7, s4 src0_sel:BYTE_3 src1_sel:DWORD
	s_mov_b64 s[4:5], 0
                                        ; implicit-def: $sgpr10
	s_and_saveexec_b64 s[8:9], s[6:7]
	s_xor_b64 s[6:7], exec, s[8:9]
	s_cbranch_execnz .LBB6_2489
; %bb.441:
	s_or_saveexec_b64 s[6:7], s[6:7]
	v_mov_b32_e32 v2, s10
	s_xor_b64 exec, exec, s[6:7]
	s_cbranch_execnz .LBB6_2492
.LBB6_442:
	s_or_b64 exec, exec, s[6:7]
	s_and_saveexec_b64 s[6:7], s[4:5]
	s_cbranch_execz .LBB6_444
.LBB6_443:
	v_bfe_u32 v2, v7, 24, 3
	v_ffbh_u32_e32 v14, v2
	v_min_u32_e32 v14, 32, v14
	v_lshrrev_b32_e32 v12, 27, v7
	v_subrev_u32_e32 v15, 28, v14
	v_and_b32_e32 v6, 0x80000000, v7
	v_and_b32_e32 v12, 15, v12
	v_bfe_u32 v13, v7, 27, 4
	v_lshlrev_b32_sdwa v7, v15, v7 dst_sel:DWORD dst_unused:UNUSED_PAD src0_sel:DWORD src1_sel:BYTE_3
	v_sub_u32_e32 v14, 29, v14
	v_and_b32_e32 v7, 7, v7
	v_cmp_eq_u16_e32 vcc, 0, v12
	v_cndmask_b32_e32 v2, v2, v7, vcc
	v_cndmask_b32_e32 v7, v13, v14, vcc
	v_mov_b32_e32 v12, 0x3b800000
	v_lshlrev_b32_e32 v2, 20, v2
	v_lshl_add_u32 v7, v7, 23, v12
	v_or3_b32 v2, v6, v7, v2
.LBB6_444:
	s_or_b64 exec, exec, s[6:7]
	s_movk_i32 s4, 0x7f
	v_cmp_gt_i16_sdwa s[6:7], v3, s4 src0_sel:BYTE_3 src1_sel:DWORD
	s_mov_b64 s[4:5], 0
                                        ; implicit-def: $sgpr10
	s_and_saveexec_b64 s[8:9], s[6:7]
	s_xor_b64 s[6:7], exec, s[8:9]
	s_cbranch_execnz .LBB6_2493
; %bb.445:
	s_or_saveexec_b64 s[6:7], s[6:7]
	v_mov_b32_e32 v6, s10
	s_xor_b64 exec, exec, s[6:7]
	s_cbranch_execnz .LBB6_2496
.LBB6_446:
	s_or_b64 exec, exec, s[6:7]
	s_and_saveexec_b64 s[6:7], s[4:5]
	s_cbranch_execz .LBB6_448
.LBB6_447:
	v_bfe_u32 v6, v3, 24, 3
	v_ffbh_u32_e32 v14, v6
	v_min_u32_e32 v14, 32, v14
	v_lshrrev_b32_e32 v12, 27, v3
	v_subrev_u32_e32 v15, 28, v14
	v_and_b32_e32 v7, 0x80000000, v3
	v_and_b32_e32 v12, 15, v12
	v_bfe_u32 v13, v3, 27, 4
	v_lshlrev_b32_sdwa v3, v15, v3 dst_sel:DWORD dst_unused:UNUSED_PAD src0_sel:DWORD src1_sel:BYTE_3
	v_sub_u32_e32 v14, 29, v14
	v_and_b32_e32 v3, 7, v3
	v_cmp_eq_u16_e32 vcc, 0, v12
	v_cndmask_b32_e32 v3, v6, v3, vcc
	v_cndmask_b32_e32 v6, v13, v14, vcc
	v_mov_b32_e32 v12, 0x3b800000
	v_lshlrev_b32_e32 v3, 20, v3
	v_lshl_add_u32 v6, v6, 23, v12
	v_or3_b32 v6, v7, v6, v3
.LBB6_448:
	s_or_b64 exec, exec, s[6:7]
	s_nop 0
	v_mfma_f32_16x16x4f32 a[0:3], v2, v6, a[0:3]
	s_movk_i32 s4, 0x7f
	v_cmp_gt_i16_sdwa s[6:7], v8, s4 src0_sel:BYTE_0 src1_sel:DWORD
	s_mov_b64 s[4:5], 0
                                        ; implicit-def: $sgpr10
	s_and_saveexec_b64 s[8:9], s[6:7]
	s_xor_b64 s[6:7], exec, s[8:9]
	s_cbranch_execnz .LBB6_2497
; %bb.449:
	s_or_saveexec_b64 s[6:7], s[6:7]
	v_mov_b32_e32 v2, s10
	s_xor_b64 exec, exec, s[6:7]
	s_cbranch_execnz .LBB6_2500
.LBB6_450:
	s_or_b64 exec, exec, s[6:7]
	s_and_saveexec_b64 s[6:7], s[4:5]
	s_cbranch_execz .LBB6_452
.LBB6_451:
	v_and_b32_e32 v2, 7, v8
	v_ffbh_u32_e32 v6, v2
	v_min_u32_e32 v6, 32, v6
	v_lshrrev_b16_e32 v3, 3, v8
	v_subrev_u32_e32 v7, 28, v6
	v_and_b32_e32 v3, 15, v3
	v_lshlrev_b32_e32 v7, v7, v8
	v_sub_u32_e32 v6, 29, v6
	v_and_b32_e32 v7, 7, v7
	v_cmp_eq_u16_e32 vcc, 0, v3
	v_cndmask_b32_e32 v2, v2, v7, vcc
	v_cndmask_b32_e32 v3, v3, v6, vcc
	v_lshlrev_b32_e32 v6, 24, v8
	v_mov_b32_e32 v7, 0x3b800000
	v_lshlrev_b32_e32 v2, 20, v2
	v_and_b32_e32 v6, 0x80000000, v6
	v_lshl_add_u32 v3, v3, 23, v7
	v_or3_b32 v2, v6, v3, v2
.LBB6_452:
	s_or_b64 exec, exec, s[6:7]
	s_movk_i32 s4, 0x7f
	v_cmp_gt_i16_sdwa s[6:7], v4, s4 src0_sel:BYTE_0 src1_sel:DWORD
	s_mov_b64 s[4:5], 0
                                        ; implicit-def: $sgpr10
	s_and_saveexec_b64 s[8:9], s[6:7]
	s_xor_b64 s[6:7], exec, s[8:9]
	s_cbranch_execnz .LBB6_2501
; %bb.453:
	s_or_saveexec_b64 s[6:7], s[6:7]
	v_mov_b32_e32 v3, s10
	s_xor_b64 exec, exec, s[6:7]
	s_cbranch_execnz .LBB6_2504
.LBB6_454:
	s_or_b64 exec, exec, s[6:7]
	s_and_saveexec_b64 s[6:7], s[4:5]
	s_cbranch_execz .LBB6_456
.LBB6_455:
	v_and_b32_e32 v3, 7, v4
	v_ffbh_u32_e32 v7, v3
	v_min_u32_e32 v7, 32, v7
	v_lshrrev_b16_e32 v6, 3, v4
	v_subrev_u32_e32 v12, 28, v7
	v_and_b32_e32 v6, 15, v6
	v_lshlrev_b32_e32 v12, v12, v4
	v_sub_u32_e32 v7, 29, v7
	v_and_b32_e32 v12, 7, v12
	v_cmp_eq_u16_e32 vcc, 0, v6
	v_cndmask_b32_e32 v3, v3, v12, vcc
	v_cndmask_b32_e32 v6, v6, v7, vcc
	v_lshlrev_b32_e32 v7, 24, v4
	v_mov_b32_e32 v12, 0x3b800000
	v_lshlrev_b32_e32 v3, 20, v3
	v_and_b32_e32 v7, 0x80000000, v7
	v_lshl_add_u32 v6, v6, 23, v12
	v_or3_b32 v3, v7, v6, v3
.LBB6_456:
	s_or_b64 exec, exec, s[6:7]
	s_nop 0
	v_mfma_f32_16x16x4f32 a[0:3], v2, v3, a[0:3]
	v_lshrrev_b32_e32 v3, 8, v8
	s_movk_i32 s4, 0x7f
	v_cmp_gt_i16_sdwa s[6:7], v3, s4 src0_sel:BYTE_0 src1_sel:DWORD
	s_mov_b64 s[4:5], 0
                                        ; implicit-def: $sgpr10
	s_and_saveexec_b64 s[8:9], s[6:7]
	s_xor_b64 s[6:7], exec, s[8:9]
	s_cbranch_execnz .LBB6_2505
; %bb.457:
	s_or_saveexec_b64 s[6:7], s[6:7]
	v_mov_b32_e32 v2, s10
	s_xor_b64 exec, exec, s[6:7]
	s_cbranch_execnz .LBB6_2508
.LBB6_458:
	s_or_b64 exec, exec, s[6:7]
	s_and_saveexec_b64 s[6:7], s[4:5]
	s_cbranch_execz .LBB6_460
.LBB6_459:
	v_bfe_u32 v2, v8, 8, 3
	v_ffbh_u32_e32 v7, v2
	v_min_u32_e32 v7, 32, v7
	v_lshrrev_b16_e32 v6, 3, v3
	v_subrev_u32_e32 v12, 28, v7
	v_and_b32_e32 v6, 15, v6
	v_lshlrev_b32_e32 v3, v12, v3
	v_sub_u32_e32 v7, 29, v7
	v_and_b32_e32 v3, 7, v3
	v_cmp_eq_u16_e32 vcc, 0, v6
	v_cndmask_b32_e32 v2, v2, v3, vcc
	v_cndmask_b32_e32 v3, v6, v7, vcc
	v_lshlrev_b32_e32 v6, 16, v8
	v_mov_b32_e32 v7, 0x3b800000
	v_lshlrev_b32_e32 v2, 20, v2
	v_and_b32_e32 v6, 0x80000000, v6
	v_lshl_add_u32 v3, v3, 23, v7
	v_or3_b32 v2, v6, v3, v2
.LBB6_460:
	s_or_b64 exec, exec, s[6:7]
	v_lshrrev_b32_e32 v3, 8, v4
	s_movk_i32 s4, 0x7f
	v_cmp_gt_i16_sdwa s[6:7], v3, s4 src0_sel:BYTE_0 src1_sel:DWORD
	s_mov_b64 s[4:5], 0
                                        ; implicit-def: $sgpr10
	s_and_saveexec_b64 s[8:9], s[6:7]
	s_xor_b64 s[6:7], exec, s[8:9]
	s_cbranch_execnz .LBB6_2509
; %bb.461:
	s_or_saveexec_b64 s[6:7], s[6:7]
	v_mov_b32_e32 v6, s10
	s_xor_b64 exec, exec, s[6:7]
	s_cbranch_execnz .LBB6_2512
.LBB6_462:
	s_or_b64 exec, exec, s[6:7]
	s_and_saveexec_b64 s[6:7], s[4:5]
	s_cbranch_execz .LBB6_464
.LBB6_463:
	v_bfe_u32 v6, v4, 8, 3
	v_ffbh_u32_e32 v12, v6
	v_min_u32_e32 v12, 32, v12
	v_lshrrev_b16_e32 v7, 3, v3
	v_subrev_u32_e32 v13, 28, v12
	v_and_b32_e32 v7, 15, v7
	v_lshlrev_b32_e32 v3, v13, v3
	v_sub_u32_e32 v12, 29, v12
	v_and_b32_e32 v3, 7, v3
	v_cmp_eq_u16_e32 vcc, 0, v7
	v_cndmask_b32_e32 v3, v6, v3, vcc
	v_cndmask_b32_e32 v6, v7, v12, vcc
	v_lshlrev_b32_e32 v7, 16, v4
	v_mov_b32_e32 v12, 0x3b800000
	v_lshlrev_b32_e32 v3, 20, v3
	v_and_b32_e32 v7, 0x80000000, v7
	v_lshl_add_u32 v6, v6, 23, v12
	v_or3_b32 v6, v7, v6, v3
.LBB6_464:
	s_or_b64 exec, exec, s[6:7]
	s_nop 0
	v_mfma_f32_16x16x4f32 a[0:3], v2, v6, a[0:3]
	s_movk_i32 s4, 0xff
	v_and_b32_sdwa v3, v8, s4 dst_sel:DWORD dst_unused:UNUSED_PAD src0_sel:WORD_1 src1_sel:DWORD
	s_movk_i32 s4, 0x7f
	v_cmp_lt_i16_e32 vcc, s4, v3
	s_mov_b64 s[4:5], 0
                                        ; implicit-def: $sgpr10
	s_and_saveexec_b64 s[6:7], vcc
	s_xor_b64 s[6:7], exec, s[6:7]
	s_cbranch_execnz .LBB6_2513
; %bb.465:
	s_or_saveexec_b64 s[6:7], s[6:7]
	v_mov_b32_e32 v2, s10
	s_xor_b64 exec, exec, s[6:7]
	s_cbranch_execnz .LBB6_2516
.LBB6_466:
	s_or_b64 exec, exec, s[6:7]
	s_and_saveexec_b64 s[6:7], s[4:5]
	s_cbranch_execz .LBB6_468
.LBB6_467:
	v_bfe_u32 v2, v8, 16, 3
	v_ffbh_u32_e32 v7, v2
	v_min_u32_e32 v7, 32, v7
	v_lshrrev_b32_e32 v3, 19, v8
	v_subrev_u32_e32 v12, 28, v7
	v_and_b32_e32 v3, 15, v3
	v_lshlrev_b32_sdwa v12, v12, v8 dst_sel:DWORD dst_unused:UNUSED_PAD src0_sel:DWORD src1_sel:WORD_1
	v_bfe_u32 v6, v8, 19, 4
	v_sub_u32_e32 v7, 29, v7
	v_and_b32_e32 v12, 7, v12
	v_cmp_eq_u16_e32 vcc, 0, v3
	v_cndmask_b32_e32 v2, v2, v12, vcc
	v_cndmask_b32_e32 v3, v6, v7, vcc
	v_lshlrev_b32_e32 v6, 8, v8
	v_mov_b32_e32 v7, 0x3b800000
	v_lshlrev_b32_e32 v2, 20, v2
	v_and_b32_e32 v6, 0x80000000, v6
	v_lshl_add_u32 v3, v3, 23, v7
	v_or3_b32 v2, v6, v3, v2
.LBB6_468:
	s_or_b64 exec, exec, s[6:7]
	s_movk_i32 s4, 0xff
	v_and_b32_sdwa v3, v4, s4 dst_sel:DWORD dst_unused:UNUSED_PAD src0_sel:WORD_1 src1_sel:DWORD
	s_movk_i32 s4, 0x7f
	v_cmp_lt_i16_e32 vcc, s4, v3
	s_mov_b64 s[4:5], 0
                                        ; implicit-def: $sgpr10
	s_and_saveexec_b64 s[6:7], vcc
	s_xor_b64 s[6:7], exec, s[6:7]
	s_cbranch_execnz .LBB6_2517
; %bb.469:
	s_or_saveexec_b64 s[6:7], s[6:7]
	v_mov_b32_e32 v6, s10
	s_xor_b64 exec, exec, s[6:7]
	s_cbranch_execnz .LBB6_2520
.LBB6_470:
	s_or_b64 exec, exec, s[6:7]
	s_and_saveexec_b64 s[6:7], s[4:5]
	s_cbranch_execz .LBB6_472
.LBB6_471:
	v_bfe_u32 v3, v4, 16, 3
	v_ffbh_u32_e32 v12, v3
	v_min_u32_e32 v12, 32, v12
	v_lshrrev_b32_e32 v6, 19, v4
	v_subrev_u32_e32 v13, 28, v12
	v_and_b32_e32 v6, 15, v6
	v_lshlrev_b32_sdwa v13, v13, v4 dst_sel:DWORD dst_unused:UNUSED_PAD src0_sel:DWORD src1_sel:WORD_1
	v_bfe_u32 v7, v4, 19, 4
	v_sub_u32_e32 v12, 29, v12
	v_and_b32_e32 v13, 7, v13
	v_cmp_eq_u16_e32 vcc, 0, v6
	v_cndmask_b32_e32 v3, v3, v13, vcc
	v_cndmask_b32_e32 v6, v7, v12, vcc
	v_lshlrev_b32_e32 v7, 8, v4
	v_mov_b32_e32 v12, 0x3b800000
	v_lshlrev_b32_e32 v3, 20, v3
	v_and_b32_e32 v7, 0x80000000, v7
	v_lshl_add_u32 v6, v6, 23, v12
	v_or3_b32 v6, v7, v6, v3
.LBB6_472:
	s_or_b64 exec, exec, s[6:7]
	s_nop 0
	v_mfma_f32_16x16x4f32 a[0:3], v2, v6, a[0:3]
	s_movk_i32 s4, 0x7f
	v_cmp_gt_i16_sdwa s[6:7], v8, s4 src0_sel:BYTE_3 src1_sel:DWORD
	s_mov_b64 s[4:5], 0
                                        ; implicit-def: $sgpr10
	s_and_saveexec_b64 s[8:9], s[6:7]
	s_xor_b64 s[6:7], exec, s[8:9]
	s_cbranch_execnz .LBB6_2521
; %bb.473:
	s_or_saveexec_b64 s[6:7], s[6:7]
	v_mov_b32_e32 v2, s10
	s_xor_b64 exec, exec, s[6:7]
	s_cbranch_execnz .LBB6_2524
.LBB6_474:
	s_or_b64 exec, exec, s[6:7]
	s_and_saveexec_b64 s[6:7], s[4:5]
	s_cbranch_execz .LBB6_476
.LBB6_475:
	v_bfe_u32 v2, v8, 24, 3
	v_ffbh_u32_e32 v12, v2
	v_min_u32_e32 v12, 32, v12
	v_lshrrev_b32_e32 v6, 27, v8
	v_subrev_u32_e32 v13, 28, v12
	v_and_b32_e32 v3, 0x80000000, v8
	v_and_b32_e32 v6, 15, v6
	v_bfe_u32 v7, v8, 27, 4
	v_lshlrev_b32_sdwa v8, v13, v8 dst_sel:DWORD dst_unused:UNUSED_PAD src0_sel:DWORD src1_sel:BYTE_3
	v_sub_u32_e32 v12, 29, v12
	v_and_b32_e32 v8, 7, v8
	v_cmp_eq_u16_e32 vcc, 0, v6
	v_cndmask_b32_e32 v2, v2, v8, vcc
	v_cndmask_b32_e32 v6, v7, v12, vcc
	v_mov_b32_e32 v7, 0x3b800000
	v_lshlrev_b32_e32 v2, 20, v2
	v_lshl_add_u32 v6, v6, 23, v7
	v_or3_b32 v2, v3, v6, v2
.LBB6_476:
	s_or_b64 exec, exec, s[6:7]
	s_movk_i32 s4, 0x7f
	v_cmp_gt_i16_sdwa s[6:7], v4, s4 src0_sel:BYTE_3 src1_sel:DWORD
	s_mov_b64 s[4:5], 0
                                        ; implicit-def: $sgpr10
	s_and_saveexec_b64 s[8:9], s[6:7]
	s_xor_b64 s[6:7], exec, s[8:9]
	s_cbranch_execnz .LBB6_2525
; %bb.477:
	s_or_saveexec_b64 s[6:7], s[6:7]
	v_mov_b32_e32 v3, s10
	s_xor_b64 exec, exec, s[6:7]
	s_cbranch_execnz .LBB6_2528
.LBB6_478:
	s_or_b64 exec, exec, s[6:7]
	s_and_saveexec_b64 s[6:7], s[4:5]
	s_cbranch_execz .LBB6_480
.LBB6_479:
	v_bfe_u32 v3, v4, 24, 3
	v_ffbh_u32_e32 v12, v3
	v_min_u32_e32 v12, 32, v12
	v_lshrrev_b32_e32 v7, 27, v4
	v_subrev_u32_e32 v13, 28, v12
	v_and_b32_e32 v6, 0x80000000, v4
	v_and_b32_e32 v7, 15, v7
	v_bfe_u32 v8, v4, 27, 4
	v_lshlrev_b32_sdwa v4, v13, v4 dst_sel:DWORD dst_unused:UNUSED_PAD src0_sel:DWORD src1_sel:BYTE_3
	v_sub_u32_e32 v12, 29, v12
	v_and_b32_e32 v4, 7, v4
	v_cmp_eq_u16_e32 vcc, 0, v7
	v_cndmask_b32_e32 v3, v3, v4, vcc
	v_cndmask_b32_e32 v4, v8, v12, vcc
	v_mov_b32_e32 v7, 0x3b800000
	v_lshlrev_b32_e32 v3, 20, v3
	v_lshl_add_u32 v4, v4, 23, v7
	v_or3_b32 v3, v6, v4, v3
.LBB6_480:
	s_or_b64 exec, exec, s[6:7]
	s_nop 0
	v_mfma_f32_16x16x4f32 a[0:3], v2, v3, a[0:3]
	s_movk_i32 s4, 0x7f
	v_cmp_gt_i16_sdwa s[6:7], v9, s4 src0_sel:BYTE_0 src1_sel:DWORD
	s_mov_b64 s[4:5], 0
                                        ; implicit-def: $sgpr10
	s_and_saveexec_b64 s[8:9], s[6:7]
	s_xor_b64 s[6:7], exec, s[8:9]
	s_cbranch_execnz .LBB6_2529
; %bb.481:
	s_or_saveexec_b64 s[6:7], s[6:7]
	v_mov_b32_e32 v2, s10
	s_xor_b64 exec, exec, s[6:7]
	s_cbranch_execnz .LBB6_2532
.LBB6_482:
	s_or_b64 exec, exec, s[6:7]
	s_and_saveexec_b64 s[6:7], s[4:5]
	s_cbranch_execz .LBB6_484
.LBB6_483:
	v_mov_b32_e32 v2, 8
	v_and_b32_e32 v3, 7, v9
	v_lshrrev_b32_sdwa v2, v2, v9 dst_sel:BYTE_1 dst_unused:UNUSED_PAD src0_sel:DWORD src1_sel:DWORD
	v_ffbh_u32_e32 v4, v3
	v_or_b32_sdwa v2, v9, v2 dst_sel:DWORD dst_unused:UNUSED_PAD src0_sel:BYTE_0 src1_sel:DWORD
	v_min_u32_e32 v4, 32, v4
	v_lshrrev_b16_e32 v2, 3, v2
	v_subrev_u32_e32 v6, 28, v4
	v_and_b32_e32 v2, 15, v2
	v_lshlrev_b32_e32 v6, v6, v9
	v_sub_u32_e32 v4, 29, v4
	v_and_b32_e32 v6, 7, v6
	v_cmp_eq_u16_e32 vcc, 0, v2
	v_cndmask_b32_e32 v3, v3, v6, vcc
	v_cndmask_b32_e32 v2, v2, v4, vcc
	v_lshlrev_b32_e32 v4, 24, v9
	v_mov_b32_e32 v6, 0x3b800000
	v_lshlrev_b32_e32 v3, 20, v3
	v_and_b32_e32 v4, 0x80000000, v4
	v_lshl_add_u32 v2, v2, 23, v6
	v_or3_b32 v2, v4, v2, v3
.LBB6_484:
	s_or_b64 exec, exec, s[6:7]
	s_movk_i32 s4, 0x7f
	v_cmp_gt_i16_sdwa s[6:7], v5, s4 src0_sel:BYTE_0 src1_sel:DWORD
	s_mov_b64 s[4:5], 0
                                        ; implicit-def: $sgpr10
	s_and_saveexec_b64 s[8:9], s[6:7]
	s_xor_b64 s[6:7], exec, s[8:9]
	s_cbranch_execnz .LBB6_2533
; %bb.485:
	s_or_saveexec_b64 s[6:7], s[6:7]
	v_mov_b32_e32 v3, s10
	s_xor_b64 exec, exec, s[6:7]
	s_cbranch_execnz .LBB6_2536
.LBB6_486:
	s_or_b64 exec, exec, s[6:7]
	s_and_saveexec_b64 s[6:7], s[4:5]
	s_cbranch_execz .LBB6_488
.LBB6_487:
	v_mov_b32_e32 v3, 8
	v_and_b32_e32 v4, 7, v5
	v_lshrrev_b32_sdwa v3, v3, v5 dst_sel:BYTE_1 dst_unused:UNUSED_PAD src0_sel:DWORD src1_sel:DWORD
	v_ffbh_u32_e32 v6, v4
	v_or_b32_sdwa v3, v5, v3 dst_sel:DWORD dst_unused:UNUSED_PAD src0_sel:BYTE_0 src1_sel:DWORD
	v_min_u32_e32 v6, 32, v6
	v_lshrrev_b16_e32 v3, 3, v3
	v_subrev_u32_e32 v7, 28, v6
	v_and_b32_e32 v3, 15, v3
	v_lshlrev_b32_e32 v7, v7, v5
	v_sub_u32_e32 v6, 29, v6
	v_and_b32_e32 v7, 7, v7
	v_cmp_eq_u16_e32 vcc, 0, v3
	v_cndmask_b32_e32 v4, v4, v7, vcc
	v_cndmask_b32_e32 v3, v3, v6, vcc
	v_lshlrev_b32_e32 v6, 24, v5
	v_mov_b32_e32 v7, 0x3b800000
	v_lshlrev_b32_e32 v4, 20, v4
	v_and_b32_e32 v6, 0x80000000, v6
	v_lshl_add_u32 v3, v3, 23, v7
	v_or3_b32 v3, v6, v3, v4
.LBB6_488:
	s_or_b64 exec, exec, s[6:7]
	s_nop 0
	v_mfma_f32_16x16x4f32 a[0:3], v2, v3, a[0:3]
	v_lshrrev_b32_e32 v3, 8, v9
	s_movk_i32 s4, 0x7f
	v_cmp_gt_i16_sdwa s[6:7], v3, s4 src0_sel:BYTE_0 src1_sel:DWORD
	s_mov_b64 s[4:5], 0
                                        ; implicit-def: $sgpr10
	s_and_saveexec_b64 s[8:9], s[6:7]
	s_xor_b64 s[6:7], exec, s[8:9]
	s_cbranch_execnz .LBB6_2537
; %bb.489:
	s_or_saveexec_b64 s[6:7], s[6:7]
	v_mov_b32_e32 v2, s10
	s_xor_b64 exec, exec, s[6:7]
	s_cbranch_execnz .LBB6_2540
.LBB6_490:
	s_or_b64 exec, exec, s[6:7]
	s_and_saveexec_b64 s[6:7], s[4:5]
	s_cbranch_execz .LBB6_492
.LBB6_491:
	v_bfe_u32 v2, v9, 8, 3
	v_ffbh_u32_e32 v6, v2
	v_min_u32_e32 v6, 32, v6
	v_lshrrev_b16_e32 v4, 3, v3
	v_subrev_u32_e32 v7, 28, v6
	v_and_b32_e32 v4, 15, v4
	v_lshlrev_b32_e32 v3, v7, v3
	v_sub_u32_e32 v6, 29, v6
	v_and_b32_e32 v3, 7, v3
	v_cmp_eq_u16_e32 vcc, 0, v4
	v_cndmask_b32_e32 v2, v2, v3, vcc
	v_cndmask_b32_e32 v3, v4, v6, vcc
	v_lshlrev_b32_e32 v4, 16, v9
	v_mov_b32_e32 v6, 0x3b800000
	v_lshlrev_b32_e32 v2, 20, v2
	v_and_b32_e32 v4, 0x80000000, v4
	v_lshl_add_u32 v3, v3, 23, v6
	v_or3_b32 v2, v4, v3, v2
.LBB6_492:
	s_or_b64 exec, exec, s[6:7]
	v_lshrrev_b32_e32 v3, 8, v5
	s_movk_i32 s4, 0x7f
	v_cmp_gt_i16_sdwa s[6:7], v3, s4 src0_sel:BYTE_0 src1_sel:DWORD
	s_mov_b64 s[4:5], 0
                                        ; implicit-def: $sgpr10
	s_and_saveexec_b64 s[8:9], s[6:7]
	s_xor_b64 s[6:7], exec, s[8:9]
	s_cbranch_execnz .LBB6_2541
; %bb.493:
	s_or_saveexec_b64 s[6:7], s[6:7]
	v_mov_b32_e32 v4, s10
	s_xor_b64 exec, exec, s[6:7]
	s_cbranch_execnz .LBB6_2544
.LBB6_494:
	s_or_b64 exec, exec, s[6:7]
	s_and_saveexec_b64 s[6:7], s[4:5]
	s_cbranch_execz .LBB6_496
.LBB6_495:
	v_bfe_u32 v4, v5, 8, 3
	v_ffbh_u32_e32 v7, v4
	v_min_u32_e32 v7, 32, v7
	v_lshrrev_b16_e32 v6, 3, v3
	v_subrev_u32_e32 v8, 28, v7
	v_and_b32_e32 v6, 15, v6
	v_lshlrev_b32_e32 v3, v8, v3
	v_sub_u32_e32 v7, 29, v7
	v_and_b32_e32 v3, 7, v3
	v_cmp_eq_u16_e32 vcc, 0, v6
	v_cndmask_b32_e32 v3, v4, v3, vcc
	v_cndmask_b32_e32 v4, v6, v7, vcc
	v_lshlrev_b32_e32 v6, 16, v5
	v_mov_b32_e32 v7, 0x3b800000
	v_lshlrev_b32_e32 v3, 20, v3
	v_and_b32_e32 v6, 0x80000000, v6
	v_lshl_add_u32 v4, v4, 23, v7
	v_or3_b32 v4, v6, v4, v3
.LBB6_496:
	s_or_b64 exec, exec, s[6:7]
	s_nop 0
	v_mfma_f32_16x16x4f32 a[0:3], v2, v4, a[0:3]
	s_movk_i32 s4, 0xff
	v_and_b32_sdwa v3, v9, s4 dst_sel:DWORD dst_unused:UNUSED_PAD src0_sel:WORD_1 src1_sel:DWORD
	s_movk_i32 s4, 0x7f
	v_cmp_lt_i16_e32 vcc, s4, v3
	s_mov_b64 s[4:5], 0
                                        ; implicit-def: $sgpr10
	s_and_saveexec_b64 s[6:7], vcc
	s_xor_b64 s[6:7], exec, s[6:7]
	s_cbranch_execnz .LBB6_2545
; %bb.497:
	s_or_saveexec_b64 s[6:7], s[6:7]
	v_mov_b32_e32 v2, s10
	s_xor_b64 exec, exec, s[6:7]
	s_cbranch_execnz .LBB6_2548
.LBB6_498:
	s_or_b64 exec, exec, s[6:7]
	s_and_saveexec_b64 s[6:7], s[4:5]
	s_cbranch_execz .LBB6_500
.LBB6_499:
	v_bfe_u32 v2, v9, 16, 3
	v_ffbh_u32_e32 v6, v2
	v_min_u32_e32 v6, 32, v6
	v_lshrrev_b32_e32 v3, 19, v9
	v_subrev_u32_e32 v7, 28, v6
	v_and_b32_e32 v3, 15, v3
	v_lshlrev_b32_sdwa v7, v7, v9 dst_sel:DWORD dst_unused:UNUSED_PAD src0_sel:DWORD src1_sel:WORD_1
	v_bfe_u32 v4, v9, 19, 4
	v_sub_u32_e32 v6, 29, v6
	v_and_b32_e32 v7, 7, v7
	v_cmp_eq_u16_e32 vcc, 0, v3
	v_cndmask_b32_e32 v2, v2, v7, vcc
	v_cndmask_b32_e32 v3, v4, v6, vcc
	v_lshlrev_b32_e32 v4, 8, v9
	v_mov_b32_e32 v6, 0x3b800000
	v_lshlrev_b32_e32 v2, 20, v2
	v_and_b32_e32 v4, 0x80000000, v4
	v_lshl_add_u32 v3, v3, 23, v6
	v_or3_b32 v2, v4, v3, v2
.LBB6_500:
	s_or_b64 exec, exec, s[6:7]
	s_movk_i32 s4, 0xff
	v_and_b32_sdwa v3, v5, s4 dst_sel:DWORD dst_unused:UNUSED_PAD src0_sel:WORD_1 src1_sel:DWORD
	s_movk_i32 s4, 0x7f
	v_cmp_lt_i16_e32 vcc, s4, v3
	s_mov_b64 s[4:5], 0
                                        ; implicit-def: $sgpr10
	s_and_saveexec_b64 s[6:7], vcc
	s_xor_b64 s[6:7], exec, s[6:7]
	s_cbranch_execnz .LBB6_2549
; %bb.501:
	s_or_saveexec_b64 s[6:7], s[6:7]
	v_mov_b32_e32 v4, s10
	s_xor_b64 exec, exec, s[6:7]
	s_cbranch_execnz .LBB6_2552
.LBB6_502:
	s_or_b64 exec, exec, s[6:7]
	s_and_saveexec_b64 s[6:7], s[4:5]
	s_cbranch_execz .LBB6_504
.LBB6_503:
	v_bfe_u32 v3, v5, 16, 3
	v_ffbh_u32_e32 v7, v3
	v_min_u32_e32 v7, 32, v7
	v_lshrrev_b32_e32 v4, 19, v5
	v_subrev_u32_e32 v8, 28, v7
	v_and_b32_e32 v4, 15, v4
	v_lshlrev_b32_sdwa v8, v8, v5 dst_sel:DWORD dst_unused:UNUSED_PAD src0_sel:DWORD src1_sel:WORD_1
	v_bfe_u32 v6, v5, 19, 4
	v_sub_u32_e32 v7, 29, v7
	v_and_b32_e32 v8, 7, v8
	v_cmp_eq_u16_e32 vcc, 0, v4
	v_cndmask_b32_e32 v3, v3, v8, vcc
	v_cndmask_b32_e32 v4, v6, v7, vcc
	v_lshlrev_b32_e32 v6, 8, v5
	v_mov_b32_e32 v7, 0x3b800000
	v_lshlrev_b32_e32 v3, 20, v3
	v_and_b32_e32 v6, 0x80000000, v6
	v_lshl_add_u32 v4, v4, 23, v7
	v_or3_b32 v4, v6, v4, v3
.LBB6_504:
	s_or_b64 exec, exec, s[6:7]
	s_nop 0
	v_mfma_f32_16x16x4f32 a[0:3], v2, v4, a[0:3]
	s_movk_i32 s4, 0x7f
	v_cmp_gt_i16_sdwa s[6:7], v9, s4 src0_sel:BYTE_3 src1_sel:DWORD
	s_mov_b64 s[4:5], 0
                                        ; implicit-def: $sgpr10
	s_and_saveexec_b64 s[8:9], s[6:7]
	s_xor_b64 s[6:7], exec, s[8:9]
	s_cbranch_execnz .LBB6_2553
; %bb.505:
	s_or_saveexec_b64 s[6:7], s[6:7]
	v_mov_b32_e32 v2, s10
	s_xor_b64 exec, exec, s[6:7]
	s_cbranch_execnz .LBB6_2556
.LBB6_506:
	s_or_b64 exec, exec, s[6:7]
	s_and_saveexec_b64 s[6:7], s[4:5]
	s_cbranch_execz .LBB6_508
.LBB6_507:
	v_bfe_u32 v2, v9, 24, 3
	v_ffbh_u32_e32 v7, v2
	v_min_u32_e32 v7, 32, v7
	v_lshrrev_b32_e32 v4, 27, v9
	v_subrev_u32_e32 v8, 28, v7
	v_and_b32_e32 v4, 15, v4
	v_lshlrev_b32_sdwa v8, v8, v9 dst_sel:DWORD dst_unused:UNUSED_PAD src0_sel:DWORD src1_sel:BYTE_3
	v_bfe_u32 v6, v9, 27, 4
	v_sub_u32_e32 v7, 29, v7
	v_and_b32_e32 v8, 7, v8
	v_cmp_eq_u16_e32 vcc, 0, v4
	v_cndmask_b32_e32 v2, v2, v8, vcc
	v_cndmask_b32_e32 v4, v6, v7, vcc
	v_mov_b32_e32 v6, 0x3b800000
	v_and_b32_e32 v3, 0x80000000, v9
	v_lshlrev_b32_e32 v2, 20, v2
	v_lshl_add_u32 v4, v4, 23, v6
	v_or3_b32 v2, v3, v4, v2
.LBB6_508:
	s_or_b64 exec, exec, s[6:7]
	s_movk_i32 s4, 0x7f
	v_cmp_gt_i16_sdwa s[6:7], v5, s4 src0_sel:BYTE_3 src1_sel:DWORD
	s_mov_b64 s[4:5], 0
                                        ; implicit-def: $sgpr10
	s_and_saveexec_b64 s[8:9], s[6:7]
	s_xor_b64 s[6:7], exec, s[8:9]
	s_cbranch_execnz .LBB6_2557
; %bb.509:
	s_or_saveexec_b64 s[6:7], s[6:7]
	v_mov_b32_e32 v3, s10
	s_xor_b64 exec, exec, s[6:7]
	s_cbranch_execnz .LBB6_2560
.LBB6_510:
	s_or_b64 exec, exec, s[6:7]
	s_and_saveexec_b64 s[6:7], s[4:5]
	s_cbranch_execz .LBB6_512
.LBB6_511:
	v_bfe_u32 v3, v5, 24, 3
	v_ffbh_u32_e32 v8, v3
	v_min_u32_e32 v8, 32, v8
	v_lshrrev_b32_e32 v6, 27, v5
	v_subrev_u32_e32 v9, 28, v8
	v_and_b32_e32 v4, 0x80000000, v5
	v_and_b32_e32 v6, 15, v6
	v_bfe_u32 v7, v5, 27, 4
	v_lshlrev_b32_sdwa v5, v9, v5 dst_sel:DWORD dst_unused:UNUSED_PAD src0_sel:DWORD src1_sel:BYTE_3
	v_sub_u32_e32 v8, 29, v8
	v_and_b32_e32 v5, 7, v5
	v_cmp_eq_u16_e32 vcc, 0, v6
	v_cndmask_b32_e32 v3, v3, v5, vcc
	v_cndmask_b32_e32 v5, v7, v8, vcc
	v_mov_b32_e32 v6, 0x3b800000
	v_lshlrev_b32_e32 v3, 20, v3
	v_lshl_add_u32 v5, v5, 23, v6
	v_or3_b32 v3, v4, v5, v3
.LBB6_512:
	s_or_b64 exec, exec, s[6:7]
	s_nop 0
	v_mfma_f32_16x16x4f32 a[0:3], v2, v3, a[0:3]
	s_movk_i32 s4, 0x7f
                                        ; implicit-def: $sgpr10
	s_nop 7
	s_nop 1
	flat_store_dwordx4 v[10:11], a[0:3] offset:48
	flat_load_dwordx4 v[12:15], v[0:1] offset:8
	s_nop 0
	flat_load_dwordx2 v[10:11], v[0:1] offset:32
	s_waitcnt vmcnt(0) lgkmcnt(0)
	flat_load_dwordx4 v[6:9], v[12:13] offset:48
	flat_load_dwordx4 v[2:5], v[14:15] offset:16
	s_waitcnt vmcnt(0) lgkmcnt(0)
	v_cmp_gt_i16_sdwa s[6:7], v6, s4 src0_sel:BYTE_0 src1_sel:DWORD
	s_mov_b64 s[4:5], 0
	s_and_saveexec_b64 s[8:9], s[6:7]
	s_xor_b64 s[6:7], exec, s[8:9]
	s_cbranch_execnz .LBB6_2561
; %bb.513:
	s_or_saveexec_b64 s[6:7], s[6:7]
	v_mov_b32_e32 v12, s10
	s_xor_b64 exec, exec, s[6:7]
	s_cbranch_execnz .LBB6_2564
.LBB6_514:
	s_or_b64 exec, exec, s[6:7]
	s_and_saveexec_b64 s[6:7], s[4:5]
	s_cbranch_execz .LBB6_516
.LBB6_515:
	v_and_b32_e32 v12, 7, v6
	v_ffbh_u32_e32 v14, v12
	v_min_u32_e32 v14, 32, v14
	v_lshrrev_b16_e32 v13, 3, v6
	v_subrev_u32_e32 v15, 28, v14
	v_and_b32_e32 v13, 15, v13
	v_lshlrev_b32_e32 v15, v15, v6
	v_sub_u32_e32 v14, 29, v14
	v_and_b32_e32 v15, 7, v15
	v_cmp_eq_u16_e32 vcc, 0, v13
	v_cndmask_b32_e32 v12, v12, v15, vcc
	v_cndmask_b32_e32 v13, v13, v14, vcc
	v_lshlrev_b32_e32 v14, 24, v6
	v_mov_b32_e32 v15, 0x3b800000
	v_lshlrev_b32_e32 v12, 20, v12
	v_and_b32_e32 v14, 0x80000000, v14
	v_lshl_add_u32 v13, v13, 23, v15
	v_or3_b32 v12, v14, v13, v12
.LBB6_516:
	s_or_b64 exec, exec, s[6:7]
	s_movk_i32 s4, 0x7f
	v_cmp_gt_i16_sdwa s[6:7], v2, s4 src0_sel:BYTE_0 src1_sel:DWORD
	s_mov_b64 s[4:5], 0
                                        ; implicit-def: $sgpr10
	s_and_saveexec_b64 s[8:9], s[6:7]
	s_xor_b64 s[6:7], exec, s[8:9]
	s_cbranch_execnz .LBB6_2565
; %bb.517:
	s_or_saveexec_b64 s[6:7], s[6:7]
	v_mov_b32_e32 v13, s10
	s_xor_b64 exec, exec, s[6:7]
	s_cbranch_execnz .LBB6_2568
.LBB6_518:
	s_or_b64 exec, exec, s[6:7]
	s_and_saveexec_b64 s[6:7], s[4:5]
	s_cbranch_execz .LBB6_520
.LBB6_519:
	v_and_b32_e32 v13, 7, v2
	v_ffbh_u32_e32 v15, v13
	v_min_u32_e32 v15, 32, v15
	v_lshrrev_b16_e32 v14, 3, v2
	v_subrev_u32_e32 v16, 28, v15
	v_and_b32_e32 v14, 15, v14
	v_lshlrev_b32_e32 v16, v16, v2
	v_sub_u32_e32 v15, 29, v15
	v_and_b32_e32 v16, 7, v16
	v_cmp_eq_u16_e32 vcc, 0, v14
	v_cndmask_b32_e32 v13, v13, v16, vcc
	v_cndmask_b32_e32 v14, v14, v15, vcc
	v_lshlrev_b32_e32 v15, 24, v2
	v_mov_b32_e32 v16, 0x3b800000
	v_lshlrev_b32_e32 v13, 20, v13
	v_and_b32_e32 v15, 0x80000000, v15
	v_lshl_add_u32 v14, v14, 23, v16
	v_or3_b32 v13, v15, v14, v13
.LBB6_520:
	s_or_b64 exec, exec, s[6:7]
	flat_load_dwordx4 a[0:3], v[10:11] offset:64
	s_movk_i32 s4, 0x7f
                                        ; implicit-def: $sgpr10
	s_waitcnt vmcnt(0) lgkmcnt(0)
	v_mfma_f32_16x16x4f32 a[0:3], v12, v13, a[0:3]
	v_lshrrev_b32_e32 v13, 8, v6
	v_cmp_gt_i16_sdwa s[6:7], v13, s4 src0_sel:BYTE_0 src1_sel:DWORD
	s_mov_b64 s[4:5], 0
	s_and_saveexec_b64 s[8:9], s[6:7]
	s_xor_b64 s[6:7], exec, s[8:9]
	s_cbranch_execnz .LBB6_2569
; %bb.521:
	s_or_saveexec_b64 s[6:7], s[6:7]
	v_mov_b32_e32 v12, s10
	s_xor_b64 exec, exec, s[6:7]
	s_cbranch_execnz .LBB6_2572
.LBB6_522:
	s_or_b64 exec, exec, s[6:7]
	s_and_saveexec_b64 s[6:7], s[4:5]
	s_cbranch_execz .LBB6_524
.LBB6_523:
	v_bfe_u32 v12, v6, 8, 3
	v_ffbh_u32_e32 v15, v12
	v_min_u32_e32 v15, 32, v15
	v_lshrrev_b16_e32 v14, 3, v13
	v_subrev_u32_e32 v16, 28, v15
	v_and_b32_e32 v14, 15, v14
	v_lshlrev_b32_e32 v13, v16, v13
	v_sub_u32_e32 v15, 29, v15
	v_and_b32_e32 v13, 7, v13
	v_cmp_eq_u16_e32 vcc, 0, v14
	v_cndmask_b32_e32 v12, v12, v13, vcc
	v_cndmask_b32_e32 v13, v14, v15, vcc
	v_lshlrev_b32_e32 v14, 16, v6
	v_mov_b32_e32 v15, 0x3b800000
	v_lshlrev_b32_e32 v12, 20, v12
	v_and_b32_e32 v14, 0x80000000, v14
	v_lshl_add_u32 v13, v13, 23, v15
	v_or3_b32 v12, v14, v13, v12
.LBB6_524:
	s_or_b64 exec, exec, s[6:7]
	v_lshrrev_b32_e32 v13, 8, v2
	s_movk_i32 s4, 0x7f
	v_cmp_gt_i16_sdwa s[6:7], v13, s4 src0_sel:BYTE_0 src1_sel:DWORD
	s_mov_b64 s[4:5], 0
                                        ; implicit-def: $sgpr10
	s_and_saveexec_b64 s[8:9], s[6:7]
	s_xor_b64 s[6:7], exec, s[8:9]
	s_cbranch_execnz .LBB6_2573
; %bb.525:
	s_or_saveexec_b64 s[6:7], s[6:7]
	v_mov_b32_e32 v14, s10
	s_xor_b64 exec, exec, s[6:7]
	s_cbranch_execnz .LBB6_2576
.LBB6_526:
	s_or_b64 exec, exec, s[6:7]
	s_and_saveexec_b64 s[6:7], s[4:5]
	s_cbranch_execz .LBB6_528
.LBB6_527:
	v_bfe_u32 v14, v2, 8, 3
	v_ffbh_u32_e32 v16, v14
	v_min_u32_e32 v16, 32, v16
	v_lshrrev_b16_e32 v15, 3, v13
	v_subrev_u32_e32 v17, 28, v16
	v_and_b32_e32 v15, 15, v15
	v_lshlrev_b32_e32 v13, v17, v13
	v_sub_u32_e32 v16, 29, v16
	v_and_b32_e32 v13, 7, v13
	v_cmp_eq_u16_e32 vcc, 0, v15
	v_cndmask_b32_e32 v13, v14, v13, vcc
	v_cndmask_b32_e32 v14, v15, v16, vcc
	v_lshlrev_b32_e32 v15, 16, v2
	v_mov_b32_e32 v16, 0x3b800000
	v_lshlrev_b32_e32 v13, 20, v13
	v_and_b32_e32 v15, 0x80000000, v15
	v_lshl_add_u32 v14, v14, 23, v16
	v_or3_b32 v14, v15, v14, v13
.LBB6_528:
	s_or_b64 exec, exec, s[6:7]
	s_nop 0
	v_mfma_f32_16x16x4f32 a[0:3], v12, v14, a[0:3]
	s_movk_i32 s4, 0xff
	v_and_b32_sdwa v13, v6, s4 dst_sel:DWORD dst_unused:UNUSED_PAD src0_sel:WORD_1 src1_sel:DWORD
	s_movk_i32 s4, 0x7f
	v_cmp_lt_i16_e32 vcc, s4, v13
	s_mov_b64 s[4:5], 0
                                        ; implicit-def: $sgpr10
	s_and_saveexec_b64 s[6:7], vcc
	s_xor_b64 s[6:7], exec, s[6:7]
	s_cbranch_execnz .LBB6_2577
; %bb.529:
	s_or_saveexec_b64 s[6:7], s[6:7]
	v_mov_b32_e32 v12, s10
	s_xor_b64 exec, exec, s[6:7]
	s_cbranch_execnz .LBB6_2580
.LBB6_530:
	s_or_b64 exec, exec, s[6:7]
	s_and_saveexec_b64 s[6:7], s[4:5]
	s_cbranch_execz .LBB6_532
.LBB6_531:
	v_bfe_u32 v12, v6, 16, 3
	v_ffbh_u32_e32 v15, v12
	v_min_u32_e32 v15, 32, v15
	v_lshrrev_b32_e32 v13, 19, v6
	v_subrev_u32_e32 v16, 28, v15
	v_and_b32_e32 v13, 15, v13
	v_lshlrev_b32_sdwa v16, v16, v6 dst_sel:DWORD dst_unused:UNUSED_PAD src0_sel:DWORD src1_sel:WORD_1
	v_bfe_u32 v14, v6, 19, 4
	v_sub_u32_e32 v15, 29, v15
	v_and_b32_e32 v16, 7, v16
	v_cmp_eq_u16_e32 vcc, 0, v13
	v_cndmask_b32_e32 v12, v12, v16, vcc
	v_cndmask_b32_e32 v13, v14, v15, vcc
	v_lshlrev_b32_e32 v14, 8, v6
	v_mov_b32_e32 v15, 0x3b800000
	v_lshlrev_b32_e32 v12, 20, v12
	v_and_b32_e32 v14, 0x80000000, v14
	v_lshl_add_u32 v13, v13, 23, v15
	v_or3_b32 v12, v14, v13, v12
.LBB6_532:
	s_or_b64 exec, exec, s[6:7]
	s_movk_i32 s4, 0xff
	v_and_b32_sdwa v13, v2, s4 dst_sel:DWORD dst_unused:UNUSED_PAD src0_sel:WORD_1 src1_sel:DWORD
	s_movk_i32 s4, 0x7f
	v_cmp_lt_i16_e32 vcc, s4, v13
	s_mov_b64 s[4:5], 0
                                        ; implicit-def: $sgpr10
	s_and_saveexec_b64 s[6:7], vcc
	s_xor_b64 s[6:7], exec, s[6:7]
	s_cbranch_execnz .LBB6_2581
; %bb.533:
	s_or_saveexec_b64 s[6:7], s[6:7]
	v_mov_b32_e32 v14, s10
	s_xor_b64 exec, exec, s[6:7]
	s_cbranch_execnz .LBB6_2584
.LBB6_534:
	s_or_b64 exec, exec, s[6:7]
	s_and_saveexec_b64 s[6:7], s[4:5]
	s_cbranch_execz .LBB6_536
.LBB6_535:
	v_bfe_u32 v13, v2, 16, 3
	v_ffbh_u32_e32 v16, v13
	v_min_u32_e32 v16, 32, v16
	v_lshrrev_b32_e32 v14, 19, v2
	v_subrev_u32_e32 v17, 28, v16
	v_and_b32_e32 v14, 15, v14
	v_lshlrev_b32_sdwa v17, v17, v2 dst_sel:DWORD dst_unused:UNUSED_PAD src0_sel:DWORD src1_sel:WORD_1
	v_bfe_u32 v15, v2, 19, 4
	v_sub_u32_e32 v16, 29, v16
	v_and_b32_e32 v17, 7, v17
	v_cmp_eq_u16_e32 vcc, 0, v14
	v_cndmask_b32_e32 v13, v13, v17, vcc
	v_cndmask_b32_e32 v14, v15, v16, vcc
	v_lshlrev_b32_e32 v15, 8, v2
	v_mov_b32_e32 v16, 0x3b800000
	v_lshlrev_b32_e32 v13, 20, v13
	v_and_b32_e32 v15, 0x80000000, v15
	v_lshl_add_u32 v14, v14, 23, v16
	v_or3_b32 v14, v15, v14, v13
.LBB6_536:
	s_or_b64 exec, exec, s[6:7]
	s_nop 0
	v_mfma_f32_16x16x4f32 a[0:3], v12, v14, a[0:3]
	s_movk_i32 s4, 0x7f
	v_cmp_gt_i16_sdwa s[6:7], v6, s4 src0_sel:BYTE_3 src1_sel:DWORD
	s_mov_b64 s[4:5], 0
                                        ; implicit-def: $sgpr10
	s_and_saveexec_b64 s[8:9], s[6:7]
	s_xor_b64 s[6:7], exec, s[8:9]
	s_cbranch_execnz .LBB6_2585
; %bb.537:
	s_or_saveexec_b64 s[6:7], s[6:7]
	v_mov_b32_e32 v12, s10
	s_xor_b64 exec, exec, s[6:7]
	s_cbranch_execnz .LBB6_2588
.LBB6_538:
	s_or_b64 exec, exec, s[6:7]
	s_and_saveexec_b64 s[6:7], s[4:5]
	s_cbranch_execz .LBB6_540
.LBB6_539:
	v_bfe_u32 v12, v6, 24, 3
	v_ffbh_u32_e32 v16, v12
	v_min_u32_e32 v16, 32, v16
	v_lshrrev_b32_e32 v14, 27, v6
	v_subrev_u32_e32 v17, 28, v16
	v_and_b32_e32 v13, 0x80000000, v6
	v_and_b32_e32 v14, 15, v14
	v_bfe_u32 v15, v6, 27, 4
	v_lshlrev_b32_sdwa v6, v17, v6 dst_sel:DWORD dst_unused:UNUSED_PAD src0_sel:DWORD src1_sel:BYTE_3
	v_sub_u32_e32 v16, 29, v16
	v_and_b32_e32 v6, 7, v6
	v_cmp_eq_u16_e32 vcc, 0, v14
	v_cndmask_b32_e32 v6, v12, v6, vcc
	v_cndmask_b32_e32 v12, v15, v16, vcc
	v_mov_b32_e32 v14, 0x3b800000
	v_lshlrev_b32_e32 v6, 20, v6
	v_lshl_add_u32 v12, v12, 23, v14
	v_or3_b32 v12, v13, v12, v6
.LBB6_540:
	s_or_b64 exec, exec, s[6:7]
	s_movk_i32 s4, 0x7f
	v_cmp_gt_i16_sdwa s[6:7], v2, s4 src0_sel:BYTE_3 src1_sel:DWORD
	s_mov_b64 s[4:5], 0
                                        ; implicit-def: $sgpr10
	s_and_saveexec_b64 s[8:9], s[6:7]
	s_xor_b64 s[6:7], exec, s[8:9]
	s_cbranch_execnz .LBB6_2589
; %bb.541:
	s_or_saveexec_b64 s[6:7], s[6:7]
	v_mov_b32_e32 v6, s10
	s_xor_b64 exec, exec, s[6:7]
	s_cbranch_execnz .LBB6_2592
.LBB6_542:
	s_or_b64 exec, exec, s[6:7]
	s_and_saveexec_b64 s[6:7], s[4:5]
	s_cbranch_execz .LBB6_544
.LBB6_543:
	v_bfe_u32 v6, v2, 24, 3
	v_ffbh_u32_e32 v16, v6
	v_min_u32_e32 v16, 32, v16
	v_lshrrev_b32_e32 v14, 27, v2
	v_subrev_u32_e32 v17, 28, v16
	v_and_b32_e32 v13, 0x80000000, v2
	v_and_b32_e32 v14, 15, v14
	v_bfe_u32 v15, v2, 27, 4
	v_lshlrev_b32_sdwa v2, v17, v2 dst_sel:DWORD dst_unused:UNUSED_PAD src0_sel:DWORD src1_sel:BYTE_3
	v_sub_u32_e32 v16, 29, v16
	v_and_b32_e32 v2, 7, v2
	v_cmp_eq_u16_e32 vcc, 0, v14
	v_cndmask_b32_e32 v2, v6, v2, vcc
	v_cndmask_b32_e32 v6, v15, v16, vcc
	v_mov_b32_e32 v14, 0x3b800000
	v_lshlrev_b32_e32 v2, 20, v2
	v_lshl_add_u32 v6, v6, 23, v14
	v_or3_b32 v6, v13, v6, v2
.LBB6_544:
	s_or_b64 exec, exec, s[6:7]
	s_nop 0
	v_mfma_f32_16x16x4f32 a[0:3], v12, v6, a[0:3]
	s_movk_i32 s4, 0x7f
	v_cmp_gt_i16_sdwa s[6:7], v7, s4 src0_sel:BYTE_0 src1_sel:DWORD
	s_mov_b64 s[4:5], 0
                                        ; implicit-def: $sgpr10
	s_and_saveexec_b64 s[8:9], s[6:7]
	s_xor_b64 s[6:7], exec, s[8:9]
	s_cbranch_execnz .LBB6_2593
; %bb.545:
	s_or_saveexec_b64 s[6:7], s[6:7]
	v_mov_b32_e32 v2, s10
	s_xor_b64 exec, exec, s[6:7]
	s_cbranch_execnz .LBB6_2596
.LBB6_546:
	s_or_b64 exec, exec, s[6:7]
	s_and_saveexec_b64 s[6:7], s[4:5]
	s_cbranch_execz .LBB6_548
.LBB6_547:
	v_and_b32_e32 v2, 7, v7
	v_ffbh_u32_e32 v12, v2
	v_min_u32_e32 v12, 32, v12
	v_lshrrev_b16_e32 v6, 3, v7
	v_subrev_u32_e32 v13, 28, v12
	v_and_b32_e32 v6, 15, v6
	v_lshlrev_b32_e32 v13, v13, v7
	v_sub_u32_e32 v12, 29, v12
	v_and_b32_e32 v13, 7, v13
	v_cmp_eq_u16_e32 vcc, 0, v6
	v_cndmask_b32_e32 v2, v2, v13, vcc
	v_cndmask_b32_e32 v6, v6, v12, vcc
	v_lshlrev_b32_e32 v12, 24, v7
	v_mov_b32_e32 v13, 0x3b800000
	v_lshlrev_b32_e32 v2, 20, v2
	v_and_b32_e32 v12, 0x80000000, v12
	v_lshl_add_u32 v6, v6, 23, v13
	v_or3_b32 v2, v12, v6, v2
.LBB6_548:
	s_or_b64 exec, exec, s[6:7]
	s_movk_i32 s4, 0x7f
	v_cmp_gt_i16_sdwa s[6:7], v3, s4 src0_sel:BYTE_0 src1_sel:DWORD
	s_mov_b64 s[4:5], 0
                                        ; implicit-def: $sgpr10
	s_and_saveexec_b64 s[8:9], s[6:7]
	s_xor_b64 s[6:7], exec, s[8:9]
	s_cbranch_execnz .LBB6_2597
; %bb.549:
	s_or_saveexec_b64 s[6:7], s[6:7]
	v_mov_b32_e32 v6, s10
	s_xor_b64 exec, exec, s[6:7]
	s_cbranch_execnz .LBB6_2600
.LBB6_550:
	s_or_b64 exec, exec, s[6:7]
	s_and_saveexec_b64 s[6:7], s[4:5]
	s_cbranch_execz .LBB6_552
.LBB6_551:
	v_and_b32_e32 v6, 7, v3
	v_ffbh_u32_e32 v13, v6
	v_min_u32_e32 v13, 32, v13
	v_lshrrev_b16_e32 v12, 3, v3
	v_subrev_u32_e32 v14, 28, v13
	v_and_b32_e32 v12, 15, v12
	v_lshlrev_b32_e32 v14, v14, v3
	v_sub_u32_e32 v13, 29, v13
	v_and_b32_e32 v14, 7, v14
	v_cmp_eq_u16_e32 vcc, 0, v12
	v_cndmask_b32_e32 v6, v6, v14, vcc
	v_cndmask_b32_e32 v12, v12, v13, vcc
	v_lshlrev_b32_e32 v13, 24, v3
	v_mov_b32_e32 v14, 0x3b800000
	v_lshlrev_b32_e32 v6, 20, v6
	v_and_b32_e32 v13, 0x80000000, v13
	v_lshl_add_u32 v12, v12, 23, v14
	v_or3_b32 v6, v13, v12, v6
.LBB6_552:
	s_or_b64 exec, exec, s[6:7]
	s_nop 0
	v_mfma_f32_16x16x4f32 a[0:3], v2, v6, a[0:3]
	v_lshrrev_b32_e32 v6, 8, v7
	s_movk_i32 s4, 0x7f
	v_cmp_gt_i16_sdwa s[6:7], v6, s4 src0_sel:BYTE_0 src1_sel:DWORD
	s_mov_b64 s[4:5], 0
                                        ; implicit-def: $sgpr10
	s_and_saveexec_b64 s[8:9], s[6:7]
	s_xor_b64 s[6:7], exec, s[8:9]
	s_cbranch_execnz .LBB6_2601
; %bb.553:
	s_or_saveexec_b64 s[6:7], s[6:7]
	v_mov_b32_e32 v2, s10
	s_xor_b64 exec, exec, s[6:7]
	s_cbranch_execnz .LBB6_2604
.LBB6_554:
	s_or_b64 exec, exec, s[6:7]
	s_and_saveexec_b64 s[6:7], s[4:5]
	s_cbranch_execz .LBB6_556
.LBB6_555:
	v_bfe_u32 v2, v7, 8, 3
	v_ffbh_u32_e32 v13, v2
	v_min_u32_e32 v13, 32, v13
	v_lshrrev_b16_e32 v12, 3, v6
	v_subrev_u32_e32 v14, 28, v13
	v_and_b32_e32 v12, 15, v12
	v_lshlrev_b32_e32 v6, v14, v6
	v_sub_u32_e32 v13, 29, v13
	v_and_b32_e32 v6, 7, v6
	v_cmp_eq_u16_e32 vcc, 0, v12
	v_cndmask_b32_e32 v2, v2, v6, vcc
	v_cndmask_b32_e32 v6, v12, v13, vcc
	v_lshlrev_b32_e32 v12, 16, v7
	v_mov_b32_e32 v13, 0x3b800000
	v_lshlrev_b32_e32 v2, 20, v2
	v_and_b32_e32 v12, 0x80000000, v12
	v_lshl_add_u32 v6, v6, 23, v13
	v_or3_b32 v2, v12, v6, v2
.LBB6_556:
	s_or_b64 exec, exec, s[6:7]
	v_lshrrev_b32_e32 v6, 8, v3
	s_movk_i32 s4, 0x7f
	v_cmp_gt_i16_sdwa s[6:7], v6, s4 src0_sel:BYTE_0 src1_sel:DWORD
	s_mov_b64 s[4:5], 0
                                        ; implicit-def: $sgpr10
	s_and_saveexec_b64 s[8:9], s[6:7]
	s_xor_b64 s[6:7], exec, s[8:9]
	s_cbranch_execnz .LBB6_2605
; %bb.557:
	s_or_saveexec_b64 s[6:7], s[6:7]
	v_mov_b32_e32 v12, s10
	s_xor_b64 exec, exec, s[6:7]
	s_cbranch_execnz .LBB6_2608
.LBB6_558:
	s_or_b64 exec, exec, s[6:7]
	s_and_saveexec_b64 s[6:7], s[4:5]
	s_cbranch_execz .LBB6_560
.LBB6_559:
	v_bfe_u32 v12, v3, 8, 3
	v_ffbh_u32_e32 v14, v12
	v_min_u32_e32 v14, 32, v14
	v_lshrrev_b16_e32 v13, 3, v6
	v_subrev_u32_e32 v15, 28, v14
	v_and_b32_e32 v13, 15, v13
	v_lshlrev_b32_e32 v6, v15, v6
	v_sub_u32_e32 v14, 29, v14
	v_and_b32_e32 v6, 7, v6
	v_cmp_eq_u16_e32 vcc, 0, v13
	v_cndmask_b32_e32 v6, v12, v6, vcc
	v_cndmask_b32_e32 v12, v13, v14, vcc
	v_lshlrev_b32_e32 v13, 16, v3
	v_mov_b32_e32 v14, 0x3b800000
	v_lshlrev_b32_e32 v6, 20, v6
	v_and_b32_e32 v13, 0x80000000, v13
	v_lshl_add_u32 v12, v12, 23, v14
	v_or3_b32 v12, v13, v12, v6
.LBB6_560:
	s_or_b64 exec, exec, s[6:7]
	s_nop 0
	v_mfma_f32_16x16x4f32 a[0:3], v2, v12, a[0:3]
	s_movk_i32 s4, 0xff
	v_and_b32_sdwa v6, v7, s4 dst_sel:DWORD dst_unused:UNUSED_PAD src0_sel:WORD_1 src1_sel:DWORD
	s_movk_i32 s4, 0x7f
	v_cmp_lt_i16_e32 vcc, s4, v6
	s_mov_b64 s[4:5], 0
                                        ; implicit-def: $sgpr10
	s_and_saveexec_b64 s[6:7], vcc
	s_xor_b64 s[6:7], exec, s[6:7]
	s_cbranch_execnz .LBB6_2609
; %bb.561:
	s_or_saveexec_b64 s[6:7], s[6:7]
	v_mov_b32_e32 v2, s10
	s_xor_b64 exec, exec, s[6:7]
	s_cbranch_execnz .LBB6_2612
.LBB6_562:
	s_or_b64 exec, exec, s[6:7]
	s_and_saveexec_b64 s[6:7], s[4:5]
	s_cbranch_execz .LBB6_564
.LBB6_563:
	v_bfe_u32 v2, v7, 16, 3
	v_ffbh_u32_e32 v13, v2
	v_min_u32_e32 v13, 32, v13
	v_lshrrev_b32_e32 v6, 19, v7
	v_subrev_u32_e32 v14, 28, v13
	v_and_b32_e32 v6, 15, v6
	v_lshlrev_b32_sdwa v14, v14, v7 dst_sel:DWORD dst_unused:UNUSED_PAD src0_sel:DWORD src1_sel:WORD_1
	v_bfe_u32 v12, v7, 19, 4
	v_sub_u32_e32 v13, 29, v13
	v_and_b32_e32 v14, 7, v14
	v_cmp_eq_u16_e32 vcc, 0, v6
	v_cndmask_b32_e32 v2, v2, v14, vcc
	v_cndmask_b32_e32 v6, v12, v13, vcc
	v_lshlrev_b32_e32 v12, 8, v7
	v_mov_b32_e32 v13, 0x3b800000
	v_lshlrev_b32_e32 v2, 20, v2
	v_and_b32_e32 v12, 0x80000000, v12
	v_lshl_add_u32 v6, v6, 23, v13
	v_or3_b32 v2, v12, v6, v2
.LBB6_564:
	s_or_b64 exec, exec, s[6:7]
	s_movk_i32 s4, 0xff
	v_and_b32_sdwa v6, v3, s4 dst_sel:DWORD dst_unused:UNUSED_PAD src0_sel:WORD_1 src1_sel:DWORD
	s_movk_i32 s4, 0x7f
	v_cmp_lt_i16_e32 vcc, s4, v6
	s_mov_b64 s[4:5], 0
                                        ; implicit-def: $sgpr10
	s_and_saveexec_b64 s[6:7], vcc
	s_xor_b64 s[6:7], exec, s[6:7]
	s_cbranch_execnz .LBB6_2613
; %bb.565:
	s_or_saveexec_b64 s[6:7], s[6:7]
	v_mov_b32_e32 v12, s10
	s_xor_b64 exec, exec, s[6:7]
	s_cbranch_execnz .LBB6_2616
.LBB6_566:
	s_or_b64 exec, exec, s[6:7]
	s_and_saveexec_b64 s[6:7], s[4:5]
	s_cbranch_execz .LBB6_568
.LBB6_567:
	v_bfe_u32 v6, v3, 16, 3
	v_ffbh_u32_e32 v14, v6
	v_min_u32_e32 v14, 32, v14
	v_lshrrev_b32_e32 v12, 19, v3
	v_subrev_u32_e32 v15, 28, v14
	v_and_b32_e32 v12, 15, v12
	v_lshlrev_b32_sdwa v15, v15, v3 dst_sel:DWORD dst_unused:UNUSED_PAD src0_sel:DWORD src1_sel:WORD_1
	v_bfe_u32 v13, v3, 19, 4
	v_sub_u32_e32 v14, 29, v14
	v_and_b32_e32 v15, 7, v15
	v_cmp_eq_u16_e32 vcc, 0, v12
	v_cndmask_b32_e32 v6, v6, v15, vcc
	v_cndmask_b32_e32 v12, v13, v14, vcc
	v_lshlrev_b32_e32 v13, 8, v3
	v_mov_b32_e32 v14, 0x3b800000
	v_lshlrev_b32_e32 v6, 20, v6
	v_and_b32_e32 v13, 0x80000000, v13
	v_lshl_add_u32 v12, v12, 23, v14
	v_or3_b32 v12, v13, v12, v6
.LBB6_568:
	s_or_b64 exec, exec, s[6:7]
	s_nop 0
	v_mfma_f32_16x16x4f32 a[0:3], v2, v12, a[0:3]
	s_movk_i32 s4, 0x7f
	v_cmp_gt_i16_sdwa s[6:7], v7, s4 src0_sel:BYTE_3 src1_sel:DWORD
	s_mov_b64 s[4:5], 0
                                        ; implicit-def: $sgpr10
	s_and_saveexec_b64 s[8:9], s[6:7]
	s_xor_b64 s[6:7], exec, s[8:9]
	s_cbranch_execnz .LBB6_2617
; %bb.569:
	s_or_saveexec_b64 s[6:7], s[6:7]
	v_mov_b32_e32 v2, s10
	s_xor_b64 exec, exec, s[6:7]
	s_cbranch_execnz .LBB6_2620
.LBB6_570:
	s_or_b64 exec, exec, s[6:7]
	s_and_saveexec_b64 s[6:7], s[4:5]
	s_cbranch_execz .LBB6_572
.LBB6_571:
	v_bfe_u32 v2, v7, 24, 3
	v_ffbh_u32_e32 v14, v2
	v_min_u32_e32 v14, 32, v14
	v_lshrrev_b32_e32 v12, 27, v7
	v_subrev_u32_e32 v15, 28, v14
	v_and_b32_e32 v6, 0x80000000, v7
	v_and_b32_e32 v12, 15, v12
	v_bfe_u32 v13, v7, 27, 4
	v_lshlrev_b32_sdwa v7, v15, v7 dst_sel:DWORD dst_unused:UNUSED_PAD src0_sel:DWORD src1_sel:BYTE_3
	v_sub_u32_e32 v14, 29, v14
	v_and_b32_e32 v7, 7, v7
	v_cmp_eq_u16_e32 vcc, 0, v12
	v_cndmask_b32_e32 v2, v2, v7, vcc
	v_cndmask_b32_e32 v7, v13, v14, vcc
	v_mov_b32_e32 v12, 0x3b800000
	v_lshlrev_b32_e32 v2, 20, v2
	v_lshl_add_u32 v7, v7, 23, v12
	v_or3_b32 v2, v6, v7, v2
.LBB6_572:
	s_or_b64 exec, exec, s[6:7]
	s_movk_i32 s4, 0x7f
	v_cmp_gt_i16_sdwa s[6:7], v3, s4 src0_sel:BYTE_3 src1_sel:DWORD
	s_mov_b64 s[4:5], 0
                                        ; implicit-def: $sgpr10
	s_and_saveexec_b64 s[8:9], s[6:7]
	s_xor_b64 s[6:7], exec, s[8:9]
	s_cbranch_execnz .LBB6_2621
; %bb.573:
	s_or_saveexec_b64 s[6:7], s[6:7]
	v_mov_b32_e32 v6, s10
	s_xor_b64 exec, exec, s[6:7]
	s_cbranch_execnz .LBB6_2624
.LBB6_574:
	s_or_b64 exec, exec, s[6:7]
	s_and_saveexec_b64 s[6:7], s[4:5]
	s_cbranch_execz .LBB6_576
.LBB6_575:
	v_bfe_u32 v6, v3, 24, 3
	v_ffbh_u32_e32 v14, v6
	v_min_u32_e32 v14, 32, v14
	v_lshrrev_b32_e32 v12, 27, v3
	v_subrev_u32_e32 v15, 28, v14
	v_and_b32_e32 v7, 0x80000000, v3
	v_and_b32_e32 v12, 15, v12
	v_bfe_u32 v13, v3, 27, 4
	v_lshlrev_b32_sdwa v3, v15, v3 dst_sel:DWORD dst_unused:UNUSED_PAD src0_sel:DWORD src1_sel:BYTE_3
	v_sub_u32_e32 v14, 29, v14
	v_and_b32_e32 v3, 7, v3
	v_cmp_eq_u16_e32 vcc, 0, v12
	v_cndmask_b32_e32 v3, v6, v3, vcc
	v_cndmask_b32_e32 v6, v13, v14, vcc
	v_mov_b32_e32 v12, 0x3b800000
	v_lshlrev_b32_e32 v3, 20, v3
	v_lshl_add_u32 v6, v6, 23, v12
	v_or3_b32 v6, v7, v6, v3
.LBB6_576:
	s_or_b64 exec, exec, s[6:7]
	s_nop 0
	v_mfma_f32_16x16x4f32 a[0:3], v2, v6, a[0:3]
	s_movk_i32 s4, 0x7f
	v_cmp_gt_i16_sdwa s[6:7], v8, s4 src0_sel:BYTE_0 src1_sel:DWORD
	s_mov_b64 s[4:5], 0
                                        ; implicit-def: $sgpr10
	s_and_saveexec_b64 s[8:9], s[6:7]
	s_xor_b64 s[6:7], exec, s[8:9]
	s_cbranch_execnz .LBB6_2625
; %bb.577:
	s_or_saveexec_b64 s[6:7], s[6:7]
	v_mov_b32_e32 v2, s10
	s_xor_b64 exec, exec, s[6:7]
	s_cbranch_execnz .LBB6_2628
.LBB6_578:
	s_or_b64 exec, exec, s[6:7]
	s_and_saveexec_b64 s[6:7], s[4:5]
	s_cbranch_execz .LBB6_580
.LBB6_579:
	v_and_b32_e32 v2, 7, v8
	v_ffbh_u32_e32 v6, v2
	v_min_u32_e32 v6, 32, v6
	v_lshrrev_b16_e32 v3, 3, v8
	v_subrev_u32_e32 v7, 28, v6
	v_and_b32_e32 v3, 15, v3
	v_lshlrev_b32_e32 v7, v7, v8
	v_sub_u32_e32 v6, 29, v6
	v_and_b32_e32 v7, 7, v7
	v_cmp_eq_u16_e32 vcc, 0, v3
	v_cndmask_b32_e32 v2, v2, v7, vcc
	v_cndmask_b32_e32 v3, v3, v6, vcc
	v_lshlrev_b32_e32 v6, 24, v8
	v_mov_b32_e32 v7, 0x3b800000
	v_lshlrev_b32_e32 v2, 20, v2
	v_and_b32_e32 v6, 0x80000000, v6
	v_lshl_add_u32 v3, v3, 23, v7
	v_or3_b32 v2, v6, v3, v2
.LBB6_580:
	s_or_b64 exec, exec, s[6:7]
	s_movk_i32 s4, 0x7f
	v_cmp_gt_i16_sdwa s[6:7], v4, s4 src0_sel:BYTE_0 src1_sel:DWORD
	s_mov_b64 s[4:5], 0
                                        ; implicit-def: $sgpr10
	s_and_saveexec_b64 s[8:9], s[6:7]
	s_xor_b64 s[6:7], exec, s[8:9]
	s_cbranch_execnz .LBB6_2629
; %bb.581:
	s_or_saveexec_b64 s[6:7], s[6:7]
	v_mov_b32_e32 v3, s10
	s_xor_b64 exec, exec, s[6:7]
	s_cbranch_execnz .LBB6_2632
.LBB6_582:
	s_or_b64 exec, exec, s[6:7]
	s_and_saveexec_b64 s[6:7], s[4:5]
	s_cbranch_execz .LBB6_584
.LBB6_583:
	v_and_b32_e32 v3, 7, v4
	v_ffbh_u32_e32 v7, v3
	v_min_u32_e32 v7, 32, v7
	v_lshrrev_b16_e32 v6, 3, v4
	v_subrev_u32_e32 v12, 28, v7
	v_and_b32_e32 v6, 15, v6
	v_lshlrev_b32_e32 v12, v12, v4
	v_sub_u32_e32 v7, 29, v7
	v_and_b32_e32 v12, 7, v12
	v_cmp_eq_u16_e32 vcc, 0, v6
	v_cndmask_b32_e32 v3, v3, v12, vcc
	v_cndmask_b32_e32 v6, v6, v7, vcc
	v_lshlrev_b32_e32 v7, 24, v4
	v_mov_b32_e32 v12, 0x3b800000
	v_lshlrev_b32_e32 v3, 20, v3
	v_and_b32_e32 v7, 0x80000000, v7
	v_lshl_add_u32 v6, v6, 23, v12
	v_or3_b32 v3, v7, v6, v3
.LBB6_584:
	s_or_b64 exec, exec, s[6:7]
	s_nop 0
	v_mfma_f32_16x16x4f32 a[0:3], v2, v3, a[0:3]
	v_lshrrev_b32_e32 v3, 8, v8
	s_movk_i32 s4, 0x7f
	v_cmp_gt_i16_sdwa s[6:7], v3, s4 src0_sel:BYTE_0 src1_sel:DWORD
	s_mov_b64 s[4:5], 0
                                        ; implicit-def: $sgpr10
	s_and_saveexec_b64 s[8:9], s[6:7]
	s_xor_b64 s[6:7], exec, s[8:9]
	s_cbranch_execnz .LBB6_2633
; %bb.585:
	s_or_saveexec_b64 s[6:7], s[6:7]
	v_mov_b32_e32 v2, s10
	s_xor_b64 exec, exec, s[6:7]
	s_cbranch_execnz .LBB6_2636
.LBB6_586:
	s_or_b64 exec, exec, s[6:7]
	s_and_saveexec_b64 s[6:7], s[4:5]
	s_cbranch_execz .LBB6_588
.LBB6_587:
	v_bfe_u32 v2, v8, 8, 3
	v_ffbh_u32_e32 v7, v2
	v_min_u32_e32 v7, 32, v7
	v_lshrrev_b16_e32 v6, 3, v3
	v_subrev_u32_e32 v12, 28, v7
	v_and_b32_e32 v6, 15, v6
	v_lshlrev_b32_e32 v3, v12, v3
	v_sub_u32_e32 v7, 29, v7
	v_and_b32_e32 v3, 7, v3
	v_cmp_eq_u16_e32 vcc, 0, v6
	v_cndmask_b32_e32 v2, v2, v3, vcc
	v_cndmask_b32_e32 v3, v6, v7, vcc
	v_lshlrev_b32_e32 v6, 16, v8
	v_mov_b32_e32 v7, 0x3b800000
	v_lshlrev_b32_e32 v2, 20, v2
	v_and_b32_e32 v6, 0x80000000, v6
	v_lshl_add_u32 v3, v3, 23, v7
	v_or3_b32 v2, v6, v3, v2
.LBB6_588:
	s_or_b64 exec, exec, s[6:7]
	v_lshrrev_b32_e32 v3, 8, v4
	s_movk_i32 s4, 0x7f
	v_cmp_gt_i16_sdwa s[6:7], v3, s4 src0_sel:BYTE_0 src1_sel:DWORD
	s_mov_b64 s[4:5], 0
                                        ; implicit-def: $sgpr10
	s_and_saveexec_b64 s[8:9], s[6:7]
	s_xor_b64 s[6:7], exec, s[8:9]
	s_cbranch_execnz .LBB6_2637
; %bb.589:
	s_or_saveexec_b64 s[6:7], s[6:7]
	v_mov_b32_e32 v6, s10
	s_xor_b64 exec, exec, s[6:7]
	s_cbranch_execnz .LBB6_2640
.LBB6_590:
	s_or_b64 exec, exec, s[6:7]
	s_and_saveexec_b64 s[6:7], s[4:5]
	s_cbranch_execz .LBB6_592
.LBB6_591:
	v_bfe_u32 v6, v4, 8, 3
	v_ffbh_u32_e32 v12, v6
	v_min_u32_e32 v12, 32, v12
	v_lshrrev_b16_e32 v7, 3, v3
	v_subrev_u32_e32 v13, 28, v12
	v_and_b32_e32 v7, 15, v7
	v_lshlrev_b32_e32 v3, v13, v3
	v_sub_u32_e32 v12, 29, v12
	v_and_b32_e32 v3, 7, v3
	v_cmp_eq_u16_e32 vcc, 0, v7
	v_cndmask_b32_e32 v3, v6, v3, vcc
	v_cndmask_b32_e32 v6, v7, v12, vcc
	v_lshlrev_b32_e32 v7, 16, v4
	v_mov_b32_e32 v12, 0x3b800000
	v_lshlrev_b32_e32 v3, 20, v3
	v_and_b32_e32 v7, 0x80000000, v7
	v_lshl_add_u32 v6, v6, 23, v12
	v_or3_b32 v6, v7, v6, v3
.LBB6_592:
	s_or_b64 exec, exec, s[6:7]
	s_nop 0
	v_mfma_f32_16x16x4f32 a[0:3], v2, v6, a[0:3]
	s_movk_i32 s4, 0xff
	v_and_b32_sdwa v3, v8, s4 dst_sel:DWORD dst_unused:UNUSED_PAD src0_sel:WORD_1 src1_sel:DWORD
	s_movk_i32 s4, 0x7f
	v_cmp_lt_i16_e32 vcc, s4, v3
	s_mov_b64 s[4:5], 0
                                        ; implicit-def: $sgpr10
	s_and_saveexec_b64 s[6:7], vcc
	s_xor_b64 s[6:7], exec, s[6:7]
	s_cbranch_execnz .LBB6_2641
; %bb.593:
	s_or_saveexec_b64 s[6:7], s[6:7]
	v_mov_b32_e32 v2, s10
	s_xor_b64 exec, exec, s[6:7]
	s_cbranch_execnz .LBB6_2644
.LBB6_594:
	s_or_b64 exec, exec, s[6:7]
	s_and_saveexec_b64 s[6:7], s[4:5]
	s_cbranch_execz .LBB6_596
.LBB6_595:
	v_bfe_u32 v2, v8, 16, 3
	v_ffbh_u32_e32 v7, v2
	v_min_u32_e32 v7, 32, v7
	v_lshrrev_b32_e32 v3, 19, v8
	v_subrev_u32_e32 v12, 28, v7
	v_and_b32_e32 v3, 15, v3
	v_lshlrev_b32_sdwa v12, v12, v8 dst_sel:DWORD dst_unused:UNUSED_PAD src0_sel:DWORD src1_sel:WORD_1
	v_bfe_u32 v6, v8, 19, 4
	v_sub_u32_e32 v7, 29, v7
	v_and_b32_e32 v12, 7, v12
	v_cmp_eq_u16_e32 vcc, 0, v3
	v_cndmask_b32_e32 v2, v2, v12, vcc
	v_cndmask_b32_e32 v3, v6, v7, vcc
	v_lshlrev_b32_e32 v6, 8, v8
	v_mov_b32_e32 v7, 0x3b800000
	v_lshlrev_b32_e32 v2, 20, v2
	v_and_b32_e32 v6, 0x80000000, v6
	v_lshl_add_u32 v3, v3, 23, v7
	v_or3_b32 v2, v6, v3, v2
.LBB6_596:
	s_or_b64 exec, exec, s[6:7]
	s_movk_i32 s4, 0xff
	v_and_b32_sdwa v3, v4, s4 dst_sel:DWORD dst_unused:UNUSED_PAD src0_sel:WORD_1 src1_sel:DWORD
	s_movk_i32 s4, 0x7f
	v_cmp_lt_i16_e32 vcc, s4, v3
	s_mov_b64 s[4:5], 0
                                        ; implicit-def: $sgpr10
	s_and_saveexec_b64 s[6:7], vcc
	s_xor_b64 s[6:7], exec, s[6:7]
	s_cbranch_execnz .LBB6_2645
; %bb.597:
	s_or_saveexec_b64 s[6:7], s[6:7]
	v_mov_b32_e32 v6, s10
	s_xor_b64 exec, exec, s[6:7]
	s_cbranch_execnz .LBB6_2648
.LBB6_598:
	s_or_b64 exec, exec, s[6:7]
	s_and_saveexec_b64 s[6:7], s[4:5]
	s_cbranch_execz .LBB6_600
.LBB6_599:
	v_bfe_u32 v3, v4, 16, 3
	v_ffbh_u32_e32 v12, v3
	v_min_u32_e32 v12, 32, v12
	v_lshrrev_b32_e32 v6, 19, v4
	v_subrev_u32_e32 v13, 28, v12
	v_and_b32_e32 v6, 15, v6
	v_lshlrev_b32_sdwa v13, v13, v4 dst_sel:DWORD dst_unused:UNUSED_PAD src0_sel:DWORD src1_sel:WORD_1
	v_bfe_u32 v7, v4, 19, 4
	v_sub_u32_e32 v12, 29, v12
	v_and_b32_e32 v13, 7, v13
	v_cmp_eq_u16_e32 vcc, 0, v6
	v_cndmask_b32_e32 v3, v3, v13, vcc
	v_cndmask_b32_e32 v6, v7, v12, vcc
	v_lshlrev_b32_e32 v7, 8, v4
	v_mov_b32_e32 v12, 0x3b800000
	v_lshlrev_b32_e32 v3, 20, v3
	v_and_b32_e32 v7, 0x80000000, v7
	v_lshl_add_u32 v6, v6, 23, v12
	v_or3_b32 v6, v7, v6, v3
.LBB6_600:
	s_or_b64 exec, exec, s[6:7]
	s_nop 0
	v_mfma_f32_16x16x4f32 a[0:3], v2, v6, a[0:3]
	s_movk_i32 s4, 0x7f
	v_cmp_gt_i16_sdwa s[6:7], v8, s4 src0_sel:BYTE_3 src1_sel:DWORD
	s_mov_b64 s[4:5], 0
                                        ; implicit-def: $sgpr10
	s_and_saveexec_b64 s[8:9], s[6:7]
	s_xor_b64 s[6:7], exec, s[8:9]
	s_cbranch_execnz .LBB6_2649
; %bb.601:
	s_or_saveexec_b64 s[6:7], s[6:7]
	v_mov_b32_e32 v2, s10
	s_xor_b64 exec, exec, s[6:7]
	s_cbranch_execnz .LBB6_2652
.LBB6_602:
	s_or_b64 exec, exec, s[6:7]
	s_and_saveexec_b64 s[6:7], s[4:5]
	s_cbranch_execz .LBB6_604
.LBB6_603:
	v_bfe_u32 v2, v8, 24, 3
	v_ffbh_u32_e32 v12, v2
	v_min_u32_e32 v12, 32, v12
	v_lshrrev_b32_e32 v6, 27, v8
	v_subrev_u32_e32 v13, 28, v12
	v_and_b32_e32 v3, 0x80000000, v8
	v_and_b32_e32 v6, 15, v6
	v_bfe_u32 v7, v8, 27, 4
	v_lshlrev_b32_sdwa v8, v13, v8 dst_sel:DWORD dst_unused:UNUSED_PAD src0_sel:DWORD src1_sel:BYTE_3
	v_sub_u32_e32 v12, 29, v12
	v_and_b32_e32 v8, 7, v8
	v_cmp_eq_u16_e32 vcc, 0, v6
	v_cndmask_b32_e32 v2, v2, v8, vcc
	v_cndmask_b32_e32 v6, v7, v12, vcc
	v_mov_b32_e32 v7, 0x3b800000
	v_lshlrev_b32_e32 v2, 20, v2
	v_lshl_add_u32 v6, v6, 23, v7
	v_or3_b32 v2, v3, v6, v2
.LBB6_604:
	s_or_b64 exec, exec, s[6:7]
	s_movk_i32 s4, 0x7f
	v_cmp_gt_i16_sdwa s[6:7], v4, s4 src0_sel:BYTE_3 src1_sel:DWORD
	s_mov_b64 s[4:5], 0
                                        ; implicit-def: $sgpr10
	s_and_saveexec_b64 s[8:9], s[6:7]
	s_xor_b64 s[6:7], exec, s[8:9]
	s_cbranch_execnz .LBB6_2653
; %bb.605:
	s_or_saveexec_b64 s[6:7], s[6:7]
	v_mov_b32_e32 v3, s10
	s_xor_b64 exec, exec, s[6:7]
	s_cbranch_execnz .LBB6_2656
.LBB6_606:
	s_or_b64 exec, exec, s[6:7]
	s_and_saveexec_b64 s[6:7], s[4:5]
	s_cbranch_execz .LBB6_608
.LBB6_607:
	v_bfe_u32 v3, v4, 24, 3
	v_ffbh_u32_e32 v12, v3
	v_min_u32_e32 v12, 32, v12
	v_lshrrev_b32_e32 v7, 27, v4
	v_subrev_u32_e32 v13, 28, v12
	v_and_b32_e32 v6, 0x80000000, v4
	v_and_b32_e32 v7, 15, v7
	v_bfe_u32 v8, v4, 27, 4
	v_lshlrev_b32_sdwa v4, v13, v4 dst_sel:DWORD dst_unused:UNUSED_PAD src0_sel:DWORD src1_sel:BYTE_3
	v_sub_u32_e32 v12, 29, v12
	v_and_b32_e32 v4, 7, v4
	v_cmp_eq_u16_e32 vcc, 0, v7
	v_cndmask_b32_e32 v3, v3, v4, vcc
	v_cndmask_b32_e32 v4, v8, v12, vcc
	v_mov_b32_e32 v7, 0x3b800000
	v_lshlrev_b32_e32 v3, 20, v3
	v_lshl_add_u32 v4, v4, 23, v7
	v_or3_b32 v3, v6, v4, v3
.LBB6_608:
	s_or_b64 exec, exec, s[6:7]
	s_nop 0
	v_mfma_f32_16x16x4f32 a[0:3], v2, v3, a[0:3]
	s_movk_i32 s4, 0x7f
	v_cmp_gt_i16_sdwa s[6:7], v9, s4 src0_sel:BYTE_0 src1_sel:DWORD
	s_mov_b64 s[4:5], 0
                                        ; implicit-def: $sgpr10
	s_and_saveexec_b64 s[8:9], s[6:7]
	s_xor_b64 s[6:7], exec, s[8:9]
	s_cbranch_execnz .LBB6_2657
; %bb.609:
	s_or_saveexec_b64 s[6:7], s[6:7]
	v_mov_b32_e32 v2, s10
	s_xor_b64 exec, exec, s[6:7]
	s_cbranch_execnz .LBB6_2660
.LBB6_610:
	s_or_b64 exec, exec, s[6:7]
	s_and_saveexec_b64 s[6:7], s[4:5]
	s_cbranch_execz .LBB6_612
.LBB6_611:
	v_mov_b32_e32 v2, 8
	v_and_b32_e32 v3, 7, v9
	v_lshrrev_b32_sdwa v2, v2, v9 dst_sel:BYTE_1 dst_unused:UNUSED_PAD src0_sel:DWORD src1_sel:DWORD
	v_ffbh_u32_e32 v4, v3
	v_or_b32_sdwa v2, v9, v2 dst_sel:DWORD dst_unused:UNUSED_PAD src0_sel:BYTE_0 src1_sel:DWORD
	v_min_u32_e32 v4, 32, v4
	v_lshrrev_b16_e32 v2, 3, v2
	v_subrev_u32_e32 v6, 28, v4
	v_and_b32_e32 v2, 15, v2
	v_lshlrev_b32_e32 v6, v6, v9
	v_sub_u32_e32 v4, 29, v4
	v_and_b32_e32 v6, 7, v6
	v_cmp_eq_u16_e32 vcc, 0, v2
	v_cndmask_b32_e32 v3, v3, v6, vcc
	v_cndmask_b32_e32 v2, v2, v4, vcc
	v_lshlrev_b32_e32 v4, 24, v9
	v_mov_b32_e32 v6, 0x3b800000
	v_lshlrev_b32_e32 v3, 20, v3
	v_and_b32_e32 v4, 0x80000000, v4
	v_lshl_add_u32 v2, v2, 23, v6
	v_or3_b32 v2, v4, v2, v3
.LBB6_612:
	s_or_b64 exec, exec, s[6:7]
	s_movk_i32 s4, 0x7f
	v_cmp_gt_i16_sdwa s[6:7], v5, s4 src0_sel:BYTE_0 src1_sel:DWORD
	s_mov_b64 s[4:5], 0
                                        ; implicit-def: $sgpr10
	s_and_saveexec_b64 s[8:9], s[6:7]
	s_xor_b64 s[6:7], exec, s[8:9]
	s_cbranch_execnz .LBB6_2661
; %bb.613:
	s_or_saveexec_b64 s[6:7], s[6:7]
	v_mov_b32_e32 v3, s10
	s_xor_b64 exec, exec, s[6:7]
	s_cbranch_execnz .LBB6_2664
.LBB6_614:
	s_or_b64 exec, exec, s[6:7]
	s_and_saveexec_b64 s[6:7], s[4:5]
	s_cbranch_execz .LBB6_616
.LBB6_615:
	v_mov_b32_e32 v3, 8
	v_and_b32_e32 v4, 7, v5
	v_lshrrev_b32_sdwa v3, v3, v5 dst_sel:BYTE_1 dst_unused:UNUSED_PAD src0_sel:DWORD src1_sel:DWORD
	v_ffbh_u32_e32 v6, v4
	v_or_b32_sdwa v3, v5, v3 dst_sel:DWORD dst_unused:UNUSED_PAD src0_sel:BYTE_0 src1_sel:DWORD
	v_min_u32_e32 v6, 32, v6
	v_lshrrev_b16_e32 v3, 3, v3
	v_subrev_u32_e32 v7, 28, v6
	v_and_b32_e32 v3, 15, v3
	v_lshlrev_b32_e32 v7, v7, v5
	v_sub_u32_e32 v6, 29, v6
	v_and_b32_e32 v7, 7, v7
	v_cmp_eq_u16_e32 vcc, 0, v3
	v_cndmask_b32_e32 v4, v4, v7, vcc
	v_cndmask_b32_e32 v3, v3, v6, vcc
	v_lshlrev_b32_e32 v6, 24, v5
	v_mov_b32_e32 v7, 0x3b800000
	v_lshlrev_b32_e32 v4, 20, v4
	v_and_b32_e32 v6, 0x80000000, v6
	v_lshl_add_u32 v3, v3, 23, v7
	v_or3_b32 v3, v6, v3, v4
.LBB6_616:
	s_or_b64 exec, exec, s[6:7]
	s_nop 0
	v_mfma_f32_16x16x4f32 a[0:3], v2, v3, a[0:3]
	v_lshrrev_b32_e32 v3, 8, v9
	s_movk_i32 s4, 0x7f
	v_cmp_gt_i16_sdwa s[6:7], v3, s4 src0_sel:BYTE_0 src1_sel:DWORD
	s_mov_b64 s[4:5], 0
                                        ; implicit-def: $sgpr10
	s_and_saveexec_b64 s[8:9], s[6:7]
	s_xor_b64 s[6:7], exec, s[8:9]
	s_cbranch_execnz .LBB6_2665
; %bb.617:
	s_or_saveexec_b64 s[6:7], s[6:7]
	v_mov_b32_e32 v2, s10
	s_xor_b64 exec, exec, s[6:7]
	s_cbranch_execnz .LBB6_2668
.LBB6_618:
	s_or_b64 exec, exec, s[6:7]
	s_and_saveexec_b64 s[6:7], s[4:5]
	s_cbranch_execz .LBB6_620
.LBB6_619:
	v_bfe_u32 v2, v9, 8, 3
	v_ffbh_u32_e32 v6, v2
	v_min_u32_e32 v6, 32, v6
	v_lshrrev_b16_e32 v4, 3, v3
	v_subrev_u32_e32 v7, 28, v6
	v_and_b32_e32 v4, 15, v4
	v_lshlrev_b32_e32 v3, v7, v3
	v_sub_u32_e32 v6, 29, v6
	v_and_b32_e32 v3, 7, v3
	v_cmp_eq_u16_e32 vcc, 0, v4
	v_cndmask_b32_e32 v2, v2, v3, vcc
	v_cndmask_b32_e32 v3, v4, v6, vcc
	v_lshlrev_b32_e32 v4, 16, v9
	v_mov_b32_e32 v6, 0x3b800000
	v_lshlrev_b32_e32 v2, 20, v2
	v_and_b32_e32 v4, 0x80000000, v4
	v_lshl_add_u32 v3, v3, 23, v6
	v_or3_b32 v2, v4, v3, v2
.LBB6_620:
	s_or_b64 exec, exec, s[6:7]
	v_lshrrev_b32_e32 v3, 8, v5
	s_movk_i32 s4, 0x7f
	v_cmp_gt_i16_sdwa s[6:7], v3, s4 src0_sel:BYTE_0 src1_sel:DWORD
	s_mov_b64 s[4:5], 0
                                        ; implicit-def: $sgpr10
	s_and_saveexec_b64 s[8:9], s[6:7]
	s_xor_b64 s[6:7], exec, s[8:9]
	s_cbranch_execnz .LBB6_2669
; %bb.621:
	s_or_saveexec_b64 s[6:7], s[6:7]
	v_mov_b32_e32 v4, s10
	s_xor_b64 exec, exec, s[6:7]
	s_cbranch_execnz .LBB6_2672
.LBB6_622:
	s_or_b64 exec, exec, s[6:7]
	s_and_saveexec_b64 s[6:7], s[4:5]
	s_cbranch_execz .LBB6_624
.LBB6_623:
	v_bfe_u32 v4, v5, 8, 3
	v_ffbh_u32_e32 v7, v4
	v_min_u32_e32 v7, 32, v7
	v_lshrrev_b16_e32 v6, 3, v3
	v_subrev_u32_e32 v8, 28, v7
	v_and_b32_e32 v6, 15, v6
	v_lshlrev_b32_e32 v3, v8, v3
	v_sub_u32_e32 v7, 29, v7
	v_and_b32_e32 v3, 7, v3
	v_cmp_eq_u16_e32 vcc, 0, v6
	v_cndmask_b32_e32 v3, v4, v3, vcc
	v_cndmask_b32_e32 v4, v6, v7, vcc
	v_lshlrev_b32_e32 v6, 16, v5
	v_mov_b32_e32 v7, 0x3b800000
	v_lshlrev_b32_e32 v3, 20, v3
	v_and_b32_e32 v6, 0x80000000, v6
	v_lshl_add_u32 v4, v4, 23, v7
	v_or3_b32 v4, v6, v4, v3
.LBB6_624:
	s_or_b64 exec, exec, s[6:7]
	s_nop 0
	v_mfma_f32_16x16x4f32 a[0:3], v2, v4, a[0:3]
	s_movk_i32 s4, 0xff
	v_and_b32_sdwa v3, v9, s4 dst_sel:DWORD dst_unused:UNUSED_PAD src0_sel:WORD_1 src1_sel:DWORD
	s_movk_i32 s4, 0x7f
	v_cmp_lt_i16_e32 vcc, s4, v3
	s_mov_b64 s[4:5], 0
                                        ; implicit-def: $sgpr10
	s_and_saveexec_b64 s[6:7], vcc
	s_xor_b64 s[6:7], exec, s[6:7]
	s_cbranch_execnz .LBB6_2673
; %bb.625:
	s_or_saveexec_b64 s[6:7], s[6:7]
	v_mov_b32_e32 v2, s10
	s_xor_b64 exec, exec, s[6:7]
	s_cbranch_execnz .LBB6_2676
.LBB6_626:
	s_or_b64 exec, exec, s[6:7]
	s_and_saveexec_b64 s[6:7], s[4:5]
	s_cbranch_execz .LBB6_628
.LBB6_627:
	v_bfe_u32 v2, v9, 16, 3
	v_ffbh_u32_e32 v6, v2
	v_min_u32_e32 v6, 32, v6
	v_lshrrev_b32_e32 v3, 19, v9
	v_subrev_u32_e32 v7, 28, v6
	v_and_b32_e32 v3, 15, v3
	v_lshlrev_b32_sdwa v7, v7, v9 dst_sel:DWORD dst_unused:UNUSED_PAD src0_sel:DWORD src1_sel:WORD_1
	v_bfe_u32 v4, v9, 19, 4
	v_sub_u32_e32 v6, 29, v6
	v_and_b32_e32 v7, 7, v7
	v_cmp_eq_u16_e32 vcc, 0, v3
	v_cndmask_b32_e32 v2, v2, v7, vcc
	v_cndmask_b32_e32 v3, v4, v6, vcc
	v_lshlrev_b32_e32 v4, 8, v9
	v_mov_b32_e32 v6, 0x3b800000
	v_lshlrev_b32_e32 v2, 20, v2
	v_and_b32_e32 v4, 0x80000000, v4
	v_lshl_add_u32 v3, v3, 23, v6
	v_or3_b32 v2, v4, v3, v2
.LBB6_628:
	s_or_b64 exec, exec, s[6:7]
	s_movk_i32 s4, 0xff
	v_and_b32_sdwa v3, v5, s4 dst_sel:DWORD dst_unused:UNUSED_PAD src0_sel:WORD_1 src1_sel:DWORD
	s_movk_i32 s4, 0x7f
	v_cmp_lt_i16_e32 vcc, s4, v3
	s_mov_b64 s[4:5], 0
                                        ; implicit-def: $sgpr10
	s_and_saveexec_b64 s[6:7], vcc
	s_xor_b64 s[6:7], exec, s[6:7]
	s_cbranch_execnz .LBB6_2677
; %bb.629:
	s_or_saveexec_b64 s[6:7], s[6:7]
	v_mov_b32_e32 v4, s10
	s_xor_b64 exec, exec, s[6:7]
	s_cbranch_execnz .LBB6_2680
.LBB6_630:
	s_or_b64 exec, exec, s[6:7]
	s_and_saveexec_b64 s[6:7], s[4:5]
	s_cbranch_execz .LBB6_632
.LBB6_631:
	v_bfe_u32 v3, v5, 16, 3
	v_ffbh_u32_e32 v7, v3
	v_min_u32_e32 v7, 32, v7
	v_lshrrev_b32_e32 v4, 19, v5
	v_subrev_u32_e32 v8, 28, v7
	v_and_b32_e32 v4, 15, v4
	v_lshlrev_b32_sdwa v8, v8, v5 dst_sel:DWORD dst_unused:UNUSED_PAD src0_sel:DWORD src1_sel:WORD_1
	v_bfe_u32 v6, v5, 19, 4
	v_sub_u32_e32 v7, 29, v7
	v_and_b32_e32 v8, 7, v8
	v_cmp_eq_u16_e32 vcc, 0, v4
	v_cndmask_b32_e32 v3, v3, v8, vcc
	v_cndmask_b32_e32 v4, v6, v7, vcc
	v_lshlrev_b32_e32 v6, 8, v5
	v_mov_b32_e32 v7, 0x3b800000
	v_lshlrev_b32_e32 v3, 20, v3
	v_and_b32_e32 v6, 0x80000000, v6
	v_lshl_add_u32 v4, v4, 23, v7
	v_or3_b32 v4, v6, v4, v3
.LBB6_632:
	s_or_b64 exec, exec, s[6:7]
	s_nop 0
	v_mfma_f32_16x16x4f32 a[0:3], v2, v4, a[0:3]
	s_movk_i32 s4, 0x7f
	v_cmp_gt_i16_sdwa s[6:7], v9, s4 src0_sel:BYTE_3 src1_sel:DWORD
	s_mov_b64 s[4:5], 0
                                        ; implicit-def: $sgpr10
	s_and_saveexec_b64 s[8:9], s[6:7]
	s_xor_b64 s[6:7], exec, s[8:9]
	s_cbranch_execnz .LBB6_2681
; %bb.633:
	s_or_saveexec_b64 s[6:7], s[6:7]
	v_mov_b32_e32 v2, s10
	s_xor_b64 exec, exec, s[6:7]
	s_cbranch_execnz .LBB6_2684
.LBB6_634:
	s_or_b64 exec, exec, s[6:7]
	s_and_saveexec_b64 s[6:7], s[4:5]
	s_cbranch_execz .LBB6_636
.LBB6_635:
	v_bfe_u32 v2, v9, 24, 3
	v_ffbh_u32_e32 v7, v2
	v_min_u32_e32 v7, 32, v7
	v_lshrrev_b32_e32 v4, 27, v9
	v_subrev_u32_e32 v8, 28, v7
	v_and_b32_e32 v4, 15, v4
	v_lshlrev_b32_sdwa v8, v8, v9 dst_sel:DWORD dst_unused:UNUSED_PAD src0_sel:DWORD src1_sel:BYTE_3
	v_bfe_u32 v6, v9, 27, 4
	v_sub_u32_e32 v7, 29, v7
	v_and_b32_e32 v8, 7, v8
	v_cmp_eq_u16_e32 vcc, 0, v4
	v_cndmask_b32_e32 v2, v2, v8, vcc
	v_cndmask_b32_e32 v4, v6, v7, vcc
	v_mov_b32_e32 v6, 0x3b800000
	v_and_b32_e32 v3, 0x80000000, v9
	v_lshlrev_b32_e32 v2, 20, v2
	v_lshl_add_u32 v4, v4, 23, v6
	v_or3_b32 v2, v3, v4, v2
.LBB6_636:
	s_or_b64 exec, exec, s[6:7]
	s_movk_i32 s4, 0x7f
	v_cmp_gt_i16_sdwa s[6:7], v5, s4 src0_sel:BYTE_3 src1_sel:DWORD
	s_mov_b64 s[4:5], 0
                                        ; implicit-def: $sgpr10
	s_and_saveexec_b64 s[8:9], s[6:7]
	s_xor_b64 s[6:7], exec, s[8:9]
	s_cbranch_execnz .LBB6_2685
; %bb.637:
	s_or_saveexec_b64 s[6:7], s[6:7]
	v_mov_b32_e32 v3, s10
	s_xor_b64 exec, exec, s[6:7]
	s_cbranch_execnz .LBB6_2688
.LBB6_638:
	s_or_b64 exec, exec, s[6:7]
	s_and_saveexec_b64 s[6:7], s[4:5]
	s_cbranch_execz .LBB6_640
.LBB6_639:
	v_bfe_u32 v3, v5, 24, 3
	v_ffbh_u32_e32 v8, v3
	v_min_u32_e32 v8, 32, v8
	v_lshrrev_b32_e32 v6, 27, v5
	v_subrev_u32_e32 v9, 28, v8
	v_and_b32_e32 v4, 0x80000000, v5
	v_and_b32_e32 v6, 15, v6
	v_bfe_u32 v7, v5, 27, 4
	v_lshlrev_b32_sdwa v5, v9, v5 dst_sel:DWORD dst_unused:UNUSED_PAD src0_sel:DWORD src1_sel:BYTE_3
	v_sub_u32_e32 v8, 29, v8
	v_and_b32_e32 v5, 7, v5
	v_cmp_eq_u16_e32 vcc, 0, v6
	v_cndmask_b32_e32 v3, v3, v5, vcc
	v_cndmask_b32_e32 v5, v7, v8, vcc
	v_mov_b32_e32 v6, 0x3b800000
	v_lshlrev_b32_e32 v3, 20, v3
	v_lshl_add_u32 v5, v5, 23, v6
	v_or3_b32 v3, v4, v5, v3
.LBB6_640:
	s_or_b64 exec, exec, s[6:7]
	s_nop 0
	v_mfma_f32_16x16x4f32 a[0:3], v2, v3, a[0:3]
	s_movk_i32 s4, 0x7f
                                        ; implicit-def: $sgpr10
	s_nop 7
	s_nop 1
	flat_store_dwordx4 v[10:11], a[0:3] offset:64
	flat_load_dwordx4 v[12:15], v[0:1] offset:8
	s_nop 0
	flat_load_dwordx2 v[10:11], v[0:1] offset:32
	s_waitcnt vmcnt(0) lgkmcnt(0)
	flat_load_dwordx4 v[6:9], v[12:13] offset:48
	flat_load_dwordx4 v[2:5], v[14:15] offset:48
	s_waitcnt vmcnt(0) lgkmcnt(0)
	v_cmp_gt_i16_sdwa s[6:7], v6, s4 src0_sel:BYTE_0 src1_sel:DWORD
	s_mov_b64 s[4:5], 0
	s_and_saveexec_b64 s[8:9], s[6:7]
	s_xor_b64 s[6:7], exec, s[8:9]
	s_cbranch_execnz .LBB6_2689
; %bb.641:
	s_or_saveexec_b64 s[6:7], s[6:7]
	v_mov_b32_e32 v12, s10
	s_xor_b64 exec, exec, s[6:7]
	s_cbranch_execnz .LBB6_2692
.LBB6_642:
	s_or_b64 exec, exec, s[6:7]
	s_and_saveexec_b64 s[6:7], s[4:5]
	s_cbranch_execz .LBB6_644
.LBB6_643:
	v_and_b32_e32 v12, 7, v6
	v_ffbh_u32_e32 v14, v12
	v_min_u32_e32 v14, 32, v14
	v_lshrrev_b16_e32 v13, 3, v6
	v_subrev_u32_e32 v15, 28, v14
	v_and_b32_e32 v13, 15, v13
	v_lshlrev_b32_e32 v15, v15, v6
	v_sub_u32_e32 v14, 29, v14
	v_and_b32_e32 v15, 7, v15
	v_cmp_eq_u16_e32 vcc, 0, v13
	v_cndmask_b32_e32 v12, v12, v15, vcc
	v_cndmask_b32_e32 v13, v13, v14, vcc
	v_lshlrev_b32_e32 v14, 24, v6
	v_mov_b32_e32 v15, 0x3b800000
	v_lshlrev_b32_e32 v12, 20, v12
	v_and_b32_e32 v14, 0x80000000, v14
	v_lshl_add_u32 v13, v13, 23, v15
	v_or3_b32 v12, v14, v13, v12
.LBB6_644:
	s_or_b64 exec, exec, s[6:7]
	s_movk_i32 s4, 0x7f
	v_cmp_gt_i16_sdwa s[6:7], v2, s4 src0_sel:BYTE_0 src1_sel:DWORD
	s_mov_b64 s[4:5], 0
                                        ; implicit-def: $sgpr10
	s_and_saveexec_b64 s[8:9], s[6:7]
	s_xor_b64 s[6:7], exec, s[8:9]
	s_cbranch_execnz .LBB6_2693
; %bb.645:
	s_or_saveexec_b64 s[6:7], s[6:7]
	v_mov_b32_e32 v13, s10
	s_xor_b64 exec, exec, s[6:7]
	s_cbranch_execnz .LBB6_2696
.LBB6_646:
	s_or_b64 exec, exec, s[6:7]
	s_and_saveexec_b64 s[6:7], s[4:5]
	s_cbranch_execz .LBB6_648
.LBB6_647:
	v_and_b32_e32 v13, 7, v2
	v_ffbh_u32_e32 v15, v13
	v_min_u32_e32 v15, 32, v15
	v_lshrrev_b16_e32 v14, 3, v2
	v_subrev_u32_e32 v16, 28, v15
	v_and_b32_e32 v14, 15, v14
	v_lshlrev_b32_e32 v16, v16, v2
	v_sub_u32_e32 v15, 29, v15
	v_and_b32_e32 v16, 7, v16
	v_cmp_eq_u16_e32 vcc, 0, v14
	v_cndmask_b32_e32 v13, v13, v16, vcc
	v_cndmask_b32_e32 v14, v14, v15, vcc
	v_lshlrev_b32_e32 v15, 24, v2
	v_mov_b32_e32 v16, 0x3b800000
	v_lshlrev_b32_e32 v13, 20, v13
	v_and_b32_e32 v15, 0x80000000, v15
	v_lshl_add_u32 v14, v14, 23, v16
	v_or3_b32 v13, v15, v14, v13
.LBB6_648:
	s_or_b64 exec, exec, s[6:7]
	flat_load_dwordx4 a[0:3], v[10:11] offset:80
	s_movk_i32 s4, 0x7f
                                        ; implicit-def: $sgpr10
	s_waitcnt vmcnt(0) lgkmcnt(0)
	v_mfma_f32_16x16x4f32 a[0:3], v12, v13, a[0:3]
	v_lshrrev_b32_e32 v13, 8, v6
	v_cmp_gt_i16_sdwa s[6:7], v13, s4 src0_sel:BYTE_0 src1_sel:DWORD
	s_mov_b64 s[4:5], 0
	s_and_saveexec_b64 s[8:9], s[6:7]
	s_xor_b64 s[6:7], exec, s[8:9]
	s_cbranch_execnz .LBB6_2697
; %bb.649:
	s_or_saveexec_b64 s[6:7], s[6:7]
	v_mov_b32_e32 v12, s10
	s_xor_b64 exec, exec, s[6:7]
	s_cbranch_execnz .LBB6_2700
.LBB6_650:
	s_or_b64 exec, exec, s[6:7]
	s_and_saveexec_b64 s[6:7], s[4:5]
	s_cbranch_execz .LBB6_652
.LBB6_651:
	v_bfe_u32 v12, v6, 8, 3
	v_ffbh_u32_e32 v15, v12
	v_min_u32_e32 v15, 32, v15
	v_lshrrev_b16_e32 v14, 3, v13
	v_subrev_u32_e32 v16, 28, v15
	v_and_b32_e32 v14, 15, v14
	v_lshlrev_b32_e32 v13, v16, v13
	v_sub_u32_e32 v15, 29, v15
	v_and_b32_e32 v13, 7, v13
	v_cmp_eq_u16_e32 vcc, 0, v14
	v_cndmask_b32_e32 v12, v12, v13, vcc
	v_cndmask_b32_e32 v13, v14, v15, vcc
	v_lshlrev_b32_e32 v14, 16, v6
	v_mov_b32_e32 v15, 0x3b800000
	v_lshlrev_b32_e32 v12, 20, v12
	v_and_b32_e32 v14, 0x80000000, v14
	v_lshl_add_u32 v13, v13, 23, v15
	v_or3_b32 v12, v14, v13, v12
.LBB6_652:
	s_or_b64 exec, exec, s[6:7]
	v_lshrrev_b32_e32 v13, 8, v2
	s_movk_i32 s4, 0x7f
	v_cmp_gt_i16_sdwa s[6:7], v13, s4 src0_sel:BYTE_0 src1_sel:DWORD
	s_mov_b64 s[4:5], 0
                                        ; implicit-def: $sgpr10
	s_and_saveexec_b64 s[8:9], s[6:7]
	s_xor_b64 s[6:7], exec, s[8:9]
	s_cbranch_execnz .LBB6_2701
; %bb.653:
	s_or_saveexec_b64 s[6:7], s[6:7]
	v_mov_b32_e32 v14, s10
	s_xor_b64 exec, exec, s[6:7]
	s_cbranch_execnz .LBB6_2704
.LBB6_654:
	s_or_b64 exec, exec, s[6:7]
	s_and_saveexec_b64 s[6:7], s[4:5]
	s_cbranch_execz .LBB6_656
.LBB6_655:
	v_bfe_u32 v14, v2, 8, 3
	v_ffbh_u32_e32 v16, v14
	v_min_u32_e32 v16, 32, v16
	v_lshrrev_b16_e32 v15, 3, v13
	v_subrev_u32_e32 v17, 28, v16
	v_and_b32_e32 v15, 15, v15
	v_lshlrev_b32_e32 v13, v17, v13
	v_sub_u32_e32 v16, 29, v16
	v_and_b32_e32 v13, 7, v13
	v_cmp_eq_u16_e32 vcc, 0, v15
	v_cndmask_b32_e32 v13, v14, v13, vcc
	v_cndmask_b32_e32 v14, v15, v16, vcc
	v_lshlrev_b32_e32 v15, 16, v2
	v_mov_b32_e32 v16, 0x3b800000
	v_lshlrev_b32_e32 v13, 20, v13
	v_and_b32_e32 v15, 0x80000000, v15
	v_lshl_add_u32 v14, v14, 23, v16
	v_or3_b32 v14, v15, v14, v13
.LBB6_656:
	s_or_b64 exec, exec, s[6:7]
	s_nop 0
	v_mfma_f32_16x16x4f32 a[0:3], v12, v14, a[0:3]
	s_movk_i32 s4, 0xff
	v_and_b32_sdwa v13, v6, s4 dst_sel:DWORD dst_unused:UNUSED_PAD src0_sel:WORD_1 src1_sel:DWORD
	s_movk_i32 s4, 0x7f
	v_cmp_lt_i16_e32 vcc, s4, v13
	s_mov_b64 s[4:5], 0
                                        ; implicit-def: $sgpr10
	s_and_saveexec_b64 s[6:7], vcc
	s_xor_b64 s[6:7], exec, s[6:7]
	s_cbranch_execnz .LBB6_2705
; %bb.657:
	s_or_saveexec_b64 s[6:7], s[6:7]
	v_mov_b32_e32 v12, s10
	s_xor_b64 exec, exec, s[6:7]
	s_cbranch_execnz .LBB6_2708
.LBB6_658:
	s_or_b64 exec, exec, s[6:7]
	s_and_saveexec_b64 s[6:7], s[4:5]
	s_cbranch_execz .LBB6_660
.LBB6_659:
	v_bfe_u32 v12, v6, 16, 3
	v_ffbh_u32_e32 v15, v12
	v_min_u32_e32 v15, 32, v15
	v_lshrrev_b32_e32 v13, 19, v6
	v_subrev_u32_e32 v16, 28, v15
	v_and_b32_e32 v13, 15, v13
	v_lshlrev_b32_sdwa v16, v16, v6 dst_sel:DWORD dst_unused:UNUSED_PAD src0_sel:DWORD src1_sel:WORD_1
	v_bfe_u32 v14, v6, 19, 4
	v_sub_u32_e32 v15, 29, v15
	v_and_b32_e32 v16, 7, v16
	v_cmp_eq_u16_e32 vcc, 0, v13
	v_cndmask_b32_e32 v12, v12, v16, vcc
	v_cndmask_b32_e32 v13, v14, v15, vcc
	v_lshlrev_b32_e32 v14, 8, v6
	v_mov_b32_e32 v15, 0x3b800000
	v_lshlrev_b32_e32 v12, 20, v12
	v_and_b32_e32 v14, 0x80000000, v14
	v_lshl_add_u32 v13, v13, 23, v15
	v_or3_b32 v12, v14, v13, v12
.LBB6_660:
	s_or_b64 exec, exec, s[6:7]
	s_movk_i32 s4, 0xff
	v_and_b32_sdwa v13, v2, s4 dst_sel:DWORD dst_unused:UNUSED_PAD src0_sel:WORD_1 src1_sel:DWORD
	s_movk_i32 s4, 0x7f
	v_cmp_lt_i16_e32 vcc, s4, v13
	s_mov_b64 s[4:5], 0
                                        ; implicit-def: $sgpr10
	s_and_saveexec_b64 s[6:7], vcc
	s_xor_b64 s[6:7], exec, s[6:7]
	s_cbranch_execnz .LBB6_2709
; %bb.661:
	s_or_saveexec_b64 s[6:7], s[6:7]
	v_mov_b32_e32 v14, s10
	s_xor_b64 exec, exec, s[6:7]
	s_cbranch_execnz .LBB6_2712
.LBB6_662:
	s_or_b64 exec, exec, s[6:7]
	s_and_saveexec_b64 s[6:7], s[4:5]
	s_cbranch_execz .LBB6_664
.LBB6_663:
	v_bfe_u32 v13, v2, 16, 3
	v_ffbh_u32_e32 v16, v13
	v_min_u32_e32 v16, 32, v16
	v_lshrrev_b32_e32 v14, 19, v2
	v_subrev_u32_e32 v17, 28, v16
	v_and_b32_e32 v14, 15, v14
	v_lshlrev_b32_sdwa v17, v17, v2 dst_sel:DWORD dst_unused:UNUSED_PAD src0_sel:DWORD src1_sel:WORD_1
	v_bfe_u32 v15, v2, 19, 4
	v_sub_u32_e32 v16, 29, v16
	v_and_b32_e32 v17, 7, v17
	v_cmp_eq_u16_e32 vcc, 0, v14
	v_cndmask_b32_e32 v13, v13, v17, vcc
	v_cndmask_b32_e32 v14, v15, v16, vcc
	v_lshlrev_b32_e32 v15, 8, v2
	v_mov_b32_e32 v16, 0x3b800000
	v_lshlrev_b32_e32 v13, 20, v13
	v_and_b32_e32 v15, 0x80000000, v15
	v_lshl_add_u32 v14, v14, 23, v16
	v_or3_b32 v14, v15, v14, v13
.LBB6_664:
	s_or_b64 exec, exec, s[6:7]
	s_nop 0
	v_mfma_f32_16x16x4f32 a[0:3], v12, v14, a[0:3]
	s_movk_i32 s4, 0x7f
	v_cmp_gt_i16_sdwa s[6:7], v6, s4 src0_sel:BYTE_3 src1_sel:DWORD
	s_mov_b64 s[4:5], 0
                                        ; implicit-def: $sgpr10
	s_and_saveexec_b64 s[8:9], s[6:7]
	s_xor_b64 s[6:7], exec, s[8:9]
	s_cbranch_execnz .LBB6_2713
; %bb.665:
	s_or_saveexec_b64 s[6:7], s[6:7]
	v_mov_b32_e32 v12, s10
	s_xor_b64 exec, exec, s[6:7]
	s_cbranch_execnz .LBB6_2716
.LBB6_666:
	s_or_b64 exec, exec, s[6:7]
	s_and_saveexec_b64 s[6:7], s[4:5]
	s_cbranch_execz .LBB6_668
.LBB6_667:
	v_bfe_u32 v12, v6, 24, 3
	v_ffbh_u32_e32 v16, v12
	v_min_u32_e32 v16, 32, v16
	v_lshrrev_b32_e32 v14, 27, v6
	v_subrev_u32_e32 v17, 28, v16
	v_and_b32_e32 v13, 0x80000000, v6
	v_and_b32_e32 v14, 15, v14
	v_bfe_u32 v15, v6, 27, 4
	v_lshlrev_b32_sdwa v6, v17, v6 dst_sel:DWORD dst_unused:UNUSED_PAD src0_sel:DWORD src1_sel:BYTE_3
	v_sub_u32_e32 v16, 29, v16
	v_and_b32_e32 v6, 7, v6
	v_cmp_eq_u16_e32 vcc, 0, v14
	v_cndmask_b32_e32 v6, v12, v6, vcc
	v_cndmask_b32_e32 v12, v15, v16, vcc
	v_mov_b32_e32 v14, 0x3b800000
	v_lshlrev_b32_e32 v6, 20, v6
	v_lshl_add_u32 v12, v12, 23, v14
	v_or3_b32 v12, v13, v12, v6
.LBB6_668:
	s_or_b64 exec, exec, s[6:7]
	s_movk_i32 s4, 0x7f
	v_cmp_gt_i16_sdwa s[6:7], v2, s4 src0_sel:BYTE_3 src1_sel:DWORD
	s_mov_b64 s[4:5], 0
                                        ; implicit-def: $sgpr10
	s_and_saveexec_b64 s[8:9], s[6:7]
	s_xor_b64 s[6:7], exec, s[8:9]
	s_cbranch_execnz .LBB6_2717
; %bb.669:
	s_or_saveexec_b64 s[6:7], s[6:7]
	v_mov_b32_e32 v6, s10
	s_xor_b64 exec, exec, s[6:7]
	s_cbranch_execnz .LBB6_2720
.LBB6_670:
	s_or_b64 exec, exec, s[6:7]
	s_and_saveexec_b64 s[6:7], s[4:5]
	s_cbranch_execz .LBB6_672
.LBB6_671:
	v_bfe_u32 v6, v2, 24, 3
	v_ffbh_u32_e32 v16, v6
	v_min_u32_e32 v16, 32, v16
	v_lshrrev_b32_e32 v14, 27, v2
	v_subrev_u32_e32 v17, 28, v16
	v_and_b32_e32 v13, 0x80000000, v2
	v_and_b32_e32 v14, 15, v14
	v_bfe_u32 v15, v2, 27, 4
	v_lshlrev_b32_sdwa v2, v17, v2 dst_sel:DWORD dst_unused:UNUSED_PAD src0_sel:DWORD src1_sel:BYTE_3
	v_sub_u32_e32 v16, 29, v16
	v_and_b32_e32 v2, 7, v2
	v_cmp_eq_u16_e32 vcc, 0, v14
	v_cndmask_b32_e32 v2, v6, v2, vcc
	v_cndmask_b32_e32 v6, v15, v16, vcc
	v_mov_b32_e32 v14, 0x3b800000
	v_lshlrev_b32_e32 v2, 20, v2
	v_lshl_add_u32 v6, v6, 23, v14
	v_or3_b32 v6, v13, v6, v2
.LBB6_672:
	s_or_b64 exec, exec, s[6:7]
	s_nop 0
	v_mfma_f32_16x16x4f32 a[0:3], v12, v6, a[0:3]
	s_movk_i32 s4, 0x7f
	v_cmp_gt_i16_sdwa s[6:7], v7, s4 src0_sel:BYTE_0 src1_sel:DWORD
	s_mov_b64 s[4:5], 0
                                        ; implicit-def: $sgpr10
	s_and_saveexec_b64 s[8:9], s[6:7]
	s_xor_b64 s[6:7], exec, s[8:9]
	s_cbranch_execnz .LBB6_2721
; %bb.673:
	s_or_saveexec_b64 s[6:7], s[6:7]
	v_mov_b32_e32 v2, s10
	s_xor_b64 exec, exec, s[6:7]
	s_cbranch_execnz .LBB6_2724
.LBB6_674:
	s_or_b64 exec, exec, s[6:7]
	s_and_saveexec_b64 s[6:7], s[4:5]
	s_cbranch_execz .LBB6_676
.LBB6_675:
	v_and_b32_e32 v2, 7, v7
	v_ffbh_u32_e32 v12, v2
	v_min_u32_e32 v12, 32, v12
	v_lshrrev_b16_e32 v6, 3, v7
	v_subrev_u32_e32 v13, 28, v12
	v_and_b32_e32 v6, 15, v6
	v_lshlrev_b32_e32 v13, v13, v7
	v_sub_u32_e32 v12, 29, v12
	v_and_b32_e32 v13, 7, v13
	v_cmp_eq_u16_e32 vcc, 0, v6
	v_cndmask_b32_e32 v2, v2, v13, vcc
	v_cndmask_b32_e32 v6, v6, v12, vcc
	v_lshlrev_b32_e32 v12, 24, v7
	v_mov_b32_e32 v13, 0x3b800000
	v_lshlrev_b32_e32 v2, 20, v2
	v_and_b32_e32 v12, 0x80000000, v12
	v_lshl_add_u32 v6, v6, 23, v13
	v_or3_b32 v2, v12, v6, v2
.LBB6_676:
	s_or_b64 exec, exec, s[6:7]
	s_movk_i32 s4, 0x7f
	v_cmp_gt_i16_sdwa s[6:7], v3, s4 src0_sel:BYTE_0 src1_sel:DWORD
	s_mov_b64 s[4:5], 0
                                        ; implicit-def: $sgpr10
	s_and_saveexec_b64 s[8:9], s[6:7]
	s_xor_b64 s[6:7], exec, s[8:9]
	s_cbranch_execnz .LBB6_2725
; %bb.677:
	s_or_saveexec_b64 s[6:7], s[6:7]
	v_mov_b32_e32 v6, s10
	s_xor_b64 exec, exec, s[6:7]
	s_cbranch_execnz .LBB6_2728
.LBB6_678:
	s_or_b64 exec, exec, s[6:7]
	s_and_saveexec_b64 s[6:7], s[4:5]
	s_cbranch_execz .LBB6_680
.LBB6_679:
	v_and_b32_e32 v6, 7, v3
	v_ffbh_u32_e32 v13, v6
	v_min_u32_e32 v13, 32, v13
	v_lshrrev_b16_e32 v12, 3, v3
	v_subrev_u32_e32 v14, 28, v13
	v_and_b32_e32 v12, 15, v12
	v_lshlrev_b32_e32 v14, v14, v3
	v_sub_u32_e32 v13, 29, v13
	v_and_b32_e32 v14, 7, v14
	v_cmp_eq_u16_e32 vcc, 0, v12
	v_cndmask_b32_e32 v6, v6, v14, vcc
	v_cndmask_b32_e32 v12, v12, v13, vcc
	v_lshlrev_b32_e32 v13, 24, v3
	v_mov_b32_e32 v14, 0x3b800000
	v_lshlrev_b32_e32 v6, 20, v6
	v_and_b32_e32 v13, 0x80000000, v13
	v_lshl_add_u32 v12, v12, 23, v14
	v_or3_b32 v6, v13, v12, v6
.LBB6_680:
	s_or_b64 exec, exec, s[6:7]
	s_nop 0
	v_mfma_f32_16x16x4f32 a[0:3], v2, v6, a[0:3]
	v_lshrrev_b32_e32 v6, 8, v7
	s_movk_i32 s4, 0x7f
	v_cmp_gt_i16_sdwa s[6:7], v6, s4 src0_sel:BYTE_0 src1_sel:DWORD
	s_mov_b64 s[4:5], 0
                                        ; implicit-def: $sgpr10
	s_and_saveexec_b64 s[8:9], s[6:7]
	s_xor_b64 s[6:7], exec, s[8:9]
	s_cbranch_execnz .LBB6_2729
; %bb.681:
	s_or_saveexec_b64 s[6:7], s[6:7]
	v_mov_b32_e32 v2, s10
	s_xor_b64 exec, exec, s[6:7]
	s_cbranch_execnz .LBB6_2732
.LBB6_682:
	s_or_b64 exec, exec, s[6:7]
	s_and_saveexec_b64 s[6:7], s[4:5]
	s_cbranch_execz .LBB6_684
.LBB6_683:
	v_bfe_u32 v2, v7, 8, 3
	v_ffbh_u32_e32 v13, v2
	v_min_u32_e32 v13, 32, v13
	v_lshrrev_b16_e32 v12, 3, v6
	v_subrev_u32_e32 v14, 28, v13
	v_and_b32_e32 v12, 15, v12
	v_lshlrev_b32_e32 v6, v14, v6
	v_sub_u32_e32 v13, 29, v13
	v_and_b32_e32 v6, 7, v6
	v_cmp_eq_u16_e32 vcc, 0, v12
	v_cndmask_b32_e32 v2, v2, v6, vcc
	v_cndmask_b32_e32 v6, v12, v13, vcc
	v_lshlrev_b32_e32 v12, 16, v7
	v_mov_b32_e32 v13, 0x3b800000
	v_lshlrev_b32_e32 v2, 20, v2
	v_and_b32_e32 v12, 0x80000000, v12
	v_lshl_add_u32 v6, v6, 23, v13
	v_or3_b32 v2, v12, v6, v2
.LBB6_684:
	s_or_b64 exec, exec, s[6:7]
	v_lshrrev_b32_e32 v6, 8, v3
	s_movk_i32 s4, 0x7f
	v_cmp_gt_i16_sdwa s[6:7], v6, s4 src0_sel:BYTE_0 src1_sel:DWORD
	s_mov_b64 s[4:5], 0
                                        ; implicit-def: $sgpr10
	s_and_saveexec_b64 s[8:9], s[6:7]
	s_xor_b64 s[6:7], exec, s[8:9]
	s_cbranch_execnz .LBB6_2733
; %bb.685:
	s_or_saveexec_b64 s[6:7], s[6:7]
	v_mov_b32_e32 v12, s10
	s_xor_b64 exec, exec, s[6:7]
	s_cbranch_execnz .LBB6_2736
.LBB6_686:
	s_or_b64 exec, exec, s[6:7]
	s_and_saveexec_b64 s[6:7], s[4:5]
	s_cbranch_execz .LBB6_688
.LBB6_687:
	v_bfe_u32 v12, v3, 8, 3
	v_ffbh_u32_e32 v14, v12
	v_min_u32_e32 v14, 32, v14
	v_lshrrev_b16_e32 v13, 3, v6
	v_subrev_u32_e32 v15, 28, v14
	v_and_b32_e32 v13, 15, v13
	v_lshlrev_b32_e32 v6, v15, v6
	v_sub_u32_e32 v14, 29, v14
	v_and_b32_e32 v6, 7, v6
	v_cmp_eq_u16_e32 vcc, 0, v13
	v_cndmask_b32_e32 v6, v12, v6, vcc
	v_cndmask_b32_e32 v12, v13, v14, vcc
	v_lshlrev_b32_e32 v13, 16, v3
	v_mov_b32_e32 v14, 0x3b800000
	v_lshlrev_b32_e32 v6, 20, v6
	v_and_b32_e32 v13, 0x80000000, v13
	v_lshl_add_u32 v12, v12, 23, v14
	v_or3_b32 v12, v13, v12, v6
.LBB6_688:
	s_or_b64 exec, exec, s[6:7]
	s_nop 0
	v_mfma_f32_16x16x4f32 a[0:3], v2, v12, a[0:3]
	s_movk_i32 s4, 0xff
	v_and_b32_sdwa v6, v7, s4 dst_sel:DWORD dst_unused:UNUSED_PAD src0_sel:WORD_1 src1_sel:DWORD
	s_movk_i32 s4, 0x7f
	v_cmp_lt_i16_e32 vcc, s4, v6
	s_mov_b64 s[4:5], 0
                                        ; implicit-def: $sgpr10
	s_and_saveexec_b64 s[6:7], vcc
	s_xor_b64 s[6:7], exec, s[6:7]
	s_cbranch_execnz .LBB6_2737
; %bb.689:
	s_or_saveexec_b64 s[6:7], s[6:7]
	v_mov_b32_e32 v2, s10
	s_xor_b64 exec, exec, s[6:7]
	s_cbranch_execnz .LBB6_2740
.LBB6_690:
	s_or_b64 exec, exec, s[6:7]
	s_and_saveexec_b64 s[6:7], s[4:5]
	s_cbranch_execz .LBB6_692
.LBB6_691:
	v_bfe_u32 v2, v7, 16, 3
	v_ffbh_u32_e32 v13, v2
	v_min_u32_e32 v13, 32, v13
	v_lshrrev_b32_e32 v6, 19, v7
	v_subrev_u32_e32 v14, 28, v13
	v_and_b32_e32 v6, 15, v6
	v_lshlrev_b32_sdwa v14, v14, v7 dst_sel:DWORD dst_unused:UNUSED_PAD src0_sel:DWORD src1_sel:WORD_1
	v_bfe_u32 v12, v7, 19, 4
	v_sub_u32_e32 v13, 29, v13
	v_and_b32_e32 v14, 7, v14
	v_cmp_eq_u16_e32 vcc, 0, v6
	v_cndmask_b32_e32 v2, v2, v14, vcc
	v_cndmask_b32_e32 v6, v12, v13, vcc
	v_lshlrev_b32_e32 v12, 8, v7
	v_mov_b32_e32 v13, 0x3b800000
	v_lshlrev_b32_e32 v2, 20, v2
	v_and_b32_e32 v12, 0x80000000, v12
	v_lshl_add_u32 v6, v6, 23, v13
	v_or3_b32 v2, v12, v6, v2
.LBB6_692:
	s_or_b64 exec, exec, s[6:7]
	s_movk_i32 s4, 0xff
	v_and_b32_sdwa v6, v3, s4 dst_sel:DWORD dst_unused:UNUSED_PAD src0_sel:WORD_1 src1_sel:DWORD
	s_movk_i32 s4, 0x7f
	v_cmp_lt_i16_e32 vcc, s4, v6
	s_mov_b64 s[4:5], 0
                                        ; implicit-def: $sgpr10
	s_and_saveexec_b64 s[6:7], vcc
	s_xor_b64 s[6:7], exec, s[6:7]
	s_cbranch_execnz .LBB6_2741
; %bb.693:
	s_or_saveexec_b64 s[6:7], s[6:7]
	v_mov_b32_e32 v12, s10
	s_xor_b64 exec, exec, s[6:7]
	s_cbranch_execnz .LBB6_2744
.LBB6_694:
	s_or_b64 exec, exec, s[6:7]
	s_and_saveexec_b64 s[6:7], s[4:5]
	s_cbranch_execz .LBB6_696
.LBB6_695:
	v_bfe_u32 v6, v3, 16, 3
	v_ffbh_u32_e32 v14, v6
	v_min_u32_e32 v14, 32, v14
	v_lshrrev_b32_e32 v12, 19, v3
	v_subrev_u32_e32 v15, 28, v14
	v_and_b32_e32 v12, 15, v12
	v_lshlrev_b32_sdwa v15, v15, v3 dst_sel:DWORD dst_unused:UNUSED_PAD src0_sel:DWORD src1_sel:WORD_1
	v_bfe_u32 v13, v3, 19, 4
	v_sub_u32_e32 v14, 29, v14
	v_and_b32_e32 v15, 7, v15
	v_cmp_eq_u16_e32 vcc, 0, v12
	v_cndmask_b32_e32 v6, v6, v15, vcc
	v_cndmask_b32_e32 v12, v13, v14, vcc
	v_lshlrev_b32_e32 v13, 8, v3
	v_mov_b32_e32 v14, 0x3b800000
	v_lshlrev_b32_e32 v6, 20, v6
	v_and_b32_e32 v13, 0x80000000, v13
	v_lshl_add_u32 v12, v12, 23, v14
	v_or3_b32 v12, v13, v12, v6
.LBB6_696:
	s_or_b64 exec, exec, s[6:7]
	s_nop 0
	v_mfma_f32_16x16x4f32 a[0:3], v2, v12, a[0:3]
	s_movk_i32 s4, 0x7f
	v_cmp_gt_i16_sdwa s[6:7], v7, s4 src0_sel:BYTE_3 src1_sel:DWORD
	s_mov_b64 s[4:5], 0
                                        ; implicit-def: $sgpr10
	s_and_saveexec_b64 s[8:9], s[6:7]
	s_xor_b64 s[6:7], exec, s[8:9]
	s_cbranch_execnz .LBB6_2745
; %bb.697:
	s_or_saveexec_b64 s[6:7], s[6:7]
	v_mov_b32_e32 v2, s10
	s_xor_b64 exec, exec, s[6:7]
	s_cbranch_execnz .LBB6_2748
.LBB6_698:
	s_or_b64 exec, exec, s[6:7]
	s_and_saveexec_b64 s[6:7], s[4:5]
	s_cbranch_execz .LBB6_700
.LBB6_699:
	v_bfe_u32 v2, v7, 24, 3
	v_ffbh_u32_e32 v14, v2
	v_min_u32_e32 v14, 32, v14
	v_lshrrev_b32_e32 v12, 27, v7
	v_subrev_u32_e32 v15, 28, v14
	v_and_b32_e32 v6, 0x80000000, v7
	v_and_b32_e32 v12, 15, v12
	v_bfe_u32 v13, v7, 27, 4
	v_lshlrev_b32_sdwa v7, v15, v7 dst_sel:DWORD dst_unused:UNUSED_PAD src0_sel:DWORD src1_sel:BYTE_3
	v_sub_u32_e32 v14, 29, v14
	v_and_b32_e32 v7, 7, v7
	v_cmp_eq_u16_e32 vcc, 0, v12
	v_cndmask_b32_e32 v2, v2, v7, vcc
	v_cndmask_b32_e32 v7, v13, v14, vcc
	v_mov_b32_e32 v12, 0x3b800000
	v_lshlrev_b32_e32 v2, 20, v2
	v_lshl_add_u32 v7, v7, 23, v12
	v_or3_b32 v2, v6, v7, v2
.LBB6_700:
	s_or_b64 exec, exec, s[6:7]
	s_movk_i32 s4, 0x7f
	v_cmp_gt_i16_sdwa s[6:7], v3, s4 src0_sel:BYTE_3 src1_sel:DWORD
	s_mov_b64 s[4:5], 0
                                        ; implicit-def: $sgpr10
	s_and_saveexec_b64 s[8:9], s[6:7]
	s_xor_b64 s[6:7], exec, s[8:9]
	s_cbranch_execnz .LBB6_2749
; %bb.701:
	s_or_saveexec_b64 s[6:7], s[6:7]
	v_mov_b32_e32 v6, s10
	s_xor_b64 exec, exec, s[6:7]
	s_cbranch_execnz .LBB6_2752
.LBB6_702:
	s_or_b64 exec, exec, s[6:7]
	s_and_saveexec_b64 s[6:7], s[4:5]
	s_cbranch_execz .LBB6_704
.LBB6_703:
	v_bfe_u32 v6, v3, 24, 3
	v_ffbh_u32_e32 v14, v6
	v_min_u32_e32 v14, 32, v14
	v_lshrrev_b32_e32 v12, 27, v3
	v_subrev_u32_e32 v15, 28, v14
	v_and_b32_e32 v7, 0x80000000, v3
	v_and_b32_e32 v12, 15, v12
	v_bfe_u32 v13, v3, 27, 4
	v_lshlrev_b32_sdwa v3, v15, v3 dst_sel:DWORD dst_unused:UNUSED_PAD src0_sel:DWORD src1_sel:BYTE_3
	v_sub_u32_e32 v14, 29, v14
	v_and_b32_e32 v3, 7, v3
	v_cmp_eq_u16_e32 vcc, 0, v12
	v_cndmask_b32_e32 v3, v6, v3, vcc
	v_cndmask_b32_e32 v6, v13, v14, vcc
	v_mov_b32_e32 v12, 0x3b800000
	v_lshlrev_b32_e32 v3, 20, v3
	v_lshl_add_u32 v6, v6, 23, v12
	v_or3_b32 v6, v7, v6, v3
.LBB6_704:
	s_or_b64 exec, exec, s[6:7]
	s_nop 0
	v_mfma_f32_16x16x4f32 a[0:3], v2, v6, a[0:3]
	s_movk_i32 s4, 0x7f
	v_cmp_gt_i16_sdwa s[6:7], v8, s4 src0_sel:BYTE_0 src1_sel:DWORD
	s_mov_b64 s[4:5], 0
                                        ; implicit-def: $sgpr10
	s_and_saveexec_b64 s[8:9], s[6:7]
	s_xor_b64 s[6:7], exec, s[8:9]
	s_cbranch_execnz .LBB6_2753
; %bb.705:
	s_or_saveexec_b64 s[6:7], s[6:7]
	v_mov_b32_e32 v2, s10
	s_xor_b64 exec, exec, s[6:7]
	s_cbranch_execnz .LBB6_2756
.LBB6_706:
	s_or_b64 exec, exec, s[6:7]
	s_and_saveexec_b64 s[6:7], s[4:5]
	s_cbranch_execz .LBB6_708
.LBB6_707:
	v_and_b32_e32 v2, 7, v8
	v_ffbh_u32_e32 v6, v2
	v_min_u32_e32 v6, 32, v6
	v_lshrrev_b16_e32 v3, 3, v8
	v_subrev_u32_e32 v7, 28, v6
	v_and_b32_e32 v3, 15, v3
	v_lshlrev_b32_e32 v7, v7, v8
	v_sub_u32_e32 v6, 29, v6
	v_and_b32_e32 v7, 7, v7
	v_cmp_eq_u16_e32 vcc, 0, v3
	v_cndmask_b32_e32 v2, v2, v7, vcc
	v_cndmask_b32_e32 v3, v3, v6, vcc
	v_lshlrev_b32_e32 v6, 24, v8
	v_mov_b32_e32 v7, 0x3b800000
	v_lshlrev_b32_e32 v2, 20, v2
	v_and_b32_e32 v6, 0x80000000, v6
	v_lshl_add_u32 v3, v3, 23, v7
	v_or3_b32 v2, v6, v3, v2
.LBB6_708:
	s_or_b64 exec, exec, s[6:7]
	s_movk_i32 s4, 0x7f
	v_cmp_gt_i16_sdwa s[6:7], v4, s4 src0_sel:BYTE_0 src1_sel:DWORD
	s_mov_b64 s[4:5], 0
                                        ; implicit-def: $sgpr10
	s_and_saveexec_b64 s[8:9], s[6:7]
	s_xor_b64 s[6:7], exec, s[8:9]
	s_cbranch_execnz .LBB6_2757
; %bb.709:
	s_or_saveexec_b64 s[6:7], s[6:7]
	v_mov_b32_e32 v3, s10
	s_xor_b64 exec, exec, s[6:7]
	s_cbranch_execnz .LBB6_2760
.LBB6_710:
	s_or_b64 exec, exec, s[6:7]
	s_and_saveexec_b64 s[6:7], s[4:5]
	s_cbranch_execz .LBB6_712
.LBB6_711:
	v_and_b32_e32 v3, 7, v4
	v_ffbh_u32_e32 v7, v3
	v_min_u32_e32 v7, 32, v7
	v_lshrrev_b16_e32 v6, 3, v4
	v_subrev_u32_e32 v12, 28, v7
	v_and_b32_e32 v6, 15, v6
	v_lshlrev_b32_e32 v12, v12, v4
	v_sub_u32_e32 v7, 29, v7
	v_and_b32_e32 v12, 7, v12
	v_cmp_eq_u16_e32 vcc, 0, v6
	v_cndmask_b32_e32 v3, v3, v12, vcc
	v_cndmask_b32_e32 v6, v6, v7, vcc
	v_lshlrev_b32_e32 v7, 24, v4
	v_mov_b32_e32 v12, 0x3b800000
	v_lshlrev_b32_e32 v3, 20, v3
	v_and_b32_e32 v7, 0x80000000, v7
	v_lshl_add_u32 v6, v6, 23, v12
	v_or3_b32 v3, v7, v6, v3
.LBB6_712:
	s_or_b64 exec, exec, s[6:7]
	s_nop 0
	v_mfma_f32_16x16x4f32 a[0:3], v2, v3, a[0:3]
	v_lshrrev_b32_e32 v3, 8, v8
	s_movk_i32 s4, 0x7f
	v_cmp_gt_i16_sdwa s[6:7], v3, s4 src0_sel:BYTE_0 src1_sel:DWORD
	s_mov_b64 s[4:5], 0
                                        ; implicit-def: $sgpr10
	s_and_saveexec_b64 s[8:9], s[6:7]
	s_xor_b64 s[6:7], exec, s[8:9]
	s_cbranch_execnz .LBB6_2761
; %bb.713:
	s_or_saveexec_b64 s[6:7], s[6:7]
	v_mov_b32_e32 v2, s10
	s_xor_b64 exec, exec, s[6:7]
	s_cbranch_execnz .LBB6_2764
.LBB6_714:
	s_or_b64 exec, exec, s[6:7]
	s_and_saveexec_b64 s[6:7], s[4:5]
	s_cbranch_execz .LBB6_716
.LBB6_715:
	v_bfe_u32 v2, v8, 8, 3
	v_ffbh_u32_e32 v7, v2
	v_min_u32_e32 v7, 32, v7
	v_lshrrev_b16_e32 v6, 3, v3
	v_subrev_u32_e32 v12, 28, v7
	v_and_b32_e32 v6, 15, v6
	v_lshlrev_b32_e32 v3, v12, v3
	v_sub_u32_e32 v7, 29, v7
	v_and_b32_e32 v3, 7, v3
	v_cmp_eq_u16_e32 vcc, 0, v6
	v_cndmask_b32_e32 v2, v2, v3, vcc
	v_cndmask_b32_e32 v3, v6, v7, vcc
	v_lshlrev_b32_e32 v6, 16, v8
	v_mov_b32_e32 v7, 0x3b800000
	v_lshlrev_b32_e32 v2, 20, v2
	v_and_b32_e32 v6, 0x80000000, v6
	v_lshl_add_u32 v3, v3, 23, v7
	v_or3_b32 v2, v6, v3, v2
.LBB6_716:
	s_or_b64 exec, exec, s[6:7]
	v_lshrrev_b32_e32 v3, 8, v4
	s_movk_i32 s4, 0x7f
	v_cmp_gt_i16_sdwa s[6:7], v3, s4 src0_sel:BYTE_0 src1_sel:DWORD
	s_mov_b64 s[4:5], 0
                                        ; implicit-def: $sgpr10
	s_and_saveexec_b64 s[8:9], s[6:7]
	s_xor_b64 s[6:7], exec, s[8:9]
	s_cbranch_execnz .LBB6_2765
; %bb.717:
	s_or_saveexec_b64 s[6:7], s[6:7]
	v_mov_b32_e32 v6, s10
	s_xor_b64 exec, exec, s[6:7]
	s_cbranch_execnz .LBB6_2768
.LBB6_718:
	s_or_b64 exec, exec, s[6:7]
	s_and_saveexec_b64 s[6:7], s[4:5]
	s_cbranch_execz .LBB6_720
.LBB6_719:
	v_bfe_u32 v6, v4, 8, 3
	v_ffbh_u32_e32 v12, v6
	v_min_u32_e32 v12, 32, v12
	v_lshrrev_b16_e32 v7, 3, v3
	v_subrev_u32_e32 v13, 28, v12
	v_and_b32_e32 v7, 15, v7
	v_lshlrev_b32_e32 v3, v13, v3
	v_sub_u32_e32 v12, 29, v12
	v_and_b32_e32 v3, 7, v3
	v_cmp_eq_u16_e32 vcc, 0, v7
	v_cndmask_b32_e32 v3, v6, v3, vcc
	v_cndmask_b32_e32 v6, v7, v12, vcc
	v_lshlrev_b32_e32 v7, 16, v4
	v_mov_b32_e32 v12, 0x3b800000
	v_lshlrev_b32_e32 v3, 20, v3
	v_and_b32_e32 v7, 0x80000000, v7
	v_lshl_add_u32 v6, v6, 23, v12
	v_or3_b32 v6, v7, v6, v3
.LBB6_720:
	s_or_b64 exec, exec, s[6:7]
	s_nop 0
	v_mfma_f32_16x16x4f32 a[0:3], v2, v6, a[0:3]
	s_movk_i32 s4, 0xff
	v_and_b32_sdwa v3, v8, s4 dst_sel:DWORD dst_unused:UNUSED_PAD src0_sel:WORD_1 src1_sel:DWORD
	s_movk_i32 s4, 0x7f
	v_cmp_lt_i16_e32 vcc, s4, v3
	s_mov_b64 s[4:5], 0
                                        ; implicit-def: $sgpr10
	s_and_saveexec_b64 s[6:7], vcc
	s_xor_b64 s[6:7], exec, s[6:7]
	s_cbranch_execnz .LBB6_2769
; %bb.721:
	s_or_saveexec_b64 s[6:7], s[6:7]
	v_mov_b32_e32 v2, s10
	s_xor_b64 exec, exec, s[6:7]
	s_cbranch_execnz .LBB6_2772
.LBB6_722:
	s_or_b64 exec, exec, s[6:7]
	s_and_saveexec_b64 s[6:7], s[4:5]
	s_cbranch_execz .LBB6_724
.LBB6_723:
	v_bfe_u32 v2, v8, 16, 3
	v_ffbh_u32_e32 v7, v2
	v_min_u32_e32 v7, 32, v7
	v_lshrrev_b32_e32 v3, 19, v8
	v_subrev_u32_e32 v12, 28, v7
	v_and_b32_e32 v3, 15, v3
	v_lshlrev_b32_sdwa v12, v12, v8 dst_sel:DWORD dst_unused:UNUSED_PAD src0_sel:DWORD src1_sel:WORD_1
	v_bfe_u32 v6, v8, 19, 4
	v_sub_u32_e32 v7, 29, v7
	v_and_b32_e32 v12, 7, v12
	v_cmp_eq_u16_e32 vcc, 0, v3
	v_cndmask_b32_e32 v2, v2, v12, vcc
	v_cndmask_b32_e32 v3, v6, v7, vcc
	v_lshlrev_b32_e32 v6, 8, v8
	v_mov_b32_e32 v7, 0x3b800000
	v_lshlrev_b32_e32 v2, 20, v2
	v_and_b32_e32 v6, 0x80000000, v6
	v_lshl_add_u32 v3, v3, 23, v7
	v_or3_b32 v2, v6, v3, v2
.LBB6_724:
	s_or_b64 exec, exec, s[6:7]
	s_movk_i32 s4, 0xff
	v_and_b32_sdwa v3, v4, s4 dst_sel:DWORD dst_unused:UNUSED_PAD src0_sel:WORD_1 src1_sel:DWORD
	s_movk_i32 s4, 0x7f
	v_cmp_lt_i16_e32 vcc, s4, v3
	s_mov_b64 s[4:5], 0
                                        ; implicit-def: $sgpr10
	s_and_saveexec_b64 s[6:7], vcc
	s_xor_b64 s[6:7], exec, s[6:7]
	s_cbranch_execnz .LBB6_2773
; %bb.725:
	s_or_saveexec_b64 s[6:7], s[6:7]
	v_mov_b32_e32 v6, s10
	s_xor_b64 exec, exec, s[6:7]
	s_cbranch_execnz .LBB6_2776
.LBB6_726:
	s_or_b64 exec, exec, s[6:7]
	s_and_saveexec_b64 s[6:7], s[4:5]
	s_cbranch_execz .LBB6_728
.LBB6_727:
	v_bfe_u32 v3, v4, 16, 3
	v_ffbh_u32_e32 v12, v3
	v_min_u32_e32 v12, 32, v12
	v_lshrrev_b32_e32 v6, 19, v4
	v_subrev_u32_e32 v13, 28, v12
	v_and_b32_e32 v6, 15, v6
	v_lshlrev_b32_sdwa v13, v13, v4 dst_sel:DWORD dst_unused:UNUSED_PAD src0_sel:DWORD src1_sel:WORD_1
	v_bfe_u32 v7, v4, 19, 4
	v_sub_u32_e32 v12, 29, v12
	v_and_b32_e32 v13, 7, v13
	v_cmp_eq_u16_e32 vcc, 0, v6
	v_cndmask_b32_e32 v3, v3, v13, vcc
	v_cndmask_b32_e32 v6, v7, v12, vcc
	v_lshlrev_b32_e32 v7, 8, v4
	v_mov_b32_e32 v12, 0x3b800000
	v_lshlrev_b32_e32 v3, 20, v3
	v_and_b32_e32 v7, 0x80000000, v7
	v_lshl_add_u32 v6, v6, 23, v12
	v_or3_b32 v6, v7, v6, v3
.LBB6_728:
	s_or_b64 exec, exec, s[6:7]
	s_nop 0
	v_mfma_f32_16x16x4f32 a[0:3], v2, v6, a[0:3]
	s_movk_i32 s4, 0x7f
	v_cmp_gt_i16_sdwa s[6:7], v8, s4 src0_sel:BYTE_3 src1_sel:DWORD
	s_mov_b64 s[4:5], 0
                                        ; implicit-def: $sgpr10
	s_and_saveexec_b64 s[8:9], s[6:7]
	s_xor_b64 s[6:7], exec, s[8:9]
	s_cbranch_execnz .LBB6_2777
; %bb.729:
	s_or_saveexec_b64 s[6:7], s[6:7]
	v_mov_b32_e32 v2, s10
	s_xor_b64 exec, exec, s[6:7]
	s_cbranch_execnz .LBB6_2780
.LBB6_730:
	s_or_b64 exec, exec, s[6:7]
	s_and_saveexec_b64 s[6:7], s[4:5]
	s_cbranch_execz .LBB6_732
.LBB6_731:
	v_bfe_u32 v2, v8, 24, 3
	v_ffbh_u32_e32 v12, v2
	v_min_u32_e32 v12, 32, v12
	v_lshrrev_b32_e32 v6, 27, v8
	v_subrev_u32_e32 v13, 28, v12
	v_and_b32_e32 v3, 0x80000000, v8
	v_and_b32_e32 v6, 15, v6
	v_bfe_u32 v7, v8, 27, 4
	v_lshlrev_b32_sdwa v8, v13, v8 dst_sel:DWORD dst_unused:UNUSED_PAD src0_sel:DWORD src1_sel:BYTE_3
	v_sub_u32_e32 v12, 29, v12
	v_and_b32_e32 v8, 7, v8
	v_cmp_eq_u16_e32 vcc, 0, v6
	v_cndmask_b32_e32 v2, v2, v8, vcc
	v_cndmask_b32_e32 v6, v7, v12, vcc
	v_mov_b32_e32 v7, 0x3b800000
	v_lshlrev_b32_e32 v2, 20, v2
	v_lshl_add_u32 v6, v6, 23, v7
	v_or3_b32 v2, v3, v6, v2
.LBB6_732:
	s_or_b64 exec, exec, s[6:7]
	s_movk_i32 s4, 0x7f
	v_cmp_gt_i16_sdwa s[6:7], v4, s4 src0_sel:BYTE_3 src1_sel:DWORD
	s_mov_b64 s[4:5], 0
                                        ; implicit-def: $sgpr10
	s_and_saveexec_b64 s[8:9], s[6:7]
	s_xor_b64 s[6:7], exec, s[8:9]
	s_cbranch_execnz .LBB6_2781
; %bb.733:
	s_or_saveexec_b64 s[6:7], s[6:7]
	v_mov_b32_e32 v3, s10
	s_xor_b64 exec, exec, s[6:7]
	s_cbranch_execnz .LBB6_2784
.LBB6_734:
	s_or_b64 exec, exec, s[6:7]
	s_and_saveexec_b64 s[6:7], s[4:5]
	s_cbranch_execz .LBB6_736
.LBB6_735:
	v_bfe_u32 v3, v4, 24, 3
	v_ffbh_u32_e32 v12, v3
	v_min_u32_e32 v12, 32, v12
	v_lshrrev_b32_e32 v7, 27, v4
	v_subrev_u32_e32 v13, 28, v12
	v_and_b32_e32 v6, 0x80000000, v4
	v_and_b32_e32 v7, 15, v7
	v_bfe_u32 v8, v4, 27, 4
	v_lshlrev_b32_sdwa v4, v13, v4 dst_sel:DWORD dst_unused:UNUSED_PAD src0_sel:DWORD src1_sel:BYTE_3
	v_sub_u32_e32 v12, 29, v12
	v_and_b32_e32 v4, 7, v4
	v_cmp_eq_u16_e32 vcc, 0, v7
	v_cndmask_b32_e32 v3, v3, v4, vcc
	v_cndmask_b32_e32 v4, v8, v12, vcc
	v_mov_b32_e32 v7, 0x3b800000
	v_lshlrev_b32_e32 v3, 20, v3
	v_lshl_add_u32 v4, v4, 23, v7
	v_or3_b32 v3, v6, v4, v3
.LBB6_736:
	s_or_b64 exec, exec, s[6:7]
	s_nop 0
	v_mfma_f32_16x16x4f32 a[0:3], v2, v3, a[0:3]
	s_movk_i32 s4, 0x7f
	v_cmp_gt_i16_sdwa s[6:7], v9, s4 src0_sel:BYTE_0 src1_sel:DWORD
	s_mov_b64 s[4:5], 0
                                        ; implicit-def: $sgpr10
	s_and_saveexec_b64 s[8:9], s[6:7]
	s_xor_b64 s[6:7], exec, s[8:9]
	s_cbranch_execnz .LBB6_2785
; %bb.737:
	s_or_saveexec_b64 s[6:7], s[6:7]
	v_mov_b32_e32 v2, s10
	s_xor_b64 exec, exec, s[6:7]
	s_cbranch_execnz .LBB6_2788
.LBB6_738:
	s_or_b64 exec, exec, s[6:7]
	s_and_saveexec_b64 s[6:7], s[4:5]
	s_cbranch_execz .LBB6_740
.LBB6_739:
	v_mov_b32_e32 v2, 8
	v_and_b32_e32 v3, 7, v9
	v_lshrrev_b32_sdwa v2, v2, v9 dst_sel:BYTE_1 dst_unused:UNUSED_PAD src0_sel:DWORD src1_sel:DWORD
	v_ffbh_u32_e32 v4, v3
	v_or_b32_sdwa v2, v9, v2 dst_sel:DWORD dst_unused:UNUSED_PAD src0_sel:BYTE_0 src1_sel:DWORD
	v_min_u32_e32 v4, 32, v4
	v_lshrrev_b16_e32 v2, 3, v2
	v_subrev_u32_e32 v6, 28, v4
	v_and_b32_e32 v2, 15, v2
	v_lshlrev_b32_e32 v6, v6, v9
	v_sub_u32_e32 v4, 29, v4
	v_and_b32_e32 v6, 7, v6
	v_cmp_eq_u16_e32 vcc, 0, v2
	v_cndmask_b32_e32 v3, v3, v6, vcc
	v_cndmask_b32_e32 v2, v2, v4, vcc
	v_lshlrev_b32_e32 v4, 24, v9
	v_mov_b32_e32 v6, 0x3b800000
	v_lshlrev_b32_e32 v3, 20, v3
	v_and_b32_e32 v4, 0x80000000, v4
	v_lshl_add_u32 v2, v2, 23, v6
	v_or3_b32 v2, v4, v2, v3
.LBB6_740:
	s_or_b64 exec, exec, s[6:7]
	s_movk_i32 s4, 0x7f
	v_cmp_gt_i16_sdwa s[6:7], v5, s4 src0_sel:BYTE_0 src1_sel:DWORD
	s_mov_b64 s[4:5], 0
                                        ; implicit-def: $sgpr10
	s_and_saveexec_b64 s[8:9], s[6:7]
	s_xor_b64 s[6:7], exec, s[8:9]
	s_cbranch_execnz .LBB6_2789
; %bb.741:
	s_or_saveexec_b64 s[6:7], s[6:7]
	v_mov_b32_e32 v3, s10
	s_xor_b64 exec, exec, s[6:7]
	s_cbranch_execnz .LBB6_2792
.LBB6_742:
	s_or_b64 exec, exec, s[6:7]
	s_and_saveexec_b64 s[6:7], s[4:5]
	s_cbranch_execz .LBB6_744
.LBB6_743:
	v_mov_b32_e32 v3, 8
	v_and_b32_e32 v4, 7, v5
	v_lshrrev_b32_sdwa v3, v3, v5 dst_sel:BYTE_1 dst_unused:UNUSED_PAD src0_sel:DWORD src1_sel:DWORD
	v_ffbh_u32_e32 v6, v4
	v_or_b32_sdwa v3, v5, v3 dst_sel:DWORD dst_unused:UNUSED_PAD src0_sel:BYTE_0 src1_sel:DWORD
	v_min_u32_e32 v6, 32, v6
	v_lshrrev_b16_e32 v3, 3, v3
	v_subrev_u32_e32 v7, 28, v6
	v_and_b32_e32 v3, 15, v3
	v_lshlrev_b32_e32 v7, v7, v5
	v_sub_u32_e32 v6, 29, v6
	v_and_b32_e32 v7, 7, v7
	v_cmp_eq_u16_e32 vcc, 0, v3
	v_cndmask_b32_e32 v4, v4, v7, vcc
	v_cndmask_b32_e32 v3, v3, v6, vcc
	v_lshlrev_b32_e32 v6, 24, v5
	v_mov_b32_e32 v7, 0x3b800000
	v_lshlrev_b32_e32 v4, 20, v4
	v_and_b32_e32 v6, 0x80000000, v6
	v_lshl_add_u32 v3, v3, 23, v7
	v_or3_b32 v3, v6, v3, v4
.LBB6_744:
	s_or_b64 exec, exec, s[6:7]
	s_nop 0
	v_mfma_f32_16x16x4f32 a[0:3], v2, v3, a[0:3]
	v_lshrrev_b32_e32 v3, 8, v9
	s_movk_i32 s4, 0x7f
	v_cmp_gt_i16_sdwa s[6:7], v3, s4 src0_sel:BYTE_0 src1_sel:DWORD
	s_mov_b64 s[4:5], 0
                                        ; implicit-def: $sgpr10
	s_and_saveexec_b64 s[8:9], s[6:7]
	s_xor_b64 s[6:7], exec, s[8:9]
	s_cbranch_execnz .LBB6_2793
; %bb.745:
	s_or_saveexec_b64 s[6:7], s[6:7]
	v_mov_b32_e32 v2, s10
	s_xor_b64 exec, exec, s[6:7]
	s_cbranch_execnz .LBB6_2796
.LBB6_746:
	s_or_b64 exec, exec, s[6:7]
	s_and_saveexec_b64 s[6:7], s[4:5]
	s_cbranch_execz .LBB6_748
.LBB6_747:
	v_bfe_u32 v2, v9, 8, 3
	v_ffbh_u32_e32 v6, v2
	v_min_u32_e32 v6, 32, v6
	v_lshrrev_b16_e32 v4, 3, v3
	v_subrev_u32_e32 v7, 28, v6
	v_and_b32_e32 v4, 15, v4
	v_lshlrev_b32_e32 v3, v7, v3
	v_sub_u32_e32 v6, 29, v6
	v_and_b32_e32 v3, 7, v3
	v_cmp_eq_u16_e32 vcc, 0, v4
	v_cndmask_b32_e32 v2, v2, v3, vcc
	v_cndmask_b32_e32 v3, v4, v6, vcc
	v_lshlrev_b32_e32 v4, 16, v9
	v_mov_b32_e32 v6, 0x3b800000
	v_lshlrev_b32_e32 v2, 20, v2
	v_and_b32_e32 v4, 0x80000000, v4
	v_lshl_add_u32 v3, v3, 23, v6
	v_or3_b32 v2, v4, v3, v2
.LBB6_748:
	s_or_b64 exec, exec, s[6:7]
	v_lshrrev_b32_e32 v3, 8, v5
	s_movk_i32 s4, 0x7f
	v_cmp_gt_i16_sdwa s[6:7], v3, s4 src0_sel:BYTE_0 src1_sel:DWORD
	s_mov_b64 s[4:5], 0
                                        ; implicit-def: $sgpr10
	s_and_saveexec_b64 s[8:9], s[6:7]
	s_xor_b64 s[6:7], exec, s[8:9]
	s_cbranch_execnz .LBB6_2797
; %bb.749:
	s_or_saveexec_b64 s[6:7], s[6:7]
	v_mov_b32_e32 v4, s10
	s_xor_b64 exec, exec, s[6:7]
	s_cbranch_execnz .LBB6_2800
.LBB6_750:
	s_or_b64 exec, exec, s[6:7]
	s_and_saveexec_b64 s[6:7], s[4:5]
	s_cbranch_execz .LBB6_752
.LBB6_751:
	v_bfe_u32 v4, v5, 8, 3
	v_ffbh_u32_e32 v7, v4
	v_min_u32_e32 v7, 32, v7
	v_lshrrev_b16_e32 v6, 3, v3
	v_subrev_u32_e32 v8, 28, v7
	v_and_b32_e32 v6, 15, v6
	v_lshlrev_b32_e32 v3, v8, v3
	v_sub_u32_e32 v7, 29, v7
	v_and_b32_e32 v3, 7, v3
	v_cmp_eq_u16_e32 vcc, 0, v6
	v_cndmask_b32_e32 v3, v4, v3, vcc
	v_cndmask_b32_e32 v4, v6, v7, vcc
	v_lshlrev_b32_e32 v6, 16, v5
	v_mov_b32_e32 v7, 0x3b800000
	v_lshlrev_b32_e32 v3, 20, v3
	v_and_b32_e32 v6, 0x80000000, v6
	v_lshl_add_u32 v4, v4, 23, v7
	v_or3_b32 v4, v6, v4, v3
.LBB6_752:
	s_or_b64 exec, exec, s[6:7]
	s_nop 0
	v_mfma_f32_16x16x4f32 a[0:3], v2, v4, a[0:3]
	s_movk_i32 s4, 0xff
	v_and_b32_sdwa v3, v9, s4 dst_sel:DWORD dst_unused:UNUSED_PAD src0_sel:WORD_1 src1_sel:DWORD
	s_movk_i32 s4, 0x7f
	v_cmp_lt_i16_e32 vcc, s4, v3
	s_mov_b64 s[4:5], 0
                                        ; implicit-def: $sgpr10
	s_and_saveexec_b64 s[6:7], vcc
	s_xor_b64 s[6:7], exec, s[6:7]
	s_cbranch_execnz .LBB6_2801
; %bb.753:
	s_or_saveexec_b64 s[6:7], s[6:7]
	v_mov_b32_e32 v2, s10
	s_xor_b64 exec, exec, s[6:7]
	s_cbranch_execnz .LBB6_2804
.LBB6_754:
	s_or_b64 exec, exec, s[6:7]
	s_and_saveexec_b64 s[6:7], s[4:5]
	s_cbranch_execz .LBB6_756
.LBB6_755:
	v_bfe_u32 v2, v9, 16, 3
	v_ffbh_u32_e32 v6, v2
	v_min_u32_e32 v6, 32, v6
	v_lshrrev_b32_e32 v3, 19, v9
	v_subrev_u32_e32 v7, 28, v6
	v_and_b32_e32 v3, 15, v3
	v_lshlrev_b32_sdwa v7, v7, v9 dst_sel:DWORD dst_unused:UNUSED_PAD src0_sel:DWORD src1_sel:WORD_1
	v_bfe_u32 v4, v9, 19, 4
	v_sub_u32_e32 v6, 29, v6
	v_and_b32_e32 v7, 7, v7
	v_cmp_eq_u16_e32 vcc, 0, v3
	v_cndmask_b32_e32 v2, v2, v7, vcc
	v_cndmask_b32_e32 v3, v4, v6, vcc
	v_lshlrev_b32_e32 v4, 8, v9
	v_mov_b32_e32 v6, 0x3b800000
	v_lshlrev_b32_e32 v2, 20, v2
	v_and_b32_e32 v4, 0x80000000, v4
	v_lshl_add_u32 v3, v3, 23, v6
	v_or3_b32 v2, v4, v3, v2
.LBB6_756:
	s_or_b64 exec, exec, s[6:7]
	s_movk_i32 s4, 0xff
	v_and_b32_sdwa v3, v5, s4 dst_sel:DWORD dst_unused:UNUSED_PAD src0_sel:WORD_1 src1_sel:DWORD
	s_movk_i32 s4, 0x7f
	v_cmp_lt_i16_e32 vcc, s4, v3
	s_mov_b64 s[4:5], 0
                                        ; implicit-def: $sgpr10
	s_and_saveexec_b64 s[6:7], vcc
	s_xor_b64 s[6:7], exec, s[6:7]
	s_cbranch_execnz .LBB6_2805
; %bb.757:
	s_or_saveexec_b64 s[6:7], s[6:7]
	v_mov_b32_e32 v4, s10
	s_xor_b64 exec, exec, s[6:7]
	s_cbranch_execnz .LBB6_2808
.LBB6_758:
	s_or_b64 exec, exec, s[6:7]
	s_and_saveexec_b64 s[6:7], s[4:5]
	s_cbranch_execz .LBB6_760
.LBB6_759:
	v_bfe_u32 v3, v5, 16, 3
	v_ffbh_u32_e32 v7, v3
	v_min_u32_e32 v7, 32, v7
	v_lshrrev_b32_e32 v4, 19, v5
	v_subrev_u32_e32 v8, 28, v7
	v_and_b32_e32 v4, 15, v4
	v_lshlrev_b32_sdwa v8, v8, v5 dst_sel:DWORD dst_unused:UNUSED_PAD src0_sel:DWORD src1_sel:WORD_1
	v_bfe_u32 v6, v5, 19, 4
	v_sub_u32_e32 v7, 29, v7
	v_and_b32_e32 v8, 7, v8
	v_cmp_eq_u16_e32 vcc, 0, v4
	v_cndmask_b32_e32 v3, v3, v8, vcc
	v_cndmask_b32_e32 v4, v6, v7, vcc
	v_lshlrev_b32_e32 v6, 8, v5
	v_mov_b32_e32 v7, 0x3b800000
	v_lshlrev_b32_e32 v3, 20, v3
	v_and_b32_e32 v6, 0x80000000, v6
	v_lshl_add_u32 v4, v4, 23, v7
	v_or3_b32 v4, v6, v4, v3
.LBB6_760:
	s_or_b64 exec, exec, s[6:7]
	s_nop 0
	v_mfma_f32_16x16x4f32 a[0:3], v2, v4, a[0:3]
	s_movk_i32 s4, 0x7f
	v_cmp_gt_i16_sdwa s[6:7], v9, s4 src0_sel:BYTE_3 src1_sel:DWORD
	s_mov_b64 s[4:5], 0
                                        ; implicit-def: $sgpr10
	s_and_saveexec_b64 s[8:9], s[6:7]
	s_xor_b64 s[6:7], exec, s[8:9]
	s_cbranch_execnz .LBB6_2809
; %bb.761:
	s_or_saveexec_b64 s[6:7], s[6:7]
	v_mov_b32_e32 v2, s10
	s_xor_b64 exec, exec, s[6:7]
	s_cbranch_execnz .LBB6_2812
.LBB6_762:
	s_or_b64 exec, exec, s[6:7]
	s_and_saveexec_b64 s[6:7], s[4:5]
	s_cbranch_execz .LBB6_764
.LBB6_763:
	v_bfe_u32 v2, v9, 24, 3
	v_ffbh_u32_e32 v7, v2
	v_min_u32_e32 v7, 32, v7
	v_lshrrev_b32_e32 v4, 27, v9
	v_subrev_u32_e32 v8, 28, v7
	v_and_b32_e32 v4, 15, v4
	v_lshlrev_b32_sdwa v8, v8, v9 dst_sel:DWORD dst_unused:UNUSED_PAD src0_sel:DWORD src1_sel:BYTE_3
	v_bfe_u32 v6, v9, 27, 4
	v_sub_u32_e32 v7, 29, v7
	v_and_b32_e32 v8, 7, v8
	v_cmp_eq_u16_e32 vcc, 0, v4
	v_cndmask_b32_e32 v2, v2, v8, vcc
	v_cndmask_b32_e32 v4, v6, v7, vcc
	v_mov_b32_e32 v6, 0x3b800000
	v_and_b32_e32 v3, 0x80000000, v9
	v_lshlrev_b32_e32 v2, 20, v2
	v_lshl_add_u32 v4, v4, 23, v6
	v_or3_b32 v2, v3, v4, v2
.LBB6_764:
	s_or_b64 exec, exec, s[6:7]
	s_movk_i32 s4, 0x7f
	v_cmp_gt_i16_sdwa s[6:7], v5, s4 src0_sel:BYTE_3 src1_sel:DWORD
	s_mov_b64 s[4:5], 0
                                        ; implicit-def: $sgpr10
	s_and_saveexec_b64 s[8:9], s[6:7]
	s_xor_b64 s[6:7], exec, s[8:9]
	s_cbranch_execnz .LBB6_2813
; %bb.765:
	s_or_saveexec_b64 s[6:7], s[6:7]
	v_mov_b32_e32 v3, s10
	s_xor_b64 exec, exec, s[6:7]
	s_cbranch_execnz .LBB6_2816
.LBB6_766:
	s_or_b64 exec, exec, s[6:7]
	s_and_saveexec_b64 s[6:7], s[4:5]
	s_cbranch_execz .LBB6_768
.LBB6_767:
	v_bfe_u32 v3, v5, 24, 3
	v_ffbh_u32_e32 v8, v3
	v_min_u32_e32 v8, 32, v8
	v_lshrrev_b32_e32 v6, 27, v5
	v_subrev_u32_e32 v9, 28, v8
	v_and_b32_e32 v4, 0x80000000, v5
	v_and_b32_e32 v6, 15, v6
	v_bfe_u32 v7, v5, 27, 4
	v_lshlrev_b32_sdwa v5, v9, v5 dst_sel:DWORD dst_unused:UNUSED_PAD src0_sel:DWORD src1_sel:BYTE_3
	v_sub_u32_e32 v8, 29, v8
	v_and_b32_e32 v5, 7, v5
	v_cmp_eq_u16_e32 vcc, 0, v6
	v_cndmask_b32_e32 v3, v3, v5, vcc
	v_cndmask_b32_e32 v5, v7, v8, vcc
	v_mov_b32_e32 v6, 0x3b800000
	v_lshlrev_b32_e32 v3, 20, v3
	v_lshl_add_u32 v5, v5, 23, v6
	v_or3_b32 v3, v4, v5, v3
.LBB6_768:
	s_or_b64 exec, exec, s[6:7]
	s_nop 0
	v_mfma_f32_16x16x4f32 a[0:3], v2, v3, a[0:3]
	s_movk_i32 s4, 0x7f
                                        ; implicit-def: $sgpr10
	s_nop 7
	s_nop 1
	flat_store_dwordx4 v[10:11], a[0:3] offset:80
	flat_load_dwordx4 v[12:15], v[0:1] offset:8
	s_nop 0
	flat_load_dwordx2 v[10:11], v[0:1] offset:32
	s_waitcnt vmcnt(0) lgkmcnt(0)
	flat_load_dwordx4 v[6:9], v[12:13] offset:48
	flat_load_dwordx4 v[2:5], v[14:15] offset:80
	s_waitcnt vmcnt(0) lgkmcnt(0)
	v_cmp_gt_i16_sdwa s[6:7], v6, s4 src0_sel:BYTE_0 src1_sel:DWORD
	s_mov_b64 s[4:5], 0
	s_and_saveexec_b64 s[8:9], s[6:7]
	s_xor_b64 s[6:7], exec, s[8:9]
	s_cbranch_execnz .LBB6_2817
; %bb.769:
	s_or_saveexec_b64 s[6:7], s[6:7]
	v_mov_b32_e32 v12, s10
	s_xor_b64 exec, exec, s[6:7]
	s_cbranch_execnz .LBB6_2820
.LBB6_770:
	s_or_b64 exec, exec, s[6:7]
	s_and_saveexec_b64 s[6:7], s[4:5]
	s_cbranch_execz .LBB6_772
.LBB6_771:
	v_and_b32_e32 v12, 7, v6
	v_ffbh_u32_e32 v14, v12
	v_min_u32_e32 v14, 32, v14
	v_lshrrev_b16_e32 v13, 3, v6
	v_subrev_u32_e32 v15, 28, v14
	v_and_b32_e32 v13, 15, v13
	v_lshlrev_b32_e32 v15, v15, v6
	v_sub_u32_e32 v14, 29, v14
	v_and_b32_e32 v15, 7, v15
	v_cmp_eq_u16_e32 vcc, 0, v13
	v_cndmask_b32_e32 v12, v12, v15, vcc
	v_cndmask_b32_e32 v13, v13, v14, vcc
	v_lshlrev_b32_e32 v14, 24, v6
	v_mov_b32_e32 v15, 0x3b800000
	v_lshlrev_b32_e32 v12, 20, v12
	v_and_b32_e32 v14, 0x80000000, v14
	v_lshl_add_u32 v13, v13, 23, v15
	v_or3_b32 v12, v14, v13, v12
.LBB6_772:
	s_or_b64 exec, exec, s[6:7]
	s_movk_i32 s4, 0x7f
	v_cmp_gt_i16_sdwa s[6:7], v2, s4 src0_sel:BYTE_0 src1_sel:DWORD
	s_mov_b64 s[4:5], 0
                                        ; implicit-def: $sgpr10
	s_and_saveexec_b64 s[8:9], s[6:7]
	s_xor_b64 s[6:7], exec, s[8:9]
	s_cbranch_execnz .LBB6_2821
; %bb.773:
	s_or_saveexec_b64 s[6:7], s[6:7]
	v_mov_b32_e32 v13, s10
	s_xor_b64 exec, exec, s[6:7]
	s_cbranch_execnz .LBB6_2824
.LBB6_774:
	s_or_b64 exec, exec, s[6:7]
	s_and_saveexec_b64 s[6:7], s[4:5]
	s_cbranch_execz .LBB6_776
.LBB6_775:
	v_and_b32_e32 v13, 7, v2
	v_ffbh_u32_e32 v15, v13
	v_min_u32_e32 v15, 32, v15
	v_lshrrev_b16_e32 v14, 3, v2
	v_subrev_u32_e32 v16, 28, v15
	v_and_b32_e32 v14, 15, v14
	v_lshlrev_b32_e32 v16, v16, v2
	v_sub_u32_e32 v15, 29, v15
	v_and_b32_e32 v16, 7, v16
	v_cmp_eq_u16_e32 vcc, 0, v14
	v_cndmask_b32_e32 v13, v13, v16, vcc
	v_cndmask_b32_e32 v14, v14, v15, vcc
	v_lshlrev_b32_e32 v15, 24, v2
	v_mov_b32_e32 v16, 0x3b800000
	v_lshlrev_b32_e32 v13, 20, v13
	v_and_b32_e32 v15, 0x80000000, v15
	v_lshl_add_u32 v14, v14, 23, v16
	v_or3_b32 v13, v15, v14, v13
.LBB6_776:
	s_or_b64 exec, exec, s[6:7]
	flat_load_dwordx4 a[0:3], v[10:11] offset:96
	s_movk_i32 s4, 0x7f
                                        ; implicit-def: $sgpr10
	s_waitcnt vmcnt(0) lgkmcnt(0)
	v_mfma_f32_16x16x4f32 a[0:3], v12, v13, a[0:3]
	v_lshrrev_b32_e32 v13, 8, v6
	v_cmp_gt_i16_sdwa s[6:7], v13, s4 src0_sel:BYTE_0 src1_sel:DWORD
	s_mov_b64 s[4:5], 0
	s_and_saveexec_b64 s[8:9], s[6:7]
	s_xor_b64 s[6:7], exec, s[8:9]
	s_cbranch_execnz .LBB6_2825
; %bb.777:
	s_or_saveexec_b64 s[6:7], s[6:7]
	v_mov_b32_e32 v12, s10
	s_xor_b64 exec, exec, s[6:7]
	s_cbranch_execnz .LBB6_2828
.LBB6_778:
	s_or_b64 exec, exec, s[6:7]
	s_and_saveexec_b64 s[6:7], s[4:5]
	s_cbranch_execz .LBB6_780
.LBB6_779:
	v_bfe_u32 v12, v6, 8, 3
	v_ffbh_u32_e32 v15, v12
	v_min_u32_e32 v15, 32, v15
	v_lshrrev_b16_e32 v14, 3, v13
	v_subrev_u32_e32 v16, 28, v15
	v_and_b32_e32 v14, 15, v14
	v_lshlrev_b32_e32 v13, v16, v13
	v_sub_u32_e32 v15, 29, v15
	v_and_b32_e32 v13, 7, v13
	v_cmp_eq_u16_e32 vcc, 0, v14
	v_cndmask_b32_e32 v12, v12, v13, vcc
	v_cndmask_b32_e32 v13, v14, v15, vcc
	v_lshlrev_b32_e32 v14, 16, v6
	v_mov_b32_e32 v15, 0x3b800000
	v_lshlrev_b32_e32 v12, 20, v12
	v_and_b32_e32 v14, 0x80000000, v14
	v_lshl_add_u32 v13, v13, 23, v15
	v_or3_b32 v12, v14, v13, v12
.LBB6_780:
	s_or_b64 exec, exec, s[6:7]
	v_lshrrev_b32_e32 v13, 8, v2
	s_movk_i32 s4, 0x7f
	v_cmp_gt_i16_sdwa s[6:7], v13, s4 src0_sel:BYTE_0 src1_sel:DWORD
	s_mov_b64 s[4:5], 0
                                        ; implicit-def: $sgpr10
	s_and_saveexec_b64 s[8:9], s[6:7]
	s_xor_b64 s[6:7], exec, s[8:9]
	s_cbranch_execnz .LBB6_2829
; %bb.781:
	s_or_saveexec_b64 s[6:7], s[6:7]
	v_mov_b32_e32 v14, s10
	s_xor_b64 exec, exec, s[6:7]
	s_cbranch_execnz .LBB6_2832
.LBB6_782:
	s_or_b64 exec, exec, s[6:7]
	s_and_saveexec_b64 s[6:7], s[4:5]
	s_cbranch_execz .LBB6_784
.LBB6_783:
	v_bfe_u32 v14, v2, 8, 3
	v_ffbh_u32_e32 v16, v14
	v_min_u32_e32 v16, 32, v16
	v_lshrrev_b16_e32 v15, 3, v13
	v_subrev_u32_e32 v17, 28, v16
	v_and_b32_e32 v15, 15, v15
	v_lshlrev_b32_e32 v13, v17, v13
	v_sub_u32_e32 v16, 29, v16
	v_and_b32_e32 v13, 7, v13
	v_cmp_eq_u16_e32 vcc, 0, v15
	v_cndmask_b32_e32 v13, v14, v13, vcc
	v_cndmask_b32_e32 v14, v15, v16, vcc
	v_lshlrev_b32_e32 v15, 16, v2
	v_mov_b32_e32 v16, 0x3b800000
	v_lshlrev_b32_e32 v13, 20, v13
	v_and_b32_e32 v15, 0x80000000, v15
	v_lshl_add_u32 v14, v14, 23, v16
	v_or3_b32 v14, v15, v14, v13
.LBB6_784:
	s_or_b64 exec, exec, s[6:7]
	s_nop 0
	v_mfma_f32_16x16x4f32 a[0:3], v12, v14, a[0:3]
	s_movk_i32 s4, 0xff
	v_and_b32_sdwa v13, v6, s4 dst_sel:DWORD dst_unused:UNUSED_PAD src0_sel:WORD_1 src1_sel:DWORD
	s_movk_i32 s4, 0x7f
	v_cmp_lt_i16_e32 vcc, s4, v13
	s_mov_b64 s[4:5], 0
                                        ; implicit-def: $sgpr10
	s_and_saveexec_b64 s[6:7], vcc
	s_xor_b64 s[6:7], exec, s[6:7]
	s_cbranch_execnz .LBB6_2833
; %bb.785:
	s_or_saveexec_b64 s[6:7], s[6:7]
	v_mov_b32_e32 v12, s10
	s_xor_b64 exec, exec, s[6:7]
	s_cbranch_execnz .LBB6_2836
.LBB6_786:
	s_or_b64 exec, exec, s[6:7]
	s_and_saveexec_b64 s[6:7], s[4:5]
	s_cbranch_execz .LBB6_788
.LBB6_787:
	v_bfe_u32 v12, v6, 16, 3
	v_ffbh_u32_e32 v15, v12
	v_min_u32_e32 v15, 32, v15
	v_lshrrev_b32_e32 v13, 19, v6
	v_subrev_u32_e32 v16, 28, v15
	v_and_b32_e32 v13, 15, v13
	v_lshlrev_b32_sdwa v16, v16, v6 dst_sel:DWORD dst_unused:UNUSED_PAD src0_sel:DWORD src1_sel:WORD_1
	v_bfe_u32 v14, v6, 19, 4
	v_sub_u32_e32 v15, 29, v15
	v_and_b32_e32 v16, 7, v16
	v_cmp_eq_u16_e32 vcc, 0, v13
	v_cndmask_b32_e32 v12, v12, v16, vcc
	v_cndmask_b32_e32 v13, v14, v15, vcc
	v_lshlrev_b32_e32 v14, 8, v6
	v_mov_b32_e32 v15, 0x3b800000
	v_lshlrev_b32_e32 v12, 20, v12
	v_and_b32_e32 v14, 0x80000000, v14
	v_lshl_add_u32 v13, v13, 23, v15
	v_or3_b32 v12, v14, v13, v12
.LBB6_788:
	s_or_b64 exec, exec, s[6:7]
	s_movk_i32 s4, 0xff
	v_and_b32_sdwa v13, v2, s4 dst_sel:DWORD dst_unused:UNUSED_PAD src0_sel:WORD_1 src1_sel:DWORD
	s_movk_i32 s4, 0x7f
	v_cmp_lt_i16_e32 vcc, s4, v13
	s_mov_b64 s[4:5], 0
                                        ; implicit-def: $sgpr10
	s_and_saveexec_b64 s[6:7], vcc
	s_xor_b64 s[6:7], exec, s[6:7]
	s_cbranch_execnz .LBB6_2837
; %bb.789:
	s_or_saveexec_b64 s[6:7], s[6:7]
	v_mov_b32_e32 v14, s10
	s_xor_b64 exec, exec, s[6:7]
	s_cbranch_execnz .LBB6_2840
.LBB6_790:
	s_or_b64 exec, exec, s[6:7]
	s_and_saveexec_b64 s[6:7], s[4:5]
	s_cbranch_execz .LBB6_792
.LBB6_791:
	v_bfe_u32 v13, v2, 16, 3
	v_ffbh_u32_e32 v16, v13
	v_min_u32_e32 v16, 32, v16
	v_lshrrev_b32_e32 v14, 19, v2
	v_subrev_u32_e32 v17, 28, v16
	v_and_b32_e32 v14, 15, v14
	v_lshlrev_b32_sdwa v17, v17, v2 dst_sel:DWORD dst_unused:UNUSED_PAD src0_sel:DWORD src1_sel:WORD_1
	v_bfe_u32 v15, v2, 19, 4
	v_sub_u32_e32 v16, 29, v16
	v_and_b32_e32 v17, 7, v17
	v_cmp_eq_u16_e32 vcc, 0, v14
	v_cndmask_b32_e32 v13, v13, v17, vcc
	v_cndmask_b32_e32 v14, v15, v16, vcc
	v_lshlrev_b32_e32 v15, 8, v2
	v_mov_b32_e32 v16, 0x3b800000
	v_lshlrev_b32_e32 v13, 20, v13
	v_and_b32_e32 v15, 0x80000000, v15
	v_lshl_add_u32 v14, v14, 23, v16
	v_or3_b32 v14, v15, v14, v13
.LBB6_792:
	s_or_b64 exec, exec, s[6:7]
	s_nop 0
	v_mfma_f32_16x16x4f32 a[0:3], v12, v14, a[0:3]
	s_movk_i32 s4, 0x7f
	v_cmp_gt_i16_sdwa s[6:7], v6, s4 src0_sel:BYTE_3 src1_sel:DWORD
	s_mov_b64 s[4:5], 0
                                        ; implicit-def: $sgpr10
	s_and_saveexec_b64 s[8:9], s[6:7]
	s_xor_b64 s[6:7], exec, s[8:9]
	s_cbranch_execnz .LBB6_2841
; %bb.793:
	s_or_saveexec_b64 s[6:7], s[6:7]
	v_mov_b32_e32 v12, s10
	s_xor_b64 exec, exec, s[6:7]
	s_cbranch_execnz .LBB6_2844
.LBB6_794:
	s_or_b64 exec, exec, s[6:7]
	s_and_saveexec_b64 s[6:7], s[4:5]
	s_cbranch_execz .LBB6_796
.LBB6_795:
	v_bfe_u32 v12, v6, 24, 3
	v_ffbh_u32_e32 v16, v12
	v_min_u32_e32 v16, 32, v16
	v_lshrrev_b32_e32 v14, 27, v6
	v_subrev_u32_e32 v17, 28, v16
	v_and_b32_e32 v13, 0x80000000, v6
	v_and_b32_e32 v14, 15, v14
	v_bfe_u32 v15, v6, 27, 4
	v_lshlrev_b32_sdwa v6, v17, v6 dst_sel:DWORD dst_unused:UNUSED_PAD src0_sel:DWORD src1_sel:BYTE_3
	v_sub_u32_e32 v16, 29, v16
	v_and_b32_e32 v6, 7, v6
	v_cmp_eq_u16_e32 vcc, 0, v14
	v_cndmask_b32_e32 v6, v12, v6, vcc
	v_cndmask_b32_e32 v12, v15, v16, vcc
	v_mov_b32_e32 v14, 0x3b800000
	v_lshlrev_b32_e32 v6, 20, v6
	v_lshl_add_u32 v12, v12, 23, v14
	v_or3_b32 v12, v13, v12, v6
.LBB6_796:
	s_or_b64 exec, exec, s[6:7]
	s_movk_i32 s4, 0x7f
	v_cmp_gt_i16_sdwa s[6:7], v2, s4 src0_sel:BYTE_3 src1_sel:DWORD
	s_mov_b64 s[4:5], 0
                                        ; implicit-def: $sgpr10
	s_and_saveexec_b64 s[8:9], s[6:7]
	s_xor_b64 s[6:7], exec, s[8:9]
	s_cbranch_execnz .LBB6_2845
; %bb.797:
	s_or_saveexec_b64 s[6:7], s[6:7]
	v_mov_b32_e32 v6, s10
	s_xor_b64 exec, exec, s[6:7]
	s_cbranch_execnz .LBB6_2848
.LBB6_798:
	s_or_b64 exec, exec, s[6:7]
	s_and_saveexec_b64 s[6:7], s[4:5]
	s_cbranch_execz .LBB6_800
.LBB6_799:
	v_bfe_u32 v6, v2, 24, 3
	v_ffbh_u32_e32 v16, v6
	v_min_u32_e32 v16, 32, v16
	v_lshrrev_b32_e32 v14, 27, v2
	v_subrev_u32_e32 v17, 28, v16
	v_and_b32_e32 v13, 0x80000000, v2
	v_and_b32_e32 v14, 15, v14
	v_bfe_u32 v15, v2, 27, 4
	v_lshlrev_b32_sdwa v2, v17, v2 dst_sel:DWORD dst_unused:UNUSED_PAD src0_sel:DWORD src1_sel:BYTE_3
	v_sub_u32_e32 v16, 29, v16
	v_and_b32_e32 v2, 7, v2
	v_cmp_eq_u16_e32 vcc, 0, v14
	v_cndmask_b32_e32 v2, v6, v2, vcc
	v_cndmask_b32_e32 v6, v15, v16, vcc
	v_mov_b32_e32 v14, 0x3b800000
	v_lshlrev_b32_e32 v2, 20, v2
	v_lshl_add_u32 v6, v6, 23, v14
	v_or3_b32 v6, v13, v6, v2
.LBB6_800:
	s_or_b64 exec, exec, s[6:7]
	s_nop 0
	v_mfma_f32_16x16x4f32 a[0:3], v12, v6, a[0:3]
	s_movk_i32 s4, 0x7f
	v_cmp_gt_i16_sdwa s[6:7], v7, s4 src0_sel:BYTE_0 src1_sel:DWORD
	s_mov_b64 s[4:5], 0
                                        ; implicit-def: $sgpr10
	s_and_saveexec_b64 s[8:9], s[6:7]
	s_xor_b64 s[6:7], exec, s[8:9]
	s_cbranch_execnz .LBB6_2849
; %bb.801:
	s_or_saveexec_b64 s[6:7], s[6:7]
	v_mov_b32_e32 v2, s10
	s_xor_b64 exec, exec, s[6:7]
	s_cbranch_execnz .LBB6_2852
.LBB6_802:
	s_or_b64 exec, exec, s[6:7]
	s_and_saveexec_b64 s[6:7], s[4:5]
	s_cbranch_execz .LBB6_804
.LBB6_803:
	v_and_b32_e32 v2, 7, v7
	v_ffbh_u32_e32 v12, v2
	v_min_u32_e32 v12, 32, v12
	v_lshrrev_b16_e32 v6, 3, v7
	v_subrev_u32_e32 v13, 28, v12
	v_and_b32_e32 v6, 15, v6
	v_lshlrev_b32_e32 v13, v13, v7
	v_sub_u32_e32 v12, 29, v12
	v_and_b32_e32 v13, 7, v13
	v_cmp_eq_u16_e32 vcc, 0, v6
	v_cndmask_b32_e32 v2, v2, v13, vcc
	v_cndmask_b32_e32 v6, v6, v12, vcc
	v_lshlrev_b32_e32 v12, 24, v7
	v_mov_b32_e32 v13, 0x3b800000
	v_lshlrev_b32_e32 v2, 20, v2
	v_and_b32_e32 v12, 0x80000000, v12
	v_lshl_add_u32 v6, v6, 23, v13
	v_or3_b32 v2, v12, v6, v2
.LBB6_804:
	s_or_b64 exec, exec, s[6:7]
	s_movk_i32 s4, 0x7f
	v_cmp_gt_i16_sdwa s[6:7], v3, s4 src0_sel:BYTE_0 src1_sel:DWORD
	s_mov_b64 s[4:5], 0
                                        ; implicit-def: $sgpr10
	s_and_saveexec_b64 s[8:9], s[6:7]
	s_xor_b64 s[6:7], exec, s[8:9]
	s_cbranch_execnz .LBB6_2853
; %bb.805:
	s_or_saveexec_b64 s[6:7], s[6:7]
	v_mov_b32_e32 v6, s10
	s_xor_b64 exec, exec, s[6:7]
	s_cbranch_execnz .LBB6_2856
.LBB6_806:
	s_or_b64 exec, exec, s[6:7]
	s_and_saveexec_b64 s[6:7], s[4:5]
	s_cbranch_execz .LBB6_808
.LBB6_807:
	v_and_b32_e32 v6, 7, v3
	v_ffbh_u32_e32 v13, v6
	v_min_u32_e32 v13, 32, v13
	v_lshrrev_b16_e32 v12, 3, v3
	v_subrev_u32_e32 v14, 28, v13
	v_and_b32_e32 v12, 15, v12
	v_lshlrev_b32_e32 v14, v14, v3
	v_sub_u32_e32 v13, 29, v13
	v_and_b32_e32 v14, 7, v14
	v_cmp_eq_u16_e32 vcc, 0, v12
	v_cndmask_b32_e32 v6, v6, v14, vcc
	v_cndmask_b32_e32 v12, v12, v13, vcc
	v_lshlrev_b32_e32 v13, 24, v3
	v_mov_b32_e32 v14, 0x3b800000
	v_lshlrev_b32_e32 v6, 20, v6
	v_and_b32_e32 v13, 0x80000000, v13
	v_lshl_add_u32 v12, v12, 23, v14
	v_or3_b32 v6, v13, v12, v6
.LBB6_808:
	s_or_b64 exec, exec, s[6:7]
	s_nop 0
	v_mfma_f32_16x16x4f32 a[0:3], v2, v6, a[0:3]
	v_lshrrev_b32_e32 v6, 8, v7
	s_movk_i32 s4, 0x7f
	v_cmp_gt_i16_sdwa s[6:7], v6, s4 src0_sel:BYTE_0 src1_sel:DWORD
	s_mov_b64 s[4:5], 0
                                        ; implicit-def: $sgpr10
	s_and_saveexec_b64 s[8:9], s[6:7]
	s_xor_b64 s[6:7], exec, s[8:9]
	s_cbranch_execnz .LBB6_2857
; %bb.809:
	s_or_saveexec_b64 s[6:7], s[6:7]
	v_mov_b32_e32 v2, s10
	s_xor_b64 exec, exec, s[6:7]
	s_cbranch_execnz .LBB6_2860
.LBB6_810:
	s_or_b64 exec, exec, s[6:7]
	s_and_saveexec_b64 s[6:7], s[4:5]
	s_cbranch_execz .LBB6_812
.LBB6_811:
	v_bfe_u32 v2, v7, 8, 3
	v_ffbh_u32_e32 v13, v2
	v_min_u32_e32 v13, 32, v13
	v_lshrrev_b16_e32 v12, 3, v6
	v_subrev_u32_e32 v14, 28, v13
	v_and_b32_e32 v12, 15, v12
	v_lshlrev_b32_e32 v6, v14, v6
	v_sub_u32_e32 v13, 29, v13
	v_and_b32_e32 v6, 7, v6
	v_cmp_eq_u16_e32 vcc, 0, v12
	v_cndmask_b32_e32 v2, v2, v6, vcc
	v_cndmask_b32_e32 v6, v12, v13, vcc
	v_lshlrev_b32_e32 v12, 16, v7
	v_mov_b32_e32 v13, 0x3b800000
	v_lshlrev_b32_e32 v2, 20, v2
	v_and_b32_e32 v12, 0x80000000, v12
	v_lshl_add_u32 v6, v6, 23, v13
	v_or3_b32 v2, v12, v6, v2
.LBB6_812:
	s_or_b64 exec, exec, s[6:7]
	v_lshrrev_b32_e32 v6, 8, v3
	s_movk_i32 s4, 0x7f
	v_cmp_gt_i16_sdwa s[6:7], v6, s4 src0_sel:BYTE_0 src1_sel:DWORD
	s_mov_b64 s[4:5], 0
                                        ; implicit-def: $sgpr10
	s_and_saveexec_b64 s[8:9], s[6:7]
	s_xor_b64 s[6:7], exec, s[8:9]
	s_cbranch_execnz .LBB6_2861
; %bb.813:
	s_or_saveexec_b64 s[6:7], s[6:7]
	v_mov_b32_e32 v12, s10
	s_xor_b64 exec, exec, s[6:7]
	s_cbranch_execnz .LBB6_2864
.LBB6_814:
	s_or_b64 exec, exec, s[6:7]
	s_and_saveexec_b64 s[6:7], s[4:5]
	s_cbranch_execz .LBB6_816
.LBB6_815:
	v_bfe_u32 v12, v3, 8, 3
	v_ffbh_u32_e32 v14, v12
	v_min_u32_e32 v14, 32, v14
	v_lshrrev_b16_e32 v13, 3, v6
	v_subrev_u32_e32 v15, 28, v14
	v_and_b32_e32 v13, 15, v13
	v_lshlrev_b32_e32 v6, v15, v6
	v_sub_u32_e32 v14, 29, v14
	v_and_b32_e32 v6, 7, v6
	v_cmp_eq_u16_e32 vcc, 0, v13
	v_cndmask_b32_e32 v6, v12, v6, vcc
	v_cndmask_b32_e32 v12, v13, v14, vcc
	v_lshlrev_b32_e32 v13, 16, v3
	v_mov_b32_e32 v14, 0x3b800000
	v_lshlrev_b32_e32 v6, 20, v6
	v_and_b32_e32 v13, 0x80000000, v13
	v_lshl_add_u32 v12, v12, 23, v14
	v_or3_b32 v12, v13, v12, v6
.LBB6_816:
	s_or_b64 exec, exec, s[6:7]
	s_nop 0
	v_mfma_f32_16x16x4f32 a[0:3], v2, v12, a[0:3]
	s_movk_i32 s4, 0xff
	v_and_b32_sdwa v6, v7, s4 dst_sel:DWORD dst_unused:UNUSED_PAD src0_sel:WORD_1 src1_sel:DWORD
	s_movk_i32 s4, 0x7f
	v_cmp_lt_i16_e32 vcc, s4, v6
	s_mov_b64 s[4:5], 0
                                        ; implicit-def: $sgpr10
	s_and_saveexec_b64 s[6:7], vcc
	s_xor_b64 s[6:7], exec, s[6:7]
	s_cbranch_execnz .LBB6_2865
; %bb.817:
	s_or_saveexec_b64 s[6:7], s[6:7]
	v_mov_b32_e32 v2, s10
	s_xor_b64 exec, exec, s[6:7]
	s_cbranch_execnz .LBB6_2868
.LBB6_818:
	s_or_b64 exec, exec, s[6:7]
	s_and_saveexec_b64 s[6:7], s[4:5]
	s_cbranch_execz .LBB6_820
.LBB6_819:
	v_bfe_u32 v2, v7, 16, 3
	v_ffbh_u32_e32 v13, v2
	v_min_u32_e32 v13, 32, v13
	v_lshrrev_b32_e32 v6, 19, v7
	v_subrev_u32_e32 v14, 28, v13
	v_and_b32_e32 v6, 15, v6
	v_lshlrev_b32_sdwa v14, v14, v7 dst_sel:DWORD dst_unused:UNUSED_PAD src0_sel:DWORD src1_sel:WORD_1
	v_bfe_u32 v12, v7, 19, 4
	v_sub_u32_e32 v13, 29, v13
	v_and_b32_e32 v14, 7, v14
	v_cmp_eq_u16_e32 vcc, 0, v6
	v_cndmask_b32_e32 v2, v2, v14, vcc
	v_cndmask_b32_e32 v6, v12, v13, vcc
	v_lshlrev_b32_e32 v12, 8, v7
	v_mov_b32_e32 v13, 0x3b800000
	v_lshlrev_b32_e32 v2, 20, v2
	v_and_b32_e32 v12, 0x80000000, v12
	v_lshl_add_u32 v6, v6, 23, v13
	v_or3_b32 v2, v12, v6, v2
.LBB6_820:
	s_or_b64 exec, exec, s[6:7]
	s_movk_i32 s4, 0xff
	v_and_b32_sdwa v6, v3, s4 dst_sel:DWORD dst_unused:UNUSED_PAD src0_sel:WORD_1 src1_sel:DWORD
	s_movk_i32 s4, 0x7f
	v_cmp_lt_i16_e32 vcc, s4, v6
	s_mov_b64 s[4:5], 0
                                        ; implicit-def: $sgpr10
	s_and_saveexec_b64 s[6:7], vcc
	s_xor_b64 s[6:7], exec, s[6:7]
	s_cbranch_execnz .LBB6_2869
; %bb.821:
	s_or_saveexec_b64 s[6:7], s[6:7]
	v_mov_b32_e32 v12, s10
	s_xor_b64 exec, exec, s[6:7]
	s_cbranch_execnz .LBB6_2872
.LBB6_822:
	s_or_b64 exec, exec, s[6:7]
	s_and_saveexec_b64 s[6:7], s[4:5]
	s_cbranch_execz .LBB6_824
.LBB6_823:
	v_bfe_u32 v6, v3, 16, 3
	v_ffbh_u32_e32 v14, v6
	v_min_u32_e32 v14, 32, v14
	v_lshrrev_b32_e32 v12, 19, v3
	v_subrev_u32_e32 v15, 28, v14
	v_and_b32_e32 v12, 15, v12
	v_lshlrev_b32_sdwa v15, v15, v3 dst_sel:DWORD dst_unused:UNUSED_PAD src0_sel:DWORD src1_sel:WORD_1
	v_bfe_u32 v13, v3, 19, 4
	v_sub_u32_e32 v14, 29, v14
	v_and_b32_e32 v15, 7, v15
	v_cmp_eq_u16_e32 vcc, 0, v12
	v_cndmask_b32_e32 v6, v6, v15, vcc
	v_cndmask_b32_e32 v12, v13, v14, vcc
	v_lshlrev_b32_e32 v13, 8, v3
	v_mov_b32_e32 v14, 0x3b800000
	v_lshlrev_b32_e32 v6, 20, v6
	v_and_b32_e32 v13, 0x80000000, v13
	v_lshl_add_u32 v12, v12, 23, v14
	v_or3_b32 v12, v13, v12, v6
.LBB6_824:
	s_or_b64 exec, exec, s[6:7]
	s_nop 0
	v_mfma_f32_16x16x4f32 a[0:3], v2, v12, a[0:3]
	s_movk_i32 s4, 0x7f
	v_cmp_gt_i16_sdwa s[6:7], v7, s4 src0_sel:BYTE_3 src1_sel:DWORD
	s_mov_b64 s[4:5], 0
                                        ; implicit-def: $sgpr10
	s_and_saveexec_b64 s[8:9], s[6:7]
	s_xor_b64 s[6:7], exec, s[8:9]
	s_cbranch_execnz .LBB6_2873
; %bb.825:
	s_or_saveexec_b64 s[6:7], s[6:7]
	v_mov_b32_e32 v2, s10
	s_xor_b64 exec, exec, s[6:7]
	s_cbranch_execnz .LBB6_2876
.LBB6_826:
	s_or_b64 exec, exec, s[6:7]
	s_and_saveexec_b64 s[6:7], s[4:5]
	s_cbranch_execz .LBB6_828
.LBB6_827:
	v_bfe_u32 v2, v7, 24, 3
	v_ffbh_u32_e32 v14, v2
	v_min_u32_e32 v14, 32, v14
	v_lshrrev_b32_e32 v12, 27, v7
	v_subrev_u32_e32 v15, 28, v14
	v_and_b32_e32 v6, 0x80000000, v7
	v_and_b32_e32 v12, 15, v12
	v_bfe_u32 v13, v7, 27, 4
	v_lshlrev_b32_sdwa v7, v15, v7 dst_sel:DWORD dst_unused:UNUSED_PAD src0_sel:DWORD src1_sel:BYTE_3
	v_sub_u32_e32 v14, 29, v14
	v_and_b32_e32 v7, 7, v7
	v_cmp_eq_u16_e32 vcc, 0, v12
	v_cndmask_b32_e32 v2, v2, v7, vcc
	v_cndmask_b32_e32 v7, v13, v14, vcc
	v_mov_b32_e32 v12, 0x3b800000
	v_lshlrev_b32_e32 v2, 20, v2
	v_lshl_add_u32 v7, v7, 23, v12
	v_or3_b32 v2, v6, v7, v2
.LBB6_828:
	s_or_b64 exec, exec, s[6:7]
	s_movk_i32 s4, 0x7f
	v_cmp_gt_i16_sdwa s[6:7], v3, s4 src0_sel:BYTE_3 src1_sel:DWORD
	s_mov_b64 s[4:5], 0
                                        ; implicit-def: $sgpr10
	s_and_saveexec_b64 s[8:9], s[6:7]
	s_xor_b64 s[6:7], exec, s[8:9]
	s_cbranch_execnz .LBB6_2877
; %bb.829:
	s_or_saveexec_b64 s[6:7], s[6:7]
	v_mov_b32_e32 v6, s10
	s_xor_b64 exec, exec, s[6:7]
	s_cbranch_execnz .LBB6_2880
.LBB6_830:
	s_or_b64 exec, exec, s[6:7]
	s_and_saveexec_b64 s[6:7], s[4:5]
	s_cbranch_execz .LBB6_832
.LBB6_831:
	v_bfe_u32 v6, v3, 24, 3
	v_ffbh_u32_e32 v14, v6
	v_min_u32_e32 v14, 32, v14
	v_lshrrev_b32_e32 v12, 27, v3
	v_subrev_u32_e32 v15, 28, v14
	v_and_b32_e32 v7, 0x80000000, v3
	v_and_b32_e32 v12, 15, v12
	v_bfe_u32 v13, v3, 27, 4
	v_lshlrev_b32_sdwa v3, v15, v3 dst_sel:DWORD dst_unused:UNUSED_PAD src0_sel:DWORD src1_sel:BYTE_3
	v_sub_u32_e32 v14, 29, v14
	v_and_b32_e32 v3, 7, v3
	v_cmp_eq_u16_e32 vcc, 0, v12
	v_cndmask_b32_e32 v3, v6, v3, vcc
	v_cndmask_b32_e32 v6, v13, v14, vcc
	v_mov_b32_e32 v12, 0x3b800000
	v_lshlrev_b32_e32 v3, 20, v3
	v_lshl_add_u32 v6, v6, 23, v12
	v_or3_b32 v6, v7, v6, v3
.LBB6_832:
	s_or_b64 exec, exec, s[6:7]
	s_nop 0
	v_mfma_f32_16x16x4f32 a[0:3], v2, v6, a[0:3]
	s_movk_i32 s4, 0x7f
	v_cmp_gt_i16_sdwa s[6:7], v8, s4 src0_sel:BYTE_0 src1_sel:DWORD
	s_mov_b64 s[4:5], 0
                                        ; implicit-def: $sgpr10
	s_and_saveexec_b64 s[8:9], s[6:7]
	s_xor_b64 s[6:7], exec, s[8:9]
	s_cbranch_execnz .LBB6_2881
; %bb.833:
	s_or_saveexec_b64 s[6:7], s[6:7]
	v_mov_b32_e32 v2, s10
	s_xor_b64 exec, exec, s[6:7]
	s_cbranch_execnz .LBB6_2884
.LBB6_834:
	s_or_b64 exec, exec, s[6:7]
	s_and_saveexec_b64 s[6:7], s[4:5]
	s_cbranch_execz .LBB6_836
.LBB6_835:
	v_and_b32_e32 v2, 7, v8
	v_ffbh_u32_e32 v6, v2
	v_min_u32_e32 v6, 32, v6
	v_lshrrev_b16_e32 v3, 3, v8
	v_subrev_u32_e32 v7, 28, v6
	v_and_b32_e32 v3, 15, v3
	v_lshlrev_b32_e32 v7, v7, v8
	v_sub_u32_e32 v6, 29, v6
	v_and_b32_e32 v7, 7, v7
	v_cmp_eq_u16_e32 vcc, 0, v3
	v_cndmask_b32_e32 v2, v2, v7, vcc
	v_cndmask_b32_e32 v3, v3, v6, vcc
	v_lshlrev_b32_e32 v6, 24, v8
	v_mov_b32_e32 v7, 0x3b800000
	v_lshlrev_b32_e32 v2, 20, v2
	v_and_b32_e32 v6, 0x80000000, v6
	v_lshl_add_u32 v3, v3, 23, v7
	v_or3_b32 v2, v6, v3, v2
.LBB6_836:
	s_or_b64 exec, exec, s[6:7]
	s_movk_i32 s4, 0x7f
	v_cmp_gt_i16_sdwa s[6:7], v4, s4 src0_sel:BYTE_0 src1_sel:DWORD
	s_mov_b64 s[4:5], 0
                                        ; implicit-def: $sgpr10
	s_and_saveexec_b64 s[8:9], s[6:7]
	s_xor_b64 s[6:7], exec, s[8:9]
	s_cbranch_execnz .LBB6_2885
; %bb.837:
	s_or_saveexec_b64 s[6:7], s[6:7]
	v_mov_b32_e32 v3, s10
	s_xor_b64 exec, exec, s[6:7]
	s_cbranch_execnz .LBB6_2888
.LBB6_838:
	s_or_b64 exec, exec, s[6:7]
	s_and_saveexec_b64 s[6:7], s[4:5]
	s_cbranch_execz .LBB6_840
.LBB6_839:
	v_and_b32_e32 v3, 7, v4
	v_ffbh_u32_e32 v7, v3
	v_min_u32_e32 v7, 32, v7
	v_lshrrev_b16_e32 v6, 3, v4
	v_subrev_u32_e32 v12, 28, v7
	v_and_b32_e32 v6, 15, v6
	v_lshlrev_b32_e32 v12, v12, v4
	v_sub_u32_e32 v7, 29, v7
	v_and_b32_e32 v12, 7, v12
	v_cmp_eq_u16_e32 vcc, 0, v6
	v_cndmask_b32_e32 v3, v3, v12, vcc
	v_cndmask_b32_e32 v6, v6, v7, vcc
	v_lshlrev_b32_e32 v7, 24, v4
	v_mov_b32_e32 v12, 0x3b800000
	v_lshlrev_b32_e32 v3, 20, v3
	v_and_b32_e32 v7, 0x80000000, v7
	v_lshl_add_u32 v6, v6, 23, v12
	v_or3_b32 v3, v7, v6, v3
.LBB6_840:
	s_or_b64 exec, exec, s[6:7]
	s_nop 0
	v_mfma_f32_16x16x4f32 a[0:3], v2, v3, a[0:3]
	v_lshrrev_b32_e32 v3, 8, v8
	s_movk_i32 s4, 0x7f
	v_cmp_gt_i16_sdwa s[6:7], v3, s4 src0_sel:BYTE_0 src1_sel:DWORD
	s_mov_b64 s[4:5], 0
                                        ; implicit-def: $sgpr10
	s_and_saveexec_b64 s[8:9], s[6:7]
	s_xor_b64 s[6:7], exec, s[8:9]
	s_cbranch_execnz .LBB6_2889
; %bb.841:
	s_or_saveexec_b64 s[6:7], s[6:7]
	v_mov_b32_e32 v2, s10
	s_xor_b64 exec, exec, s[6:7]
	s_cbranch_execnz .LBB6_2892
.LBB6_842:
	s_or_b64 exec, exec, s[6:7]
	s_and_saveexec_b64 s[6:7], s[4:5]
	s_cbranch_execz .LBB6_844
.LBB6_843:
	v_bfe_u32 v2, v8, 8, 3
	v_ffbh_u32_e32 v7, v2
	v_min_u32_e32 v7, 32, v7
	v_lshrrev_b16_e32 v6, 3, v3
	v_subrev_u32_e32 v12, 28, v7
	v_and_b32_e32 v6, 15, v6
	v_lshlrev_b32_e32 v3, v12, v3
	v_sub_u32_e32 v7, 29, v7
	v_and_b32_e32 v3, 7, v3
	v_cmp_eq_u16_e32 vcc, 0, v6
	v_cndmask_b32_e32 v2, v2, v3, vcc
	v_cndmask_b32_e32 v3, v6, v7, vcc
	v_lshlrev_b32_e32 v6, 16, v8
	v_mov_b32_e32 v7, 0x3b800000
	v_lshlrev_b32_e32 v2, 20, v2
	v_and_b32_e32 v6, 0x80000000, v6
	v_lshl_add_u32 v3, v3, 23, v7
	v_or3_b32 v2, v6, v3, v2
.LBB6_844:
	s_or_b64 exec, exec, s[6:7]
	v_lshrrev_b32_e32 v3, 8, v4
	s_movk_i32 s4, 0x7f
	v_cmp_gt_i16_sdwa s[6:7], v3, s4 src0_sel:BYTE_0 src1_sel:DWORD
	s_mov_b64 s[4:5], 0
                                        ; implicit-def: $sgpr10
	s_and_saveexec_b64 s[8:9], s[6:7]
	s_xor_b64 s[6:7], exec, s[8:9]
	s_cbranch_execnz .LBB6_2893
; %bb.845:
	s_or_saveexec_b64 s[6:7], s[6:7]
	v_mov_b32_e32 v6, s10
	s_xor_b64 exec, exec, s[6:7]
	s_cbranch_execnz .LBB6_2896
.LBB6_846:
	s_or_b64 exec, exec, s[6:7]
	s_and_saveexec_b64 s[6:7], s[4:5]
	s_cbranch_execz .LBB6_848
.LBB6_847:
	v_bfe_u32 v6, v4, 8, 3
	v_ffbh_u32_e32 v12, v6
	v_min_u32_e32 v12, 32, v12
	v_lshrrev_b16_e32 v7, 3, v3
	v_subrev_u32_e32 v13, 28, v12
	v_and_b32_e32 v7, 15, v7
	v_lshlrev_b32_e32 v3, v13, v3
	v_sub_u32_e32 v12, 29, v12
	v_and_b32_e32 v3, 7, v3
	v_cmp_eq_u16_e32 vcc, 0, v7
	v_cndmask_b32_e32 v3, v6, v3, vcc
	v_cndmask_b32_e32 v6, v7, v12, vcc
	v_lshlrev_b32_e32 v7, 16, v4
	v_mov_b32_e32 v12, 0x3b800000
	v_lshlrev_b32_e32 v3, 20, v3
	v_and_b32_e32 v7, 0x80000000, v7
	v_lshl_add_u32 v6, v6, 23, v12
	v_or3_b32 v6, v7, v6, v3
.LBB6_848:
	s_or_b64 exec, exec, s[6:7]
	s_nop 0
	v_mfma_f32_16x16x4f32 a[0:3], v2, v6, a[0:3]
	s_movk_i32 s4, 0xff
	v_and_b32_sdwa v3, v8, s4 dst_sel:DWORD dst_unused:UNUSED_PAD src0_sel:WORD_1 src1_sel:DWORD
	s_movk_i32 s4, 0x7f
	v_cmp_lt_i16_e32 vcc, s4, v3
	s_mov_b64 s[4:5], 0
                                        ; implicit-def: $sgpr10
	s_and_saveexec_b64 s[6:7], vcc
	s_xor_b64 s[6:7], exec, s[6:7]
	s_cbranch_execnz .LBB6_2897
; %bb.849:
	s_or_saveexec_b64 s[6:7], s[6:7]
	v_mov_b32_e32 v2, s10
	s_xor_b64 exec, exec, s[6:7]
	s_cbranch_execnz .LBB6_2900
.LBB6_850:
	s_or_b64 exec, exec, s[6:7]
	s_and_saveexec_b64 s[6:7], s[4:5]
	s_cbranch_execz .LBB6_852
.LBB6_851:
	v_bfe_u32 v2, v8, 16, 3
	v_ffbh_u32_e32 v7, v2
	v_min_u32_e32 v7, 32, v7
	v_lshrrev_b32_e32 v3, 19, v8
	v_subrev_u32_e32 v12, 28, v7
	v_and_b32_e32 v3, 15, v3
	v_lshlrev_b32_sdwa v12, v12, v8 dst_sel:DWORD dst_unused:UNUSED_PAD src0_sel:DWORD src1_sel:WORD_1
	v_bfe_u32 v6, v8, 19, 4
	v_sub_u32_e32 v7, 29, v7
	v_and_b32_e32 v12, 7, v12
	v_cmp_eq_u16_e32 vcc, 0, v3
	v_cndmask_b32_e32 v2, v2, v12, vcc
	v_cndmask_b32_e32 v3, v6, v7, vcc
	v_lshlrev_b32_e32 v6, 8, v8
	v_mov_b32_e32 v7, 0x3b800000
	v_lshlrev_b32_e32 v2, 20, v2
	v_and_b32_e32 v6, 0x80000000, v6
	v_lshl_add_u32 v3, v3, 23, v7
	v_or3_b32 v2, v6, v3, v2
.LBB6_852:
	s_or_b64 exec, exec, s[6:7]
	s_movk_i32 s4, 0xff
	v_and_b32_sdwa v3, v4, s4 dst_sel:DWORD dst_unused:UNUSED_PAD src0_sel:WORD_1 src1_sel:DWORD
	s_movk_i32 s4, 0x7f
	v_cmp_lt_i16_e32 vcc, s4, v3
	s_mov_b64 s[4:5], 0
                                        ; implicit-def: $sgpr10
	s_and_saveexec_b64 s[6:7], vcc
	s_xor_b64 s[6:7], exec, s[6:7]
	s_cbranch_execnz .LBB6_2901
; %bb.853:
	s_or_saveexec_b64 s[6:7], s[6:7]
	v_mov_b32_e32 v6, s10
	s_xor_b64 exec, exec, s[6:7]
	s_cbranch_execnz .LBB6_2904
.LBB6_854:
	s_or_b64 exec, exec, s[6:7]
	s_and_saveexec_b64 s[6:7], s[4:5]
	s_cbranch_execz .LBB6_856
.LBB6_855:
	v_bfe_u32 v3, v4, 16, 3
	v_ffbh_u32_e32 v12, v3
	v_min_u32_e32 v12, 32, v12
	v_lshrrev_b32_e32 v6, 19, v4
	v_subrev_u32_e32 v13, 28, v12
	v_and_b32_e32 v6, 15, v6
	v_lshlrev_b32_sdwa v13, v13, v4 dst_sel:DWORD dst_unused:UNUSED_PAD src0_sel:DWORD src1_sel:WORD_1
	v_bfe_u32 v7, v4, 19, 4
	v_sub_u32_e32 v12, 29, v12
	v_and_b32_e32 v13, 7, v13
	v_cmp_eq_u16_e32 vcc, 0, v6
	v_cndmask_b32_e32 v3, v3, v13, vcc
	v_cndmask_b32_e32 v6, v7, v12, vcc
	v_lshlrev_b32_e32 v7, 8, v4
	v_mov_b32_e32 v12, 0x3b800000
	v_lshlrev_b32_e32 v3, 20, v3
	v_and_b32_e32 v7, 0x80000000, v7
	v_lshl_add_u32 v6, v6, 23, v12
	v_or3_b32 v6, v7, v6, v3
.LBB6_856:
	s_or_b64 exec, exec, s[6:7]
	s_nop 0
	v_mfma_f32_16x16x4f32 a[0:3], v2, v6, a[0:3]
	s_movk_i32 s4, 0x7f
	v_cmp_gt_i16_sdwa s[6:7], v8, s4 src0_sel:BYTE_3 src1_sel:DWORD
	s_mov_b64 s[4:5], 0
                                        ; implicit-def: $sgpr10
	s_and_saveexec_b64 s[8:9], s[6:7]
	s_xor_b64 s[6:7], exec, s[8:9]
	s_cbranch_execnz .LBB6_2905
; %bb.857:
	s_or_saveexec_b64 s[6:7], s[6:7]
	v_mov_b32_e32 v2, s10
	s_xor_b64 exec, exec, s[6:7]
	s_cbranch_execnz .LBB6_2908
.LBB6_858:
	s_or_b64 exec, exec, s[6:7]
	s_and_saveexec_b64 s[6:7], s[4:5]
	s_cbranch_execz .LBB6_860
.LBB6_859:
	v_bfe_u32 v2, v8, 24, 3
	v_ffbh_u32_e32 v12, v2
	v_min_u32_e32 v12, 32, v12
	v_lshrrev_b32_e32 v6, 27, v8
	v_subrev_u32_e32 v13, 28, v12
	v_and_b32_e32 v3, 0x80000000, v8
	v_and_b32_e32 v6, 15, v6
	v_bfe_u32 v7, v8, 27, 4
	v_lshlrev_b32_sdwa v8, v13, v8 dst_sel:DWORD dst_unused:UNUSED_PAD src0_sel:DWORD src1_sel:BYTE_3
	v_sub_u32_e32 v12, 29, v12
	v_and_b32_e32 v8, 7, v8
	v_cmp_eq_u16_e32 vcc, 0, v6
	v_cndmask_b32_e32 v2, v2, v8, vcc
	v_cndmask_b32_e32 v6, v7, v12, vcc
	v_mov_b32_e32 v7, 0x3b800000
	v_lshlrev_b32_e32 v2, 20, v2
	v_lshl_add_u32 v6, v6, 23, v7
	v_or3_b32 v2, v3, v6, v2
.LBB6_860:
	s_or_b64 exec, exec, s[6:7]
	s_movk_i32 s4, 0x7f
	v_cmp_gt_i16_sdwa s[6:7], v4, s4 src0_sel:BYTE_3 src1_sel:DWORD
	s_mov_b64 s[4:5], 0
                                        ; implicit-def: $sgpr10
	s_and_saveexec_b64 s[8:9], s[6:7]
	s_xor_b64 s[6:7], exec, s[8:9]
	s_cbranch_execnz .LBB6_2909
; %bb.861:
	s_or_saveexec_b64 s[6:7], s[6:7]
	v_mov_b32_e32 v3, s10
	s_xor_b64 exec, exec, s[6:7]
	s_cbranch_execnz .LBB6_2912
.LBB6_862:
	s_or_b64 exec, exec, s[6:7]
	s_and_saveexec_b64 s[6:7], s[4:5]
	s_cbranch_execz .LBB6_864
.LBB6_863:
	v_bfe_u32 v3, v4, 24, 3
	v_ffbh_u32_e32 v12, v3
	v_min_u32_e32 v12, 32, v12
	v_lshrrev_b32_e32 v7, 27, v4
	v_subrev_u32_e32 v13, 28, v12
	v_and_b32_e32 v6, 0x80000000, v4
	v_and_b32_e32 v7, 15, v7
	v_bfe_u32 v8, v4, 27, 4
	v_lshlrev_b32_sdwa v4, v13, v4 dst_sel:DWORD dst_unused:UNUSED_PAD src0_sel:DWORD src1_sel:BYTE_3
	v_sub_u32_e32 v12, 29, v12
	v_and_b32_e32 v4, 7, v4
	v_cmp_eq_u16_e32 vcc, 0, v7
	v_cndmask_b32_e32 v3, v3, v4, vcc
	v_cndmask_b32_e32 v4, v8, v12, vcc
	v_mov_b32_e32 v7, 0x3b800000
	v_lshlrev_b32_e32 v3, 20, v3
	v_lshl_add_u32 v4, v4, 23, v7
	v_or3_b32 v3, v6, v4, v3
.LBB6_864:
	s_or_b64 exec, exec, s[6:7]
	s_nop 0
	v_mfma_f32_16x16x4f32 a[0:3], v2, v3, a[0:3]
	s_movk_i32 s4, 0x7f
	v_cmp_gt_i16_sdwa s[6:7], v9, s4 src0_sel:BYTE_0 src1_sel:DWORD
	s_mov_b64 s[4:5], 0
                                        ; implicit-def: $sgpr10
	s_and_saveexec_b64 s[8:9], s[6:7]
	s_xor_b64 s[6:7], exec, s[8:9]
	s_cbranch_execnz .LBB6_2913
; %bb.865:
	s_or_saveexec_b64 s[6:7], s[6:7]
	v_mov_b32_e32 v2, s10
	s_xor_b64 exec, exec, s[6:7]
	s_cbranch_execnz .LBB6_2916
.LBB6_866:
	s_or_b64 exec, exec, s[6:7]
	s_and_saveexec_b64 s[6:7], s[4:5]
	s_cbranch_execz .LBB6_868
.LBB6_867:
	v_mov_b32_e32 v2, 8
	v_and_b32_e32 v3, 7, v9
	v_lshrrev_b32_sdwa v2, v2, v9 dst_sel:BYTE_1 dst_unused:UNUSED_PAD src0_sel:DWORD src1_sel:DWORD
	v_ffbh_u32_e32 v4, v3
	v_or_b32_sdwa v2, v9, v2 dst_sel:DWORD dst_unused:UNUSED_PAD src0_sel:BYTE_0 src1_sel:DWORD
	v_min_u32_e32 v4, 32, v4
	v_lshrrev_b16_e32 v2, 3, v2
	v_subrev_u32_e32 v6, 28, v4
	v_and_b32_e32 v2, 15, v2
	v_lshlrev_b32_e32 v6, v6, v9
	v_sub_u32_e32 v4, 29, v4
	v_and_b32_e32 v6, 7, v6
	v_cmp_eq_u16_e32 vcc, 0, v2
	v_cndmask_b32_e32 v3, v3, v6, vcc
	v_cndmask_b32_e32 v2, v2, v4, vcc
	v_lshlrev_b32_e32 v4, 24, v9
	v_mov_b32_e32 v6, 0x3b800000
	v_lshlrev_b32_e32 v3, 20, v3
	v_and_b32_e32 v4, 0x80000000, v4
	v_lshl_add_u32 v2, v2, 23, v6
	v_or3_b32 v2, v4, v2, v3
.LBB6_868:
	s_or_b64 exec, exec, s[6:7]
	s_movk_i32 s4, 0x7f
	v_cmp_gt_i16_sdwa s[6:7], v5, s4 src0_sel:BYTE_0 src1_sel:DWORD
	s_mov_b64 s[4:5], 0
                                        ; implicit-def: $sgpr10
	s_and_saveexec_b64 s[8:9], s[6:7]
	s_xor_b64 s[6:7], exec, s[8:9]
	s_cbranch_execnz .LBB6_2917
; %bb.869:
	s_or_saveexec_b64 s[6:7], s[6:7]
	v_mov_b32_e32 v3, s10
	s_xor_b64 exec, exec, s[6:7]
	s_cbranch_execnz .LBB6_2920
.LBB6_870:
	s_or_b64 exec, exec, s[6:7]
	s_and_saveexec_b64 s[6:7], s[4:5]
	s_cbranch_execz .LBB6_872
.LBB6_871:
	v_mov_b32_e32 v3, 8
	v_and_b32_e32 v4, 7, v5
	v_lshrrev_b32_sdwa v3, v3, v5 dst_sel:BYTE_1 dst_unused:UNUSED_PAD src0_sel:DWORD src1_sel:DWORD
	v_ffbh_u32_e32 v6, v4
	v_or_b32_sdwa v3, v5, v3 dst_sel:DWORD dst_unused:UNUSED_PAD src0_sel:BYTE_0 src1_sel:DWORD
	v_min_u32_e32 v6, 32, v6
	v_lshrrev_b16_e32 v3, 3, v3
	v_subrev_u32_e32 v7, 28, v6
	v_and_b32_e32 v3, 15, v3
	v_lshlrev_b32_e32 v7, v7, v5
	v_sub_u32_e32 v6, 29, v6
	v_and_b32_e32 v7, 7, v7
	v_cmp_eq_u16_e32 vcc, 0, v3
	v_cndmask_b32_e32 v4, v4, v7, vcc
	v_cndmask_b32_e32 v3, v3, v6, vcc
	v_lshlrev_b32_e32 v6, 24, v5
	v_mov_b32_e32 v7, 0x3b800000
	v_lshlrev_b32_e32 v4, 20, v4
	v_and_b32_e32 v6, 0x80000000, v6
	v_lshl_add_u32 v3, v3, 23, v7
	v_or3_b32 v3, v6, v3, v4
.LBB6_872:
	s_or_b64 exec, exec, s[6:7]
	s_nop 0
	v_mfma_f32_16x16x4f32 a[0:3], v2, v3, a[0:3]
	v_lshrrev_b32_e32 v3, 8, v9
	s_movk_i32 s4, 0x7f
	v_cmp_gt_i16_sdwa s[6:7], v3, s4 src0_sel:BYTE_0 src1_sel:DWORD
	s_mov_b64 s[4:5], 0
                                        ; implicit-def: $sgpr10
	s_and_saveexec_b64 s[8:9], s[6:7]
	s_xor_b64 s[6:7], exec, s[8:9]
	s_cbranch_execnz .LBB6_2921
; %bb.873:
	s_or_saveexec_b64 s[6:7], s[6:7]
	v_mov_b32_e32 v2, s10
	s_xor_b64 exec, exec, s[6:7]
	s_cbranch_execnz .LBB6_2924
.LBB6_874:
	s_or_b64 exec, exec, s[6:7]
	s_and_saveexec_b64 s[6:7], s[4:5]
	s_cbranch_execz .LBB6_876
.LBB6_875:
	v_bfe_u32 v2, v9, 8, 3
	v_ffbh_u32_e32 v6, v2
	v_min_u32_e32 v6, 32, v6
	v_lshrrev_b16_e32 v4, 3, v3
	v_subrev_u32_e32 v7, 28, v6
	v_and_b32_e32 v4, 15, v4
	v_lshlrev_b32_e32 v3, v7, v3
	v_sub_u32_e32 v6, 29, v6
	v_and_b32_e32 v3, 7, v3
	v_cmp_eq_u16_e32 vcc, 0, v4
	v_cndmask_b32_e32 v2, v2, v3, vcc
	v_cndmask_b32_e32 v3, v4, v6, vcc
	v_lshlrev_b32_e32 v4, 16, v9
	v_mov_b32_e32 v6, 0x3b800000
	v_lshlrev_b32_e32 v2, 20, v2
	v_and_b32_e32 v4, 0x80000000, v4
	v_lshl_add_u32 v3, v3, 23, v6
	v_or3_b32 v2, v4, v3, v2
.LBB6_876:
	s_or_b64 exec, exec, s[6:7]
	v_lshrrev_b32_e32 v3, 8, v5
	s_movk_i32 s4, 0x7f
	v_cmp_gt_i16_sdwa s[6:7], v3, s4 src0_sel:BYTE_0 src1_sel:DWORD
	s_mov_b64 s[4:5], 0
                                        ; implicit-def: $sgpr10
	s_and_saveexec_b64 s[8:9], s[6:7]
	s_xor_b64 s[6:7], exec, s[8:9]
	s_cbranch_execnz .LBB6_2925
; %bb.877:
	s_or_saveexec_b64 s[6:7], s[6:7]
	v_mov_b32_e32 v4, s10
	s_xor_b64 exec, exec, s[6:7]
	s_cbranch_execnz .LBB6_2928
.LBB6_878:
	s_or_b64 exec, exec, s[6:7]
	s_and_saveexec_b64 s[6:7], s[4:5]
	s_cbranch_execz .LBB6_880
.LBB6_879:
	v_bfe_u32 v4, v5, 8, 3
	v_ffbh_u32_e32 v7, v4
	v_min_u32_e32 v7, 32, v7
	v_lshrrev_b16_e32 v6, 3, v3
	v_subrev_u32_e32 v8, 28, v7
	v_and_b32_e32 v6, 15, v6
	v_lshlrev_b32_e32 v3, v8, v3
	v_sub_u32_e32 v7, 29, v7
	v_and_b32_e32 v3, 7, v3
	v_cmp_eq_u16_e32 vcc, 0, v6
	v_cndmask_b32_e32 v3, v4, v3, vcc
	v_cndmask_b32_e32 v4, v6, v7, vcc
	v_lshlrev_b32_e32 v6, 16, v5
	v_mov_b32_e32 v7, 0x3b800000
	v_lshlrev_b32_e32 v3, 20, v3
	v_and_b32_e32 v6, 0x80000000, v6
	v_lshl_add_u32 v4, v4, 23, v7
	v_or3_b32 v4, v6, v4, v3
.LBB6_880:
	s_or_b64 exec, exec, s[6:7]
	s_nop 0
	v_mfma_f32_16x16x4f32 a[0:3], v2, v4, a[0:3]
	s_movk_i32 s4, 0xff
	v_and_b32_sdwa v3, v9, s4 dst_sel:DWORD dst_unused:UNUSED_PAD src0_sel:WORD_1 src1_sel:DWORD
	s_movk_i32 s4, 0x7f
	v_cmp_lt_i16_e32 vcc, s4, v3
	s_mov_b64 s[4:5], 0
                                        ; implicit-def: $sgpr10
	s_and_saveexec_b64 s[6:7], vcc
	s_xor_b64 s[6:7], exec, s[6:7]
	s_cbranch_execnz .LBB6_2929
; %bb.881:
	s_or_saveexec_b64 s[6:7], s[6:7]
	v_mov_b32_e32 v2, s10
	s_xor_b64 exec, exec, s[6:7]
	s_cbranch_execnz .LBB6_2932
.LBB6_882:
	s_or_b64 exec, exec, s[6:7]
	s_and_saveexec_b64 s[6:7], s[4:5]
	s_cbranch_execz .LBB6_884
.LBB6_883:
	v_bfe_u32 v2, v9, 16, 3
	v_ffbh_u32_e32 v6, v2
	v_min_u32_e32 v6, 32, v6
	v_lshrrev_b32_e32 v3, 19, v9
	v_subrev_u32_e32 v7, 28, v6
	v_and_b32_e32 v3, 15, v3
	v_lshlrev_b32_sdwa v7, v7, v9 dst_sel:DWORD dst_unused:UNUSED_PAD src0_sel:DWORD src1_sel:WORD_1
	v_bfe_u32 v4, v9, 19, 4
	v_sub_u32_e32 v6, 29, v6
	v_and_b32_e32 v7, 7, v7
	v_cmp_eq_u16_e32 vcc, 0, v3
	v_cndmask_b32_e32 v2, v2, v7, vcc
	v_cndmask_b32_e32 v3, v4, v6, vcc
	v_lshlrev_b32_e32 v4, 8, v9
	v_mov_b32_e32 v6, 0x3b800000
	v_lshlrev_b32_e32 v2, 20, v2
	v_and_b32_e32 v4, 0x80000000, v4
	v_lshl_add_u32 v3, v3, 23, v6
	v_or3_b32 v2, v4, v3, v2
.LBB6_884:
	s_or_b64 exec, exec, s[6:7]
	s_movk_i32 s4, 0xff
	v_and_b32_sdwa v3, v5, s4 dst_sel:DWORD dst_unused:UNUSED_PAD src0_sel:WORD_1 src1_sel:DWORD
	s_movk_i32 s4, 0x7f
	v_cmp_lt_i16_e32 vcc, s4, v3
	s_mov_b64 s[4:5], 0
                                        ; implicit-def: $sgpr10
	s_and_saveexec_b64 s[6:7], vcc
	s_xor_b64 s[6:7], exec, s[6:7]
	s_cbranch_execnz .LBB6_2933
; %bb.885:
	s_or_saveexec_b64 s[6:7], s[6:7]
	v_mov_b32_e32 v4, s10
	s_xor_b64 exec, exec, s[6:7]
	s_cbranch_execnz .LBB6_2936
.LBB6_886:
	s_or_b64 exec, exec, s[6:7]
	s_and_saveexec_b64 s[6:7], s[4:5]
	s_cbranch_execz .LBB6_888
.LBB6_887:
	v_bfe_u32 v3, v5, 16, 3
	v_ffbh_u32_e32 v7, v3
	v_min_u32_e32 v7, 32, v7
	v_lshrrev_b32_e32 v4, 19, v5
	v_subrev_u32_e32 v8, 28, v7
	v_and_b32_e32 v4, 15, v4
	v_lshlrev_b32_sdwa v8, v8, v5 dst_sel:DWORD dst_unused:UNUSED_PAD src0_sel:DWORD src1_sel:WORD_1
	v_bfe_u32 v6, v5, 19, 4
	v_sub_u32_e32 v7, 29, v7
	v_and_b32_e32 v8, 7, v8
	v_cmp_eq_u16_e32 vcc, 0, v4
	v_cndmask_b32_e32 v3, v3, v8, vcc
	v_cndmask_b32_e32 v4, v6, v7, vcc
	v_lshlrev_b32_e32 v6, 8, v5
	v_mov_b32_e32 v7, 0x3b800000
	v_lshlrev_b32_e32 v3, 20, v3
	v_and_b32_e32 v6, 0x80000000, v6
	v_lshl_add_u32 v4, v4, 23, v7
	v_or3_b32 v4, v6, v4, v3
.LBB6_888:
	s_or_b64 exec, exec, s[6:7]
	s_nop 0
	v_mfma_f32_16x16x4f32 a[0:3], v2, v4, a[0:3]
	s_movk_i32 s4, 0x7f
	v_cmp_gt_i16_sdwa s[6:7], v9, s4 src0_sel:BYTE_3 src1_sel:DWORD
	s_mov_b64 s[4:5], 0
                                        ; implicit-def: $sgpr10
	s_and_saveexec_b64 s[8:9], s[6:7]
	s_xor_b64 s[6:7], exec, s[8:9]
	s_cbranch_execnz .LBB6_2937
; %bb.889:
	s_or_saveexec_b64 s[6:7], s[6:7]
	v_mov_b32_e32 v2, s10
	s_xor_b64 exec, exec, s[6:7]
	s_cbranch_execnz .LBB6_2940
.LBB6_890:
	s_or_b64 exec, exec, s[6:7]
	s_and_saveexec_b64 s[6:7], s[4:5]
	s_cbranch_execz .LBB6_892
.LBB6_891:
	v_bfe_u32 v2, v9, 24, 3
	v_ffbh_u32_e32 v7, v2
	v_min_u32_e32 v7, 32, v7
	v_lshrrev_b32_e32 v4, 27, v9
	v_subrev_u32_e32 v8, 28, v7
	v_and_b32_e32 v4, 15, v4
	v_lshlrev_b32_sdwa v8, v8, v9 dst_sel:DWORD dst_unused:UNUSED_PAD src0_sel:DWORD src1_sel:BYTE_3
	v_bfe_u32 v6, v9, 27, 4
	v_sub_u32_e32 v7, 29, v7
	v_and_b32_e32 v8, 7, v8
	v_cmp_eq_u16_e32 vcc, 0, v4
	v_cndmask_b32_e32 v2, v2, v8, vcc
	v_cndmask_b32_e32 v4, v6, v7, vcc
	v_mov_b32_e32 v6, 0x3b800000
	v_and_b32_e32 v3, 0x80000000, v9
	v_lshlrev_b32_e32 v2, 20, v2
	v_lshl_add_u32 v4, v4, 23, v6
	v_or3_b32 v2, v3, v4, v2
.LBB6_892:
	s_or_b64 exec, exec, s[6:7]
	s_movk_i32 s4, 0x7f
	v_cmp_gt_i16_sdwa s[6:7], v5, s4 src0_sel:BYTE_3 src1_sel:DWORD
	s_mov_b64 s[4:5], 0
                                        ; implicit-def: $sgpr10
	s_and_saveexec_b64 s[8:9], s[6:7]
	s_xor_b64 s[6:7], exec, s[8:9]
	s_cbranch_execnz .LBB6_2941
; %bb.893:
	s_or_saveexec_b64 s[6:7], s[6:7]
	v_mov_b32_e32 v3, s10
	s_xor_b64 exec, exec, s[6:7]
	s_cbranch_execnz .LBB6_2944
.LBB6_894:
	s_or_b64 exec, exec, s[6:7]
	s_and_saveexec_b64 s[6:7], s[4:5]
	s_cbranch_execz .LBB6_896
.LBB6_895:
	v_bfe_u32 v3, v5, 24, 3
	v_ffbh_u32_e32 v8, v3
	v_min_u32_e32 v8, 32, v8
	v_lshrrev_b32_e32 v6, 27, v5
	v_subrev_u32_e32 v9, 28, v8
	v_and_b32_e32 v4, 0x80000000, v5
	v_and_b32_e32 v6, 15, v6
	v_bfe_u32 v7, v5, 27, 4
	v_lshlrev_b32_sdwa v5, v9, v5 dst_sel:DWORD dst_unused:UNUSED_PAD src0_sel:DWORD src1_sel:BYTE_3
	v_sub_u32_e32 v8, 29, v8
	v_and_b32_e32 v5, 7, v5
	v_cmp_eq_u16_e32 vcc, 0, v6
	v_cndmask_b32_e32 v3, v3, v5, vcc
	v_cndmask_b32_e32 v5, v7, v8, vcc
	v_mov_b32_e32 v6, 0x3b800000
	v_lshlrev_b32_e32 v3, 20, v3
	v_lshl_add_u32 v5, v5, 23, v6
	v_or3_b32 v3, v4, v5, v3
.LBB6_896:
	s_or_b64 exec, exec, s[6:7]
	s_nop 0
	v_mfma_f32_16x16x4f32 a[0:3], v2, v3, a[0:3]
	s_movk_i32 s4, 0x7f
                                        ; implicit-def: $sgpr10
	s_nop 7
	s_nop 1
	flat_store_dwordx4 v[10:11], a[0:3] offset:96
	flat_load_dwordx4 v[12:15], v[0:1] offset:8
	s_nop 0
	flat_load_dwordx2 v[10:11], v[0:1] offset:32
	s_waitcnt vmcnt(0) lgkmcnt(0)
	flat_load_dwordx4 v[6:9], v[12:13] offset:48
	flat_load_dwordx4 v[2:5], v[14:15] offset:112
	s_waitcnt vmcnt(0) lgkmcnt(0)
	v_cmp_gt_i16_sdwa s[6:7], v6, s4 src0_sel:BYTE_0 src1_sel:DWORD
	s_mov_b64 s[4:5], 0
	s_and_saveexec_b64 s[8:9], s[6:7]
	s_xor_b64 s[6:7], exec, s[8:9]
	s_cbranch_execnz .LBB6_2945
; %bb.897:
	s_or_saveexec_b64 s[6:7], s[6:7]
	v_mov_b32_e32 v12, s10
	s_xor_b64 exec, exec, s[6:7]
	s_cbranch_execnz .LBB6_2948
.LBB6_898:
	s_or_b64 exec, exec, s[6:7]
	s_and_saveexec_b64 s[6:7], s[4:5]
	s_cbranch_execz .LBB6_900
.LBB6_899:
	v_and_b32_e32 v12, 7, v6
	v_ffbh_u32_e32 v14, v12
	v_min_u32_e32 v14, 32, v14
	v_lshrrev_b16_e32 v13, 3, v6
	v_subrev_u32_e32 v15, 28, v14
	v_and_b32_e32 v13, 15, v13
	v_lshlrev_b32_e32 v15, v15, v6
	v_sub_u32_e32 v14, 29, v14
	v_and_b32_e32 v15, 7, v15
	v_cmp_eq_u16_e32 vcc, 0, v13
	v_cndmask_b32_e32 v12, v12, v15, vcc
	v_cndmask_b32_e32 v13, v13, v14, vcc
	v_lshlrev_b32_e32 v14, 24, v6
	v_mov_b32_e32 v15, 0x3b800000
	v_lshlrev_b32_e32 v12, 20, v12
	v_and_b32_e32 v14, 0x80000000, v14
	v_lshl_add_u32 v13, v13, 23, v15
	v_or3_b32 v12, v14, v13, v12
.LBB6_900:
	s_or_b64 exec, exec, s[6:7]
	s_movk_i32 s4, 0x7f
	v_cmp_gt_i16_sdwa s[6:7], v2, s4 src0_sel:BYTE_0 src1_sel:DWORD
	s_mov_b64 s[4:5], 0
                                        ; implicit-def: $sgpr10
	s_and_saveexec_b64 s[8:9], s[6:7]
	s_xor_b64 s[6:7], exec, s[8:9]
	s_cbranch_execnz .LBB6_2949
; %bb.901:
	s_or_saveexec_b64 s[6:7], s[6:7]
	v_mov_b32_e32 v13, s10
	s_xor_b64 exec, exec, s[6:7]
	s_cbranch_execnz .LBB6_2952
.LBB6_902:
	s_or_b64 exec, exec, s[6:7]
	s_and_saveexec_b64 s[6:7], s[4:5]
	s_cbranch_execz .LBB6_904
.LBB6_903:
	v_and_b32_e32 v13, 7, v2
	v_ffbh_u32_e32 v15, v13
	v_min_u32_e32 v15, 32, v15
	v_lshrrev_b16_e32 v14, 3, v2
	v_subrev_u32_e32 v16, 28, v15
	v_and_b32_e32 v14, 15, v14
	v_lshlrev_b32_e32 v16, v16, v2
	v_sub_u32_e32 v15, 29, v15
	v_and_b32_e32 v16, 7, v16
	v_cmp_eq_u16_e32 vcc, 0, v14
	v_cndmask_b32_e32 v13, v13, v16, vcc
	v_cndmask_b32_e32 v14, v14, v15, vcc
	v_lshlrev_b32_e32 v15, 24, v2
	v_mov_b32_e32 v16, 0x3b800000
	v_lshlrev_b32_e32 v13, 20, v13
	v_and_b32_e32 v15, 0x80000000, v15
	v_lshl_add_u32 v14, v14, 23, v16
	v_or3_b32 v13, v15, v14, v13
.LBB6_904:
	s_or_b64 exec, exec, s[6:7]
	flat_load_dwordx4 a[0:3], v[10:11] offset:112
	s_movk_i32 s4, 0x7f
                                        ; implicit-def: $sgpr10
	s_waitcnt vmcnt(0) lgkmcnt(0)
	v_mfma_f32_16x16x4f32 a[0:3], v12, v13, a[0:3]
	v_lshrrev_b32_e32 v13, 8, v6
	v_cmp_gt_i16_sdwa s[6:7], v13, s4 src0_sel:BYTE_0 src1_sel:DWORD
	s_mov_b64 s[4:5], 0
	s_and_saveexec_b64 s[8:9], s[6:7]
	s_xor_b64 s[6:7], exec, s[8:9]
	s_cbranch_execnz .LBB6_2953
; %bb.905:
	s_or_saveexec_b64 s[6:7], s[6:7]
	v_mov_b32_e32 v12, s10
	s_xor_b64 exec, exec, s[6:7]
	s_cbranch_execnz .LBB6_2956
.LBB6_906:
	s_or_b64 exec, exec, s[6:7]
	s_and_saveexec_b64 s[6:7], s[4:5]
	s_cbranch_execz .LBB6_908
.LBB6_907:
	v_bfe_u32 v12, v6, 8, 3
	v_ffbh_u32_e32 v15, v12
	v_min_u32_e32 v15, 32, v15
	v_lshrrev_b16_e32 v14, 3, v13
	v_subrev_u32_e32 v16, 28, v15
	v_and_b32_e32 v14, 15, v14
	v_lshlrev_b32_e32 v13, v16, v13
	v_sub_u32_e32 v15, 29, v15
	v_and_b32_e32 v13, 7, v13
	v_cmp_eq_u16_e32 vcc, 0, v14
	v_cndmask_b32_e32 v12, v12, v13, vcc
	v_cndmask_b32_e32 v13, v14, v15, vcc
	v_lshlrev_b32_e32 v14, 16, v6
	v_mov_b32_e32 v15, 0x3b800000
	v_lshlrev_b32_e32 v12, 20, v12
	v_and_b32_e32 v14, 0x80000000, v14
	v_lshl_add_u32 v13, v13, 23, v15
	v_or3_b32 v12, v14, v13, v12
.LBB6_908:
	s_or_b64 exec, exec, s[6:7]
	v_lshrrev_b32_e32 v13, 8, v2
	s_movk_i32 s4, 0x7f
	v_cmp_gt_i16_sdwa s[6:7], v13, s4 src0_sel:BYTE_0 src1_sel:DWORD
	s_mov_b64 s[4:5], 0
                                        ; implicit-def: $sgpr10
	s_and_saveexec_b64 s[8:9], s[6:7]
	s_xor_b64 s[6:7], exec, s[8:9]
	s_cbranch_execnz .LBB6_2957
; %bb.909:
	s_or_saveexec_b64 s[6:7], s[6:7]
	v_mov_b32_e32 v14, s10
	s_xor_b64 exec, exec, s[6:7]
	s_cbranch_execnz .LBB6_2960
.LBB6_910:
	s_or_b64 exec, exec, s[6:7]
	s_and_saveexec_b64 s[6:7], s[4:5]
	s_cbranch_execz .LBB6_912
.LBB6_911:
	v_bfe_u32 v14, v2, 8, 3
	v_ffbh_u32_e32 v16, v14
	v_min_u32_e32 v16, 32, v16
	v_lshrrev_b16_e32 v15, 3, v13
	v_subrev_u32_e32 v17, 28, v16
	v_and_b32_e32 v15, 15, v15
	v_lshlrev_b32_e32 v13, v17, v13
	v_sub_u32_e32 v16, 29, v16
	v_and_b32_e32 v13, 7, v13
	v_cmp_eq_u16_e32 vcc, 0, v15
	v_cndmask_b32_e32 v13, v14, v13, vcc
	v_cndmask_b32_e32 v14, v15, v16, vcc
	v_lshlrev_b32_e32 v15, 16, v2
	v_mov_b32_e32 v16, 0x3b800000
	v_lshlrev_b32_e32 v13, 20, v13
	v_and_b32_e32 v15, 0x80000000, v15
	v_lshl_add_u32 v14, v14, 23, v16
	v_or3_b32 v14, v15, v14, v13
.LBB6_912:
	s_or_b64 exec, exec, s[6:7]
	s_nop 0
	v_mfma_f32_16x16x4f32 a[0:3], v12, v14, a[0:3]
	s_movk_i32 s4, 0xff
	v_and_b32_sdwa v13, v6, s4 dst_sel:DWORD dst_unused:UNUSED_PAD src0_sel:WORD_1 src1_sel:DWORD
	s_movk_i32 s4, 0x7f
	v_cmp_lt_i16_e32 vcc, s4, v13
	s_mov_b64 s[4:5], 0
                                        ; implicit-def: $sgpr10
	s_and_saveexec_b64 s[6:7], vcc
	s_xor_b64 s[6:7], exec, s[6:7]
	s_cbranch_execnz .LBB6_2961
; %bb.913:
	s_or_saveexec_b64 s[6:7], s[6:7]
	v_mov_b32_e32 v12, s10
	s_xor_b64 exec, exec, s[6:7]
	s_cbranch_execnz .LBB6_2964
.LBB6_914:
	s_or_b64 exec, exec, s[6:7]
	s_and_saveexec_b64 s[6:7], s[4:5]
	s_cbranch_execz .LBB6_916
.LBB6_915:
	v_bfe_u32 v12, v6, 16, 3
	v_ffbh_u32_e32 v15, v12
	v_min_u32_e32 v15, 32, v15
	v_lshrrev_b32_e32 v13, 19, v6
	v_subrev_u32_e32 v16, 28, v15
	v_and_b32_e32 v13, 15, v13
	v_lshlrev_b32_sdwa v16, v16, v6 dst_sel:DWORD dst_unused:UNUSED_PAD src0_sel:DWORD src1_sel:WORD_1
	v_bfe_u32 v14, v6, 19, 4
	v_sub_u32_e32 v15, 29, v15
	v_and_b32_e32 v16, 7, v16
	v_cmp_eq_u16_e32 vcc, 0, v13
	v_cndmask_b32_e32 v12, v12, v16, vcc
	v_cndmask_b32_e32 v13, v14, v15, vcc
	v_lshlrev_b32_e32 v14, 8, v6
	v_mov_b32_e32 v15, 0x3b800000
	v_lshlrev_b32_e32 v12, 20, v12
	v_and_b32_e32 v14, 0x80000000, v14
	v_lshl_add_u32 v13, v13, 23, v15
	v_or3_b32 v12, v14, v13, v12
.LBB6_916:
	s_or_b64 exec, exec, s[6:7]
	s_movk_i32 s4, 0xff
	v_and_b32_sdwa v13, v2, s4 dst_sel:DWORD dst_unused:UNUSED_PAD src0_sel:WORD_1 src1_sel:DWORD
	s_movk_i32 s4, 0x7f
	v_cmp_lt_i16_e32 vcc, s4, v13
	s_mov_b64 s[4:5], 0
                                        ; implicit-def: $sgpr10
	s_and_saveexec_b64 s[6:7], vcc
	s_xor_b64 s[6:7], exec, s[6:7]
	s_cbranch_execnz .LBB6_2965
; %bb.917:
	s_or_saveexec_b64 s[6:7], s[6:7]
	v_mov_b32_e32 v14, s10
	s_xor_b64 exec, exec, s[6:7]
	s_cbranch_execnz .LBB6_2968
.LBB6_918:
	s_or_b64 exec, exec, s[6:7]
	s_and_saveexec_b64 s[6:7], s[4:5]
	s_cbranch_execz .LBB6_920
.LBB6_919:
	v_bfe_u32 v13, v2, 16, 3
	v_ffbh_u32_e32 v16, v13
	v_min_u32_e32 v16, 32, v16
	v_lshrrev_b32_e32 v14, 19, v2
	v_subrev_u32_e32 v17, 28, v16
	v_and_b32_e32 v14, 15, v14
	v_lshlrev_b32_sdwa v17, v17, v2 dst_sel:DWORD dst_unused:UNUSED_PAD src0_sel:DWORD src1_sel:WORD_1
	v_bfe_u32 v15, v2, 19, 4
	v_sub_u32_e32 v16, 29, v16
	v_and_b32_e32 v17, 7, v17
	v_cmp_eq_u16_e32 vcc, 0, v14
	v_cndmask_b32_e32 v13, v13, v17, vcc
	v_cndmask_b32_e32 v14, v15, v16, vcc
	v_lshlrev_b32_e32 v15, 8, v2
	v_mov_b32_e32 v16, 0x3b800000
	v_lshlrev_b32_e32 v13, 20, v13
	v_and_b32_e32 v15, 0x80000000, v15
	v_lshl_add_u32 v14, v14, 23, v16
	v_or3_b32 v14, v15, v14, v13
.LBB6_920:
	s_or_b64 exec, exec, s[6:7]
	s_nop 0
	v_mfma_f32_16x16x4f32 a[0:3], v12, v14, a[0:3]
	s_movk_i32 s4, 0x7f
	v_cmp_gt_i16_sdwa s[6:7], v6, s4 src0_sel:BYTE_3 src1_sel:DWORD
	s_mov_b64 s[4:5], 0
                                        ; implicit-def: $sgpr10
	s_and_saveexec_b64 s[8:9], s[6:7]
	s_xor_b64 s[6:7], exec, s[8:9]
	s_cbranch_execnz .LBB6_2969
; %bb.921:
	s_or_saveexec_b64 s[6:7], s[6:7]
	v_mov_b32_e32 v12, s10
	s_xor_b64 exec, exec, s[6:7]
	s_cbranch_execnz .LBB6_2972
.LBB6_922:
	s_or_b64 exec, exec, s[6:7]
	s_and_saveexec_b64 s[6:7], s[4:5]
	s_cbranch_execz .LBB6_924
.LBB6_923:
	v_bfe_u32 v12, v6, 24, 3
	v_ffbh_u32_e32 v16, v12
	v_min_u32_e32 v16, 32, v16
	v_lshrrev_b32_e32 v14, 27, v6
	v_subrev_u32_e32 v17, 28, v16
	v_and_b32_e32 v13, 0x80000000, v6
	v_and_b32_e32 v14, 15, v14
	v_bfe_u32 v15, v6, 27, 4
	v_lshlrev_b32_sdwa v6, v17, v6 dst_sel:DWORD dst_unused:UNUSED_PAD src0_sel:DWORD src1_sel:BYTE_3
	v_sub_u32_e32 v16, 29, v16
	v_and_b32_e32 v6, 7, v6
	v_cmp_eq_u16_e32 vcc, 0, v14
	v_cndmask_b32_e32 v6, v12, v6, vcc
	v_cndmask_b32_e32 v12, v15, v16, vcc
	v_mov_b32_e32 v14, 0x3b800000
	v_lshlrev_b32_e32 v6, 20, v6
	v_lshl_add_u32 v12, v12, 23, v14
	v_or3_b32 v12, v13, v12, v6
.LBB6_924:
	s_or_b64 exec, exec, s[6:7]
	s_movk_i32 s4, 0x7f
	v_cmp_gt_i16_sdwa s[6:7], v2, s4 src0_sel:BYTE_3 src1_sel:DWORD
	s_mov_b64 s[4:5], 0
                                        ; implicit-def: $sgpr10
	s_and_saveexec_b64 s[8:9], s[6:7]
	s_xor_b64 s[6:7], exec, s[8:9]
	s_cbranch_execnz .LBB6_2973
; %bb.925:
	s_or_saveexec_b64 s[6:7], s[6:7]
	v_mov_b32_e32 v6, s10
	s_xor_b64 exec, exec, s[6:7]
	s_cbranch_execnz .LBB6_2976
.LBB6_926:
	s_or_b64 exec, exec, s[6:7]
	s_and_saveexec_b64 s[6:7], s[4:5]
	s_cbranch_execz .LBB6_928
.LBB6_927:
	v_bfe_u32 v6, v2, 24, 3
	v_ffbh_u32_e32 v16, v6
	v_min_u32_e32 v16, 32, v16
	v_lshrrev_b32_e32 v14, 27, v2
	v_subrev_u32_e32 v17, 28, v16
	v_and_b32_e32 v13, 0x80000000, v2
	v_and_b32_e32 v14, 15, v14
	v_bfe_u32 v15, v2, 27, 4
	v_lshlrev_b32_sdwa v2, v17, v2 dst_sel:DWORD dst_unused:UNUSED_PAD src0_sel:DWORD src1_sel:BYTE_3
	v_sub_u32_e32 v16, 29, v16
	v_and_b32_e32 v2, 7, v2
	v_cmp_eq_u16_e32 vcc, 0, v14
	v_cndmask_b32_e32 v2, v6, v2, vcc
	v_cndmask_b32_e32 v6, v15, v16, vcc
	v_mov_b32_e32 v14, 0x3b800000
	v_lshlrev_b32_e32 v2, 20, v2
	v_lshl_add_u32 v6, v6, 23, v14
	v_or3_b32 v6, v13, v6, v2
.LBB6_928:
	s_or_b64 exec, exec, s[6:7]
	s_nop 0
	v_mfma_f32_16x16x4f32 a[0:3], v12, v6, a[0:3]
	s_movk_i32 s4, 0x7f
	v_cmp_gt_i16_sdwa s[6:7], v7, s4 src0_sel:BYTE_0 src1_sel:DWORD
	s_mov_b64 s[4:5], 0
                                        ; implicit-def: $sgpr10
	s_and_saveexec_b64 s[8:9], s[6:7]
	s_xor_b64 s[6:7], exec, s[8:9]
	s_cbranch_execnz .LBB6_2977
; %bb.929:
	s_or_saveexec_b64 s[6:7], s[6:7]
	v_mov_b32_e32 v2, s10
	s_xor_b64 exec, exec, s[6:7]
	s_cbranch_execnz .LBB6_2980
.LBB6_930:
	s_or_b64 exec, exec, s[6:7]
	s_and_saveexec_b64 s[6:7], s[4:5]
	s_cbranch_execz .LBB6_932
.LBB6_931:
	v_and_b32_e32 v2, 7, v7
	v_ffbh_u32_e32 v12, v2
	v_min_u32_e32 v12, 32, v12
	v_lshrrev_b16_e32 v6, 3, v7
	v_subrev_u32_e32 v13, 28, v12
	v_and_b32_e32 v6, 15, v6
	v_lshlrev_b32_e32 v13, v13, v7
	v_sub_u32_e32 v12, 29, v12
	v_and_b32_e32 v13, 7, v13
	v_cmp_eq_u16_e32 vcc, 0, v6
	v_cndmask_b32_e32 v2, v2, v13, vcc
	v_cndmask_b32_e32 v6, v6, v12, vcc
	v_lshlrev_b32_e32 v12, 24, v7
	v_mov_b32_e32 v13, 0x3b800000
	v_lshlrev_b32_e32 v2, 20, v2
	v_and_b32_e32 v12, 0x80000000, v12
	v_lshl_add_u32 v6, v6, 23, v13
	v_or3_b32 v2, v12, v6, v2
.LBB6_932:
	s_or_b64 exec, exec, s[6:7]
	s_movk_i32 s4, 0x7f
	v_cmp_gt_i16_sdwa s[6:7], v3, s4 src0_sel:BYTE_0 src1_sel:DWORD
	s_mov_b64 s[4:5], 0
                                        ; implicit-def: $sgpr10
	s_and_saveexec_b64 s[8:9], s[6:7]
	s_xor_b64 s[6:7], exec, s[8:9]
	s_cbranch_execnz .LBB6_2981
; %bb.933:
	s_or_saveexec_b64 s[6:7], s[6:7]
	v_mov_b32_e32 v6, s10
	s_xor_b64 exec, exec, s[6:7]
	s_cbranch_execnz .LBB6_2984
.LBB6_934:
	s_or_b64 exec, exec, s[6:7]
	s_and_saveexec_b64 s[6:7], s[4:5]
	s_cbranch_execz .LBB6_936
.LBB6_935:
	v_and_b32_e32 v6, 7, v3
	v_ffbh_u32_e32 v13, v6
	v_min_u32_e32 v13, 32, v13
	v_lshrrev_b16_e32 v12, 3, v3
	v_subrev_u32_e32 v14, 28, v13
	v_and_b32_e32 v12, 15, v12
	v_lshlrev_b32_e32 v14, v14, v3
	v_sub_u32_e32 v13, 29, v13
	v_and_b32_e32 v14, 7, v14
	v_cmp_eq_u16_e32 vcc, 0, v12
	v_cndmask_b32_e32 v6, v6, v14, vcc
	v_cndmask_b32_e32 v12, v12, v13, vcc
	v_lshlrev_b32_e32 v13, 24, v3
	v_mov_b32_e32 v14, 0x3b800000
	v_lshlrev_b32_e32 v6, 20, v6
	v_and_b32_e32 v13, 0x80000000, v13
	v_lshl_add_u32 v12, v12, 23, v14
	v_or3_b32 v6, v13, v12, v6
.LBB6_936:
	s_or_b64 exec, exec, s[6:7]
	s_nop 0
	v_mfma_f32_16x16x4f32 a[0:3], v2, v6, a[0:3]
	v_lshrrev_b32_e32 v6, 8, v7
	s_movk_i32 s4, 0x7f
	v_cmp_gt_i16_sdwa s[6:7], v6, s4 src0_sel:BYTE_0 src1_sel:DWORD
	s_mov_b64 s[4:5], 0
                                        ; implicit-def: $sgpr10
	s_and_saveexec_b64 s[8:9], s[6:7]
	s_xor_b64 s[6:7], exec, s[8:9]
	s_cbranch_execnz .LBB6_2985
; %bb.937:
	s_or_saveexec_b64 s[6:7], s[6:7]
	v_mov_b32_e32 v2, s10
	s_xor_b64 exec, exec, s[6:7]
	s_cbranch_execnz .LBB6_2988
.LBB6_938:
	s_or_b64 exec, exec, s[6:7]
	s_and_saveexec_b64 s[6:7], s[4:5]
	s_cbranch_execz .LBB6_940
.LBB6_939:
	v_bfe_u32 v2, v7, 8, 3
	v_ffbh_u32_e32 v13, v2
	v_min_u32_e32 v13, 32, v13
	v_lshrrev_b16_e32 v12, 3, v6
	v_subrev_u32_e32 v14, 28, v13
	v_and_b32_e32 v12, 15, v12
	v_lshlrev_b32_e32 v6, v14, v6
	v_sub_u32_e32 v13, 29, v13
	v_and_b32_e32 v6, 7, v6
	v_cmp_eq_u16_e32 vcc, 0, v12
	v_cndmask_b32_e32 v2, v2, v6, vcc
	v_cndmask_b32_e32 v6, v12, v13, vcc
	v_lshlrev_b32_e32 v12, 16, v7
	v_mov_b32_e32 v13, 0x3b800000
	v_lshlrev_b32_e32 v2, 20, v2
	v_and_b32_e32 v12, 0x80000000, v12
	v_lshl_add_u32 v6, v6, 23, v13
	v_or3_b32 v2, v12, v6, v2
.LBB6_940:
	s_or_b64 exec, exec, s[6:7]
	v_lshrrev_b32_e32 v6, 8, v3
	s_movk_i32 s4, 0x7f
	v_cmp_gt_i16_sdwa s[6:7], v6, s4 src0_sel:BYTE_0 src1_sel:DWORD
	s_mov_b64 s[4:5], 0
                                        ; implicit-def: $sgpr10
	s_and_saveexec_b64 s[8:9], s[6:7]
	s_xor_b64 s[6:7], exec, s[8:9]
	s_cbranch_execnz .LBB6_2989
; %bb.941:
	s_or_saveexec_b64 s[6:7], s[6:7]
	v_mov_b32_e32 v12, s10
	s_xor_b64 exec, exec, s[6:7]
	s_cbranch_execnz .LBB6_2992
.LBB6_942:
	s_or_b64 exec, exec, s[6:7]
	s_and_saveexec_b64 s[6:7], s[4:5]
	s_cbranch_execz .LBB6_944
.LBB6_943:
	v_bfe_u32 v12, v3, 8, 3
	v_ffbh_u32_e32 v14, v12
	v_min_u32_e32 v14, 32, v14
	v_lshrrev_b16_e32 v13, 3, v6
	v_subrev_u32_e32 v15, 28, v14
	v_and_b32_e32 v13, 15, v13
	v_lshlrev_b32_e32 v6, v15, v6
	v_sub_u32_e32 v14, 29, v14
	v_and_b32_e32 v6, 7, v6
	v_cmp_eq_u16_e32 vcc, 0, v13
	v_cndmask_b32_e32 v6, v12, v6, vcc
	v_cndmask_b32_e32 v12, v13, v14, vcc
	v_lshlrev_b32_e32 v13, 16, v3
	v_mov_b32_e32 v14, 0x3b800000
	v_lshlrev_b32_e32 v6, 20, v6
	v_and_b32_e32 v13, 0x80000000, v13
	v_lshl_add_u32 v12, v12, 23, v14
	v_or3_b32 v12, v13, v12, v6
.LBB6_944:
	s_or_b64 exec, exec, s[6:7]
	s_nop 0
	v_mfma_f32_16x16x4f32 a[0:3], v2, v12, a[0:3]
	s_movk_i32 s4, 0xff
	v_and_b32_sdwa v6, v7, s4 dst_sel:DWORD dst_unused:UNUSED_PAD src0_sel:WORD_1 src1_sel:DWORD
	s_movk_i32 s4, 0x7f
	v_cmp_lt_i16_e32 vcc, s4, v6
	s_mov_b64 s[4:5], 0
                                        ; implicit-def: $sgpr10
	s_and_saveexec_b64 s[6:7], vcc
	s_xor_b64 s[6:7], exec, s[6:7]
	s_cbranch_execnz .LBB6_2993
; %bb.945:
	s_or_saveexec_b64 s[6:7], s[6:7]
	v_mov_b32_e32 v2, s10
	s_xor_b64 exec, exec, s[6:7]
	s_cbranch_execnz .LBB6_2996
.LBB6_946:
	s_or_b64 exec, exec, s[6:7]
	s_and_saveexec_b64 s[6:7], s[4:5]
	s_cbranch_execz .LBB6_948
.LBB6_947:
	v_bfe_u32 v2, v7, 16, 3
	v_ffbh_u32_e32 v13, v2
	v_min_u32_e32 v13, 32, v13
	v_lshrrev_b32_e32 v6, 19, v7
	v_subrev_u32_e32 v14, 28, v13
	v_and_b32_e32 v6, 15, v6
	v_lshlrev_b32_sdwa v14, v14, v7 dst_sel:DWORD dst_unused:UNUSED_PAD src0_sel:DWORD src1_sel:WORD_1
	v_bfe_u32 v12, v7, 19, 4
	v_sub_u32_e32 v13, 29, v13
	v_and_b32_e32 v14, 7, v14
	v_cmp_eq_u16_e32 vcc, 0, v6
	v_cndmask_b32_e32 v2, v2, v14, vcc
	v_cndmask_b32_e32 v6, v12, v13, vcc
	v_lshlrev_b32_e32 v12, 8, v7
	v_mov_b32_e32 v13, 0x3b800000
	v_lshlrev_b32_e32 v2, 20, v2
	v_and_b32_e32 v12, 0x80000000, v12
	v_lshl_add_u32 v6, v6, 23, v13
	v_or3_b32 v2, v12, v6, v2
.LBB6_948:
	s_or_b64 exec, exec, s[6:7]
	s_movk_i32 s4, 0xff
	v_and_b32_sdwa v6, v3, s4 dst_sel:DWORD dst_unused:UNUSED_PAD src0_sel:WORD_1 src1_sel:DWORD
	s_movk_i32 s4, 0x7f
	v_cmp_lt_i16_e32 vcc, s4, v6
	s_mov_b64 s[4:5], 0
                                        ; implicit-def: $sgpr10
	s_and_saveexec_b64 s[6:7], vcc
	s_xor_b64 s[6:7], exec, s[6:7]
	s_cbranch_execnz .LBB6_2997
; %bb.949:
	s_or_saveexec_b64 s[6:7], s[6:7]
	v_mov_b32_e32 v12, s10
	s_xor_b64 exec, exec, s[6:7]
	s_cbranch_execnz .LBB6_3000
.LBB6_950:
	s_or_b64 exec, exec, s[6:7]
	s_and_saveexec_b64 s[6:7], s[4:5]
	s_cbranch_execz .LBB6_952
.LBB6_951:
	v_bfe_u32 v6, v3, 16, 3
	v_ffbh_u32_e32 v14, v6
	v_min_u32_e32 v14, 32, v14
	v_lshrrev_b32_e32 v12, 19, v3
	v_subrev_u32_e32 v15, 28, v14
	v_and_b32_e32 v12, 15, v12
	v_lshlrev_b32_sdwa v15, v15, v3 dst_sel:DWORD dst_unused:UNUSED_PAD src0_sel:DWORD src1_sel:WORD_1
	v_bfe_u32 v13, v3, 19, 4
	v_sub_u32_e32 v14, 29, v14
	v_and_b32_e32 v15, 7, v15
	v_cmp_eq_u16_e32 vcc, 0, v12
	v_cndmask_b32_e32 v6, v6, v15, vcc
	v_cndmask_b32_e32 v12, v13, v14, vcc
	v_lshlrev_b32_e32 v13, 8, v3
	v_mov_b32_e32 v14, 0x3b800000
	v_lshlrev_b32_e32 v6, 20, v6
	v_and_b32_e32 v13, 0x80000000, v13
	v_lshl_add_u32 v12, v12, 23, v14
	v_or3_b32 v12, v13, v12, v6
.LBB6_952:
	s_or_b64 exec, exec, s[6:7]
	s_nop 0
	v_mfma_f32_16x16x4f32 a[0:3], v2, v12, a[0:3]
	s_movk_i32 s4, 0x7f
	v_cmp_gt_i16_sdwa s[6:7], v7, s4 src0_sel:BYTE_3 src1_sel:DWORD
	s_mov_b64 s[4:5], 0
                                        ; implicit-def: $sgpr10
	s_and_saveexec_b64 s[8:9], s[6:7]
	s_xor_b64 s[6:7], exec, s[8:9]
	s_cbranch_execnz .LBB6_3001
; %bb.953:
	s_or_saveexec_b64 s[6:7], s[6:7]
	v_mov_b32_e32 v2, s10
	s_xor_b64 exec, exec, s[6:7]
	s_cbranch_execnz .LBB6_3004
.LBB6_954:
	s_or_b64 exec, exec, s[6:7]
	s_and_saveexec_b64 s[6:7], s[4:5]
	s_cbranch_execz .LBB6_956
.LBB6_955:
	v_bfe_u32 v2, v7, 24, 3
	v_ffbh_u32_e32 v14, v2
	v_min_u32_e32 v14, 32, v14
	v_lshrrev_b32_e32 v12, 27, v7
	v_subrev_u32_e32 v15, 28, v14
	v_and_b32_e32 v6, 0x80000000, v7
	v_and_b32_e32 v12, 15, v12
	v_bfe_u32 v13, v7, 27, 4
	v_lshlrev_b32_sdwa v7, v15, v7 dst_sel:DWORD dst_unused:UNUSED_PAD src0_sel:DWORD src1_sel:BYTE_3
	v_sub_u32_e32 v14, 29, v14
	v_and_b32_e32 v7, 7, v7
	v_cmp_eq_u16_e32 vcc, 0, v12
	v_cndmask_b32_e32 v2, v2, v7, vcc
	v_cndmask_b32_e32 v7, v13, v14, vcc
	v_mov_b32_e32 v12, 0x3b800000
	v_lshlrev_b32_e32 v2, 20, v2
	v_lshl_add_u32 v7, v7, 23, v12
	v_or3_b32 v2, v6, v7, v2
.LBB6_956:
	s_or_b64 exec, exec, s[6:7]
	s_movk_i32 s4, 0x7f
	v_cmp_gt_i16_sdwa s[6:7], v3, s4 src0_sel:BYTE_3 src1_sel:DWORD
	s_mov_b64 s[4:5], 0
                                        ; implicit-def: $sgpr10
	s_and_saveexec_b64 s[8:9], s[6:7]
	s_xor_b64 s[6:7], exec, s[8:9]
	s_cbranch_execnz .LBB6_3005
; %bb.957:
	s_or_saveexec_b64 s[6:7], s[6:7]
	v_mov_b32_e32 v6, s10
	s_xor_b64 exec, exec, s[6:7]
	s_cbranch_execnz .LBB6_3008
.LBB6_958:
	s_or_b64 exec, exec, s[6:7]
	s_and_saveexec_b64 s[6:7], s[4:5]
	s_cbranch_execz .LBB6_960
.LBB6_959:
	v_bfe_u32 v6, v3, 24, 3
	v_ffbh_u32_e32 v14, v6
	v_min_u32_e32 v14, 32, v14
	v_lshrrev_b32_e32 v12, 27, v3
	v_subrev_u32_e32 v15, 28, v14
	v_and_b32_e32 v7, 0x80000000, v3
	v_and_b32_e32 v12, 15, v12
	v_bfe_u32 v13, v3, 27, 4
	v_lshlrev_b32_sdwa v3, v15, v3 dst_sel:DWORD dst_unused:UNUSED_PAD src0_sel:DWORD src1_sel:BYTE_3
	v_sub_u32_e32 v14, 29, v14
	v_and_b32_e32 v3, 7, v3
	v_cmp_eq_u16_e32 vcc, 0, v12
	v_cndmask_b32_e32 v3, v6, v3, vcc
	v_cndmask_b32_e32 v6, v13, v14, vcc
	v_mov_b32_e32 v12, 0x3b800000
	v_lshlrev_b32_e32 v3, 20, v3
	v_lshl_add_u32 v6, v6, 23, v12
	v_or3_b32 v6, v7, v6, v3
.LBB6_960:
	s_or_b64 exec, exec, s[6:7]
	s_nop 0
	v_mfma_f32_16x16x4f32 a[0:3], v2, v6, a[0:3]
	s_movk_i32 s4, 0x7f
	v_cmp_gt_i16_sdwa s[6:7], v8, s4 src0_sel:BYTE_0 src1_sel:DWORD
	s_mov_b64 s[4:5], 0
                                        ; implicit-def: $sgpr10
	s_and_saveexec_b64 s[8:9], s[6:7]
	s_xor_b64 s[6:7], exec, s[8:9]
	s_cbranch_execnz .LBB6_3009
; %bb.961:
	s_or_saveexec_b64 s[6:7], s[6:7]
	v_mov_b32_e32 v2, s10
	s_xor_b64 exec, exec, s[6:7]
	s_cbranch_execnz .LBB6_3012
.LBB6_962:
	s_or_b64 exec, exec, s[6:7]
	s_and_saveexec_b64 s[6:7], s[4:5]
	s_cbranch_execz .LBB6_964
.LBB6_963:
	v_and_b32_e32 v2, 7, v8
	v_ffbh_u32_e32 v6, v2
	v_min_u32_e32 v6, 32, v6
	v_lshrrev_b16_e32 v3, 3, v8
	v_subrev_u32_e32 v7, 28, v6
	v_and_b32_e32 v3, 15, v3
	v_lshlrev_b32_e32 v7, v7, v8
	v_sub_u32_e32 v6, 29, v6
	v_and_b32_e32 v7, 7, v7
	v_cmp_eq_u16_e32 vcc, 0, v3
	v_cndmask_b32_e32 v2, v2, v7, vcc
	v_cndmask_b32_e32 v3, v3, v6, vcc
	v_lshlrev_b32_e32 v6, 24, v8
	v_mov_b32_e32 v7, 0x3b800000
	v_lshlrev_b32_e32 v2, 20, v2
	v_and_b32_e32 v6, 0x80000000, v6
	v_lshl_add_u32 v3, v3, 23, v7
	v_or3_b32 v2, v6, v3, v2
.LBB6_964:
	s_or_b64 exec, exec, s[6:7]
	s_movk_i32 s4, 0x7f
	v_cmp_gt_i16_sdwa s[6:7], v4, s4 src0_sel:BYTE_0 src1_sel:DWORD
	s_mov_b64 s[4:5], 0
                                        ; implicit-def: $sgpr10
	s_and_saveexec_b64 s[8:9], s[6:7]
	s_xor_b64 s[6:7], exec, s[8:9]
	s_cbranch_execnz .LBB6_3013
; %bb.965:
	s_or_saveexec_b64 s[6:7], s[6:7]
	v_mov_b32_e32 v3, s10
	s_xor_b64 exec, exec, s[6:7]
	s_cbranch_execnz .LBB6_3016
.LBB6_966:
	s_or_b64 exec, exec, s[6:7]
	s_and_saveexec_b64 s[6:7], s[4:5]
	s_cbranch_execz .LBB6_968
.LBB6_967:
	v_and_b32_e32 v3, 7, v4
	v_ffbh_u32_e32 v7, v3
	v_min_u32_e32 v7, 32, v7
	v_lshrrev_b16_e32 v6, 3, v4
	v_subrev_u32_e32 v12, 28, v7
	v_and_b32_e32 v6, 15, v6
	v_lshlrev_b32_e32 v12, v12, v4
	v_sub_u32_e32 v7, 29, v7
	v_and_b32_e32 v12, 7, v12
	v_cmp_eq_u16_e32 vcc, 0, v6
	v_cndmask_b32_e32 v3, v3, v12, vcc
	v_cndmask_b32_e32 v6, v6, v7, vcc
	v_lshlrev_b32_e32 v7, 24, v4
	v_mov_b32_e32 v12, 0x3b800000
	v_lshlrev_b32_e32 v3, 20, v3
	v_and_b32_e32 v7, 0x80000000, v7
	v_lshl_add_u32 v6, v6, 23, v12
	v_or3_b32 v3, v7, v6, v3
.LBB6_968:
	s_or_b64 exec, exec, s[6:7]
	s_nop 0
	v_mfma_f32_16x16x4f32 a[0:3], v2, v3, a[0:3]
	v_lshrrev_b32_e32 v3, 8, v8
	s_movk_i32 s4, 0x7f
	v_cmp_gt_i16_sdwa s[6:7], v3, s4 src0_sel:BYTE_0 src1_sel:DWORD
	s_mov_b64 s[4:5], 0
                                        ; implicit-def: $sgpr10
	s_and_saveexec_b64 s[8:9], s[6:7]
	s_xor_b64 s[6:7], exec, s[8:9]
	s_cbranch_execnz .LBB6_3017
; %bb.969:
	s_or_saveexec_b64 s[6:7], s[6:7]
	v_mov_b32_e32 v2, s10
	s_xor_b64 exec, exec, s[6:7]
	s_cbranch_execnz .LBB6_3020
.LBB6_970:
	s_or_b64 exec, exec, s[6:7]
	s_and_saveexec_b64 s[6:7], s[4:5]
	s_cbranch_execz .LBB6_972
.LBB6_971:
	v_bfe_u32 v2, v8, 8, 3
	v_ffbh_u32_e32 v7, v2
	v_min_u32_e32 v7, 32, v7
	v_lshrrev_b16_e32 v6, 3, v3
	v_subrev_u32_e32 v12, 28, v7
	v_and_b32_e32 v6, 15, v6
	v_lshlrev_b32_e32 v3, v12, v3
	v_sub_u32_e32 v7, 29, v7
	v_and_b32_e32 v3, 7, v3
	v_cmp_eq_u16_e32 vcc, 0, v6
	v_cndmask_b32_e32 v2, v2, v3, vcc
	v_cndmask_b32_e32 v3, v6, v7, vcc
	v_lshlrev_b32_e32 v6, 16, v8
	v_mov_b32_e32 v7, 0x3b800000
	v_lshlrev_b32_e32 v2, 20, v2
	v_and_b32_e32 v6, 0x80000000, v6
	v_lshl_add_u32 v3, v3, 23, v7
	v_or3_b32 v2, v6, v3, v2
.LBB6_972:
	s_or_b64 exec, exec, s[6:7]
	v_lshrrev_b32_e32 v3, 8, v4
	s_movk_i32 s4, 0x7f
	v_cmp_gt_i16_sdwa s[6:7], v3, s4 src0_sel:BYTE_0 src1_sel:DWORD
	s_mov_b64 s[4:5], 0
                                        ; implicit-def: $sgpr10
	s_and_saveexec_b64 s[8:9], s[6:7]
	s_xor_b64 s[6:7], exec, s[8:9]
	s_cbranch_execnz .LBB6_3021
; %bb.973:
	s_or_saveexec_b64 s[6:7], s[6:7]
	v_mov_b32_e32 v6, s10
	s_xor_b64 exec, exec, s[6:7]
	s_cbranch_execnz .LBB6_3024
.LBB6_974:
	s_or_b64 exec, exec, s[6:7]
	s_and_saveexec_b64 s[6:7], s[4:5]
	s_cbranch_execz .LBB6_976
.LBB6_975:
	v_bfe_u32 v6, v4, 8, 3
	v_ffbh_u32_e32 v12, v6
	v_min_u32_e32 v12, 32, v12
	v_lshrrev_b16_e32 v7, 3, v3
	v_subrev_u32_e32 v13, 28, v12
	v_and_b32_e32 v7, 15, v7
	v_lshlrev_b32_e32 v3, v13, v3
	v_sub_u32_e32 v12, 29, v12
	v_and_b32_e32 v3, 7, v3
	v_cmp_eq_u16_e32 vcc, 0, v7
	v_cndmask_b32_e32 v3, v6, v3, vcc
	v_cndmask_b32_e32 v6, v7, v12, vcc
	v_lshlrev_b32_e32 v7, 16, v4
	v_mov_b32_e32 v12, 0x3b800000
	v_lshlrev_b32_e32 v3, 20, v3
	v_and_b32_e32 v7, 0x80000000, v7
	v_lshl_add_u32 v6, v6, 23, v12
	v_or3_b32 v6, v7, v6, v3
.LBB6_976:
	s_or_b64 exec, exec, s[6:7]
	s_nop 0
	v_mfma_f32_16x16x4f32 a[0:3], v2, v6, a[0:3]
	s_movk_i32 s4, 0xff
	v_and_b32_sdwa v3, v8, s4 dst_sel:DWORD dst_unused:UNUSED_PAD src0_sel:WORD_1 src1_sel:DWORD
	s_movk_i32 s4, 0x7f
	v_cmp_lt_i16_e32 vcc, s4, v3
	s_mov_b64 s[4:5], 0
                                        ; implicit-def: $sgpr10
	s_and_saveexec_b64 s[6:7], vcc
	s_xor_b64 s[6:7], exec, s[6:7]
	s_cbranch_execnz .LBB6_3025
; %bb.977:
	s_or_saveexec_b64 s[6:7], s[6:7]
	v_mov_b32_e32 v2, s10
	s_xor_b64 exec, exec, s[6:7]
	s_cbranch_execnz .LBB6_3028
.LBB6_978:
	s_or_b64 exec, exec, s[6:7]
	s_and_saveexec_b64 s[6:7], s[4:5]
	s_cbranch_execz .LBB6_980
.LBB6_979:
	v_bfe_u32 v2, v8, 16, 3
	v_ffbh_u32_e32 v7, v2
	v_min_u32_e32 v7, 32, v7
	v_lshrrev_b32_e32 v3, 19, v8
	v_subrev_u32_e32 v12, 28, v7
	v_and_b32_e32 v3, 15, v3
	v_lshlrev_b32_sdwa v12, v12, v8 dst_sel:DWORD dst_unused:UNUSED_PAD src0_sel:DWORD src1_sel:WORD_1
	v_bfe_u32 v6, v8, 19, 4
	v_sub_u32_e32 v7, 29, v7
	v_and_b32_e32 v12, 7, v12
	v_cmp_eq_u16_e32 vcc, 0, v3
	v_cndmask_b32_e32 v2, v2, v12, vcc
	v_cndmask_b32_e32 v3, v6, v7, vcc
	v_lshlrev_b32_e32 v6, 8, v8
	v_mov_b32_e32 v7, 0x3b800000
	v_lshlrev_b32_e32 v2, 20, v2
	v_and_b32_e32 v6, 0x80000000, v6
	v_lshl_add_u32 v3, v3, 23, v7
	v_or3_b32 v2, v6, v3, v2
.LBB6_980:
	s_or_b64 exec, exec, s[6:7]
	s_movk_i32 s4, 0xff
	v_and_b32_sdwa v3, v4, s4 dst_sel:DWORD dst_unused:UNUSED_PAD src0_sel:WORD_1 src1_sel:DWORD
	s_movk_i32 s4, 0x7f
	v_cmp_lt_i16_e32 vcc, s4, v3
	s_mov_b64 s[4:5], 0
                                        ; implicit-def: $sgpr10
	s_and_saveexec_b64 s[6:7], vcc
	s_xor_b64 s[6:7], exec, s[6:7]
	s_cbranch_execnz .LBB6_3029
; %bb.981:
	s_or_saveexec_b64 s[6:7], s[6:7]
	v_mov_b32_e32 v6, s10
	s_xor_b64 exec, exec, s[6:7]
	s_cbranch_execnz .LBB6_3032
.LBB6_982:
	s_or_b64 exec, exec, s[6:7]
	s_and_saveexec_b64 s[6:7], s[4:5]
	s_cbranch_execz .LBB6_984
.LBB6_983:
	v_bfe_u32 v3, v4, 16, 3
	v_ffbh_u32_e32 v12, v3
	v_min_u32_e32 v12, 32, v12
	v_lshrrev_b32_e32 v6, 19, v4
	v_subrev_u32_e32 v13, 28, v12
	v_and_b32_e32 v6, 15, v6
	v_lshlrev_b32_sdwa v13, v13, v4 dst_sel:DWORD dst_unused:UNUSED_PAD src0_sel:DWORD src1_sel:WORD_1
	v_bfe_u32 v7, v4, 19, 4
	v_sub_u32_e32 v12, 29, v12
	v_and_b32_e32 v13, 7, v13
	v_cmp_eq_u16_e32 vcc, 0, v6
	v_cndmask_b32_e32 v3, v3, v13, vcc
	v_cndmask_b32_e32 v6, v7, v12, vcc
	v_lshlrev_b32_e32 v7, 8, v4
	v_mov_b32_e32 v12, 0x3b800000
	v_lshlrev_b32_e32 v3, 20, v3
	v_and_b32_e32 v7, 0x80000000, v7
	v_lshl_add_u32 v6, v6, 23, v12
	v_or3_b32 v6, v7, v6, v3
.LBB6_984:
	s_or_b64 exec, exec, s[6:7]
	s_nop 0
	v_mfma_f32_16x16x4f32 a[0:3], v2, v6, a[0:3]
	s_movk_i32 s4, 0x7f
	v_cmp_gt_i16_sdwa s[6:7], v8, s4 src0_sel:BYTE_3 src1_sel:DWORD
	s_mov_b64 s[4:5], 0
                                        ; implicit-def: $sgpr10
	s_and_saveexec_b64 s[8:9], s[6:7]
	s_xor_b64 s[6:7], exec, s[8:9]
	s_cbranch_execnz .LBB6_3033
; %bb.985:
	s_or_saveexec_b64 s[6:7], s[6:7]
	v_mov_b32_e32 v2, s10
	s_xor_b64 exec, exec, s[6:7]
	s_cbranch_execnz .LBB6_3036
.LBB6_986:
	s_or_b64 exec, exec, s[6:7]
	s_and_saveexec_b64 s[6:7], s[4:5]
	s_cbranch_execz .LBB6_988
.LBB6_987:
	v_bfe_u32 v2, v8, 24, 3
	v_ffbh_u32_e32 v12, v2
	v_min_u32_e32 v12, 32, v12
	v_lshrrev_b32_e32 v6, 27, v8
	v_subrev_u32_e32 v13, 28, v12
	v_and_b32_e32 v3, 0x80000000, v8
	v_and_b32_e32 v6, 15, v6
	v_bfe_u32 v7, v8, 27, 4
	v_lshlrev_b32_sdwa v8, v13, v8 dst_sel:DWORD dst_unused:UNUSED_PAD src0_sel:DWORD src1_sel:BYTE_3
	v_sub_u32_e32 v12, 29, v12
	v_and_b32_e32 v8, 7, v8
	v_cmp_eq_u16_e32 vcc, 0, v6
	v_cndmask_b32_e32 v2, v2, v8, vcc
	v_cndmask_b32_e32 v6, v7, v12, vcc
	v_mov_b32_e32 v7, 0x3b800000
	v_lshlrev_b32_e32 v2, 20, v2
	v_lshl_add_u32 v6, v6, 23, v7
	v_or3_b32 v2, v3, v6, v2
.LBB6_988:
	s_or_b64 exec, exec, s[6:7]
	s_movk_i32 s4, 0x7f
	v_cmp_gt_i16_sdwa s[6:7], v4, s4 src0_sel:BYTE_3 src1_sel:DWORD
	s_mov_b64 s[4:5], 0
                                        ; implicit-def: $sgpr10
	s_and_saveexec_b64 s[8:9], s[6:7]
	s_xor_b64 s[6:7], exec, s[8:9]
	s_cbranch_execnz .LBB6_3037
; %bb.989:
	s_or_saveexec_b64 s[6:7], s[6:7]
	v_mov_b32_e32 v3, s10
	s_xor_b64 exec, exec, s[6:7]
	s_cbranch_execnz .LBB6_3040
.LBB6_990:
	s_or_b64 exec, exec, s[6:7]
	s_and_saveexec_b64 s[6:7], s[4:5]
	s_cbranch_execz .LBB6_992
.LBB6_991:
	v_bfe_u32 v3, v4, 24, 3
	v_ffbh_u32_e32 v12, v3
	v_min_u32_e32 v12, 32, v12
	v_lshrrev_b32_e32 v7, 27, v4
	v_subrev_u32_e32 v13, 28, v12
	v_and_b32_e32 v6, 0x80000000, v4
	v_and_b32_e32 v7, 15, v7
	v_bfe_u32 v8, v4, 27, 4
	v_lshlrev_b32_sdwa v4, v13, v4 dst_sel:DWORD dst_unused:UNUSED_PAD src0_sel:DWORD src1_sel:BYTE_3
	v_sub_u32_e32 v12, 29, v12
	v_and_b32_e32 v4, 7, v4
	v_cmp_eq_u16_e32 vcc, 0, v7
	v_cndmask_b32_e32 v3, v3, v4, vcc
	v_cndmask_b32_e32 v4, v8, v12, vcc
	v_mov_b32_e32 v7, 0x3b800000
	v_lshlrev_b32_e32 v3, 20, v3
	v_lshl_add_u32 v4, v4, 23, v7
	v_or3_b32 v3, v6, v4, v3
.LBB6_992:
	s_or_b64 exec, exec, s[6:7]
	s_nop 0
	v_mfma_f32_16x16x4f32 a[0:3], v2, v3, a[0:3]
	s_movk_i32 s4, 0x7f
	v_cmp_gt_i16_sdwa s[6:7], v9, s4 src0_sel:BYTE_0 src1_sel:DWORD
	s_mov_b64 s[4:5], 0
                                        ; implicit-def: $sgpr10
	s_and_saveexec_b64 s[8:9], s[6:7]
	s_xor_b64 s[6:7], exec, s[8:9]
	s_cbranch_execnz .LBB6_3041
; %bb.993:
	s_or_saveexec_b64 s[6:7], s[6:7]
	v_mov_b32_e32 v2, s10
	s_xor_b64 exec, exec, s[6:7]
	s_cbranch_execnz .LBB6_3044
.LBB6_994:
	s_or_b64 exec, exec, s[6:7]
	s_and_saveexec_b64 s[6:7], s[4:5]
	s_cbranch_execz .LBB6_996
.LBB6_995:
	v_mov_b32_e32 v2, 8
	v_and_b32_e32 v3, 7, v9
	v_lshrrev_b32_sdwa v2, v2, v9 dst_sel:BYTE_1 dst_unused:UNUSED_PAD src0_sel:DWORD src1_sel:DWORD
	v_ffbh_u32_e32 v4, v3
	v_or_b32_sdwa v2, v9, v2 dst_sel:DWORD dst_unused:UNUSED_PAD src0_sel:BYTE_0 src1_sel:DWORD
	v_min_u32_e32 v4, 32, v4
	v_lshrrev_b16_e32 v2, 3, v2
	v_subrev_u32_e32 v6, 28, v4
	v_and_b32_e32 v2, 15, v2
	v_lshlrev_b32_e32 v6, v6, v9
	v_sub_u32_e32 v4, 29, v4
	v_and_b32_e32 v6, 7, v6
	v_cmp_eq_u16_e32 vcc, 0, v2
	v_cndmask_b32_e32 v3, v3, v6, vcc
	v_cndmask_b32_e32 v2, v2, v4, vcc
	v_lshlrev_b32_e32 v4, 24, v9
	v_mov_b32_e32 v6, 0x3b800000
	v_lshlrev_b32_e32 v3, 20, v3
	v_and_b32_e32 v4, 0x80000000, v4
	v_lshl_add_u32 v2, v2, 23, v6
	v_or3_b32 v2, v4, v2, v3
.LBB6_996:
	s_or_b64 exec, exec, s[6:7]
	s_movk_i32 s4, 0x7f
	v_cmp_gt_i16_sdwa s[6:7], v5, s4 src0_sel:BYTE_0 src1_sel:DWORD
	s_mov_b64 s[4:5], 0
                                        ; implicit-def: $sgpr10
	s_and_saveexec_b64 s[8:9], s[6:7]
	s_xor_b64 s[6:7], exec, s[8:9]
	s_cbranch_execnz .LBB6_3045
; %bb.997:
	s_or_saveexec_b64 s[6:7], s[6:7]
	v_mov_b32_e32 v3, s10
	s_xor_b64 exec, exec, s[6:7]
	s_cbranch_execnz .LBB6_3048
.LBB6_998:
	s_or_b64 exec, exec, s[6:7]
	s_and_saveexec_b64 s[6:7], s[4:5]
	s_cbranch_execz .LBB6_1000
.LBB6_999:
	v_mov_b32_e32 v3, 8
	v_and_b32_e32 v4, 7, v5
	v_lshrrev_b32_sdwa v3, v3, v5 dst_sel:BYTE_1 dst_unused:UNUSED_PAD src0_sel:DWORD src1_sel:DWORD
	v_ffbh_u32_e32 v6, v4
	v_or_b32_sdwa v3, v5, v3 dst_sel:DWORD dst_unused:UNUSED_PAD src0_sel:BYTE_0 src1_sel:DWORD
	v_min_u32_e32 v6, 32, v6
	v_lshrrev_b16_e32 v3, 3, v3
	v_subrev_u32_e32 v7, 28, v6
	v_and_b32_e32 v3, 15, v3
	v_lshlrev_b32_e32 v7, v7, v5
	v_sub_u32_e32 v6, 29, v6
	v_and_b32_e32 v7, 7, v7
	v_cmp_eq_u16_e32 vcc, 0, v3
	v_cndmask_b32_e32 v4, v4, v7, vcc
	v_cndmask_b32_e32 v3, v3, v6, vcc
	v_lshlrev_b32_e32 v6, 24, v5
	v_mov_b32_e32 v7, 0x3b800000
	v_lshlrev_b32_e32 v4, 20, v4
	v_and_b32_e32 v6, 0x80000000, v6
	v_lshl_add_u32 v3, v3, 23, v7
	v_or3_b32 v3, v6, v3, v4
.LBB6_1000:
	s_or_b64 exec, exec, s[6:7]
	s_nop 0
	v_mfma_f32_16x16x4f32 a[0:3], v2, v3, a[0:3]
	v_lshrrev_b32_e32 v3, 8, v9
	s_movk_i32 s4, 0x7f
	v_cmp_gt_i16_sdwa s[6:7], v3, s4 src0_sel:BYTE_0 src1_sel:DWORD
	s_mov_b64 s[4:5], 0
                                        ; implicit-def: $sgpr10
	s_and_saveexec_b64 s[8:9], s[6:7]
	s_xor_b64 s[6:7], exec, s[8:9]
	s_cbranch_execnz .LBB6_3049
; %bb.1001:
	s_or_saveexec_b64 s[6:7], s[6:7]
	v_mov_b32_e32 v2, s10
	s_xor_b64 exec, exec, s[6:7]
	s_cbranch_execnz .LBB6_3052
.LBB6_1002:
	s_or_b64 exec, exec, s[6:7]
	s_and_saveexec_b64 s[6:7], s[4:5]
	s_cbranch_execz .LBB6_1004
.LBB6_1003:
	v_bfe_u32 v2, v9, 8, 3
	v_ffbh_u32_e32 v6, v2
	v_min_u32_e32 v6, 32, v6
	v_lshrrev_b16_e32 v4, 3, v3
	v_subrev_u32_e32 v7, 28, v6
	v_and_b32_e32 v4, 15, v4
	v_lshlrev_b32_e32 v3, v7, v3
	v_sub_u32_e32 v6, 29, v6
	v_and_b32_e32 v3, 7, v3
	v_cmp_eq_u16_e32 vcc, 0, v4
	v_cndmask_b32_e32 v2, v2, v3, vcc
	v_cndmask_b32_e32 v3, v4, v6, vcc
	v_lshlrev_b32_e32 v4, 16, v9
	v_mov_b32_e32 v6, 0x3b800000
	v_lshlrev_b32_e32 v2, 20, v2
	v_and_b32_e32 v4, 0x80000000, v4
	v_lshl_add_u32 v3, v3, 23, v6
	v_or3_b32 v2, v4, v3, v2
.LBB6_1004:
	s_or_b64 exec, exec, s[6:7]
	v_lshrrev_b32_e32 v3, 8, v5
	s_movk_i32 s4, 0x7f
	v_cmp_gt_i16_sdwa s[6:7], v3, s4 src0_sel:BYTE_0 src1_sel:DWORD
	s_mov_b64 s[4:5], 0
                                        ; implicit-def: $sgpr10
	s_and_saveexec_b64 s[8:9], s[6:7]
	s_xor_b64 s[6:7], exec, s[8:9]
	s_cbranch_execnz .LBB6_3053
; %bb.1005:
	s_or_saveexec_b64 s[6:7], s[6:7]
	v_mov_b32_e32 v4, s10
	s_xor_b64 exec, exec, s[6:7]
	s_cbranch_execnz .LBB6_3056
.LBB6_1006:
	s_or_b64 exec, exec, s[6:7]
	s_and_saveexec_b64 s[6:7], s[4:5]
	s_cbranch_execz .LBB6_1008
.LBB6_1007:
	v_bfe_u32 v4, v5, 8, 3
	v_ffbh_u32_e32 v7, v4
	v_min_u32_e32 v7, 32, v7
	v_lshrrev_b16_e32 v6, 3, v3
	v_subrev_u32_e32 v8, 28, v7
	v_and_b32_e32 v6, 15, v6
	v_lshlrev_b32_e32 v3, v8, v3
	v_sub_u32_e32 v7, 29, v7
	v_and_b32_e32 v3, 7, v3
	v_cmp_eq_u16_e32 vcc, 0, v6
	v_cndmask_b32_e32 v3, v4, v3, vcc
	v_cndmask_b32_e32 v4, v6, v7, vcc
	v_lshlrev_b32_e32 v6, 16, v5
	v_mov_b32_e32 v7, 0x3b800000
	v_lshlrev_b32_e32 v3, 20, v3
	v_and_b32_e32 v6, 0x80000000, v6
	v_lshl_add_u32 v4, v4, 23, v7
	v_or3_b32 v4, v6, v4, v3
.LBB6_1008:
	s_or_b64 exec, exec, s[6:7]
	s_nop 0
	v_mfma_f32_16x16x4f32 a[0:3], v2, v4, a[0:3]
	s_movk_i32 s4, 0xff
	v_and_b32_sdwa v3, v9, s4 dst_sel:DWORD dst_unused:UNUSED_PAD src0_sel:WORD_1 src1_sel:DWORD
	s_movk_i32 s4, 0x7f
	v_cmp_lt_i16_e32 vcc, s4, v3
	s_mov_b64 s[4:5], 0
                                        ; implicit-def: $sgpr10
	s_and_saveexec_b64 s[6:7], vcc
	s_xor_b64 s[6:7], exec, s[6:7]
	s_cbranch_execnz .LBB6_3057
; %bb.1009:
	s_or_saveexec_b64 s[6:7], s[6:7]
	v_mov_b32_e32 v2, s10
	s_xor_b64 exec, exec, s[6:7]
	s_cbranch_execnz .LBB6_3060
.LBB6_1010:
	s_or_b64 exec, exec, s[6:7]
	s_and_saveexec_b64 s[6:7], s[4:5]
	s_cbranch_execz .LBB6_1012
.LBB6_1011:
	v_bfe_u32 v2, v9, 16, 3
	v_ffbh_u32_e32 v6, v2
	v_min_u32_e32 v6, 32, v6
	v_lshrrev_b32_e32 v3, 19, v9
	v_subrev_u32_e32 v7, 28, v6
	v_and_b32_e32 v3, 15, v3
	v_lshlrev_b32_sdwa v7, v7, v9 dst_sel:DWORD dst_unused:UNUSED_PAD src0_sel:DWORD src1_sel:WORD_1
	v_bfe_u32 v4, v9, 19, 4
	v_sub_u32_e32 v6, 29, v6
	v_and_b32_e32 v7, 7, v7
	v_cmp_eq_u16_e32 vcc, 0, v3
	v_cndmask_b32_e32 v2, v2, v7, vcc
	v_cndmask_b32_e32 v3, v4, v6, vcc
	v_lshlrev_b32_e32 v4, 8, v9
	v_mov_b32_e32 v6, 0x3b800000
	v_lshlrev_b32_e32 v2, 20, v2
	v_and_b32_e32 v4, 0x80000000, v4
	v_lshl_add_u32 v3, v3, 23, v6
	v_or3_b32 v2, v4, v3, v2
.LBB6_1012:
	s_or_b64 exec, exec, s[6:7]
	s_movk_i32 s4, 0xff
	v_and_b32_sdwa v3, v5, s4 dst_sel:DWORD dst_unused:UNUSED_PAD src0_sel:WORD_1 src1_sel:DWORD
	s_movk_i32 s4, 0x7f
	v_cmp_lt_i16_e32 vcc, s4, v3
	s_mov_b64 s[4:5], 0
                                        ; implicit-def: $sgpr10
	s_and_saveexec_b64 s[6:7], vcc
	s_xor_b64 s[6:7], exec, s[6:7]
	s_cbranch_execnz .LBB6_3061
; %bb.1013:
	s_or_saveexec_b64 s[6:7], s[6:7]
	v_mov_b32_e32 v4, s10
	s_xor_b64 exec, exec, s[6:7]
	s_cbranch_execnz .LBB6_3064
.LBB6_1014:
	s_or_b64 exec, exec, s[6:7]
	s_and_saveexec_b64 s[6:7], s[4:5]
	s_cbranch_execz .LBB6_1016
.LBB6_1015:
	v_bfe_u32 v3, v5, 16, 3
	v_ffbh_u32_e32 v7, v3
	v_min_u32_e32 v7, 32, v7
	v_lshrrev_b32_e32 v4, 19, v5
	v_subrev_u32_e32 v8, 28, v7
	v_and_b32_e32 v4, 15, v4
	v_lshlrev_b32_sdwa v8, v8, v5 dst_sel:DWORD dst_unused:UNUSED_PAD src0_sel:DWORD src1_sel:WORD_1
	v_bfe_u32 v6, v5, 19, 4
	v_sub_u32_e32 v7, 29, v7
	v_and_b32_e32 v8, 7, v8
	v_cmp_eq_u16_e32 vcc, 0, v4
	v_cndmask_b32_e32 v3, v3, v8, vcc
	v_cndmask_b32_e32 v4, v6, v7, vcc
	v_lshlrev_b32_e32 v6, 8, v5
	v_mov_b32_e32 v7, 0x3b800000
	v_lshlrev_b32_e32 v3, 20, v3
	v_and_b32_e32 v6, 0x80000000, v6
	v_lshl_add_u32 v4, v4, 23, v7
	v_or3_b32 v4, v6, v4, v3
.LBB6_1016:
	s_or_b64 exec, exec, s[6:7]
	s_nop 0
	v_mfma_f32_16x16x4f32 a[0:3], v2, v4, a[0:3]
	s_movk_i32 s4, 0x7f
	v_cmp_gt_i16_sdwa s[6:7], v9, s4 src0_sel:BYTE_3 src1_sel:DWORD
	s_mov_b64 s[4:5], 0
                                        ; implicit-def: $sgpr10
	s_and_saveexec_b64 s[8:9], s[6:7]
	s_xor_b64 s[6:7], exec, s[8:9]
	s_cbranch_execnz .LBB6_3065
; %bb.1017:
	s_or_saveexec_b64 s[6:7], s[6:7]
	v_mov_b32_e32 v2, s10
	s_xor_b64 exec, exec, s[6:7]
	s_cbranch_execnz .LBB6_3068
.LBB6_1018:
	s_or_b64 exec, exec, s[6:7]
	s_and_saveexec_b64 s[6:7], s[4:5]
	s_cbranch_execz .LBB6_1020
.LBB6_1019:
	v_bfe_u32 v2, v9, 24, 3
	v_ffbh_u32_e32 v7, v2
	v_min_u32_e32 v7, 32, v7
	v_lshrrev_b32_e32 v4, 27, v9
	v_subrev_u32_e32 v8, 28, v7
	v_and_b32_e32 v4, 15, v4
	v_lshlrev_b32_sdwa v8, v8, v9 dst_sel:DWORD dst_unused:UNUSED_PAD src0_sel:DWORD src1_sel:BYTE_3
	v_bfe_u32 v6, v9, 27, 4
	v_sub_u32_e32 v7, 29, v7
	v_and_b32_e32 v8, 7, v8
	v_cmp_eq_u16_e32 vcc, 0, v4
	v_cndmask_b32_e32 v2, v2, v8, vcc
	v_cndmask_b32_e32 v4, v6, v7, vcc
	v_mov_b32_e32 v6, 0x3b800000
	v_and_b32_e32 v3, 0x80000000, v9
	v_lshlrev_b32_e32 v2, 20, v2
	v_lshl_add_u32 v4, v4, 23, v6
	v_or3_b32 v2, v3, v4, v2
.LBB6_1020:
	s_or_b64 exec, exec, s[6:7]
	s_movk_i32 s4, 0x7f
	v_cmp_gt_i16_sdwa s[6:7], v5, s4 src0_sel:BYTE_3 src1_sel:DWORD
	s_mov_b64 s[4:5], 0
                                        ; implicit-def: $sgpr10
	s_and_saveexec_b64 s[8:9], s[6:7]
	s_xor_b64 s[6:7], exec, s[8:9]
	s_cbranch_execnz .LBB6_3069
; %bb.1021:
	s_or_saveexec_b64 s[6:7], s[6:7]
	v_mov_b32_e32 v3, s10
	s_xor_b64 exec, exec, s[6:7]
	s_cbranch_execnz .LBB6_3072
.LBB6_1022:
	s_or_b64 exec, exec, s[6:7]
	s_and_saveexec_b64 s[6:7], s[4:5]
	s_cbranch_execz .LBB6_1024
.LBB6_1023:
	v_bfe_u32 v3, v5, 24, 3
	v_ffbh_u32_e32 v8, v3
	v_min_u32_e32 v8, 32, v8
	v_lshrrev_b32_e32 v6, 27, v5
	v_subrev_u32_e32 v9, 28, v8
	v_and_b32_e32 v4, 0x80000000, v5
	v_and_b32_e32 v6, 15, v6
	v_bfe_u32 v7, v5, 27, 4
	v_lshlrev_b32_sdwa v5, v9, v5 dst_sel:DWORD dst_unused:UNUSED_PAD src0_sel:DWORD src1_sel:BYTE_3
	v_sub_u32_e32 v8, 29, v8
	v_and_b32_e32 v5, 7, v5
	v_cmp_eq_u16_e32 vcc, 0, v6
	v_cndmask_b32_e32 v3, v3, v5, vcc
	v_cndmask_b32_e32 v5, v7, v8, vcc
	v_mov_b32_e32 v6, 0x3b800000
	v_lshlrev_b32_e32 v3, 20, v3
	v_lshl_add_u32 v5, v5, 23, v6
	v_or3_b32 v3, v4, v5, v3
.LBB6_1024:
	s_or_b64 exec, exec, s[6:7]
	s_nop 0
	v_mfma_f32_16x16x4f32 a[0:3], v2, v3, a[0:3]
	s_movk_i32 s4, 0x7f
                                        ; implicit-def: $sgpr10
	s_nop 7
	s_nop 1
	flat_store_dwordx4 v[10:11], a[0:3] offset:112
	flat_load_dwordx4 v[12:15], v[0:1] offset:8
	s_nop 0
	flat_load_dwordx2 v[10:11], v[0:1] offset:32
	s_waitcnt vmcnt(0) lgkmcnt(0)
	flat_load_dwordx4 v[6:9], v[12:13] offset:80
	flat_load_dwordx4 v[2:5], v[14:15] offset:16
	s_waitcnt vmcnt(0) lgkmcnt(0)
	v_cmp_gt_i16_sdwa s[6:7], v6, s4 src0_sel:BYTE_0 src1_sel:DWORD
	s_mov_b64 s[4:5], 0
	s_and_saveexec_b64 s[8:9], s[6:7]
	s_xor_b64 s[6:7], exec, s[8:9]
	s_cbranch_execnz .LBB6_3073
; %bb.1025:
	s_or_saveexec_b64 s[6:7], s[6:7]
	v_mov_b32_e32 v12, s10
	s_xor_b64 exec, exec, s[6:7]
	s_cbranch_execnz .LBB6_3076
.LBB6_1026:
	s_or_b64 exec, exec, s[6:7]
	s_and_saveexec_b64 s[6:7], s[4:5]
	s_cbranch_execz .LBB6_1028
.LBB6_1027:
	v_and_b32_e32 v12, 7, v6
	v_ffbh_u32_e32 v14, v12
	v_min_u32_e32 v14, 32, v14
	v_lshrrev_b16_e32 v13, 3, v6
	v_subrev_u32_e32 v15, 28, v14
	v_and_b32_e32 v13, 15, v13
	v_lshlrev_b32_e32 v15, v15, v6
	v_sub_u32_e32 v14, 29, v14
	v_and_b32_e32 v15, 7, v15
	v_cmp_eq_u16_e32 vcc, 0, v13
	v_cndmask_b32_e32 v12, v12, v15, vcc
	v_cndmask_b32_e32 v13, v13, v14, vcc
	v_lshlrev_b32_e32 v14, 24, v6
	v_mov_b32_e32 v15, 0x3b800000
	v_lshlrev_b32_e32 v12, 20, v12
	v_and_b32_e32 v14, 0x80000000, v14
	v_lshl_add_u32 v13, v13, 23, v15
	v_or3_b32 v12, v14, v13, v12
.LBB6_1028:
	s_or_b64 exec, exec, s[6:7]
	s_movk_i32 s4, 0x7f
	v_cmp_gt_i16_sdwa s[6:7], v2, s4 src0_sel:BYTE_0 src1_sel:DWORD
	s_mov_b64 s[4:5], 0
                                        ; implicit-def: $sgpr10
	s_and_saveexec_b64 s[8:9], s[6:7]
	s_xor_b64 s[6:7], exec, s[8:9]
	s_cbranch_execnz .LBB6_3077
; %bb.1029:
	s_or_saveexec_b64 s[6:7], s[6:7]
	v_mov_b32_e32 v13, s10
	s_xor_b64 exec, exec, s[6:7]
	s_cbranch_execnz .LBB6_3080
.LBB6_1030:
	s_or_b64 exec, exec, s[6:7]
	s_and_saveexec_b64 s[6:7], s[4:5]
	s_cbranch_execz .LBB6_1032
.LBB6_1031:
	v_and_b32_e32 v13, 7, v2
	v_ffbh_u32_e32 v15, v13
	v_min_u32_e32 v15, 32, v15
	v_lshrrev_b16_e32 v14, 3, v2
	v_subrev_u32_e32 v16, 28, v15
	v_and_b32_e32 v14, 15, v14
	v_lshlrev_b32_e32 v16, v16, v2
	v_sub_u32_e32 v15, 29, v15
	v_and_b32_e32 v16, 7, v16
	v_cmp_eq_u16_e32 vcc, 0, v14
	v_cndmask_b32_e32 v13, v13, v16, vcc
	v_cndmask_b32_e32 v14, v14, v15, vcc
	v_lshlrev_b32_e32 v15, 24, v2
	v_mov_b32_e32 v16, 0x3b800000
	v_lshlrev_b32_e32 v13, 20, v13
	v_and_b32_e32 v15, 0x80000000, v15
	v_lshl_add_u32 v14, v14, 23, v16
	v_or3_b32 v13, v15, v14, v13
.LBB6_1032:
	s_or_b64 exec, exec, s[6:7]
	flat_load_dwordx4 a[0:3], v[10:11] offset:128
	s_movk_i32 s4, 0x7f
                                        ; implicit-def: $sgpr10
	s_waitcnt vmcnt(0) lgkmcnt(0)
	v_mfma_f32_16x16x4f32 a[0:3], v12, v13, a[0:3]
	v_lshrrev_b32_e32 v13, 8, v6
	v_cmp_gt_i16_sdwa s[6:7], v13, s4 src0_sel:BYTE_0 src1_sel:DWORD
	s_mov_b64 s[4:5], 0
	s_and_saveexec_b64 s[8:9], s[6:7]
	s_xor_b64 s[6:7], exec, s[8:9]
	s_cbranch_execnz .LBB6_3081
; %bb.1033:
	s_or_saveexec_b64 s[6:7], s[6:7]
	v_mov_b32_e32 v12, s10
	s_xor_b64 exec, exec, s[6:7]
	s_cbranch_execnz .LBB6_3084
.LBB6_1034:
	s_or_b64 exec, exec, s[6:7]
	s_and_saveexec_b64 s[6:7], s[4:5]
	s_cbranch_execz .LBB6_1036
.LBB6_1035:
	v_bfe_u32 v12, v6, 8, 3
	v_ffbh_u32_e32 v15, v12
	v_min_u32_e32 v15, 32, v15
	v_lshrrev_b16_e32 v14, 3, v13
	v_subrev_u32_e32 v16, 28, v15
	v_and_b32_e32 v14, 15, v14
	v_lshlrev_b32_e32 v13, v16, v13
	v_sub_u32_e32 v15, 29, v15
	v_and_b32_e32 v13, 7, v13
	v_cmp_eq_u16_e32 vcc, 0, v14
	v_cndmask_b32_e32 v12, v12, v13, vcc
	v_cndmask_b32_e32 v13, v14, v15, vcc
	v_lshlrev_b32_e32 v14, 16, v6
	v_mov_b32_e32 v15, 0x3b800000
	v_lshlrev_b32_e32 v12, 20, v12
	v_and_b32_e32 v14, 0x80000000, v14
	v_lshl_add_u32 v13, v13, 23, v15
	v_or3_b32 v12, v14, v13, v12
.LBB6_1036:
	s_or_b64 exec, exec, s[6:7]
	v_lshrrev_b32_e32 v13, 8, v2
	s_movk_i32 s4, 0x7f
	v_cmp_gt_i16_sdwa s[6:7], v13, s4 src0_sel:BYTE_0 src1_sel:DWORD
	s_mov_b64 s[4:5], 0
                                        ; implicit-def: $sgpr10
	s_and_saveexec_b64 s[8:9], s[6:7]
	s_xor_b64 s[6:7], exec, s[8:9]
	s_cbranch_execnz .LBB6_3085
; %bb.1037:
	s_or_saveexec_b64 s[6:7], s[6:7]
	v_mov_b32_e32 v14, s10
	s_xor_b64 exec, exec, s[6:7]
	s_cbranch_execnz .LBB6_3088
.LBB6_1038:
	s_or_b64 exec, exec, s[6:7]
	s_and_saveexec_b64 s[6:7], s[4:5]
	s_cbranch_execz .LBB6_1040
.LBB6_1039:
	v_bfe_u32 v14, v2, 8, 3
	v_ffbh_u32_e32 v16, v14
	v_min_u32_e32 v16, 32, v16
	v_lshrrev_b16_e32 v15, 3, v13
	v_subrev_u32_e32 v17, 28, v16
	v_and_b32_e32 v15, 15, v15
	v_lshlrev_b32_e32 v13, v17, v13
	v_sub_u32_e32 v16, 29, v16
	v_and_b32_e32 v13, 7, v13
	v_cmp_eq_u16_e32 vcc, 0, v15
	v_cndmask_b32_e32 v13, v14, v13, vcc
	v_cndmask_b32_e32 v14, v15, v16, vcc
	v_lshlrev_b32_e32 v15, 16, v2
	v_mov_b32_e32 v16, 0x3b800000
	v_lshlrev_b32_e32 v13, 20, v13
	v_and_b32_e32 v15, 0x80000000, v15
	v_lshl_add_u32 v14, v14, 23, v16
	v_or3_b32 v14, v15, v14, v13
.LBB6_1040:
	s_or_b64 exec, exec, s[6:7]
	s_nop 0
	v_mfma_f32_16x16x4f32 a[0:3], v12, v14, a[0:3]
	s_movk_i32 s4, 0xff
	v_and_b32_sdwa v13, v6, s4 dst_sel:DWORD dst_unused:UNUSED_PAD src0_sel:WORD_1 src1_sel:DWORD
	s_movk_i32 s4, 0x7f
	v_cmp_lt_i16_e32 vcc, s4, v13
	s_mov_b64 s[4:5], 0
                                        ; implicit-def: $sgpr10
	s_and_saveexec_b64 s[6:7], vcc
	s_xor_b64 s[6:7], exec, s[6:7]
	s_cbranch_execnz .LBB6_3089
; %bb.1041:
	s_or_saveexec_b64 s[6:7], s[6:7]
	v_mov_b32_e32 v12, s10
	s_xor_b64 exec, exec, s[6:7]
	s_cbranch_execnz .LBB6_3092
.LBB6_1042:
	s_or_b64 exec, exec, s[6:7]
	s_and_saveexec_b64 s[6:7], s[4:5]
	s_cbranch_execz .LBB6_1044
.LBB6_1043:
	v_bfe_u32 v12, v6, 16, 3
	v_ffbh_u32_e32 v15, v12
	v_min_u32_e32 v15, 32, v15
	v_lshrrev_b32_e32 v13, 19, v6
	v_subrev_u32_e32 v16, 28, v15
	v_and_b32_e32 v13, 15, v13
	v_lshlrev_b32_sdwa v16, v16, v6 dst_sel:DWORD dst_unused:UNUSED_PAD src0_sel:DWORD src1_sel:WORD_1
	v_bfe_u32 v14, v6, 19, 4
	v_sub_u32_e32 v15, 29, v15
	v_and_b32_e32 v16, 7, v16
	v_cmp_eq_u16_e32 vcc, 0, v13
	v_cndmask_b32_e32 v12, v12, v16, vcc
	v_cndmask_b32_e32 v13, v14, v15, vcc
	v_lshlrev_b32_e32 v14, 8, v6
	v_mov_b32_e32 v15, 0x3b800000
	v_lshlrev_b32_e32 v12, 20, v12
	v_and_b32_e32 v14, 0x80000000, v14
	v_lshl_add_u32 v13, v13, 23, v15
	v_or3_b32 v12, v14, v13, v12
.LBB6_1044:
	s_or_b64 exec, exec, s[6:7]
	s_movk_i32 s4, 0xff
	v_and_b32_sdwa v13, v2, s4 dst_sel:DWORD dst_unused:UNUSED_PAD src0_sel:WORD_1 src1_sel:DWORD
	s_movk_i32 s4, 0x7f
	v_cmp_lt_i16_e32 vcc, s4, v13
	s_mov_b64 s[4:5], 0
                                        ; implicit-def: $sgpr10
	s_and_saveexec_b64 s[6:7], vcc
	s_xor_b64 s[6:7], exec, s[6:7]
	s_cbranch_execnz .LBB6_3093
; %bb.1045:
	s_or_saveexec_b64 s[6:7], s[6:7]
	v_mov_b32_e32 v14, s10
	s_xor_b64 exec, exec, s[6:7]
	s_cbranch_execnz .LBB6_3096
.LBB6_1046:
	s_or_b64 exec, exec, s[6:7]
	s_and_saveexec_b64 s[6:7], s[4:5]
	s_cbranch_execz .LBB6_1048
.LBB6_1047:
	v_bfe_u32 v13, v2, 16, 3
	v_ffbh_u32_e32 v16, v13
	v_min_u32_e32 v16, 32, v16
	v_lshrrev_b32_e32 v14, 19, v2
	v_subrev_u32_e32 v17, 28, v16
	v_and_b32_e32 v14, 15, v14
	v_lshlrev_b32_sdwa v17, v17, v2 dst_sel:DWORD dst_unused:UNUSED_PAD src0_sel:DWORD src1_sel:WORD_1
	v_bfe_u32 v15, v2, 19, 4
	v_sub_u32_e32 v16, 29, v16
	v_and_b32_e32 v17, 7, v17
	v_cmp_eq_u16_e32 vcc, 0, v14
	v_cndmask_b32_e32 v13, v13, v17, vcc
	v_cndmask_b32_e32 v14, v15, v16, vcc
	v_lshlrev_b32_e32 v15, 8, v2
	v_mov_b32_e32 v16, 0x3b800000
	v_lshlrev_b32_e32 v13, 20, v13
	v_and_b32_e32 v15, 0x80000000, v15
	v_lshl_add_u32 v14, v14, 23, v16
	v_or3_b32 v14, v15, v14, v13
.LBB6_1048:
	s_or_b64 exec, exec, s[6:7]
	s_nop 0
	v_mfma_f32_16x16x4f32 a[0:3], v12, v14, a[0:3]
	s_movk_i32 s4, 0x7f
	v_cmp_gt_i16_sdwa s[6:7], v6, s4 src0_sel:BYTE_3 src1_sel:DWORD
	s_mov_b64 s[4:5], 0
                                        ; implicit-def: $sgpr10
	s_and_saveexec_b64 s[8:9], s[6:7]
	s_xor_b64 s[6:7], exec, s[8:9]
	s_cbranch_execnz .LBB6_3097
; %bb.1049:
	s_or_saveexec_b64 s[6:7], s[6:7]
	v_mov_b32_e32 v12, s10
	s_xor_b64 exec, exec, s[6:7]
	s_cbranch_execnz .LBB6_3100
.LBB6_1050:
	s_or_b64 exec, exec, s[6:7]
	s_and_saveexec_b64 s[6:7], s[4:5]
	s_cbranch_execz .LBB6_1052
.LBB6_1051:
	v_bfe_u32 v12, v6, 24, 3
	v_ffbh_u32_e32 v16, v12
	v_min_u32_e32 v16, 32, v16
	v_lshrrev_b32_e32 v14, 27, v6
	v_subrev_u32_e32 v17, 28, v16
	v_and_b32_e32 v13, 0x80000000, v6
	v_and_b32_e32 v14, 15, v14
	v_bfe_u32 v15, v6, 27, 4
	v_lshlrev_b32_sdwa v6, v17, v6 dst_sel:DWORD dst_unused:UNUSED_PAD src0_sel:DWORD src1_sel:BYTE_3
	v_sub_u32_e32 v16, 29, v16
	v_and_b32_e32 v6, 7, v6
	v_cmp_eq_u16_e32 vcc, 0, v14
	v_cndmask_b32_e32 v6, v12, v6, vcc
	v_cndmask_b32_e32 v12, v15, v16, vcc
	v_mov_b32_e32 v14, 0x3b800000
	v_lshlrev_b32_e32 v6, 20, v6
	v_lshl_add_u32 v12, v12, 23, v14
	v_or3_b32 v12, v13, v12, v6
.LBB6_1052:
	s_or_b64 exec, exec, s[6:7]
	s_movk_i32 s4, 0x7f
	v_cmp_gt_i16_sdwa s[6:7], v2, s4 src0_sel:BYTE_3 src1_sel:DWORD
	s_mov_b64 s[4:5], 0
                                        ; implicit-def: $sgpr10
	s_and_saveexec_b64 s[8:9], s[6:7]
	s_xor_b64 s[6:7], exec, s[8:9]
	s_cbranch_execnz .LBB6_3101
; %bb.1053:
	s_or_saveexec_b64 s[6:7], s[6:7]
	v_mov_b32_e32 v6, s10
	s_xor_b64 exec, exec, s[6:7]
	s_cbranch_execnz .LBB6_3104
.LBB6_1054:
	s_or_b64 exec, exec, s[6:7]
	s_and_saveexec_b64 s[6:7], s[4:5]
	s_cbranch_execz .LBB6_1056
.LBB6_1055:
	v_bfe_u32 v6, v2, 24, 3
	v_ffbh_u32_e32 v16, v6
	v_min_u32_e32 v16, 32, v16
	v_lshrrev_b32_e32 v14, 27, v2
	v_subrev_u32_e32 v17, 28, v16
	v_and_b32_e32 v13, 0x80000000, v2
	v_and_b32_e32 v14, 15, v14
	v_bfe_u32 v15, v2, 27, 4
	v_lshlrev_b32_sdwa v2, v17, v2 dst_sel:DWORD dst_unused:UNUSED_PAD src0_sel:DWORD src1_sel:BYTE_3
	v_sub_u32_e32 v16, 29, v16
	v_and_b32_e32 v2, 7, v2
	v_cmp_eq_u16_e32 vcc, 0, v14
	v_cndmask_b32_e32 v2, v6, v2, vcc
	v_cndmask_b32_e32 v6, v15, v16, vcc
	v_mov_b32_e32 v14, 0x3b800000
	v_lshlrev_b32_e32 v2, 20, v2
	v_lshl_add_u32 v6, v6, 23, v14
	v_or3_b32 v6, v13, v6, v2
.LBB6_1056:
	s_or_b64 exec, exec, s[6:7]
	s_nop 0
	v_mfma_f32_16x16x4f32 a[0:3], v12, v6, a[0:3]
	s_movk_i32 s4, 0x7f
	v_cmp_gt_i16_sdwa s[6:7], v7, s4 src0_sel:BYTE_0 src1_sel:DWORD
	s_mov_b64 s[4:5], 0
                                        ; implicit-def: $sgpr10
	s_and_saveexec_b64 s[8:9], s[6:7]
	s_xor_b64 s[6:7], exec, s[8:9]
	s_cbranch_execnz .LBB6_3105
; %bb.1057:
	s_or_saveexec_b64 s[6:7], s[6:7]
	v_mov_b32_e32 v2, s10
	s_xor_b64 exec, exec, s[6:7]
	s_cbranch_execnz .LBB6_3108
.LBB6_1058:
	s_or_b64 exec, exec, s[6:7]
	s_and_saveexec_b64 s[6:7], s[4:5]
	s_cbranch_execz .LBB6_1060
.LBB6_1059:
	v_and_b32_e32 v2, 7, v7
	v_ffbh_u32_e32 v12, v2
	v_min_u32_e32 v12, 32, v12
	v_lshrrev_b16_e32 v6, 3, v7
	v_subrev_u32_e32 v13, 28, v12
	v_and_b32_e32 v6, 15, v6
	v_lshlrev_b32_e32 v13, v13, v7
	v_sub_u32_e32 v12, 29, v12
	v_and_b32_e32 v13, 7, v13
	v_cmp_eq_u16_e32 vcc, 0, v6
	v_cndmask_b32_e32 v2, v2, v13, vcc
	v_cndmask_b32_e32 v6, v6, v12, vcc
	v_lshlrev_b32_e32 v12, 24, v7
	v_mov_b32_e32 v13, 0x3b800000
	v_lshlrev_b32_e32 v2, 20, v2
	v_and_b32_e32 v12, 0x80000000, v12
	v_lshl_add_u32 v6, v6, 23, v13
	v_or3_b32 v2, v12, v6, v2
.LBB6_1060:
	s_or_b64 exec, exec, s[6:7]
	s_movk_i32 s4, 0x7f
	v_cmp_gt_i16_sdwa s[6:7], v3, s4 src0_sel:BYTE_0 src1_sel:DWORD
	s_mov_b64 s[4:5], 0
                                        ; implicit-def: $sgpr10
	s_and_saveexec_b64 s[8:9], s[6:7]
	s_xor_b64 s[6:7], exec, s[8:9]
	s_cbranch_execnz .LBB6_3109
; %bb.1061:
	s_or_saveexec_b64 s[6:7], s[6:7]
	v_mov_b32_e32 v6, s10
	s_xor_b64 exec, exec, s[6:7]
	s_cbranch_execnz .LBB6_3112
.LBB6_1062:
	s_or_b64 exec, exec, s[6:7]
	s_and_saveexec_b64 s[6:7], s[4:5]
	s_cbranch_execz .LBB6_1064
.LBB6_1063:
	v_and_b32_e32 v6, 7, v3
	v_ffbh_u32_e32 v13, v6
	v_min_u32_e32 v13, 32, v13
	v_lshrrev_b16_e32 v12, 3, v3
	v_subrev_u32_e32 v14, 28, v13
	v_and_b32_e32 v12, 15, v12
	v_lshlrev_b32_e32 v14, v14, v3
	v_sub_u32_e32 v13, 29, v13
	v_and_b32_e32 v14, 7, v14
	v_cmp_eq_u16_e32 vcc, 0, v12
	v_cndmask_b32_e32 v6, v6, v14, vcc
	v_cndmask_b32_e32 v12, v12, v13, vcc
	v_lshlrev_b32_e32 v13, 24, v3
	v_mov_b32_e32 v14, 0x3b800000
	v_lshlrev_b32_e32 v6, 20, v6
	v_and_b32_e32 v13, 0x80000000, v13
	v_lshl_add_u32 v12, v12, 23, v14
	v_or3_b32 v6, v13, v12, v6
.LBB6_1064:
	s_or_b64 exec, exec, s[6:7]
	s_nop 0
	v_mfma_f32_16x16x4f32 a[0:3], v2, v6, a[0:3]
	v_lshrrev_b32_e32 v6, 8, v7
	s_movk_i32 s4, 0x7f
	v_cmp_gt_i16_sdwa s[6:7], v6, s4 src0_sel:BYTE_0 src1_sel:DWORD
	s_mov_b64 s[4:5], 0
                                        ; implicit-def: $sgpr10
	s_and_saveexec_b64 s[8:9], s[6:7]
	s_xor_b64 s[6:7], exec, s[8:9]
	s_cbranch_execnz .LBB6_3113
; %bb.1065:
	s_or_saveexec_b64 s[6:7], s[6:7]
	v_mov_b32_e32 v2, s10
	s_xor_b64 exec, exec, s[6:7]
	s_cbranch_execnz .LBB6_3116
.LBB6_1066:
	s_or_b64 exec, exec, s[6:7]
	s_and_saveexec_b64 s[6:7], s[4:5]
	s_cbranch_execz .LBB6_1068
.LBB6_1067:
	v_bfe_u32 v2, v7, 8, 3
	v_ffbh_u32_e32 v13, v2
	v_min_u32_e32 v13, 32, v13
	v_lshrrev_b16_e32 v12, 3, v6
	v_subrev_u32_e32 v14, 28, v13
	v_and_b32_e32 v12, 15, v12
	v_lshlrev_b32_e32 v6, v14, v6
	v_sub_u32_e32 v13, 29, v13
	v_and_b32_e32 v6, 7, v6
	v_cmp_eq_u16_e32 vcc, 0, v12
	v_cndmask_b32_e32 v2, v2, v6, vcc
	v_cndmask_b32_e32 v6, v12, v13, vcc
	v_lshlrev_b32_e32 v12, 16, v7
	v_mov_b32_e32 v13, 0x3b800000
	v_lshlrev_b32_e32 v2, 20, v2
	v_and_b32_e32 v12, 0x80000000, v12
	v_lshl_add_u32 v6, v6, 23, v13
	v_or3_b32 v2, v12, v6, v2
.LBB6_1068:
	s_or_b64 exec, exec, s[6:7]
	v_lshrrev_b32_e32 v6, 8, v3
	s_movk_i32 s4, 0x7f
	v_cmp_gt_i16_sdwa s[6:7], v6, s4 src0_sel:BYTE_0 src1_sel:DWORD
	s_mov_b64 s[4:5], 0
                                        ; implicit-def: $sgpr10
	s_and_saveexec_b64 s[8:9], s[6:7]
	s_xor_b64 s[6:7], exec, s[8:9]
	s_cbranch_execnz .LBB6_3117
; %bb.1069:
	s_or_saveexec_b64 s[6:7], s[6:7]
	v_mov_b32_e32 v12, s10
	s_xor_b64 exec, exec, s[6:7]
	s_cbranch_execnz .LBB6_3120
.LBB6_1070:
	s_or_b64 exec, exec, s[6:7]
	s_and_saveexec_b64 s[6:7], s[4:5]
	s_cbranch_execz .LBB6_1072
.LBB6_1071:
	v_bfe_u32 v12, v3, 8, 3
	v_ffbh_u32_e32 v14, v12
	v_min_u32_e32 v14, 32, v14
	v_lshrrev_b16_e32 v13, 3, v6
	v_subrev_u32_e32 v15, 28, v14
	v_and_b32_e32 v13, 15, v13
	v_lshlrev_b32_e32 v6, v15, v6
	v_sub_u32_e32 v14, 29, v14
	v_and_b32_e32 v6, 7, v6
	v_cmp_eq_u16_e32 vcc, 0, v13
	v_cndmask_b32_e32 v6, v12, v6, vcc
	v_cndmask_b32_e32 v12, v13, v14, vcc
	v_lshlrev_b32_e32 v13, 16, v3
	v_mov_b32_e32 v14, 0x3b800000
	v_lshlrev_b32_e32 v6, 20, v6
	v_and_b32_e32 v13, 0x80000000, v13
	v_lshl_add_u32 v12, v12, 23, v14
	v_or3_b32 v12, v13, v12, v6
.LBB6_1072:
	s_or_b64 exec, exec, s[6:7]
	s_nop 0
	v_mfma_f32_16x16x4f32 a[0:3], v2, v12, a[0:3]
	s_movk_i32 s4, 0xff
	v_and_b32_sdwa v6, v7, s4 dst_sel:DWORD dst_unused:UNUSED_PAD src0_sel:WORD_1 src1_sel:DWORD
	s_movk_i32 s4, 0x7f
	v_cmp_lt_i16_e32 vcc, s4, v6
	s_mov_b64 s[4:5], 0
                                        ; implicit-def: $sgpr10
	s_and_saveexec_b64 s[6:7], vcc
	s_xor_b64 s[6:7], exec, s[6:7]
	s_cbranch_execnz .LBB6_3121
; %bb.1073:
	s_or_saveexec_b64 s[6:7], s[6:7]
	v_mov_b32_e32 v2, s10
	s_xor_b64 exec, exec, s[6:7]
	s_cbranch_execnz .LBB6_3124
.LBB6_1074:
	s_or_b64 exec, exec, s[6:7]
	s_and_saveexec_b64 s[6:7], s[4:5]
	s_cbranch_execz .LBB6_1076
.LBB6_1075:
	v_bfe_u32 v2, v7, 16, 3
	v_ffbh_u32_e32 v13, v2
	v_min_u32_e32 v13, 32, v13
	v_lshrrev_b32_e32 v6, 19, v7
	v_subrev_u32_e32 v14, 28, v13
	v_and_b32_e32 v6, 15, v6
	v_lshlrev_b32_sdwa v14, v14, v7 dst_sel:DWORD dst_unused:UNUSED_PAD src0_sel:DWORD src1_sel:WORD_1
	v_bfe_u32 v12, v7, 19, 4
	v_sub_u32_e32 v13, 29, v13
	v_and_b32_e32 v14, 7, v14
	v_cmp_eq_u16_e32 vcc, 0, v6
	v_cndmask_b32_e32 v2, v2, v14, vcc
	v_cndmask_b32_e32 v6, v12, v13, vcc
	v_lshlrev_b32_e32 v12, 8, v7
	v_mov_b32_e32 v13, 0x3b800000
	v_lshlrev_b32_e32 v2, 20, v2
	v_and_b32_e32 v12, 0x80000000, v12
	v_lshl_add_u32 v6, v6, 23, v13
	v_or3_b32 v2, v12, v6, v2
.LBB6_1076:
	s_or_b64 exec, exec, s[6:7]
	s_movk_i32 s4, 0xff
	v_and_b32_sdwa v6, v3, s4 dst_sel:DWORD dst_unused:UNUSED_PAD src0_sel:WORD_1 src1_sel:DWORD
	s_movk_i32 s4, 0x7f
	v_cmp_lt_i16_e32 vcc, s4, v6
	s_mov_b64 s[4:5], 0
                                        ; implicit-def: $sgpr10
	s_and_saveexec_b64 s[6:7], vcc
	s_xor_b64 s[6:7], exec, s[6:7]
	s_cbranch_execnz .LBB6_3125
; %bb.1077:
	s_or_saveexec_b64 s[6:7], s[6:7]
	v_mov_b32_e32 v12, s10
	s_xor_b64 exec, exec, s[6:7]
	s_cbranch_execnz .LBB6_3128
.LBB6_1078:
	s_or_b64 exec, exec, s[6:7]
	s_and_saveexec_b64 s[6:7], s[4:5]
	s_cbranch_execz .LBB6_1080
.LBB6_1079:
	v_bfe_u32 v6, v3, 16, 3
	v_ffbh_u32_e32 v14, v6
	v_min_u32_e32 v14, 32, v14
	v_lshrrev_b32_e32 v12, 19, v3
	v_subrev_u32_e32 v15, 28, v14
	v_and_b32_e32 v12, 15, v12
	v_lshlrev_b32_sdwa v15, v15, v3 dst_sel:DWORD dst_unused:UNUSED_PAD src0_sel:DWORD src1_sel:WORD_1
	v_bfe_u32 v13, v3, 19, 4
	v_sub_u32_e32 v14, 29, v14
	v_and_b32_e32 v15, 7, v15
	v_cmp_eq_u16_e32 vcc, 0, v12
	v_cndmask_b32_e32 v6, v6, v15, vcc
	v_cndmask_b32_e32 v12, v13, v14, vcc
	v_lshlrev_b32_e32 v13, 8, v3
	v_mov_b32_e32 v14, 0x3b800000
	v_lshlrev_b32_e32 v6, 20, v6
	v_and_b32_e32 v13, 0x80000000, v13
	v_lshl_add_u32 v12, v12, 23, v14
	v_or3_b32 v12, v13, v12, v6
.LBB6_1080:
	s_or_b64 exec, exec, s[6:7]
	s_nop 0
	v_mfma_f32_16x16x4f32 a[0:3], v2, v12, a[0:3]
	s_movk_i32 s4, 0x7f
	v_cmp_gt_i16_sdwa s[6:7], v7, s4 src0_sel:BYTE_3 src1_sel:DWORD
	s_mov_b64 s[4:5], 0
                                        ; implicit-def: $sgpr10
	s_and_saveexec_b64 s[8:9], s[6:7]
	s_xor_b64 s[6:7], exec, s[8:9]
	s_cbranch_execnz .LBB6_3129
; %bb.1081:
	s_or_saveexec_b64 s[6:7], s[6:7]
	v_mov_b32_e32 v2, s10
	s_xor_b64 exec, exec, s[6:7]
	s_cbranch_execnz .LBB6_3132
.LBB6_1082:
	s_or_b64 exec, exec, s[6:7]
	s_and_saveexec_b64 s[6:7], s[4:5]
	s_cbranch_execz .LBB6_1084
.LBB6_1083:
	v_bfe_u32 v2, v7, 24, 3
	v_ffbh_u32_e32 v14, v2
	v_min_u32_e32 v14, 32, v14
	v_lshrrev_b32_e32 v12, 27, v7
	v_subrev_u32_e32 v15, 28, v14
	v_and_b32_e32 v6, 0x80000000, v7
	v_and_b32_e32 v12, 15, v12
	v_bfe_u32 v13, v7, 27, 4
	v_lshlrev_b32_sdwa v7, v15, v7 dst_sel:DWORD dst_unused:UNUSED_PAD src0_sel:DWORD src1_sel:BYTE_3
	v_sub_u32_e32 v14, 29, v14
	v_and_b32_e32 v7, 7, v7
	v_cmp_eq_u16_e32 vcc, 0, v12
	v_cndmask_b32_e32 v2, v2, v7, vcc
	v_cndmask_b32_e32 v7, v13, v14, vcc
	v_mov_b32_e32 v12, 0x3b800000
	v_lshlrev_b32_e32 v2, 20, v2
	v_lshl_add_u32 v7, v7, 23, v12
	v_or3_b32 v2, v6, v7, v2
.LBB6_1084:
	s_or_b64 exec, exec, s[6:7]
	s_movk_i32 s4, 0x7f
	v_cmp_gt_i16_sdwa s[6:7], v3, s4 src0_sel:BYTE_3 src1_sel:DWORD
	s_mov_b64 s[4:5], 0
                                        ; implicit-def: $sgpr10
	s_and_saveexec_b64 s[8:9], s[6:7]
	s_xor_b64 s[6:7], exec, s[8:9]
	s_cbranch_execnz .LBB6_3133
; %bb.1085:
	s_or_saveexec_b64 s[6:7], s[6:7]
	v_mov_b32_e32 v6, s10
	s_xor_b64 exec, exec, s[6:7]
	s_cbranch_execnz .LBB6_3136
.LBB6_1086:
	s_or_b64 exec, exec, s[6:7]
	s_and_saveexec_b64 s[6:7], s[4:5]
	s_cbranch_execz .LBB6_1088
.LBB6_1087:
	v_bfe_u32 v6, v3, 24, 3
	v_ffbh_u32_e32 v14, v6
	v_min_u32_e32 v14, 32, v14
	v_lshrrev_b32_e32 v12, 27, v3
	v_subrev_u32_e32 v15, 28, v14
	v_and_b32_e32 v7, 0x80000000, v3
	v_and_b32_e32 v12, 15, v12
	v_bfe_u32 v13, v3, 27, 4
	v_lshlrev_b32_sdwa v3, v15, v3 dst_sel:DWORD dst_unused:UNUSED_PAD src0_sel:DWORD src1_sel:BYTE_3
	v_sub_u32_e32 v14, 29, v14
	v_and_b32_e32 v3, 7, v3
	v_cmp_eq_u16_e32 vcc, 0, v12
	v_cndmask_b32_e32 v3, v6, v3, vcc
	v_cndmask_b32_e32 v6, v13, v14, vcc
	v_mov_b32_e32 v12, 0x3b800000
	v_lshlrev_b32_e32 v3, 20, v3
	v_lshl_add_u32 v6, v6, 23, v12
	v_or3_b32 v6, v7, v6, v3
.LBB6_1088:
	s_or_b64 exec, exec, s[6:7]
	s_nop 0
	v_mfma_f32_16x16x4f32 a[0:3], v2, v6, a[0:3]
	s_movk_i32 s4, 0x7f
	v_cmp_gt_i16_sdwa s[6:7], v8, s4 src0_sel:BYTE_0 src1_sel:DWORD
	s_mov_b64 s[4:5], 0
                                        ; implicit-def: $sgpr10
	s_and_saveexec_b64 s[8:9], s[6:7]
	s_xor_b64 s[6:7], exec, s[8:9]
	s_cbranch_execnz .LBB6_3137
; %bb.1089:
	s_or_saveexec_b64 s[6:7], s[6:7]
	v_mov_b32_e32 v2, s10
	s_xor_b64 exec, exec, s[6:7]
	s_cbranch_execnz .LBB6_3140
.LBB6_1090:
	s_or_b64 exec, exec, s[6:7]
	s_and_saveexec_b64 s[6:7], s[4:5]
	s_cbranch_execz .LBB6_1092
.LBB6_1091:
	v_and_b32_e32 v2, 7, v8
	v_ffbh_u32_e32 v6, v2
	v_min_u32_e32 v6, 32, v6
	v_lshrrev_b16_e32 v3, 3, v8
	v_subrev_u32_e32 v7, 28, v6
	v_and_b32_e32 v3, 15, v3
	v_lshlrev_b32_e32 v7, v7, v8
	v_sub_u32_e32 v6, 29, v6
	v_and_b32_e32 v7, 7, v7
	v_cmp_eq_u16_e32 vcc, 0, v3
	v_cndmask_b32_e32 v2, v2, v7, vcc
	v_cndmask_b32_e32 v3, v3, v6, vcc
	v_lshlrev_b32_e32 v6, 24, v8
	v_mov_b32_e32 v7, 0x3b800000
	v_lshlrev_b32_e32 v2, 20, v2
	v_and_b32_e32 v6, 0x80000000, v6
	v_lshl_add_u32 v3, v3, 23, v7
	v_or3_b32 v2, v6, v3, v2
.LBB6_1092:
	s_or_b64 exec, exec, s[6:7]
	s_movk_i32 s4, 0x7f
	v_cmp_gt_i16_sdwa s[6:7], v4, s4 src0_sel:BYTE_0 src1_sel:DWORD
	s_mov_b64 s[4:5], 0
                                        ; implicit-def: $sgpr10
	s_and_saveexec_b64 s[8:9], s[6:7]
	s_xor_b64 s[6:7], exec, s[8:9]
	s_cbranch_execnz .LBB6_3141
; %bb.1093:
	s_or_saveexec_b64 s[6:7], s[6:7]
	v_mov_b32_e32 v3, s10
	s_xor_b64 exec, exec, s[6:7]
	s_cbranch_execnz .LBB6_3144
.LBB6_1094:
	s_or_b64 exec, exec, s[6:7]
	s_and_saveexec_b64 s[6:7], s[4:5]
	s_cbranch_execz .LBB6_1096
.LBB6_1095:
	v_and_b32_e32 v3, 7, v4
	v_ffbh_u32_e32 v7, v3
	v_min_u32_e32 v7, 32, v7
	v_lshrrev_b16_e32 v6, 3, v4
	v_subrev_u32_e32 v12, 28, v7
	v_and_b32_e32 v6, 15, v6
	v_lshlrev_b32_e32 v12, v12, v4
	v_sub_u32_e32 v7, 29, v7
	v_and_b32_e32 v12, 7, v12
	v_cmp_eq_u16_e32 vcc, 0, v6
	v_cndmask_b32_e32 v3, v3, v12, vcc
	v_cndmask_b32_e32 v6, v6, v7, vcc
	v_lshlrev_b32_e32 v7, 24, v4
	v_mov_b32_e32 v12, 0x3b800000
	v_lshlrev_b32_e32 v3, 20, v3
	v_and_b32_e32 v7, 0x80000000, v7
	v_lshl_add_u32 v6, v6, 23, v12
	v_or3_b32 v3, v7, v6, v3
.LBB6_1096:
	s_or_b64 exec, exec, s[6:7]
	s_nop 0
	v_mfma_f32_16x16x4f32 a[0:3], v2, v3, a[0:3]
	v_lshrrev_b32_e32 v3, 8, v8
	s_movk_i32 s4, 0x7f
	v_cmp_gt_i16_sdwa s[6:7], v3, s4 src0_sel:BYTE_0 src1_sel:DWORD
	s_mov_b64 s[4:5], 0
                                        ; implicit-def: $sgpr10
	s_and_saveexec_b64 s[8:9], s[6:7]
	s_xor_b64 s[6:7], exec, s[8:9]
	s_cbranch_execnz .LBB6_3145
; %bb.1097:
	s_or_saveexec_b64 s[6:7], s[6:7]
	v_mov_b32_e32 v2, s10
	s_xor_b64 exec, exec, s[6:7]
	s_cbranch_execnz .LBB6_3148
.LBB6_1098:
	s_or_b64 exec, exec, s[6:7]
	s_and_saveexec_b64 s[6:7], s[4:5]
	s_cbranch_execz .LBB6_1100
.LBB6_1099:
	v_bfe_u32 v2, v8, 8, 3
	v_ffbh_u32_e32 v7, v2
	v_min_u32_e32 v7, 32, v7
	v_lshrrev_b16_e32 v6, 3, v3
	v_subrev_u32_e32 v12, 28, v7
	v_and_b32_e32 v6, 15, v6
	v_lshlrev_b32_e32 v3, v12, v3
	v_sub_u32_e32 v7, 29, v7
	v_and_b32_e32 v3, 7, v3
	v_cmp_eq_u16_e32 vcc, 0, v6
	v_cndmask_b32_e32 v2, v2, v3, vcc
	v_cndmask_b32_e32 v3, v6, v7, vcc
	v_lshlrev_b32_e32 v6, 16, v8
	v_mov_b32_e32 v7, 0x3b800000
	v_lshlrev_b32_e32 v2, 20, v2
	v_and_b32_e32 v6, 0x80000000, v6
	v_lshl_add_u32 v3, v3, 23, v7
	v_or3_b32 v2, v6, v3, v2
.LBB6_1100:
	s_or_b64 exec, exec, s[6:7]
	v_lshrrev_b32_e32 v3, 8, v4
	s_movk_i32 s4, 0x7f
	v_cmp_gt_i16_sdwa s[6:7], v3, s4 src0_sel:BYTE_0 src1_sel:DWORD
	s_mov_b64 s[4:5], 0
                                        ; implicit-def: $sgpr10
	s_and_saveexec_b64 s[8:9], s[6:7]
	s_xor_b64 s[6:7], exec, s[8:9]
	s_cbranch_execnz .LBB6_3149
; %bb.1101:
	s_or_saveexec_b64 s[6:7], s[6:7]
	v_mov_b32_e32 v6, s10
	s_xor_b64 exec, exec, s[6:7]
	s_cbranch_execnz .LBB6_3152
.LBB6_1102:
	s_or_b64 exec, exec, s[6:7]
	s_and_saveexec_b64 s[6:7], s[4:5]
	s_cbranch_execz .LBB6_1104
.LBB6_1103:
	v_bfe_u32 v6, v4, 8, 3
	v_ffbh_u32_e32 v12, v6
	v_min_u32_e32 v12, 32, v12
	v_lshrrev_b16_e32 v7, 3, v3
	v_subrev_u32_e32 v13, 28, v12
	v_and_b32_e32 v7, 15, v7
	v_lshlrev_b32_e32 v3, v13, v3
	v_sub_u32_e32 v12, 29, v12
	v_and_b32_e32 v3, 7, v3
	v_cmp_eq_u16_e32 vcc, 0, v7
	v_cndmask_b32_e32 v3, v6, v3, vcc
	v_cndmask_b32_e32 v6, v7, v12, vcc
	v_lshlrev_b32_e32 v7, 16, v4
	v_mov_b32_e32 v12, 0x3b800000
	v_lshlrev_b32_e32 v3, 20, v3
	v_and_b32_e32 v7, 0x80000000, v7
	v_lshl_add_u32 v6, v6, 23, v12
	v_or3_b32 v6, v7, v6, v3
.LBB6_1104:
	s_or_b64 exec, exec, s[6:7]
	s_nop 0
	v_mfma_f32_16x16x4f32 a[0:3], v2, v6, a[0:3]
	s_movk_i32 s4, 0xff
	v_and_b32_sdwa v3, v8, s4 dst_sel:DWORD dst_unused:UNUSED_PAD src0_sel:WORD_1 src1_sel:DWORD
	s_movk_i32 s4, 0x7f
	v_cmp_lt_i16_e32 vcc, s4, v3
	s_mov_b64 s[4:5], 0
                                        ; implicit-def: $sgpr10
	s_and_saveexec_b64 s[6:7], vcc
	s_xor_b64 s[6:7], exec, s[6:7]
	s_cbranch_execnz .LBB6_3153
; %bb.1105:
	s_or_saveexec_b64 s[6:7], s[6:7]
	v_mov_b32_e32 v2, s10
	s_xor_b64 exec, exec, s[6:7]
	s_cbranch_execnz .LBB6_3156
.LBB6_1106:
	s_or_b64 exec, exec, s[6:7]
	s_and_saveexec_b64 s[6:7], s[4:5]
	s_cbranch_execz .LBB6_1108
.LBB6_1107:
	v_bfe_u32 v2, v8, 16, 3
	v_ffbh_u32_e32 v7, v2
	v_min_u32_e32 v7, 32, v7
	v_lshrrev_b32_e32 v3, 19, v8
	v_subrev_u32_e32 v12, 28, v7
	v_and_b32_e32 v3, 15, v3
	v_lshlrev_b32_sdwa v12, v12, v8 dst_sel:DWORD dst_unused:UNUSED_PAD src0_sel:DWORD src1_sel:WORD_1
	v_bfe_u32 v6, v8, 19, 4
	v_sub_u32_e32 v7, 29, v7
	v_and_b32_e32 v12, 7, v12
	v_cmp_eq_u16_e32 vcc, 0, v3
	v_cndmask_b32_e32 v2, v2, v12, vcc
	v_cndmask_b32_e32 v3, v6, v7, vcc
	v_lshlrev_b32_e32 v6, 8, v8
	v_mov_b32_e32 v7, 0x3b800000
	v_lshlrev_b32_e32 v2, 20, v2
	v_and_b32_e32 v6, 0x80000000, v6
	v_lshl_add_u32 v3, v3, 23, v7
	v_or3_b32 v2, v6, v3, v2
.LBB6_1108:
	s_or_b64 exec, exec, s[6:7]
	s_movk_i32 s4, 0xff
	v_and_b32_sdwa v3, v4, s4 dst_sel:DWORD dst_unused:UNUSED_PAD src0_sel:WORD_1 src1_sel:DWORD
	s_movk_i32 s4, 0x7f
	v_cmp_lt_i16_e32 vcc, s4, v3
	s_mov_b64 s[4:5], 0
                                        ; implicit-def: $sgpr10
	s_and_saveexec_b64 s[6:7], vcc
	s_xor_b64 s[6:7], exec, s[6:7]
	s_cbranch_execnz .LBB6_3157
; %bb.1109:
	s_or_saveexec_b64 s[6:7], s[6:7]
	v_mov_b32_e32 v6, s10
	s_xor_b64 exec, exec, s[6:7]
	s_cbranch_execnz .LBB6_3160
.LBB6_1110:
	s_or_b64 exec, exec, s[6:7]
	s_and_saveexec_b64 s[6:7], s[4:5]
	s_cbranch_execz .LBB6_1112
.LBB6_1111:
	v_bfe_u32 v3, v4, 16, 3
	v_ffbh_u32_e32 v12, v3
	v_min_u32_e32 v12, 32, v12
	v_lshrrev_b32_e32 v6, 19, v4
	v_subrev_u32_e32 v13, 28, v12
	v_and_b32_e32 v6, 15, v6
	v_lshlrev_b32_sdwa v13, v13, v4 dst_sel:DWORD dst_unused:UNUSED_PAD src0_sel:DWORD src1_sel:WORD_1
	v_bfe_u32 v7, v4, 19, 4
	v_sub_u32_e32 v12, 29, v12
	v_and_b32_e32 v13, 7, v13
	v_cmp_eq_u16_e32 vcc, 0, v6
	v_cndmask_b32_e32 v3, v3, v13, vcc
	v_cndmask_b32_e32 v6, v7, v12, vcc
	v_lshlrev_b32_e32 v7, 8, v4
	v_mov_b32_e32 v12, 0x3b800000
	v_lshlrev_b32_e32 v3, 20, v3
	v_and_b32_e32 v7, 0x80000000, v7
	v_lshl_add_u32 v6, v6, 23, v12
	v_or3_b32 v6, v7, v6, v3
.LBB6_1112:
	s_or_b64 exec, exec, s[6:7]
	s_nop 0
	v_mfma_f32_16x16x4f32 a[0:3], v2, v6, a[0:3]
	s_movk_i32 s4, 0x7f
	v_cmp_gt_i16_sdwa s[6:7], v8, s4 src0_sel:BYTE_3 src1_sel:DWORD
	s_mov_b64 s[4:5], 0
                                        ; implicit-def: $sgpr10
	s_and_saveexec_b64 s[8:9], s[6:7]
	s_xor_b64 s[6:7], exec, s[8:9]
	s_cbranch_execnz .LBB6_3161
; %bb.1113:
	s_or_saveexec_b64 s[6:7], s[6:7]
	v_mov_b32_e32 v2, s10
	s_xor_b64 exec, exec, s[6:7]
	s_cbranch_execnz .LBB6_3164
.LBB6_1114:
	s_or_b64 exec, exec, s[6:7]
	s_and_saveexec_b64 s[6:7], s[4:5]
	s_cbranch_execz .LBB6_1116
.LBB6_1115:
	v_bfe_u32 v2, v8, 24, 3
	v_ffbh_u32_e32 v12, v2
	v_min_u32_e32 v12, 32, v12
	v_lshrrev_b32_e32 v6, 27, v8
	v_subrev_u32_e32 v13, 28, v12
	v_and_b32_e32 v3, 0x80000000, v8
	v_and_b32_e32 v6, 15, v6
	v_bfe_u32 v7, v8, 27, 4
	v_lshlrev_b32_sdwa v8, v13, v8 dst_sel:DWORD dst_unused:UNUSED_PAD src0_sel:DWORD src1_sel:BYTE_3
	v_sub_u32_e32 v12, 29, v12
	v_and_b32_e32 v8, 7, v8
	v_cmp_eq_u16_e32 vcc, 0, v6
	v_cndmask_b32_e32 v2, v2, v8, vcc
	v_cndmask_b32_e32 v6, v7, v12, vcc
	v_mov_b32_e32 v7, 0x3b800000
	v_lshlrev_b32_e32 v2, 20, v2
	v_lshl_add_u32 v6, v6, 23, v7
	v_or3_b32 v2, v3, v6, v2
.LBB6_1116:
	s_or_b64 exec, exec, s[6:7]
	s_movk_i32 s4, 0x7f
	v_cmp_gt_i16_sdwa s[6:7], v4, s4 src0_sel:BYTE_3 src1_sel:DWORD
	s_mov_b64 s[4:5], 0
                                        ; implicit-def: $sgpr10
	s_and_saveexec_b64 s[8:9], s[6:7]
	s_xor_b64 s[6:7], exec, s[8:9]
	s_cbranch_execnz .LBB6_3165
; %bb.1117:
	s_or_saveexec_b64 s[6:7], s[6:7]
	v_mov_b32_e32 v3, s10
	s_xor_b64 exec, exec, s[6:7]
	s_cbranch_execnz .LBB6_3168
.LBB6_1118:
	s_or_b64 exec, exec, s[6:7]
	s_and_saveexec_b64 s[6:7], s[4:5]
	s_cbranch_execz .LBB6_1120
.LBB6_1119:
	v_bfe_u32 v3, v4, 24, 3
	v_ffbh_u32_e32 v12, v3
	v_min_u32_e32 v12, 32, v12
	v_lshrrev_b32_e32 v7, 27, v4
	v_subrev_u32_e32 v13, 28, v12
	v_and_b32_e32 v6, 0x80000000, v4
	v_and_b32_e32 v7, 15, v7
	v_bfe_u32 v8, v4, 27, 4
	v_lshlrev_b32_sdwa v4, v13, v4 dst_sel:DWORD dst_unused:UNUSED_PAD src0_sel:DWORD src1_sel:BYTE_3
	v_sub_u32_e32 v12, 29, v12
	v_and_b32_e32 v4, 7, v4
	v_cmp_eq_u16_e32 vcc, 0, v7
	v_cndmask_b32_e32 v3, v3, v4, vcc
	v_cndmask_b32_e32 v4, v8, v12, vcc
	v_mov_b32_e32 v7, 0x3b800000
	v_lshlrev_b32_e32 v3, 20, v3
	v_lshl_add_u32 v4, v4, 23, v7
	v_or3_b32 v3, v6, v4, v3
.LBB6_1120:
	s_or_b64 exec, exec, s[6:7]
	s_nop 0
	v_mfma_f32_16x16x4f32 a[0:3], v2, v3, a[0:3]
	s_movk_i32 s4, 0x7f
	v_cmp_gt_i16_sdwa s[6:7], v9, s4 src0_sel:BYTE_0 src1_sel:DWORD
	s_mov_b64 s[4:5], 0
                                        ; implicit-def: $sgpr10
	s_and_saveexec_b64 s[8:9], s[6:7]
	s_xor_b64 s[6:7], exec, s[8:9]
	s_cbranch_execnz .LBB6_3169
; %bb.1121:
	s_or_saveexec_b64 s[6:7], s[6:7]
	v_mov_b32_e32 v2, s10
	s_xor_b64 exec, exec, s[6:7]
	s_cbranch_execnz .LBB6_3172
.LBB6_1122:
	s_or_b64 exec, exec, s[6:7]
	s_and_saveexec_b64 s[6:7], s[4:5]
	s_cbranch_execz .LBB6_1124
.LBB6_1123:
	v_mov_b32_e32 v2, 8
	v_and_b32_e32 v3, 7, v9
	v_lshrrev_b32_sdwa v2, v2, v9 dst_sel:BYTE_1 dst_unused:UNUSED_PAD src0_sel:DWORD src1_sel:DWORD
	v_ffbh_u32_e32 v4, v3
	v_or_b32_sdwa v2, v9, v2 dst_sel:DWORD dst_unused:UNUSED_PAD src0_sel:BYTE_0 src1_sel:DWORD
	v_min_u32_e32 v4, 32, v4
	v_lshrrev_b16_e32 v2, 3, v2
	v_subrev_u32_e32 v6, 28, v4
	v_and_b32_e32 v2, 15, v2
	v_lshlrev_b32_e32 v6, v6, v9
	v_sub_u32_e32 v4, 29, v4
	v_and_b32_e32 v6, 7, v6
	v_cmp_eq_u16_e32 vcc, 0, v2
	v_cndmask_b32_e32 v3, v3, v6, vcc
	v_cndmask_b32_e32 v2, v2, v4, vcc
	v_lshlrev_b32_e32 v4, 24, v9
	v_mov_b32_e32 v6, 0x3b800000
	v_lshlrev_b32_e32 v3, 20, v3
	v_and_b32_e32 v4, 0x80000000, v4
	v_lshl_add_u32 v2, v2, 23, v6
	v_or3_b32 v2, v4, v2, v3
.LBB6_1124:
	s_or_b64 exec, exec, s[6:7]
	s_movk_i32 s4, 0x7f
	v_cmp_gt_i16_sdwa s[6:7], v5, s4 src0_sel:BYTE_0 src1_sel:DWORD
	s_mov_b64 s[4:5], 0
                                        ; implicit-def: $sgpr10
	s_and_saveexec_b64 s[8:9], s[6:7]
	s_xor_b64 s[6:7], exec, s[8:9]
	s_cbranch_execnz .LBB6_3173
; %bb.1125:
	s_or_saveexec_b64 s[6:7], s[6:7]
	v_mov_b32_e32 v3, s10
	s_xor_b64 exec, exec, s[6:7]
	s_cbranch_execnz .LBB6_3176
.LBB6_1126:
	s_or_b64 exec, exec, s[6:7]
	s_and_saveexec_b64 s[6:7], s[4:5]
	s_cbranch_execz .LBB6_1128
.LBB6_1127:
	v_mov_b32_e32 v3, 8
	v_and_b32_e32 v4, 7, v5
	v_lshrrev_b32_sdwa v3, v3, v5 dst_sel:BYTE_1 dst_unused:UNUSED_PAD src0_sel:DWORD src1_sel:DWORD
	v_ffbh_u32_e32 v6, v4
	v_or_b32_sdwa v3, v5, v3 dst_sel:DWORD dst_unused:UNUSED_PAD src0_sel:BYTE_0 src1_sel:DWORD
	v_min_u32_e32 v6, 32, v6
	v_lshrrev_b16_e32 v3, 3, v3
	v_subrev_u32_e32 v7, 28, v6
	v_and_b32_e32 v3, 15, v3
	v_lshlrev_b32_e32 v7, v7, v5
	v_sub_u32_e32 v6, 29, v6
	v_and_b32_e32 v7, 7, v7
	v_cmp_eq_u16_e32 vcc, 0, v3
	v_cndmask_b32_e32 v4, v4, v7, vcc
	v_cndmask_b32_e32 v3, v3, v6, vcc
	v_lshlrev_b32_e32 v6, 24, v5
	v_mov_b32_e32 v7, 0x3b800000
	v_lshlrev_b32_e32 v4, 20, v4
	v_and_b32_e32 v6, 0x80000000, v6
	v_lshl_add_u32 v3, v3, 23, v7
	v_or3_b32 v3, v6, v3, v4
.LBB6_1128:
	s_or_b64 exec, exec, s[6:7]
	s_nop 0
	v_mfma_f32_16x16x4f32 a[0:3], v2, v3, a[0:3]
	v_lshrrev_b32_e32 v3, 8, v9
	s_movk_i32 s4, 0x7f
	v_cmp_gt_i16_sdwa s[6:7], v3, s4 src0_sel:BYTE_0 src1_sel:DWORD
	s_mov_b64 s[4:5], 0
                                        ; implicit-def: $sgpr10
	s_and_saveexec_b64 s[8:9], s[6:7]
	s_xor_b64 s[6:7], exec, s[8:9]
	s_cbranch_execnz .LBB6_3177
; %bb.1129:
	s_or_saveexec_b64 s[6:7], s[6:7]
	v_mov_b32_e32 v2, s10
	s_xor_b64 exec, exec, s[6:7]
	s_cbranch_execnz .LBB6_3180
.LBB6_1130:
	s_or_b64 exec, exec, s[6:7]
	s_and_saveexec_b64 s[6:7], s[4:5]
	s_cbranch_execz .LBB6_1132
.LBB6_1131:
	v_bfe_u32 v2, v9, 8, 3
	v_ffbh_u32_e32 v6, v2
	v_min_u32_e32 v6, 32, v6
	v_lshrrev_b16_e32 v4, 3, v3
	v_subrev_u32_e32 v7, 28, v6
	v_and_b32_e32 v4, 15, v4
	v_lshlrev_b32_e32 v3, v7, v3
	v_sub_u32_e32 v6, 29, v6
	v_and_b32_e32 v3, 7, v3
	v_cmp_eq_u16_e32 vcc, 0, v4
	v_cndmask_b32_e32 v2, v2, v3, vcc
	v_cndmask_b32_e32 v3, v4, v6, vcc
	v_lshlrev_b32_e32 v4, 16, v9
	v_mov_b32_e32 v6, 0x3b800000
	v_lshlrev_b32_e32 v2, 20, v2
	v_and_b32_e32 v4, 0x80000000, v4
	v_lshl_add_u32 v3, v3, 23, v6
	v_or3_b32 v2, v4, v3, v2
.LBB6_1132:
	s_or_b64 exec, exec, s[6:7]
	v_lshrrev_b32_e32 v3, 8, v5
	s_movk_i32 s4, 0x7f
	v_cmp_gt_i16_sdwa s[6:7], v3, s4 src0_sel:BYTE_0 src1_sel:DWORD
	s_mov_b64 s[4:5], 0
                                        ; implicit-def: $sgpr10
	s_and_saveexec_b64 s[8:9], s[6:7]
	s_xor_b64 s[6:7], exec, s[8:9]
	s_cbranch_execnz .LBB6_3181
; %bb.1133:
	s_or_saveexec_b64 s[6:7], s[6:7]
	v_mov_b32_e32 v4, s10
	s_xor_b64 exec, exec, s[6:7]
	s_cbranch_execnz .LBB6_3184
.LBB6_1134:
	s_or_b64 exec, exec, s[6:7]
	s_and_saveexec_b64 s[6:7], s[4:5]
	s_cbranch_execz .LBB6_1136
.LBB6_1135:
	v_bfe_u32 v4, v5, 8, 3
	v_ffbh_u32_e32 v7, v4
	v_min_u32_e32 v7, 32, v7
	v_lshrrev_b16_e32 v6, 3, v3
	v_subrev_u32_e32 v8, 28, v7
	v_and_b32_e32 v6, 15, v6
	v_lshlrev_b32_e32 v3, v8, v3
	v_sub_u32_e32 v7, 29, v7
	v_and_b32_e32 v3, 7, v3
	v_cmp_eq_u16_e32 vcc, 0, v6
	v_cndmask_b32_e32 v3, v4, v3, vcc
	v_cndmask_b32_e32 v4, v6, v7, vcc
	v_lshlrev_b32_e32 v6, 16, v5
	v_mov_b32_e32 v7, 0x3b800000
	v_lshlrev_b32_e32 v3, 20, v3
	v_and_b32_e32 v6, 0x80000000, v6
	v_lshl_add_u32 v4, v4, 23, v7
	v_or3_b32 v4, v6, v4, v3
.LBB6_1136:
	s_or_b64 exec, exec, s[6:7]
	s_nop 0
	v_mfma_f32_16x16x4f32 a[0:3], v2, v4, a[0:3]
	s_movk_i32 s4, 0xff
	v_and_b32_sdwa v3, v9, s4 dst_sel:DWORD dst_unused:UNUSED_PAD src0_sel:WORD_1 src1_sel:DWORD
	s_movk_i32 s4, 0x7f
	v_cmp_lt_i16_e32 vcc, s4, v3
	s_mov_b64 s[4:5], 0
                                        ; implicit-def: $sgpr10
	s_and_saveexec_b64 s[6:7], vcc
	s_xor_b64 s[6:7], exec, s[6:7]
	s_cbranch_execnz .LBB6_3185
; %bb.1137:
	s_or_saveexec_b64 s[6:7], s[6:7]
	v_mov_b32_e32 v2, s10
	s_xor_b64 exec, exec, s[6:7]
	s_cbranch_execnz .LBB6_3188
.LBB6_1138:
	s_or_b64 exec, exec, s[6:7]
	s_and_saveexec_b64 s[6:7], s[4:5]
	s_cbranch_execz .LBB6_1140
.LBB6_1139:
	v_bfe_u32 v2, v9, 16, 3
	v_ffbh_u32_e32 v6, v2
	v_min_u32_e32 v6, 32, v6
	v_lshrrev_b32_e32 v3, 19, v9
	v_subrev_u32_e32 v7, 28, v6
	v_and_b32_e32 v3, 15, v3
	v_lshlrev_b32_sdwa v7, v7, v9 dst_sel:DWORD dst_unused:UNUSED_PAD src0_sel:DWORD src1_sel:WORD_1
	v_bfe_u32 v4, v9, 19, 4
	v_sub_u32_e32 v6, 29, v6
	v_and_b32_e32 v7, 7, v7
	v_cmp_eq_u16_e32 vcc, 0, v3
	v_cndmask_b32_e32 v2, v2, v7, vcc
	v_cndmask_b32_e32 v3, v4, v6, vcc
	v_lshlrev_b32_e32 v4, 8, v9
	v_mov_b32_e32 v6, 0x3b800000
	v_lshlrev_b32_e32 v2, 20, v2
	v_and_b32_e32 v4, 0x80000000, v4
	v_lshl_add_u32 v3, v3, 23, v6
	v_or3_b32 v2, v4, v3, v2
.LBB6_1140:
	s_or_b64 exec, exec, s[6:7]
	s_movk_i32 s4, 0xff
	v_and_b32_sdwa v3, v5, s4 dst_sel:DWORD dst_unused:UNUSED_PAD src0_sel:WORD_1 src1_sel:DWORD
	s_movk_i32 s4, 0x7f
	v_cmp_lt_i16_e32 vcc, s4, v3
	s_mov_b64 s[4:5], 0
                                        ; implicit-def: $sgpr10
	s_and_saveexec_b64 s[6:7], vcc
	s_xor_b64 s[6:7], exec, s[6:7]
	s_cbranch_execnz .LBB6_3189
; %bb.1141:
	s_or_saveexec_b64 s[6:7], s[6:7]
	v_mov_b32_e32 v4, s10
	s_xor_b64 exec, exec, s[6:7]
	s_cbranch_execnz .LBB6_3192
.LBB6_1142:
	s_or_b64 exec, exec, s[6:7]
	s_and_saveexec_b64 s[6:7], s[4:5]
	s_cbranch_execz .LBB6_1144
.LBB6_1143:
	v_bfe_u32 v3, v5, 16, 3
	v_ffbh_u32_e32 v7, v3
	v_min_u32_e32 v7, 32, v7
	v_lshrrev_b32_e32 v4, 19, v5
	v_subrev_u32_e32 v8, 28, v7
	v_and_b32_e32 v4, 15, v4
	v_lshlrev_b32_sdwa v8, v8, v5 dst_sel:DWORD dst_unused:UNUSED_PAD src0_sel:DWORD src1_sel:WORD_1
	v_bfe_u32 v6, v5, 19, 4
	v_sub_u32_e32 v7, 29, v7
	v_and_b32_e32 v8, 7, v8
	v_cmp_eq_u16_e32 vcc, 0, v4
	v_cndmask_b32_e32 v3, v3, v8, vcc
	v_cndmask_b32_e32 v4, v6, v7, vcc
	v_lshlrev_b32_e32 v6, 8, v5
	v_mov_b32_e32 v7, 0x3b800000
	v_lshlrev_b32_e32 v3, 20, v3
	v_and_b32_e32 v6, 0x80000000, v6
	v_lshl_add_u32 v4, v4, 23, v7
	v_or3_b32 v4, v6, v4, v3
.LBB6_1144:
	s_or_b64 exec, exec, s[6:7]
	s_nop 0
	v_mfma_f32_16x16x4f32 a[0:3], v2, v4, a[0:3]
	s_movk_i32 s4, 0x7f
	v_cmp_gt_i16_sdwa s[6:7], v9, s4 src0_sel:BYTE_3 src1_sel:DWORD
	s_mov_b64 s[4:5], 0
                                        ; implicit-def: $sgpr10
	s_and_saveexec_b64 s[8:9], s[6:7]
	s_xor_b64 s[6:7], exec, s[8:9]
	s_cbranch_execnz .LBB6_3193
; %bb.1145:
	s_or_saveexec_b64 s[6:7], s[6:7]
	v_mov_b32_e32 v2, s10
	s_xor_b64 exec, exec, s[6:7]
	s_cbranch_execnz .LBB6_3196
.LBB6_1146:
	s_or_b64 exec, exec, s[6:7]
	s_and_saveexec_b64 s[6:7], s[4:5]
	s_cbranch_execz .LBB6_1148
.LBB6_1147:
	v_bfe_u32 v2, v9, 24, 3
	v_ffbh_u32_e32 v7, v2
	v_min_u32_e32 v7, 32, v7
	v_lshrrev_b32_e32 v4, 27, v9
	v_subrev_u32_e32 v8, 28, v7
	v_and_b32_e32 v4, 15, v4
	v_lshlrev_b32_sdwa v8, v8, v9 dst_sel:DWORD dst_unused:UNUSED_PAD src0_sel:DWORD src1_sel:BYTE_3
	v_bfe_u32 v6, v9, 27, 4
	v_sub_u32_e32 v7, 29, v7
	v_and_b32_e32 v8, 7, v8
	v_cmp_eq_u16_e32 vcc, 0, v4
	v_cndmask_b32_e32 v2, v2, v8, vcc
	v_cndmask_b32_e32 v4, v6, v7, vcc
	v_mov_b32_e32 v6, 0x3b800000
	v_and_b32_e32 v3, 0x80000000, v9
	v_lshlrev_b32_e32 v2, 20, v2
	v_lshl_add_u32 v4, v4, 23, v6
	v_or3_b32 v2, v3, v4, v2
.LBB6_1148:
	s_or_b64 exec, exec, s[6:7]
	s_movk_i32 s4, 0x7f
	v_cmp_gt_i16_sdwa s[6:7], v5, s4 src0_sel:BYTE_3 src1_sel:DWORD
	s_mov_b64 s[4:5], 0
                                        ; implicit-def: $sgpr10
	s_and_saveexec_b64 s[8:9], s[6:7]
	s_xor_b64 s[6:7], exec, s[8:9]
	s_cbranch_execnz .LBB6_3197
; %bb.1149:
	s_or_saveexec_b64 s[6:7], s[6:7]
	v_mov_b32_e32 v3, s10
	s_xor_b64 exec, exec, s[6:7]
	s_cbranch_execnz .LBB6_3200
.LBB6_1150:
	s_or_b64 exec, exec, s[6:7]
	s_and_saveexec_b64 s[6:7], s[4:5]
	s_cbranch_execz .LBB6_1152
.LBB6_1151:
	v_bfe_u32 v3, v5, 24, 3
	v_ffbh_u32_e32 v8, v3
	v_min_u32_e32 v8, 32, v8
	v_lshrrev_b32_e32 v6, 27, v5
	v_subrev_u32_e32 v9, 28, v8
	v_and_b32_e32 v4, 0x80000000, v5
	v_and_b32_e32 v6, 15, v6
	v_bfe_u32 v7, v5, 27, 4
	v_lshlrev_b32_sdwa v5, v9, v5 dst_sel:DWORD dst_unused:UNUSED_PAD src0_sel:DWORD src1_sel:BYTE_3
	v_sub_u32_e32 v8, 29, v8
	v_and_b32_e32 v5, 7, v5
	v_cmp_eq_u16_e32 vcc, 0, v6
	v_cndmask_b32_e32 v3, v3, v5, vcc
	v_cndmask_b32_e32 v5, v7, v8, vcc
	v_mov_b32_e32 v6, 0x3b800000
	v_lshlrev_b32_e32 v3, 20, v3
	v_lshl_add_u32 v5, v5, 23, v6
	v_or3_b32 v3, v4, v5, v3
.LBB6_1152:
	s_or_b64 exec, exec, s[6:7]
	s_nop 0
	v_mfma_f32_16x16x4f32 a[0:3], v2, v3, a[0:3]
	s_movk_i32 s4, 0x7f
                                        ; implicit-def: $sgpr10
	s_nop 7
	s_nop 1
	flat_store_dwordx4 v[10:11], a[0:3] offset:128
	flat_load_dwordx4 v[12:15], v[0:1] offset:8
	s_nop 0
	flat_load_dwordx2 v[10:11], v[0:1] offset:32
	s_waitcnt vmcnt(0) lgkmcnt(0)
	flat_load_dwordx4 v[6:9], v[12:13] offset:80
	flat_load_dwordx4 v[2:5], v[14:15] offset:48
	s_waitcnt vmcnt(0) lgkmcnt(0)
	v_cmp_gt_i16_sdwa s[6:7], v6, s4 src0_sel:BYTE_0 src1_sel:DWORD
	s_mov_b64 s[4:5], 0
	s_and_saveexec_b64 s[8:9], s[6:7]
	s_xor_b64 s[6:7], exec, s[8:9]
	s_cbranch_execnz .LBB6_3201
; %bb.1153:
	s_or_saveexec_b64 s[6:7], s[6:7]
	v_mov_b32_e32 v12, s10
	s_xor_b64 exec, exec, s[6:7]
	s_cbranch_execnz .LBB6_3204
.LBB6_1154:
	s_or_b64 exec, exec, s[6:7]
	s_and_saveexec_b64 s[6:7], s[4:5]
	s_cbranch_execz .LBB6_1156
.LBB6_1155:
	v_and_b32_e32 v12, 7, v6
	v_ffbh_u32_e32 v14, v12
	v_min_u32_e32 v14, 32, v14
	v_lshrrev_b16_e32 v13, 3, v6
	v_subrev_u32_e32 v15, 28, v14
	v_and_b32_e32 v13, 15, v13
	v_lshlrev_b32_e32 v15, v15, v6
	v_sub_u32_e32 v14, 29, v14
	v_and_b32_e32 v15, 7, v15
	v_cmp_eq_u16_e32 vcc, 0, v13
	v_cndmask_b32_e32 v12, v12, v15, vcc
	v_cndmask_b32_e32 v13, v13, v14, vcc
	v_lshlrev_b32_e32 v14, 24, v6
	v_mov_b32_e32 v15, 0x3b800000
	v_lshlrev_b32_e32 v12, 20, v12
	v_and_b32_e32 v14, 0x80000000, v14
	v_lshl_add_u32 v13, v13, 23, v15
	v_or3_b32 v12, v14, v13, v12
.LBB6_1156:
	s_or_b64 exec, exec, s[6:7]
	s_movk_i32 s4, 0x7f
	v_cmp_gt_i16_sdwa s[6:7], v2, s4 src0_sel:BYTE_0 src1_sel:DWORD
	s_mov_b64 s[4:5], 0
                                        ; implicit-def: $sgpr10
	s_and_saveexec_b64 s[8:9], s[6:7]
	s_xor_b64 s[6:7], exec, s[8:9]
	s_cbranch_execnz .LBB6_3205
; %bb.1157:
	s_or_saveexec_b64 s[6:7], s[6:7]
	v_mov_b32_e32 v13, s10
	s_xor_b64 exec, exec, s[6:7]
	s_cbranch_execnz .LBB6_3208
.LBB6_1158:
	s_or_b64 exec, exec, s[6:7]
	s_and_saveexec_b64 s[6:7], s[4:5]
	s_cbranch_execz .LBB6_1160
.LBB6_1159:
	v_and_b32_e32 v13, 7, v2
	v_ffbh_u32_e32 v15, v13
	v_min_u32_e32 v15, 32, v15
	v_lshrrev_b16_e32 v14, 3, v2
	v_subrev_u32_e32 v16, 28, v15
	v_and_b32_e32 v14, 15, v14
	v_lshlrev_b32_e32 v16, v16, v2
	v_sub_u32_e32 v15, 29, v15
	v_and_b32_e32 v16, 7, v16
	v_cmp_eq_u16_e32 vcc, 0, v14
	v_cndmask_b32_e32 v13, v13, v16, vcc
	v_cndmask_b32_e32 v14, v14, v15, vcc
	v_lshlrev_b32_e32 v15, 24, v2
	v_mov_b32_e32 v16, 0x3b800000
	v_lshlrev_b32_e32 v13, 20, v13
	v_and_b32_e32 v15, 0x80000000, v15
	v_lshl_add_u32 v14, v14, 23, v16
	v_or3_b32 v13, v15, v14, v13
.LBB6_1160:
	s_or_b64 exec, exec, s[6:7]
	flat_load_dwordx4 a[0:3], v[10:11] offset:144
	s_movk_i32 s4, 0x7f
                                        ; implicit-def: $sgpr10
	s_waitcnt vmcnt(0) lgkmcnt(0)
	v_mfma_f32_16x16x4f32 a[0:3], v12, v13, a[0:3]
	v_lshrrev_b32_e32 v13, 8, v6
	v_cmp_gt_i16_sdwa s[6:7], v13, s4 src0_sel:BYTE_0 src1_sel:DWORD
	s_mov_b64 s[4:5], 0
	s_and_saveexec_b64 s[8:9], s[6:7]
	s_xor_b64 s[6:7], exec, s[8:9]
	s_cbranch_execnz .LBB6_3209
; %bb.1161:
	s_or_saveexec_b64 s[6:7], s[6:7]
	v_mov_b32_e32 v12, s10
	s_xor_b64 exec, exec, s[6:7]
	s_cbranch_execnz .LBB6_3212
.LBB6_1162:
	s_or_b64 exec, exec, s[6:7]
	s_and_saveexec_b64 s[6:7], s[4:5]
	s_cbranch_execz .LBB6_1164
.LBB6_1163:
	v_bfe_u32 v12, v6, 8, 3
	v_ffbh_u32_e32 v15, v12
	v_min_u32_e32 v15, 32, v15
	v_lshrrev_b16_e32 v14, 3, v13
	v_subrev_u32_e32 v16, 28, v15
	v_and_b32_e32 v14, 15, v14
	v_lshlrev_b32_e32 v13, v16, v13
	v_sub_u32_e32 v15, 29, v15
	v_and_b32_e32 v13, 7, v13
	v_cmp_eq_u16_e32 vcc, 0, v14
	v_cndmask_b32_e32 v12, v12, v13, vcc
	v_cndmask_b32_e32 v13, v14, v15, vcc
	v_lshlrev_b32_e32 v14, 16, v6
	v_mov_b32_e32 v15, 0x3b800000
	v_lshlrev_b32_e32 v12, 20, v12
	v_and_b32_e32 v14, 0x80000000, v14
	v_lshl_add_u32 v13, v13, 23, v15
	v_or3_b32 v12, v14, v13, v12
.LBB6_1164:
	s_or_b64 exec, exec, s[6:7]
	v_lshrrev_b32_e32 v13, 8, v2
	s_movk_i32 s4, 0x7f
	v_cmp_gt_i16_sdwa s[6:7], v13, s4 src0_sel:BYTE_0 src1_sel:DWORD
	s_mov_b64 s[4:5], 0
                                        ; implicit-def: $sgpr10
	s_and_saveexec_b64 s[8:9], s[6:7]
	s_xor_b64 s[6:7], exec, s[8:9]
	s_cbranch_execnz .LBB6_3213
; %bb.1165:
	s_or_saveexec_b64 s[6:7], s[6:7]
	v_mov_b32_e32 v14, s10
	s_xor_b64 exec, exec, s[6:7]
	s_cbranch_execnz .LBB6_3216
.LBB6_1166:
	s_or_b64 exec, exec, s[6:7]
	s_and_saveexec_b64 s[6:7], s[4:5]
	s_cbranch_execz .LBB6_1168
.LBB6_1167:
	v_bfe_u32 v14, v2, 8, 3
	v_ffbh_u32_e32 v16, v14
	v_min_u32_e32 v16, 32, v16
	v_lshrrev_b16_e32 v15, 3, v13
	v_subrev_u32_e32 v17, 28, v16
	v_and_b32_e32 v15, 15, v15
	v_lshlrev_b32_e32 v13, v17, v13
	v_sub_u32_e32 v16, 29, v16
	v_and_b32_e32 v13, 7, v13
	v_cmp_eq_u16_e32 vcc, 0, v15
	v_cndmask_b32_e32 v13, v14, v13, vcc
	v_cndmask_b32_e32 v14, v15, v16, vcc
	v_lshlrev_b32_e32 v15, 16, v2
	v_mov_b32_e32 v16, 0x3b800000
	v_lshlrev_b32_e32 v13, 20, v13
	v_and_b32_e32 v15, 0x80000000, v15
	v_lshl_add_u32 v14, v14, 23, v16
	v_or3_b32 v14, v15, v14, v13
.LBB6_1168:
	s_or_b64 exec, exec, s[6:7]
	s_nop 0
	v_mfma_f32_16x16x4f32 a[0:3], v12, v14, a[0:3]
	s_movk_i32 s4, 0xff
	v_and_b32_sdwa v13, v6, s4 dst_sel:DWORD dst_unused:UNUSED_PAD src0_sel:WORD_1 src1_sel:DWORD
	s_movk_i32 s4, 0x7f
	v_cmp_lt_i16_e32 vcc, s4, v13
	s_mov_b64 s[4:5], 0
                                        ; implicit-def: $sgpr10
	s_and_saveexec_b64 s[6:7], vcc
	s_xor_b64 s[6:7], exec, s[6:7]
	s_cbranch_execnz .LBB6_3217
; %bb.1169:
	s_or_saveexec_b64 s[6:7], s[6:7]
	v_mov_b32_e32 v12, s10
	s_xor_b64 exec, exec, s[6:7]
	s_cbranch_execnz .LBB6_3220
.LBB6_1170:
	s_or_b64 exec, exec, s[6:7]
	s_and_saveexec_b64 s[6:7], s[4:5]
	s_cbranch_execz .LBB6_1172
.LBB6_1171:
	v_bfe_u32 v12, v6, 16, 3
	v_ffbh_u32_e32 v15, v12
	v_min_u32_e32 v15, 32, v15
	v_lshrrev_b32_e32 v13, 19, v6
	v_subrev_u32_e32 v16, 28, v15
	v_and_b32_e32 v13, 15, v13
	v_lshlrev_b32_sdwa v16, v16, v6 dst_sel:DWORD dst_unused:UNUSED_PAD src0_sel:DWORD src1_sel:WORD_1
	v_bfe_u32 v14, v6, 19, 4
	v_sub_u32_e32 v15, 29, v15
	v_and_b32_e32 v16, 7, v16
	v_cmp_eq_u16_e32 vcc, 0, v13
	v_cndmask_b32_e32 v12, v12, v16, vcc
	v_cndmask_b32_e32 v13, v14, v15, vcc
	v_lshlrev_b32_e32 v14, 8, v6
	v_mov_b32_e32 v15, 0x3b800000
	v_lshlrev_b32_e32 v12, 20, v12
	v_and_b32_e32 v14, 0x80000000, v14
	v_lshl_add_u32 v13, v13, 23, v15
	v_or3_b32 v12, v14, v13, v12
.LBB6_1172:
	s_or_b64 exec, exec, s[6:7]
	s_movk_i32 s4, 0xff
	v_and_b32_sdwa v13, v2, s4 dst_sel:DWORD dst_unused:UNUSED_PAD src0_sel:WORD_1 src1_sel:DWORD
	s_movk_i32 s4, 0x7f
	v_cmp_lt_i16_e32 vcc, s4, v13
	s_mov_b64 s[4:5], 0
                                        ; implicit-def: $sgpr10
	s_and_saveexec_b64 s[6:7], vcc
	s_xor_b64 s[6:7], exec, s[6:7]
	s_cbranch_execnz .LBB6_3221
; %bb.1173:
	s_or_saveexec_b64 s[6:7], s[6:7]
	v_mov_b32_e32 v14, s10
	s_xor_b64 exec, exec, s[6:7]
	s_cbranch_execnz .LBB6_3224
.LBB6_1174:
	s_or_b64 exec, exec, s[6:7]
	s_and_saveexec_b64 s[6:7], s[4:5]
	s_cbranch_execz .LBB6_1176
.LBB6_1175:
	v_bfe_u32 v13, v2, 16, 3
	v_ffbh_u32_e32 v16, v13
	v_min_u32_e32 v16, 32, v16
	v_lshrrev_b32_e32 v14, 19, v2
	v_subrev_u32_e32 v17, 28, v16
	v_and_b32_e32 v14, 15, v14
	v_lshlrev_b32_sdwa v17, v17, v2 dst_sel:DWORD dst_unused:UNUSED_PAD src0_sel:DWORD src1_sel:WORD_1
	v_bfe_u32 v15, v2, 19, 4
	v_sub_u32_e32 v16, 29, v16
	v_and_b32_e32 v17, 7, v17
	v_cmp_eq_u16_e32 vcc, 0, v14
	v_cndmask_b32_e32 v13, v13, v17, vcc
	v_cndmask_b32_e32 v14, v15, v16, vcc
	v_lshlrev_b32_e32 v15, 8, v2
	v_mov_b32_e32 v16, 0x3b800000
	v_lshlrev_b32_e32 v13, 20, v13
	v_and_b32_e32 v15, 0x80000000, v15
	v_lshl_add_u32 v14, v14, 23, v16
	v_or3_b32 v14, v15, v14, v13
.LBB6_1176:
	s_or_b64 exec, exec, s[6:7]
	s_nop 0
	v_mfma_f32_16x16x4f32 a[0:3], v12, v14, a[0:3]
	s_movk_i32 s4, 0x7f
	v_cmp_gt_i16_sdwa s[6:7], v6, s4 src0_sel:BYTE_3 src1_sel:DWORD
	s_mov_b64 s[4:5], 0
                                        ; implicit-def: $sgpr10
	s_and_saveexec_b64 s[8:9], s[6:7]
	s_xor_b64 s[6:7], exec, s[8:9]
	s_cbranch_execnz .LBB6_3225
; %bb.1177:
	s_or_saveexec_b64 s[6:7], s[6:7]
	v_mov_b32_e32 v12, s10
	s_xor_b64 exec, exec, s[6:7]
	s_cbranch_execnz .LBB6_3228
.LBB6_1178:
	s_or_b64 exec, exec, s[6:7]
	s_and_saveexec_b64 s[6:7], s[4:5]
	s_cbranch_execz .LBB6_1180
.LBB6_1179:
	v_bfe_u32 v12, v6, 24, 3
	v_ffbh_u32_e32 v16, v12
	v_min_u32_e32 v16, 32, v16
	v_lshrrev_b32_e32 v14, 27, v6
	v_subrev_u32_e32 v17, 28, v16
	v_and_b32_e32 v13, 0x80000000, v6
	v_and_b32_e32 v14, 15, v14
	v_bfe_u32 v15, v6, 27, 4
	v_lshlrev_b32_sdwa v6, v17, v6 dst_sel:DWORD dst_unused:UNUSED_PAD src0_sel:DWORD src1_sel:BYTE_3
	v_sub_u32_e32 v16, 29, v16
	v_and_b32_e32 v6, 7, v6
	v_cmp_eq_u16_e32 vcc, 0, v14
	v_cndmask_b32_e32 v6, v12, v6, vcc
	v_cndmask_b32_e32 v12, v15, v16, vcc
	v_mov_b32_e32 v14, 0x3b800000
	v_lshlrev_b32_e32 v6, 20, v6
	v_lshl_add_u32 v12, v12, 23, v14
	v_or3_b32 v12, v13, v12, v6
.LBB6_1180:
	s_or_b64 exec, exec, s[6:7]
	s_movk_i32 s4, 0x7f
	v_cmp_gt_i16_sdwa s[6:7], v2, s4 src0_sel:BYTE_3 src1_sel:DWORD
	s_mov_b64 s[4:5], 0
                                        ; implicit-def: $sgpr10
	s_and_saveexec_b64 s[8:9], s[6:7]
	s_xor_b64 s[6:7], exec, s[8:9]
	s_cbranch_execnz .LBB6_3229
; %bb.1181:
	s_or_saveexec_b64 s[6:7], s[6:7]
	v_mov_b32_e32 v6, s10
	s_xor_b64 exec, exec, s[6:7]
	s_cbranch_execnz .LBB6_3232
.LBB6_1182:
	s_or_b64 exec, exec, s[6:7]
	s_and_saveexec_b64 s[6:7], s[4:5]
	s_cbranch_execz .LBB6_1184
.LBB6_1183:
	v_bfe_u32 v6, v2, 24, 3
	v_ffbh_u32_e32 v16, v6
	v_min_u32_e32 v16, 32, v16
	v_lshrrev_b32_e32 v14, 27, v2
	v_subrev_u32_e32 v17, 28, v16
	v_and_b32_e32 v13, 0x80000000, v2
	v_and_b32_e32 v14, 15, v14
	v_bfe_u32 v15, v2, 27, 4
	v_lshlrev_b32_sdwa v2, v17, v2 dst_sel:DWORD dst_unused:UNUSED_PAD src0_sel:DWORD src1_sel:BYTE_3
	v_sub_u32_e32 v16, 29, v16
	v_and_b32_e32 v2, 7, v2
	v_cmp_eq_u16_e32 vcc, 0, v14
	v_cndmask_b32_e32 v2, v6, v2, vcc
	v_cndmask_b32_e32 v6, v15, v16, vcc
	v_mov_b32_e32 v14, 0x3b800000
	v_lshlrev_b32_e32 v2, 20, v2
	v_lshl_add_u32 v6, v6, 23, v14
	v_or3_b32 v6, v13, v6, v2
.LBB6_1184:
	s_or_b64 exec, exec, s[6:7]
	s_nop 0
	v_mfma_f32_16x16x4f32 a[0:3], v12, v6, a[0:3]
	s_movk_i32 s4, 0x7f
	v_cmp_gt_i16_sdwa s[6:7], v7, s4 src0_sel:BYTE_0 src1_sel:DWORD
	s_mov_b64 s[4:5], 0
                                        ; implicit-def: $sgpr10
	s_and_saveexec_b64 s[8:9], s[6:7]
	s_xor_b64 s[6:7], exec, s[8:9]
	s_cbranch_execnz .LBB6_3233
; %bb.1185:
	s_or_saveexec_b64 s[6:7], s[6:7]
	v_mov_b32_e32 v2, s10
	s_xor_b64 exec, exec, s[6:7]
	s_cbranch_execnz .LBB6_3236
.LBB6_1186:
	s_or_b64 exec, exec, s[6:7]
	s_and_saveexec_b64 s[6:7], s[4:5]
	s_cbranch_execz .LBB6_1188
.LBB6_1187:
	v_and_b32_e32 v2, 7, v7
	v_ffbh_u32_e32 v12, v2
	v_min_u32_e32 v12, 32, v12
	v_lshrrev_b16_e32 v6, 3, v7
	v_subrev_u32_e32 v13, 28, v12
	v_and_b32_e32 v6, 15, v6
	v_lshlrev_b32_e32 v13, v13, v7
	v_sub_u32_e32 v12, 29, v12
	v_and_b32_e32 v13, 7, v13
	v_cmp_eq_u16_e32 vcc, 0, v6
	v_cndmask_b32_e32 v2, v2, v13, vcc
	v_cndmask_b32_e32 v6, v6, v12, vcc
	v_lshlrev_b32_e32 v12, 24, v7
	v_mov_b32_e32 v13, 0x3b800000
	v_lshlrev_b32_e32 v2, 20, v2
	v_and_b32_e32 v12, 0x80000000, v12
	v_lshl_add_u32 v6, v6, 23, v13
	v_or3_b32 v2, v12, v6, v2
.LBB6_1188:
	s_or_b64 exec, exec, s[6:7]
	s_movk_i32 s4, 0x7f
	v_cmp_gt_i16_sdwa s[6:7], v3, s4 src0_sel:BYTE_0 src1_sel:DWORD
	s_mov_b64 s[4:5], 0
                                        ; implicit-def: $sgpr10
	s_and_saveexec_b64 s[8:9], s[6:7]
	s_xor_b64 s[6:7], exec, s[8:9]
	s_cbranch_execnz .LBB6_3237
; %bb.1189:
	s_or_saveexec_b64 s[6:7], s[6:7]
	v_mov_b32_e32 v6, s10
	s_xor_b64 exec, exec, s[6:7]
	s_cbranch_execnz .LBB6_3240
.LBB6_1190:
	s_or_b64 exec, exec, s[6:7]
	s_and_saveexec_b64 s[6:7], s[4:5]
	s_cbranch_execz .LBB6_1192
.LBB6_1191:
	v_and_b32_e32 v6, 7, v3
	v_ffbh_u32_e32 v13, v6
	v_min_u32_e32 v13, 32, v13
	v_lshrrev_b16_e32 v12, 3, v3
	v_subrev_u32_e32 v14, 28, v13
	v_and_b32_e32 v12, 15, v12
	v_lshlrev_b32_e32 v14, v14, v3
	v_sub_u32_e32 v13, 29, v13
	v_and_b32_e32 v14, 7, v14
	v_cmp_eq_u16_e32 vcc, 0, v12
	v_cndmask_b32_e32 v6, v6, v14, vcc
	v_cndmask_b32_e32 v12, v12, v13, vcc
	v_lshlrev_b32_e32 v13, 24, v3
	v_mov_b32_e32 v14, 0x3b800000
	v_lshlrev_b32_e32 v6, 20, v6
	v_and_b32_e32 v13, 0x80000000, v13
	v_lshl_add_u32 v12, v12, 23, v14
	v_or3_b32 v6, v13, v12, v6
.LBB6_1192:
	s_or_b64 exec, exec, s[6:7]
	s_nop 0
	v_mfma_f32_16x16x4f32 a[0:3], v2, v6, a[0:3]
	v_lshrrev_b32_e32 v6, 8, v7
	s_movk_i32 s4, 0x7f
	v_cmp_gt_i16_sdwa s[6:7], v6, s4 src0_sel:BYTE_0 src1_sel:DWORD
	s_mov_b64 s[4:5], 0
                                        ; implicit-def: $sgpr10
	s_and_saveexec_b64 s[8:9], s[6:7]
	s_xor_b64 s[6:7], exec, s[8:9]
	s_cbranch_execnz .LBB6_3241
; %bb.1193:
	s_or_saveexec_b64 s[6:7], s[6:7]
	v_mov_b32_e32 v2, s10
	s_xor_b64 exec, exec, s[6:7]
	s_cbranch_execnz .LBB6_3244
.LBB6_1194:
	s_or_b64 exec, exec, s[6:7]
	s_and_saveexec_b64 s[6:7], s[4:5]
	s_cbranch_execz .LBB6_1196
.LBB6_1195:
	v_bfe_u32 v2, v7, 8, 3
	v_ffbh_u32_e32 v13, v2
	v_min_u32_e32 v13, 32, v13
	v_lshrrev_b16_e32 v12, 3, v6
	v_subrev_u32_e32 v14, 28, v13
	v_and_b32_e32 v12, 15, v12
	v_lshlrev_b32_e32 v6, v14, v6
	v_sub_u32_e32 v13, 29, v13
	v_and_b32_e32 v6, 7, v6
	v_cmp_eq_u16_e32 vcc, 0, v12
	v_cndmask_b32_e32 v2, v2, v6, vcc
	v_cndmask_b32_e32 v6, v12, v13, vcc
	v_lshlrev_b32_e32 v12, 16, v7
	v_mov_b32_e32 v13, 0x3b800000
	v_lshlrev_b32_e32 v2, 20, v2
	v_and_b32_e32 v12, 0x80000000, v12
	v_lshl_add_u32 v6, v6, 23, v13
	v_or3_b32 v2, v12, v6, v2
.LBB6_1196:
	s_or_b64 exec, exec, s[6:7]
	v_lshrrev_b32_e32 v6, 8, v3
	s_movk_i32 s4, 0x7f
	v_cmp_gt_i16_sdwa s[6:7], v6, s4 src0_sel:BYTE_0 src1_sel:DWORD
	s_mov_b64 s[4:5], 0
                                        ; implicit-def: $sgpr10
	s_and_saveexec_b64 s[8:9], s[6:7]
	s_xor_b64 s[6:7], exec, s[8:9]
	s_cbranch_execnz .LBB6_3245
; %bb.1197:
	s_or_saveexec_b64 s[6:7], s[6:7]
	v_mov_b32_e32 v12, s10
	s_xor_b64 exec, exec, s[6:7]
	s_cbranch_execnz .LBB6_3248
.LBB6_1198:
	s_or_b64 exec, exec, s[6:7]
	s_and_saveexec_b64 s[6:7], s[4:5]
	s_cbranch_execz .LBB6_1200
.LBB6_1199:
	v_bfe_u32 v12, v3, 8, 3
	v_ffbh_u32_e32 v14, v12
	v_min_u32_e32 v14, 32, v14
	v_lshrrev_b16_e32 v13, 3, v6
	v_subrev_u32_e32 v15, 28, v14
	v_and_b32_e32 v13, 15, v13
	v_lshlrev_b32_e32 v6, v15, v6
	v_sub_u32_e32 v14, 29, v14
	v_and_b32_e32 v6, 7, v6
	v_cmp_eq_u16_e32 vcc, 0, v13
	v_cndmask_b32_e32 v6, v12, v6, vcc
	v_cndmask_b32_e32 v12, v13, v14, vcc
	v_lshlrev_b32_e32 v13, 16, v3
	v_mov_b32_e32 v14, 0x3b800000
	v_lshlrev_b32_e32 v6, 20, v6
	v_and_b32_e32 v13, 0x80000000, v13
	v_lshl_add_u32 v12, v12, 23, v14
	v_or3_b32 v12, v13, v12, v6
.LBB6_1200:
	s_or_b64 exec, exec, s[6:7]
	s_nop 0
	v_mfma_f32_16x16x4f32 a[0:3], v2, v12, a[0:3]
	s_movk_i32 s4, 0xff
	v_and_b32_sdwa v6, v7, s4 dst_sel:DWORD dst_unused:UNUSED_PAD src0_sel:WORD_1 src1_sel:DWORD
	s_movk_i32 s4, 0x7f
	v_cmp_lt_i16_e32 vcc, s4, v6
	s_mov_b64 s[4:5], 0
                                        ; implicit-def: $sgpr10
	s_and_saveexec_b64 s[6:7], vcc
	s_xor_b64 s[6:7], exec, s[6:7]
	s_cbranch_execnz .LBB6_3249
; %bb.1201:
	s_or_saveexec_b64 s[6:7], s[6:7]
	v_mov_b32_e32 v2, s10
	s_xor_b64 exec, exec, s[6:7]
	s_cbranch_execnz .LBB6_3252
.LBB6_1202:
	s_or_b64 exec, exec, s[6:7]
	s_and_saveexec_b64 s[6:7], s[4:5]
	s_cbranch_execz .LBB6_1204
.LBB6_1203:
	v_bfe_u32 v2, v7, 16, 3
	v_ffbh_u32_e32 v13, v2
	v_min_u32_e32 v13, 32, v13
	v_lshrrev_b32_e32 v6, 19, v7
	v_subrev_u32_e32 v14, 28, v13
	v_and_b32_e32 v6, 15, v6
	v_lshlrev_b32_sdwa v14, v14, v7 dst_sel:DWORD dst_unused:UNUSED_PAD src0_sel:DWORD src1_sel:WORD_1
	v_bfe_u32 v12, v7, 19, 4
	v_sub_u32_e32 v13, 29, v13
	v_and_b32_e32 v14, 7, v14
	v_cmp_eq_u16_e32 vcc, 0, v6
	v_cndmask_b32_e32 v2, v2, v14, vcc
	v_cndmask_b32_e32 v6, v12, v13, vcc
	v_lshlrev_b32_e32 v12, 8, v7
	v_mov_b32_e32 v13, 0x3b800000
	v_lshlrev_b32_e32 v2, 20, v2
	v_and_b32_e32 v12, 0x80000000, v12
	v_lshl_add_u32 v6, v6, 23, v13
	v_or3_b32 v2, v12, v6, v2
.LBB6_1204:
	s_or_b64 exec, exec, s[6:7]
	s_movk_i32 s4, 0xff
	v_and_b32_sdwa v6, v3, s4 dst_sel:DWORD dst_unused:UNUSED_PAD src0_sel:WORD_1 src1_sel:DWORD
	s_movk_i32 s4, 0x7f
	v_cmp_lt_i16_e32 vcc, s4, v6
	s_mov_b64 s[4:5], 0
                                        ; implicit-def: $sgpr10
	s_and_saveexec_b64 s[6:7], vcc
	s_xor_b64 s[6:7], exec, s[6:7]
	s_cbranch_execnz .LBB6_3253
; %bb.1205:
	s_or_saveexec_b64 s[6:7], s[6:7]
	v_mov_b32_e32 v12, s10
	s_xor_b64 exec, exec, s[6:7]
	s_cbranch_execnz .LBB6_3256
.LBB6_1206:
	s_or_b64 exec, exec, s[6:7]
	s_and_saveexec_b64 s[6:7], s[4:5]
	s_cbranch_execz .LBB6_1208
.LBB6_1207:
	v_bfe_u32 v6, v3, 16, 3
	v_ffbh_u32_e32 v14, v6
	v_min_u32_e32 v14, 32, v14
	v_lshrrev_b32_e32 v12, 19, v3
	v_subrev_u32_e32 v15, 28, v14
	v_and_b32_e32 v12, 15, v12
	v_lshlrev_b32_sdwa v15, v15, v3 dst_sel:DWORD dst_unused:UNUSED_PAD src0_sel:DWORD src1_sel:WORD_1
	v_bfe_u32 v13, v3, 19, 4
	v_sub_u32_e32 v14, 29, v14
	v_and_b32_e32 v15, 7, v15
	v_cmp_eq_u16_e32 vcc, 0, v12
	v_cndmask_b32_e32 v6, v6, v15, vcc
	v_cndmask_b32_e32 v12, v13, v14, vcc
	v_lshlrev_b32_e32 v13, 8, v3
	v_mov_b32_e32 v14, 0x3b800000
	v_lshlrev_b32_e32 v6, 20, v6
	v_and_b32_e32 v13, 0x80000000, v13
	v_lshl_add_u32 v12, v12, 23, v14
	v_or3_b32 v12, v13, v12, v6
.LBB6_1208:
	s_or_b64 exec, exec, s[6:7]
	s_nop 0
	v_mfma_f32_16x16x4f32 a[0:3], v2, v12, a[0:3]
	s_movk_i32 s4, 0x7f
	v_cmp_gt_i16_sdwa s[6:7], v7, s4 src0_sel:BYTE_3 src1_sel:DWORD
	s_mov_b64 s[4:5], 0
                                        ; implicit-def: $sgpr10
	s_and_saveexec_b64 s[8:9], s[6:7]
	s_xor_b64 s[6:7], exec, s[8:9]
	s_cbranch_execnz .LBB6_3257
; %bb.1209:
	s_or_saveexec_b64 s[6:7], s[6:7]
	v_mov_b32_e32 v2, s10
	s_xor_b64 exec, exec, s[6:7]
	s_cbranch_execnz .LBB6_3260
.LBB6_1210:
	s_or_b64 exec, exec, s[6:7]
	s_and_saveexec_b64 s[6:7], s[4:5]
	s_cbranch_execz .LBB6_1212
.LBB6_1211:
	v_bfe_u32 v2, v7, 24, 3
	v_ffbh_u32_e32 v14, v2
	v_min_u32_e32 v14, 32, v14
	v_lshrrev_b32_e32 v12, 27, v7
	v_subrev_u32_e32 v15, 28, v14
	v_and_b32_e32 v6, 0x80000000, v7
	v_and_b32_e32 v12, 15, v12
	v_bfe_u32 v13, v7, 27, 4
	v_lshlrev_b32_sdwa v7, v15, v7 dst_sel:DWORD dst_unused:UNUSED_PAD src0_sel:DWORD src1_sel:BYTE_3
	v_sub_u32_e32 v14, 29, v14
	v_and_b32_e32 v7, 7, v7
	v_cmp_eq_u16_e32 vcc, 0, v12
	v_cndmask_b32_e32 v2, v2, v7, vcc
	v_cndmask_b32_e32 v7, v13, v14, vcc
	v_mov_b32_e32 v12, 0x3b800000
	v_lshlrev_b32_e32 v2, 20, v2
	v_lshl_add_u32 v7, v7, 23, v12
	v_or3_b32 v2, v6, v7, v2
.LBB6_1212:
	s_or_b64 exec, exec, s[6:7]
	s_movk_i32 s4, 0x7f
	v_cmp_gt_i16_sdwa s[6:7], v3, s4 src0_sel:BYTE_3 src1_sel:DWORD
	s_mov_b64 s[4:5], 0
                                        ; implicit-def: $sgpr10
	s_and_saveexec_b64 s[8:9], s[6:7]
	s_xor_b64 s[6:7], exec, s[8:9]
	s_cbranch_execnz .LBB6_3261
; %bb.1213:
	s_or_saveexec_b64 s[6:7], s[6:7]
	v_mov_b32_e32 v6, s10
	s_xor_b64 exec, exec, s[6:7]
	s_cbranch_execnz .LBB6_3264
.LBB6_1214:
	s_or_b64 exec, exec, s[6:7]
	s_and_saveexec_b64 s[6:7], s[4:5]
	s_cbranch_execz .LBB6_1216
.LBB6_1215:
	v_bfe_u32 v6, v3, 24, 3
	v_ffbh_u32_e32 v14, v6
	v_min_u32_e32 v14, 32, v14
	v_lshrrev_b32_e32 v12, 27, v3
	v_subrev_u32_e32 v15, 28, v14
	v_and_b32_e32 v7, 0x80000000, v3
	v_and_b32_e32 v12, 15, v12
	v_bfe_u32 v13, v3, 27, 4
	v_lshlrev_b32_sdwa v3, v15, v3 dst_sel:DWORD dst_unused:UNUSED_PAD src0_sel:DWORD src1_sel:BYTE_3
	v_sub_u32_e32 v14, 29, v14
	v_and_b32_e32 v3, 7, v3
	v_cmp_eq_u16_e32 vcc, 0, v12
	v_cndmask_b32_e32 v3, v6, v3, vcc
	v_cndmask_b32_e32 v6, v13, v14, vcc
	v_mov_b32_e32 v12, 0x3b800000
	v_lshlrev_b32_e32 v3, 20, v3
	v_lshl_add_u32 v6, v6, 23, v12
	v_or3_b32 v6, v7, v6, v3
.LBB6_1216:
	s_or_b64 exec, exec, s[6:7]
	s_nop 0
	v_mfma_f32_16x16x4f32 a[0:3], v2, v6, a[0:3]
	s_movk_i32 s4, 0x7f
	v_cmp_gt_i16_sdwa s[6:7], v8, s4 src0_sel:BYTE_0 src1_sel:DWORD
	s_mov_b64 s[4:5], 0
                                        ; implicit-def: $sgpr10
	s_and_saveexec_b64 s[8:9], s[6:7]
	s_xor_b64 s[6:7], exec, s[8:9]
	s_cbranch_execnz .LBB6_3265
; %bb.1217:
	s_or_saveexec_b64 s[6:7], s[6:7]
	v_mov_b32_e32 v2, s10
	s_xor_b64 exec, exec, s[6:7]
	s_cbranch_execnz .LBB6_3268
.LBB6_1218:
	s_or_b64 exec, exec, s[6:7]
	s_and_saveexec_b64 s[6:7], s[4:5]
	s_cbranch_execz .LBB6_1220
.LBB6_1219:
	v_and_b32_e32 v2, 7, v8
	v_ffbh_u32_e32 v6, v2
	v_min_u32_e32 v6, 32, v6
	v_lshrrev_b16_e32 v3, 3, v8
	v_subrev_u32_e32 v7, 28, v6
	v_and_b32_e32 v3, 15, v3
	v_lshlrev_b32_e32 v7, v7, v8
	v_sub_u32_e32 v6, 29, v6
	v_and_b32_e32 v7, 7, v7
	v_cmp_eq_u16_e32 vcc, 0, v3
	v_cndmask_b32_e32 v2, v2, v7, vcc
	v_cndmask_b32_e32 v3, v3, v6, vcc
	v_lshlrev_b32_e32 v6, 24, v8
	v_mov_b32_e32 v7, 0x3b800000
	v_lshlrev_b32_e32 v2, 20, v2
	v_and_b32_e32 v6, 0x80000000, v6
	v_lshl_add_u32 v3, v3, 23, v7
	v_or3_b32 v2, v6, v3, v2
.LBB6_1220:
	s_or_b64 exec, exec, s[6:7]
	s_movk_i32 s4, 0x7f
	v_cmp_gt_i16_sdwa s[6:7], v4, s4 src0_sel:BYTE_0 src1_sel:DWORD
	s_mov_b64 s[4:5], 0
                                        ; implicit-def: $sgpr10
	s_and_saveexec_b64 s[8:9], s[6:7]
	s_xor_b64 s[6:7], exec, s[8:9]
	s_cbranch_execnz .LBB6_3269
; %bb.1221:
	s_or_saveexec_b64 s[6:7], s[6:7]
	v_mov_b32_e32 v3, s10
	s_xor_b64 exec, exec, s[6:7]
	s_cbranch_execnz .LBB6_3272
.LBB6_1222:
	s_or_b64 exec, exec, s[6:7]
	s_and_saveexec_b64 s[6:7], s[4:5]
	s_cbranch_execz .LBB6_1224
.LBB6_1223:
	v_and_b32_e32 v3, 7, v4
	v_ffbh_u32_e32 v7, v3
	v_min_u32_e32 v7, 32, v7
	v_lshrrev_b16_e32 v6, 3, v4
	v_subrev_u32_e32 v12, 28, v7
	v_and_b32_e32 v6, 15, v6
	v_lshlrev_b32_e32 v12, v12, v4
	v_sub_u32_e32 v7, 29, v7
	v_and_b32_e32 v12, 7, v12
	v_cmp_eq_u16_e32 vcc, 0, v6
	v_cndmask_b32_e32 v3, v3, v12, vcc
	v_cndmask_b32_e32 v6, v6, v7, vcc
	v_lshlrev_b32_e32 v7, 24, v4
	v_mov_b32_e32 v12, 0x3b800000
	v_lshlrev_b32_e32 v3, 20, v3
	v_and_b32_e32 v7, 0x80000000, v7
	v_lshl_add_u32 v6, v6, 23, v12
	v_or3_b32 v3, v7, v6, v3
.LBB6_1224:
	s_or_b64 exec, exec, s[6:7]
	s_nop 0
	v_mfma_f32_16x16x4f32 a[0:3], v2, v3, a[0:3]
	v_lshrrev_b32_e32 v3, 8, v8
	s_movk_i32 s4, 0x7f
	v_cmp_gt_i16_sdwa s[6:7], v3, s4 src0_sel:BYTE_0 src1_sel:DWORD
	s_mov_b64 s[4:5], 0
                                        ; implicit-def: $sgpr10
	s_and_saveexec_b64 s[8:9], s[6:7]
	s_xor_b64 s[6:7], exec, s[8:9]
	s_cbranch_execnz .LBB6_3273
; %bb.1225:
	s_or_saveexec_b64 s[6:7], s[6:7]
	v_mov_b32_e32 v2, s10
	s_xor_b64 exec, exec, s[6:7]
	s_cbranch_execnz .LBB6_3276
.LBB6_1226:
	s_or_b64 exec, exec, s[6:7]
	s_and_saveexec_b64 s[6:7], s[4:5]
	s_cbranch_execz .LBB6_1228
.LBB6_1227:
	v_bfe_u32 v2, v8, 8, 3
	v_ffbh_u32_e32 v7, v2
	v_min_u32_e32 v7, 32, v7
	v_lshrrev_b16_e32 v6, 3, v3
	v_subrev_u32_e32 v12, 28, v7
	v_and_b32_e32 v6, 15, v6
	v_lshlrev_b32_e32 v3, v12, v3
	v_sub_u32_e32 v7, 29, v7
	v_and_b32_e32 v3, 7, v3
	v_cmp_eq_u16_e32 vcc, 0, v6
	v_cndmask_b32_e32 v2, v2, v3, vcc
	v_cndmask_b32_e32 v3, v6, v7, vcc
	v_lshlrev_b32_e32 v6, 16, v8
	v_mov_b32_e32 v7, 0x3b800000
	v_lshlrev_b32_e32 v2, 20, v2
	v_and_b32_e32 v6, 0x80000000, v6
	v_lshl_add_u32 v3, v3, 23, v7
	v_or3_b32 v2, v6, v3, v2
.LBB6_1228:
	s_or_b64 exec, exec, s[6:7]
	v_lshrrev_b32_e32 v3, 8, v4
	s_movk_i32 s4, 0x7f
	v_cmp_gt_i16_sdwa s[6:7], v3, s4 src0_sel:BYTE_0 src1_sel:DWORD
	s_mov_b64 s[4:5], 0
                                        ; implicit-def: $sgpr10
	s_and_saveexec_b64 s[8:9], s[6:7]
	s_xor_b64 s[6:7], exec, s[8:9]
	s_cbranch_execnz .LBB6_3277
; %bb.1229:
	s_or_saveexec_b64 s[6:7], s[6:7]
	v_mov_b32_e32 v6, s10
	s_xor_b64 exec, exec, s[6:7]
	s_cbranch_execnz .LBB6_3280
.LBB6_1230:
	s_or_b64 exec, exec, s[6:7]
	s_and_saveexec_b64 s[6:7], s[4:5]
	s_cbranch_execz .LBB6_1232
.LBB6_1231:
	v_bfe_u32 v6, v4, 8, 3
	v_ffbh_u32_e32 v12, v6
	v_min_u32_e32 v12, 32, v12
	v_lshrrev_b16_e32 v7, 3, v3
	v_subrev_u32_e32 v13, 28, v12
	v_and_b32_e32 v7, 15, v7
	v_lshlrev_b32_e32 v3, v13, v3
	v_sub_u32_e32 v12, 29, v12
	v_and_b32_e32 v3, 7, v3
	v_cmp_eq_u16_e32 vcc, 0, v7
	v_cndmask_b32_e32 v3, v6, v3, vcc
	v_cndmask_b32_e32 v6, v7, v12, vcc
	v_lshlrev_b32_e32 v7, 16, v4
	v_mov_b32_e32 v12, 0x3b800000
	v_lshlrev_b32_e32 v3, 20, v3
	v_and_b32_e32 v7, 0x80000000, v7
	v_lshl_add_u32 v6, v6, 23, v12
	v_or3_b32 v6, v7, v6, v3
.LBB6_1232:
	s_or_b64 exec, exec, s[6:7]
	s_nop 0
	v_mfma_f32_16x16x4f32 a[0:3], v2, v6, a[0:3]
	s_movk_i32 s4, 0xff
	v_and_b32_sdwa v3, v8, s4 dst_sel:DWORD dst_unused:UNUSED_PAD src0_sel:WORD_1 src1_sel:DWORD
	s_movk_i32 s4, 0x7f
	v_cmp_lt_i16_e32 vcc, s4, v3
	s_mov_b64 s[4:5], 0
                                        ; implicit-def: $sgpr10
	s_and_saveexec_b64 s[6:7], vcc
	s_xor_b64 s[6:7], exec, s[6:7]
	s_cbranch_execnz .LBB6_3281
; %bb.1233:
	s_or_saveexec_b64 s[6:7], s[6:7]
	v_mov_b32_e32 v2, s10
	s_xor_b64 exec, exec, s[6:7]
	s_cbranch_execnz .LBB6_3284
.LBB6_1234:
	s_or_b64 exec, exec, s[6:7]
	s_and_saveexec_b64 s[6:7], s[4:5]
	s_cbranch_execz .LBB6_1236
.LBB6_1235:
	v_bfe_u32 v2, v8, 16, 3
	v_ffbh_u32_e32 v7, v2
	v_min_u32_e32 v7, 32, v7
	v_lshrrev_b32_e32 v3, 19, v8
	v_subrev_u32_e32 v12, 28, v7
	v_and_b32_e32 v3, 15, v3
	v_lshlrev_b32_sdwa v12, v12, v8 dst_sel:DWORD dst_unused:UNUSED_PAD src0_sel:DWORD src1_sel:WORD_1
	v_bfe_u32 v6, v8, 19, 4
	v_sub_u32_e32 v7, 29, v7
	v_and_b32_e32 v12, 7, v12
	v_cmp_eq_u16_e32 vcc, 0, v3
	v_cndmask_b32_e32 v2, v2, v12, vcc
	v_cndmask_b32_e32 v3, v6, v7, vcc
	v_lshlrev_b32_e32 v6, 8, v8
	v_mov_b32_e32 v7, 0x3b800000
	v_lshlrev_b32_e32 v2, 20, v2
	v_and_b32_e32 v6, 0x80000000, v6
	v_lshl_add_u32 v3, v3, 23, v7
	v_or3_b32 v2, v6, v3, v2
.LBB6_1236:
	s_or_b64 exec, exec, s[6:7]
	s_movk_i32 s4, 0xff
	v_and_b32_sdwa v3, v4, s4 dst_sel:DWORD dst_unused:UNUSED_PAD src0_sel:WORD_1 src1_sel:DWORD
	s_movk_i32 s4, 0x7f
	v_cmp_lt_i16_e32 vcc, s4, v3
	s_mov_b64 s[4:5], 0
                                        ; implicit-def: $sgpr10
	s_and_saveexec_b64 s[6:7], vcc
	s_xor_b64 s[6:7], exec, s[6:7]
	s_cbranch_execnz .LBB6_3285
; %bb.1237:
	s_or_saveexec_b64 s[6:7], s[6:7]
	v_mov_b32_e32 v6, s10
	s_xor_b64 exec, exec, s[6:7]
	s_cbranch_execnz .LBB6_3288
.LBB6_1238:
	s_or_b64 exec, exec, s[6:7]
	s_and_saveexec_b64 s[6:7], s[4:5]
	s_cbranch_execz .LBB6_1240
.LBB6_1239:
	v_bfe_u32 v3, v4, 16, 3
	v_ffbh_u32_e32 v12, v3
	v_min_u32_e32 v12, 32, v12
	v_lshrrev_b32_e32 v6, 19, v4
	v_subrev_u32_e32 v13, 28, v12
	v_and_b32_e32 v6, 15, v6
	v_lshlrev_b32_sdwa v13, v13, v4 dst_sel:DWORD dst_unused:UNUSED_PAD src0_sel:DWORD src1_sel:WORD_1
	v_bfe_u32 v7, v4, 19, 4
	v_sub_u32_e32 v12, 29, v12
	v_and_b32_e32 v13, 7, v13
	v_cmp_eq_u16_e32 vcc, 0, v6
	v_cndmask_b32_e32 v3, v3, v13, vcc
	v_cndmask_b32_e32 v6, v7, v12, vcc
	v_lshlrev_b32_e32 v7, 8, v4
	v_mov_b32_e32 v12, 0x3b800000
	v_lshlrev_b32_e32 v3, 20, v3
	v_and_b32_e32 v7, 0x80000000, v7
	v_lshl_add_u32 v6, v6, 23, v12
	v_or3_b32 v6, v7, v6, v3
.LBB6_1240:
	s_or_b64 exec, exec, s[6:7]
	s_nop 0
	v_mfma_f32_16x16x4f32 a[0:3], v2, v6, a[0:3]
	s_movk_i32 s4, 0x7f
	v_cmp_gt_i16_sdwa s[6:7], v8, s4 src0_sel:BYTE_3 src1_sel:DWORD
	s_mov_b64 s[4:5], 0
                                        ; implicit-def: $sgpr10
	s_and_saveexec_b64 s[8:9], s[6:7]
	s_xor_b64 s[6:7], exec, s[8:9]
	s_cbranch_execnz .LBB6_3289
; %bb.1241:
	s_or_saveexec_b64 s[6:7], s[6:7]
	v_mov_b32_e32 v2, s10
	s_xor_b64 exec, exec, s[6:7]
	s_cbranch_execnz .LBB6_3292
.LBB6_1242:
	s_or_b64 exec, exec, s[6:7]
	s_and_saveexec_b64 s[6:7], s[4:5]
	s_cbranch_execz .LBB6_1244
.LBB6_1243:
	v_bfe_u32 v2, v8, 24, 3
	v_ffbh_u32_e32 v12, v2
	v_min_u32_e32 v12, 32, v12
	v_lshrrev_b32_e32 v6, 27, v8
	v_subrev_u32_e32 v13, 28, v12
	v_and_b32_e32 v3, 0x80000000, v8
	v_and_b32_e32 v6, 15, v6
	v_bfe_u32 v7, v8, 27, 4
	v_lshlrev_b32_sdwa v8, v13, v8 dst_sel:DWORD dst_unused:UNUSED_PAD src0_sel:DWORD src1_sel:BYTE_3
	v_sub_u32_e32 v12, 29, v12
	v_and_b32_e32 v8, 7, v8
	v_cmp_eq_u16_e32 vcc, 0, v6
	v_cndmask_b32_e32 v2, v2, v8, vcc
	v_cndmask_b32_e32 v6, v7, v12, vcc
	v_mov_b32_e32 v7, 0x3b800000
	v_lshlrev_b32_e32 v2, 20, v2
	v_lshl_add_u32 v6, v6, 23, v7
	v_or3_b32 v2, v3, v6, v2
.LBB6_1244:
	s_or_b64 exec, exec, s[6:7]
	s_movk_i32 s4, 0x7f
	v_cmp_gt_i16_sdwa s[6:7], v4, s4 src0_sel:BYTE_3 src1_sel:DWORD
	s_mov_b64 s[4:5], 0
                                        ; implicit-def: $sgpr10
	s_and_saveexec_b64 s[8:9], s[6:7]
	s_xor_b64 s[6:7], exec, s[8:9]
	s_cbranch_execnz .LBB6_3293
; %bb.1245:
	s_or_saveexec_b64 s[6:7], s[6:7]
	v_mov_b32_e32 v3, s10
	s_xor_b64 exec, exec, s[6:7]
	s_cbranch_execnz .LBB6_3296
.LBB6_1246:
	s_or_b64 exec, exec, s[6:7]
	s_and_saveexec_b64 s[6:7], s[4:5]
	s_cbranch_execz .LBB6_1248
.LBB6_1247:
	v_bfe_u32 v3, v4, 24, 3
	v_ffbh_u32_e32 v12, v3
	v_min_u32_e32 v12, 32, v12
	v_lshrrev_b32_e32 v7, 27, v4
	v_subrev_u32_e32 v13, 28, v12
	v_and_b32_e32 v6, 0x80000000, v4
	v_and_b32_e32 v7, 15, v7
	v_bfe_u32 v8, v4, 27, 4
	v_lshlrev_b32_sdwa v4, v13, v4 dst_sel:DWORD dst_unused:UNUSED_PAD src0_sel:DWORD src1_sel:BYTE_3
	v_sub_u32_e32 v12, 29, v12
	v_and_b32_e32 v4, 7, v4
	v_cmp_eq_u16_e32 vcc, 0, v7
	v_cndmask_b32_e32 v3, v3, v4, vcc
	v_cndmask_b32_e32 v4, v8, v12, vcc
	v_mov_b32_e32 v7, 0x3b800000
	v_lshlrev_b32_e32 v3, 20, v3
	v_lshl_add_u32 v4, v4, 23, v7
	v_or3_b32 v3, v6, v4, v3
.LBB6_1248:
	s_or_b64 exec, exec, s[6:7]
	s_nop 0
	v_mfma_f32_16x16x4f32 a[0:3], v2, v3, a[0:3]
	s_movk_i32 s4, 0x7f
	v_cmp_gt_i16_sdwa s[6:7], v9, s4 src0_sel:BYTE_0 src1_sel:DWORD
	s_mov_b64 s[4:5], 0
                                        ; implicit-def: $sgpr10
	s_and_saveexec_b64 s[8:9], s[6:7]
	s_xor_b64 s[6:7], exec, s[8:9]
	s_cbranch_execnz .LBB6_3297
; %bb.1249:
	s_or_saveexec_b64 s[6:7], s[6:7]
	v_mov_b32_e32 v2, s10
	s_xor_b64 exec, exec, s[6:7]
	s_cbranch_execnz .LBB6_3300
.LBB6_1250:
	s_or_b64 exec, exec, s[6:7]
	s_and_saveexec_b64 s[6:7], s[4:5]
	s_cbranch_execz .LBB6_1252
.LBB6_1251:
	v_mov_b32_e32 v2, 8
	v_and_b32_e32 v3, 7, v9
	v_lshrrev_b32_sdwa v2, v2, v9 dst_sel:BYTE_1 dst_unused:UNUSED_PAD src0_sel:DWORD src1_sel:DWORD
	v_ffbh_u32_e32 v4, v3
	v_or_b32_sdwa v2, v9, v2 dst_sel:DWORD dst_unused:UNUSED_PAD src0_sel:BYTE_0 src1_sel:DWORD
	v_min_u32_e32 v4, 32, v4
	v_lshrrev_b16_e32 v2, 3, v2
	v_subrev_u32_e32 v6, 28, v4
	v_and_b32_e32 v2, 15, v2
	v_lshlrev_b32_e32 v6, v6, v9
	v_sub_u32_e32 v4, 29, v4
	v_and_b32_e32 v6, 7, v6
	v_cmp_eq_u16_e32 vcc, 0, v2
	v_cndmask_b32_e32 v3, v3, v6, vcc
	v_cndmask_b32_e32 v2, v2, v4, vcc
	v_lshlrev_b32_e32 v4, 24, v9
	v_mov_b32_e32 v6, 0x3b800000
	v_lshlrev_b32_e32 v3, 20, v3
	v_and_b32_e32 v4, 0x80000000, v4
	v_lshl_add_u32 v2, v2, 23, v6
	v_or3_b32 v2, v4, v2, v3
.LBB6_1252:
	s_or_b64 exec, exec, s[6:7]
	s_movk_i32 s4, 0x7f
	v_cmp_gt_i16_sdwa s[6:7], v5, s4 src0_sel:BYTE_0 src1_sel:DWORD
	s_mov_b64 s[4:5], 0
                                        ; implicit-def: $sgpr10
	s_and_saveexec_b64 s[8:9], s[6:7]
	s_xor_b64 s[6:7], exec, s[8:9]
	s_cbranch_execnz .LBB6_3301
; %bb.1253:
	s_or_saveexec_b64 s[6:7], s[6:7]
	v_mov_b32_e32 v3, s10
	s_xor_b64 exec, exec, s[6:7]
	s_cbranch_execnz .LBB6_3304
.LBB6_1254:
	s_or_b64 exec, exec, s[6:7]
	s_and_saveexec_b64 s[6:7], s[4:5]
	s_cbranch_execz .LBB6_1256
.LBB6_1255:
	v_mov_b32_e32 v3, 8
	v_and_b32_e32 v4, 7, v5
	v_lshrrev_b32_sdwa v3, v3, v5 dst_sel:BYTE_1 dst_unused:UNUSED_PAD src0_sel:DWORD src1_sel:DWORD
	v_ffbh_u32_e32 v6, v4
	v_or_b32_sdwa v3, v5, v3 dst_sel:DWORD dst_unused:UNUSED_PAD src0_sel:BYTE_0 src1_sel:DWORD
	v_min_u32_e32 v6, 32, v6
	v_lshrrev_b16_e32 v3, 3, v3
	v_subrev_u32_e32 v7, 28, v6
	v_and_b32_e32 v3, 15, v3
	v_lshlrev_b32_e32 v7, v7, v5
	v_sub_u32_e32 v6, 29, v6
	v_and_b32_e32 v7, 7, v7
	v_cmp_eq_u16_e32 vcc, 0, v3
	v_cndmask_b32_e32 v4, v4, v7, vcc
	v_cndmask_b32_e32 v3, v3, v6, vcc
	v_lshlrev_b32_e32 v6, 24, v5
	v_mov_b32_e32 v7, 0x3b800000
	v_lshlrev_b32_e32 v4, 20, v4
	v_and_b32_e32 v6, 0x80000000, v6
	v_lshl_add_u32 v3, v3, 23, v7
	v_or3_b32 v3, v6, v3, v4
.LBB6_1256:
	s_or_b64 exec, exec, s[6:7]
	s_nop 0
	v_mfma_f32_16x16x4f32 a[0:3], v2, v3, a[0:3]
	v_lshrrev_b32_e32 v3, 8, v9
	s_movk_i32 s4, 0x7f
	v_cmp_gt_i16_sdwa s[6:7], v3, s4 src0_sel:BYTE_0 src1_sel:DWORD
	s_mov_b64 s[4:5], 0
                                        ; implicit-def: $sgpr10
	s_and_saveexec_b64 s[8:9], s[6:7]
	s_xor_b64 s[6:7], exec, s[8:9]
	s_cbranch_execnz .LBB6_3305
; %bb.1257:
	s_or_saveexec_b64 s[6:7], s[6:7]
	v_mov_b32_e32 v2, s10
	s_xor_b64 exec, exec, s[6:7]
	s_cbranch_execnz .LBB6_3308
.LBB6_1258:
	s_or_b64 exec, exec, s[6:7]
	s_and_saveexec_b64 s[6:7], s[4:5]
	s_cbranch_execz .LBB6_1260
.LBB6_1259:
	v_bfe_u32 v2, v9, 8, 3
	v_ffbh_u32_e32 v6, v2
	v_min_u32_e32 v6, 32, v6
	v_lshrrev_b16_e32 v4, 3, v3
	v_subrev_u32_e32 v7, 28, v6
	v_and_b32_e32 v4, 15, v4
	v_lshlrev_b32_e32 v3, v7, v3
	v_sub_u32_e32 v6, 29, v6
	v_and_b32_e32 v3, 7, v3
	v_cmp_eq_u16_e32 vcc, 0, v4
	v_cndmask_b32_e32 v2, v2, v3, vcc
	v_cndmask_b32_e32 v3, v4, v6, vcc
	v_lshlrev_b32_e32 v4, 16, v9
	v_mov_b32_e32 v6, 0x3b800000
	v_lshlrev_b32_e32 v2, 20, v2
	v_and_b32_e32 v4, 0x80000000, v4
	v_lshl_add_u32 v3, v3, 23, v6
	v_or3_b32 v2, v4, v3, v2
.LBB6_1260:
	s_or_b64 exec, exec, s[6:7]
	v_lshrrev_b32_e32 v3, 8, v5
	s_movk_i32 s4, 0x7f
	v_cmp_gt_i16_sdwa s[6:7], v3, s4 src0_sel:BYTE_0 src1_sel:DWORD
	s_mov_b64 s[4:5], 0
                                        ; implicit-def: $sgpr10
	s_and_saveexec_b64 s[8:9], s[6:7]
	s_xor_b64 s[6:7], exec, s[8:9]
	s_cbranch_execnz .LBB6_3309
; %bb.1261:
	s_or_saveexec_b64 s[6:7], s[6:7]
	v_mov_b32_e32 v4, s10
	s_xor_b64 exec, exec, s[6:7]
	s_cbranch_execnz .LBB6_3312
.LBB6_1262:
	s_or_b64 exec, exec, s[6:7]
	s_and_saveexec_b64 s[6:7], s[4:5]
	s_cbranch_execz .LBB6_1264
.LBB6_1263:
	v_bfe_u32 v4, v5, 8, 3
	v_ffbh_u32_e32 v7, v4
	v_min_u32_e32 v7, 32, v7
	v_lshrrev_b16_e32 v6, 3, v3
	v_subrev_u32_e32 v8, 28, v7
	v_and_b32_e32 v6, 15, v6
	v_lshlrev_b32_e32 v3, v8, v3
	v_sub_u32_e32 v7, 29, v7
	v_and_b32_e32 v3, 7, v3
	v_cmp_eq_u16_e32 vcc, 0, v6
	v_cndmask_b32_e32 v3, v4, v3, vcc
	v_cndmask_b32_e32 v4, v6, v7, vcc
	v_lshlrev_b32_e32 v6, 16, v5
	v_mov_b32_e32 v7, 0x3b800000
	v_lshlrev_b32_e32 v3, 20, v3
	v_and_b32_e32 v6, 0x80000000, v6
	v_lshl_add_u32 v4, v4, 23, v7
	v_or3_b32 v4, v6, v4, v3
.LBB6_1264:
	s_or_b64 exec, exec, s[6:7]
	s_nop 0
	v_mfma_f32_16x16x4f32 a[0:3], v2, v4, a[0:3]
	s_movk_i32 s4, 0xff
	v_and_b32_sdwa v3, v9, s4 dst_sel:DWORD dst_unused:UNUSED_PAD src0_sel:WORD_1 src1_sel:DWORD
	s_movk_i32 s4, 0x7f
	v_cmp_lt_i16_e32 vcc, s4, v3
	s_mov_b64 s[4:5], 0
                                        ; implicit-def: $sgpr10
	s_and_saveexec_b64 s[6:7], vcc
	s_xor_b64 s[6:7], exec, s[6:7]
	s_cbranch_execnz .LBB6_3313
; %bb.1265:
	s_or_saveexec_b64 s[6:7], s[6:7]
	v_mov_b32_e32 v2, s10
	s_xor_b64 exec, exec, s[6:7]
	s_cbranch_execnz .LBB6_3316
.LBB6_1266:
	s_or_b64 exec, exec, s[6:7]
	s_and_saveexec_b64 s[6:7], s[4:5]
	s_cbranch_execz .LBB6_1268
.LBB6_1267:
	v_bfe_u32 v2, v9, 16, 3
	v_ffbh_u32_e32 v6, v2
	v_min_u32_e32 v6, 32, v6
	v_lshrrev_b32_e32 v3, 19, v9
	v_subrev_u32_e32 v7, 28, v6
	v_and_b32_e32 v3, 15, v3
	v_lshlrev_b32_sdwa v7, v7, v9 dst_sel:DWORD dst_unused:UNUSED_PAD src0_sel:DWORD src1_sel:WORD_1
	v_bfe_u32 v4, v9, 19, 4
	v_sub_u32_e32 v6, 29, v6
	v_and_b32_e32 v7, 7, v7
	v_cmp_eq_u16_e32 vcc, 0, v3
	v_cndmask_b32_e32 v2, v2, v7, vcc
	v_cndmask_b32_e32 v3, v4, v6, vcc
	v_lshlrev_b32_e32 v4, 8, v9
	v_mov_b32_e32 v6, 0x3b800000
	v_lshlrev_b32_e32 v2, 20, v2
	v_and_b32_e32 v4, 0x80000000, v4
	v_lshl_add_u32 v3, v3, 23, v6
	v_or3_b32 v2, v4, v3, v2
.LBB6_1268:
	s_or_b64 exec, exec, s[6:7]
	s_movk_i32 s4, 0xff
	v_and_b32_sdwa v3, v5, s4 dst_sel:DWORD dst_unused:UNUSED_PAD src0_sel:WORD_1 src1_sel:DWORD
	s_movk_i32 s4, 0x7f
	v_cmp_lt_i16_e32 vcc, s4, v3
	s_mov_b64 s[4:5], 0
                                        ; implicit-def: $sgpr10
	s_and_saveexec_b64 s[6:7], vcc
	s_xor_b64 s[6:7], exec, s[6:7]
	s_cbranch_execnz .LBB6_3317
; %bb.1269:
	s_or_saveexec_b64 s[6:7], s[6:7]
	v_mov_b32_e32 v4, s10
	s_xor_b64 exec, exec, s[6:7]
	s_cbranch_execnz .LBB6_3320
.LBB6_1270:
	s_or_b64 exec, exec, s[6:7]
	s_and_saveexec_b64 s[6:7], s[4:5]
	s_cbranch_execz .LBB6_1272
.LBB6_1271:
	v_bfe_u32 v3, v5, 16, 3
	v_ffbh_u32_e32 v7, v3
	v_min_u32_e32 v7, 32, v7
	v_lshrrev_b32_e32 v4, 19, v5
	v_subrev_u32_e32 v8, 28, v7
	v_and_b32_e32 v4, 15, v4
	v_lshlrev_b32_sdwa v8, v8, v5 dst_sel:DWORD dst_unused:UNUSED_PAD src0_sel:DWORD src1_sel:WORD_1
	v_bfe_u32 v6, v5, 19, 4
	v_sub_u32_e32 v7, 29, v7
	v_and_b32_e32 v8, 7, v8
	v_cmp_eq_u16_e32 vcc, 0, v4
	v_cndmask_b32_e32 v3, v3, v8, vcc
	v_cndmask_b32_e32 v4, v6, v7, vcc
	v_lshlrev_b32_e32 v6, 8, v5
	v_mov_b32_e32 v7, 0x3b800000
	v_lshlrev_b32_e32 v3, 20, v3
	v_and_b32_e32 v6, 0x80000000, v6
	v_lshl_add_u32 v4, v4, 23, v7
	v_or3_b32 v4, v6, v4, v3
.LBB6_1272:
	s_or_b64 exec, exec, s[6:7]
	s_nop 0
	v_mfma_f32_16x16x4f32 a[0:3], v2, v4, a[0:3]
	s_movk_i32 s4, 0x7f
	v_cmp_gt_i16_sdwa s[6:7], v9, s4 src0_sel:BYTE_3 src1_sel:DWORD
	s_mov_b64 s[4:5], 0
                                        ; implicit-def: $sgpr10
	s_and_saveexec_b64 s[8:9], s[6:7]
	s_xor_b64 s[6:7], exec, s[8:9]
	s_cbranch_execnz .LBB6_3321
; %bb.1273:
	s_or_saveexec_b64 s[6:7], s[6:7]
	v_mov_b32_e32 v2, s10
	s_xor_b64 exec, exec, s[6:7]
	s_cbranch_execnz .LBB6_3324
.LBB6_1274:
	s_or_b64 exec, exec, s[6:7]
	s_and_saveexec_b64 s[6:7], s[4:5]
	s_cbranch_execz .LBB6_1276
.LBB6_1275:
	v_bfe_u32 v2, v9, 24, 3
	v_ffbh_u32_e32 v7, v2
	v_min_u32_e32 v7, 32, v7
	v_lshrrev_b32_e32 v4, 27, v9
	v_subrev_u32_e32 v8, 28, v7
	v_and_b32_e32 v4, 15, v4
	v_lshlrev_b32_sdwa v8, v8, v9 dst_sel:DWORD dst_unused:UNUSED_PAD src0_sel:DWORD src1_sel:BYTE_3
	v_bfe_u32 v6, v9, 27, 4
	v_sub_u32_e32 v7, 29, v7
	v_and_b32_e32 v8, 7, v8
	v_cmp_eq_u16_e32 vcc, 0, v4
	v_cndmask_b32_e32 v2, v2, v8, vcc
	v_cndmask_b32_e32 v4, v6, v7, vcc
	v_mov_b32_e32 v6, 0x3b800000
	v_and_b32_e32 v3, 0x80000000, v9
	v_lshlrev_b32_e32 v2, 20, v2
	v_lshl_add_u32 v4, v4, 23, v6
	v_or3_b32 v2, v3, v4, v2
.LBB6_1276:
	s_or_b64 exec, exec, s[6:7]
	s_movk_i32 s4, 0x7f
	v_cmp_gt_i16_sdwa s[6:7], v5, s4 src0_sel:BYTE_3 src1_sel:DWORD
	s_mov_b64 s[4:5], 0
                                        ; implicit-def: $sgpr10
	s_and_saveexec_b64 s[8:9], s[6:7]
	s_xor_b64 s[6:7], exec, s[8:9]
	s_cbranch_execnz .LBB6_3325
; %bb.1277:
	s_or_saveexec_b64 s[6:7], s[6:7]
	v_mov_b32_e32 v3, s10
	s_xor_b64 exec, exec, s[6:7]
	s_cbranch_execnz .LBB6_3328
.LBB6_1278:
	s_or_b64 exec, exec, s[6:7]
	s_and_saveexec_b64 s[6:7], s[4:5]
	s_cbranch_execz .LBB6_1280
.LBB6_1279:
	v_bfe_u32 v3, v5, 24, 3
	v_ffbh_u32_e32 v8, v3
	v_min_u32_e32 v8, 32, v8
	v_lshrrev_b32_e32 v6, 27, v5
	v_subrev_u32_e32 v9, 28, v8
	v_and_b32_e32 v4, 0x80000000, v5
	v_and_b32_e32 v6, 15, v6
	v_bfe_u32 v7, v5, 27, 4
	v_lshlrev_b32_sdwa v5, v9, v5 dst_sel:DWORD dst_unused:UNUSED_PAD src0_sel:DWORD src1_sel:BYTE_3
	v_sub_u32_e32 v8, 29, v8
	v_and_b32_e32 v5, 7, v5
	v_cmp_eq_u16_e32 vcc, 0, v6
	v_cndmask_b32_e32 v3, v3, v5, vcc
	v_cndmask_b32_e32 v5, v7, v8, vcc
	v_mov_b32_e32 v6, 0x3b800000
	v_lshlrev_b32_e32 v3, 20, v3
	v_lshl_add_u32 v5, v5, 23, v6
	v_or3_b32 v3, v4, v5, v3
.LBB6_1280:
	s_or_b64 exec, exec, s[6:7]
	s_nop 0
	v_mfma_f32_16x16x4f32 a[0:3], v2, v3, a[0:3]
	s_movk_i32 s4, 0x7f
                                        ; implicit-def: $sgpr10
	s_nop 7
	s_nop 1
	flat_store_dwordx4 v[10:11], a[0:3] offset:144
	flat_load_dwordx4 v[12:15], v[0:1] offset:8
	s_nop 0
	flat_load_dwordx2 v[10:11], v[0:1] offset:32
	s_waitcnt vmcnt(0) lgkmcnt(0)
	flat_load_dwordx4 v[6:9], v[12:13] offset:80
	flat_load_dwordx4 v[2:5], v[14:15] offset:80
	s_waitcnt vmcnt(0) lgkmcnt(0)
	v_cmp_gt_i16_sdwa s[6:7], v6, s4 src0_sel:BYTE_0 src1_sel:DWORD
	s_mov_b64 s[4:5], 0
	s_and_saveexec_b64 s[8:9], s[6:7]
	s_xor_b64 s[6:7], exec, s[8:9]
	s_cbranch_execnz .LBB6_3329
; %bb.1281:
	s_or_saveexec_b64 s[6:7], s[6:7]
	v_mov_b32_e32 v12, s10
	s_xor_b64 exec, exec, s[6:7]
	s_cbranch_execnz .LBB6_3332
.LBB6_1282:
	s_or_b64 exec, exec, s[6:7]
	s_and_saveexec_b64 s[6:7], s[4:5]
	s_cbranch_execz .LBB6_1284
.LBB6_1283:
	v_and_b32_e32 v12, 7, v6
	v_ffbh_u32_e32 v14, v12
	v_min_u32_e32 v14, 32, v14
	v_lshrrev_b16_e32 v13, 3, v6
	v_subrev_u32_e32 v15, 28, v14
	v_and_b32_e32 v13, 15, v13
	v_lshlrev_b32_e32 v15, v15, v6
	v_sub_u32_e32 v14, 29, v14
	v_and_b32_e32 v15, 7, v15
	v_cmp_eq_u16_e32 vcc, 0, v13
	v_cndmask_b32_e32 v12, v12, v15, vcc
	v_cndmask_b32_e32 v13, v13, v14, vcc
	v_lshlrev_b32_e32 v14, 24, v6
	v_mov_b32_e32 v15, 0x3b800000
	v_lshlrev_b32_e32 v12, 20, v12
	v_and_b32_e32 v14, 0x80000000, v14
	v_lshl_add_u32 v13, v13, 23, v15
	v_or3_b32 v12, v14, v13, v12
.LBB6_1284:
	s_or_b64 exec, exec, s[6:7]
	s_movk_i32 s4, 0x7f
	v_cmp_gt_i16_sdwa s[6:7], v2, s4 src0_sel:BYTE_0 src1_sel:DWORD
	s_mov_b64 s[4:5], 0
                                        ; implicit-def: $sgpr10
	s_and_saveexec_b64 s[8:9], s[6:7]
	s_xor_b64 s[6:7], exec, s[8:9]
	s_cbranch_execnz .LBB6_3333
; %bb.1285:
	s_or_saveexec_b64 s[6:7], s[6:7]
	v_mov_b32_e32 v13, s10
	s_xor_b64 exec, exec, s[6:7]
	s_cbranch_execnz .LBB6_3336
.LBB6_1286:
	s_or_b64 exec, exec, s[6:7]
	s_and_saveexec_b64 s[6:7], s[4:5]
	s_cbranch_execz .LBB6_1288
.LBB6_1287:
	v_and_b32_e32 v13, 7, v2
	v_ffbh_u32_e32 v15, v13
	v_min_u32_e32 v15, 32, v15
	v_lshrrev_b16_e32 v14, 3, v2
	v_subrev_u32_e32 v16, 28, v15
	v_and_b32_e32 v14, 15, v14
	v_lshlrev_b32_e32 v16, v16, v2
	v_sub_u32_e32 v15, 29, v15
	v_and_b32_e32 v16, 7, v16
	v_cmp_eq_u16_e32 vcc, 0, v14
	v_cndmask_b32_e32 v13, v13, v16, vcc
	v_cndmask_b32_e32 v14, v14, v15, vcc
	v_lshlrev_b32_e32 v15, 24, v2
	v_mov_b32_e32 v16, 0x3b800000
	v_lshlrev_b32_e32 v13, 20, v13
	v_and_b32_e32 v15, 0x80000000, v15
	v_lshl_add_u32 v14, v14, 23, v16
	v_or3_b32 v13, v15, v14, v13
.LBB6_1288:
	s_or_b64 exec, exec, s[6:7]
	flat_load_dwordx4 a[0:3], v[10:11] offset:160
	s_movk_i32 s4, 0x7f
                                        ; implicit-def: $sgpr10
	s_waitcnt vmcnt(0) lgkmcnt(0)
	v_mfma_f32_16x16x4f32 a[0:3], v12, v13, a[0:3]
	v_lshrrev_b32_e32 v13, 8, v6
	v_cmp_gt_i16_sdwa s[6:7], v13, s4 src0_sel:BYTE_0 src1_sel:DWORD
	s_mov_b64 s[4:5], 0
	s_and_saveexec_b64 s[8:9], s[6:7]
	s_xor_b64 s[6:7], exec, s[8:9]
	s_cbranch_execnz .LBB6_3337
; %bb.1289:
	s_or_saveexec_b64 s[6:7], s[6:7]
	v_mov_b32_e32 v12, s10
	s_xor_b64 exec, exec, s[6:7]
	s_cbranch_execnz .LBB6_3340
.LBB6_1290:
	s_or_b64 exec, exec, s[6:7]
	s_and_saveexec_b64 s[6:7], s[4:5]
	s_cbranch_execz .LBB6_1292
.LBB6_1291:
	v_bfe_u32 v12, v6, 8, 3
	v_ffbh_u32_e32 v15, v12
	v_min_u32_e32 v15, 32, v15
	v_lshrrev_b16_e32 v14, 3, v13
	v_subrev_u32_e32 v16, 28, v15
	v_and_b32_e32 v14, 15, v14
	v_lshlrev_b32_e32 v13, v16, v13
	v_sub_u32_e32 v15, 29, v15
	v_and_b32_e32 v13, 7, v13
	v_cmp_eq_u16_e32 vcc, 0, v14
	v_cndmask_b32_e32 v12, v12, v13, vcc
	v_cndmask_b32_e32 v13, v14, v15, vcc
	v_lshlrev_b32_e32 v14, 16, v6
	v_mov_b32_e32 v15, 0x3b800000
	v_lshlrev_b32_e32 v12, 20, v12
	v_and_b32_e32 v14, 0x80000000, v14
	v_lshl_add_u32 v13, v13, 23, v15
	v_or3_b32 v12, v14, v13, v12
.LBB6_1292:
	s_or_b64 exec, exec, s[6:7]
	v_lshrrev_b32_e32 v13, 8, v2
	s_movk_i32 s4, 0x7f
	v_cmp_gt_i16_sdwa s[6:7], v13, s4 src0_sel:BYTE_0 src1_sel:DWORD
	s_mov_b64 s[4:5], 0
                                        ; implicit-def: $sgpr10
	s_and_saveexec_b64 s[8:9], s[6:7]
	s_xor_b64 s[6:7], exec, s[8:9]
	s_cbranch_execnz .LBB6_3341
; %bb.1293:
	s_or_saveexec_b64 s[6:7], s[6:7]
	v_mov_b32_e32 v14, s10
	s_xor_b64 exec, exec, s[6:7]
	s_cbranch_execnz .LBB6_3344
.LBB6_1294:
	s_or_b64 exec, exec, s[6:7]
	s_and_saveexec_b64 s[6:7], s[4:5]
	s_cbranch_execz .LBB6_1296
.LBB6_1295:
	v_bfe_u32 v14, v2, 8, 3
	v_ffbh_u32_e32 v16, v14
	v_min_u32_e32 v16, 32, v16
	v_lshrrev_b16_e32 v15, 3, v13
	v_subrev_u32_e32 v17, 28, v16
	v_and_b32_e32 v15, 15, v15
	v_lshlrev_b32_e32 v13, v17, v13
	v_sub_u32_e32 v16, 29, v16
	v_and_b32_e32 v13, 7, v13
	v_cmp_eq_u16_e32 vcc, 0, v15
	v_cndmask_b32_e32 v13, v14, v13, vcc
	v_cndmask_b32_e32 v14, v15, v16, vcc
	v_lshlrev_b32_e32 v15, 16, v2
	v_mov_b32_e32 v16, 0x3b800000
	v_lshlrev_b32_e32 v13, 20, v13
	v_and_b32_e32 v15, 0x80000000, v15
	v_lshl_add_u32 v14, v14, 23, v16
	v_or3_b32 v14, v15, v14, v13
.LBB6_1296:
	s_or_b64 exec, exec, s[6:7]
	s_nop 0
	v_mfma_f32_16x16x4f32 a[0:3], v12, v14, a[0:3]
	s_movk_i32 s4, 0xff
	v_and_b32_sdwa v13, v6, s4 dst_sel:DWORD dst_unused:UNUSED_PAD src0_sel:WORD_1 src1_sel:DWORD
	s_movk_i32 s4, 0x7f
	v_cmp_lt_i16_e32 vcc, s4, v13
	s_mov_b64 s[4:5], 0
                                        ; implicit-def: $sgpr10
	s_and_saveexec_b64 s[6:7], vcc
	s_xor_b64 s[6:7], exec, s[6:7]
	s_cbranch_execnz .LBB6_3345
; %bb.1297:
	s_or_saveexec_b64 s[6:7], s[6:7]
	v_mov_b32_e32 v12, s10
	s_xor_b64 exec, exec, s[6:7]
	s_cbranch_execnz .LBB6_3348
.LBB6_1298:
	s_or_b64 exec, exec, s[6:7]
	s_and_saveexec_b64 s[6:7], s[4:5]
	s_cbranch_execz .LBB6_1300
.LBB6_1299:
	v_bfe_u32 v12, v6, 16, 3
	v_ffbh_u32_e32 v15, v12
	v_min_u32_e32 v15, 32, v15
	v_lshrrev_b32_e32 v13, 19, v6
	v_subrev_u32_e32 v16, 28, v15
	v_and_b32_e32 v13, 15, v13
	v_lshlrev_b32_sdwa v16, v16, v6 dst_sel:DWORD dst_unused:UNUSED_PAD src0_sel:DWORD src1_sel:WORD_1
	v_bfe_u32 v14, v6, 19, 4
	v_sub_u32_e32 v15, 29, v15
	v_and_b32_e32 v16, 7, v16
	v_cmp_eq_u16_e32 vcc, 0, v13
	v_cndmask_b32_e32 v12, v12, v16, vcc
	v_cndmask_b32_e32 v13, v14, v15, vcc
	v_lshlrev_b32_e32 v14, 8, v6
	v_mov_b32_e32 v15, 0x3b800000
	v_lshlrev_b32_e32 v12, 20, v12
	v_and_b32_e32 v14, 0x80000000, v14
	v_lshl_add_u32 v13, v13, 23, v15
	v_or3_b32 v12, v14, v13, v12
.LBB6_1300:
	s_or_b64 exec, exec, s[6:7]
	s_movk_i32 s4, 0xff
	v_and_b32_sdwa v13, v2, s4 dst_sel:DWORD dst_unused:UNUSED_PAD src0_sel:WORD_1 src1_sel:DWORD
	s_movk_i32 s4, 0x7f
	v_cmp_lt_i16_e32 vcc, s4, v13
	s_mov_b64 s[4:5], 0
                                        ; implicit-def: $sgpr10
	s_and_saveexec_b64 s[6:7], vcc
	s_xor_b64 s[6:7], exec, s[6:7]
	s_cbranch_execnz .LBB6_3349
; %bb.1301:
	s_or_saveexec_b64 s[6:7], s[6:7]
	v_mov_b32_e32 v14, s10
	s_xor_b64 exec, exec, s[6:7]
	s_cbranch_execnz .LBB6_3352
.LBB6_1302:
	s_or_b64 exec, exec, s[6:7]
	s_and_saveexec_b64 s[6:7], s[4:5]
	s_cbranch_execz .LBB6_1304
.LBB6_1303:
	v_bfe_u32 v13, v2, 16, 3
	v_ffbh_u32_e32 v16, v13
	v_min_u32_e32 v16, 32, v16
	v_lshrrev_b32_e32 v14, 19, v2
	v_subrev_u32_e32 v17, 28, v16
	v_and_b32_e32 v14, 15, v14
	v_lshlrev_b32_sdwa v17, v17, v2 dst_sel:DWORD dst_unused:UNUSED_PAD src0_sel:DWORD src1_sel:WORD_1
	v_bfe_u32 v15, v2, 19, 4
	v_sub_u32_e32 v16, 29, v16
	v_and_b32_e32 v17, 7, v17
	v_cmp_eq_u16_e32 vcc, 0, v14
	v_cndmask_b32_e32 v13, v13, v17, vcc
	v_cndmask_b32_e32 v14, v15, v16, vcc
	v_lshlrev_b32_e32 v15, 8, v2
	v_mov_b32_e32 v16, 0x3b800000
	v_lshlrev_b32_e32 v13, 20, v13
	v_and_b32_e32 v15, 0x80000000, v15
	v_lshl_add_u32 v14, v14, 23, v16
	v_or3_b32 v14, v15, v14, v13
.LBB6_1304:
	s_or_b64 exec, exec, s[6:7]
	s_nop 0
	v_mfma_f32_16x16x4f32 a[0:3], v12, v14, a[0:3]
	s_movk_i32 s4, 0x7f
	v_cmp_gt_i16_sdwa s[6:7], v6, s4 src0_sel:BYTE_3 src1_sel:DWORD
	s_mov_b64 s[4:5], 0
                                        ; implicit-def: $sgpr10
	s_and_saveexec_b64 s[8:9], s[6:7]
	s_xor_b64 s[6:7], exec, s[8:9]
	s_cbranch_execnz .LBB6_3353
; %bb.1305:
	s_or_saveexec_b64 s[6:7], s[6:7]
	v_mov_b32_e32 v12, s10
	s_xor_b64 exec, exec, s[6:7]
	s_cbranch_execnz .LBB6_3356
.LBB6_1306:
	s_or_b64 exec, exec, s[6:7]
	s_and_saveexec_b64 s[6:7], s[4:5]
	s_cbranch_execz .LBB6_1308
.LBB6_1307:
	v_bfe_u32 v12, v6, 24, 3
	v_ffbh_u32_e32 v16, v12
	v_min_u32_e32 v16, 32, v16
	v_lshrrev_b32_e32 v14, 27, v6
	v_subrev_u32_e32 v17, 28, v16
	v_and_b32_e32 v13, 0x80000000, v6
	v_and_b32_e32 v14, 15, v14
	v_bfe_u32 v15, v6, 27, 4
	v_lshlrev_b32_sdwa v6, v17, v6 dst_sel:DWORD dst_unused:UNUSED_PAD src0_sel:DWORD src1_sel:BYTE_3
	v_sub_u32_e32 v16, 29, v16
	v_and_b32_e32 v6, 7, v6
	v_cmp_eq_u16_e32 vcc, 0, v14
	v_cndmask_b32_e32 v6, v12, v6, vcc
	v_cndmask_b32_e32 v12, v15, v16, vcc
	v_mov_b32_e32 v14, 0x3b800000
	v_lshlrev_b32_e32 v6, 20, v6
	v_lshl_add_u32 v12, v12, 23, v14
	v_or3_b32 v12, v13, v12, v6
.LBB6_1308:
	s_or_b64 exec, exec, s[6:7]
	s_movk_i32 s4, 0x7f
	v_cmp_gt_i16_sdwa s[6:7], v2, s4 src0_sel:BYTE_3 src1_sel:DWORD
	s_mov_b64 s[4:5], 0
                                        ; implicit-def: $sgpr10
	s_and_saveexec_b64 s[8:9], s[6:7]
	s_xor_b64 s[6:7], exec, s[8:9]
	s_cbranch_execnz .LBB6_3357
; %bb.1309:
	s_or_saveexec_b64 s[6:7], s[6:7]
	v_mov_b32_e32 v6, s10
	s_xor_b64 exec, exec, s[6:7]
	s_cbranch_execnz .LBB6_3360
.LBB6_1310:
	s_or_b64 exec, exec, s[6:7]
	s_and_saveexec_b64 s[6:7], s[4:5]
	s_cbranch_execz .LBB6_1312
.LBB6_1311:
	v_bfe_u32 v6, v2, 24, 3
	v_ffbh_u32_e32 v16, v6
	v_min_u32_e32 v16, 32, v16
	v_lshrrev_b32_e32 v14, 27, v2
	v_subrev_u32_e32 v17, 28, v16
	v_and_b32_e32 v13, 0x80000000, v2
	v_and_b32_e32 v14, 15, v14
	v_bfe_u32 v15, v2, 27, 4
	v_lshlrev_b32_sdwa v2, v17, v2 dst_sel:DWORD dst_unused:UNUSED_PAD src0_sel:DWORD src1_sel:BYTE_3
	v_sub_u32_e32 v16, 29, v16
	v_and_b32_e32 v2, 7, v2
	v_cmp_eq_u16_e32 vcc, 0, v14
	v_cndmask_b32_e32 v2, v6, v2, vcc
	v_cndmask_b32_e32 v6, v15, v16, vcc
	v_mov_b32_e32 v14, 0x3b800000
	v_lshlrev_b32_e32 v2, 20, v2
	v_lshl_add_u32 v6, v6, 23, v14
	v_or3_b32 v6, v13, v6, v2
.LBB6_1312:
	s_or_b64 exec, exec, s[6:7]
	s_nop 0
	v_mfma_f32_16x16x4f32 a[0:3], v12, v6, a[0:3]
	s_movk_i32 s4, 0x7f
	v_cmp_gt_i16_sdwa s[6:7], v7, s4 src0_sel:BYTE_0 src1_sel:DWORD
	s_mov_b64 s[4:5], 0
                                        ; implicit-def: $sgpr10
	s_and_saveexec_b64 s[8:9], s[6:7]
	s_xor_b64 s[6:7], exec, s[8:9]
	s_cbranch_execnz .LBB6_3361
; %bb.1313:
	s_or_saveexec_b64 s[6:7], s[6:7]
	v_mov_b32_e32 v2, s10
	s_xor_b64 exec, exec, s[6:7]
	s_cbranch_execnz .LBB6_3364
.LBB6_1314:
	s_or_b64 exec, exec, s[6:7]
	s_and_saveexec_b64 s[6:7], s[4:5]
	s_cbranch_execz .LBB6_1316
.LBB6_1315:
	v_and_b32_e32 v2, 7, v7
	v_ffbh_u32_e32 v12, v2
	v_min_u32_e32 v12, 32, v12
	v_lshrrev_b16_e32 v6, 3, v7
	v_subrev_u32_e32 v13, 28, v12
	v_and_b32_e32 v6, 15, v6
	v_lshlrev_b32_e32 v13, v13, v7
	v_sub_u32_e32 v12, 29, v12
	v_and_b32_e32 v13, 7, v13
	v_cmp_eq_u16_e32 vcc, 0, v6
	v_cndmask_b32_e32 v2, v2, v13, vcc
	v_cndmask_b32_e32 v6, v6, v12, vcc
	v_lshlrev_b32_e32 v12, 24, v7
	v_mov_b32_e32 v13, 0x3b800000
	v_lshlrev_b32_e32 v2, 20, v2
	v_and_b32_e32 v12, 0x80000000, v12
	v_lshl_add_u32 v6, v6, 23, v13
	v_or3_b32 v2, v12, v6, v2
.LBB6_1316:
	s_or_b64 exec, exec, s[6:7]
	s_movk_i32 s4, 0x7f
	v_cmp_gt_i16_sdwa s[6:7], v3, s4 src0_sel:BYTE_0 src1_sel:DWORD
	s_mov_b64 s[4:5], 0
                                        ; implicit-def: $sgpr10
	s_and_saveexec_b64 s[8:9], s[6:7]
	s_xor_b64 s[6:7], exec, s[8:9]
	s_cbranch_execnz .LBB6_3365
; %bb.1317:
	s_or_saveexec_b64 s[6:7], s[6:7]
	v_mov_b32_e32 v6, s10
	s_xor_b64 exec, exec, s[6:7]
	s_cbranch_execnz .LBB6_3368
.LBB6_1318:
	s_or_b64 exec, exec, s[6:7]
	s_and_saveexec_b64 s[6:7], s[4:5]
	s_cbranch_execz .LBB6_1320
.LBB6_1319:
	v_and_b32_e32 v6, 7, v3
	v_ffbh_u32_e32 v13, v6
	v_min_u32_e32 v13, 32, v13
	v_lshrrev_b16_e32 v12, 3, v3
	v_subrev_u32_e32 v14, 28, v13
	v_and_b32_e32 v12, 15, v12
	v_lshlrev_b32_e32 v14, v14, v3
	v_sub_u32_e32 v13, 29, v13
	v_and_b32_e32 v14, 7, v14
	v_cmp_eq_u16_e32 vcc, 0, v12
	v_cndmask_b32_e32 v6, v6, v14, vcc
	v_cndmask_b32_e32 v12, v12, v13, vcc
	v_lshlrev_b32_e32 v13, 24, v3
	v_mov_b32_e32 v14, 0x3b800000
	v_lshlrev_b32_e32 v6, 20, v6
	v_and_b32_e32 v13, 0x80000000, v13
	v_lshl_add_u32 v12, v12, 23, v14
	v_or3_b32 v6, v13, v12, v6
.LBB6_1320:
	s_or_b64 exec, exec, s[6:7]
	s_nop 0
	v_mfma_f32_16x16x4f32 a[0:3], v2, v6, a[0:3]
	v_lshrrev_b32_e32 v6, 8, v7
	s_movk_i32 s4, 0x7f
	v_cmp_gt_i16_sdwa s[6:7], v6, s4 src0_sel:BYTE_0 src1_sel:DWORD
	s_mov_b64 s[4:5], 0
                                        ; implicit-def: $sgpr10
	s_and_saveexec_b64 s[8:9], s[6:7]
	s_xor_b64 s[6:7], exec, s[8:9]
	s_cbranch_execnz .LBB6_3369
; %bb.1321:
	s_or_saveexec_b64 s[6:7], s[6:7]
	v_mov_b32_e32 v2, s10
	s_xor_b64 exec, exec, s[6:7]
	s_cbranch_execnz .LBB6_3372
.LBB6_1322:
	s_or_b64 exec, exec, s[6:7]
	s_and_saveexec_b64 s[6:7], s[4:5]
	s_cbranch_execz .LBB6_1324
.LBB6_1323:
	v_bfe_u32 v2, v7, 8, 3
	v_ffbh_u32_e32 v13, v2
	v_min_u32_e32 v13, 32, v13
	v_lshrrev_b16_e32 v12, 3, v6
	v_subrev_u32_e32 v14, 28, v13
	v_and_b32_e32 v12, 15, v12
	v_lshlrev_b32_e32 v6, v14, v6
	v_sub_u32_e32 v13, 29, v13
	v_and_b32_e32 v6, 7, v6
	v_cmp_eq_u16_e32 vcc, 0, v12
	v_cndmask_b32_e32 v2, v2, v6, vcc
	v_cndmask_b32_e32 v6, v12, v13, vcc
	v_lshlrev_b32_e32 v12, 16, v7
	v_mov_b32_e32 v13, 0x3b800000
	v_lshlrev_b32_e32 v2, 20, v2
	v_and_b32_e32 v12, 0x80000000, v12
	v_lshl_add_u32 v6, v6, 23, v13
	v_or3_b32 v2, v12, v6, v2
.LBB6_1324:
	s_or_b64 exec, exec, s[6:7]
	v_lshrrev_b32_e32 v6, 8, v3
	s_movk_i32 s4, 0x7f
	v_cmp_gt_i16_sdwa s[6:7], v6, s4 src0_sel:BYTE_0 src1_sel:DWORD
	s_mov_b64 s[4:5], 0
                                        ; implicit-def: $sgpr10
	s_and_saveexec_b64 s[8:9], s[6:7]
	s_xor_b64 s[6:7], exec, s[8:9]
	s_cbranch_execnz .LBB6_3373
; %bb.1325:
	s_or_saveexec_b64 s[6:7], s[6:7]
	v_mov_b32_e32 v12, s10
	s_xor_b64 exec, exec, s[6:7]
	s_cbranch_execnz .LBB6_3376
.LBB6_1326:
	s_or_b64 exec, exec, s[6:7]
	s_and_saveexec_b64 s[6:7], s[4:5]
	s_cbranch_execz .LBB6_1328
.LBB6_1327:
	v_bfe_u32 v12, v3, 8, 3
	v_ffbh_u32_e32 v14, v12
	v_min_u32_e32 v14, 32, v14
	v_lshrrev_b16_e32 v13, 3, v6
	v_subrev_u32_e32 v15, 28, v14
	v_and_b32_e32 v13, 15, v13
	v_lshlrev_b32_e32 v6, v15, v6
	v_sub_u32_e32 v14, 29, v14
	v_and_b32_e32 v6, 7, v6
	v_cmp_eq_u16_e32 vcc, 0, v13
	v_cndmask_b32_e32 v6, v12, v6, vcc
	v_cndmask_b32_e32 v12, v13, v14, vcc
	v_lshlrev_b32_e32 v13, 16, v3
	v_mov_b32_e32 v14, 0x3b800000
	v_lshlrev_b32_e32 v6, 20, v6
	v_and_b32_e32 v13, 0x80000000, v13
	v_lshl_add_u32 v12, v12, 23, v14
	v_or3_b32 v12, v13, v12, v6
.LBB6_1328:
	s_or_b64 exec, exec, s[6:7]
	s_nop 0
	v_mfma_f32_16x16x4f32 a[0:3], v2, v12, a[0:3]
	s_movk_i32 s4, 0xff
	v_and_b32_sdwa v6, v7, s4 dst_sel:DWORD dst_unused:UNUSED_PAD src0_sel:WORD_1 src1_sel:DWORD
	s_movk_i32 s4, 0x7f
	v_cmp_lt_i16_e32 vcc, s4, v6
	s_mov_b64 s[4:5], 0
                                        ; implicit-def: $sgpr10
	s_and_saveexec_b64 s[6:7], vcc
	s_xor_b64 s[6:7], exec, s[6:7]
	s_cbranch_execnz .LBB6_3377
; %bb.1329:
	s_or_saveexec_b64 s[6:7], s[6:7]
	v_mov_b32_e32 v2, s10
	s_xor_b64 exec, exec, s[6:7]
	s_cbranch_execnz .LBB6_3380
.LBB6_1330:
	s_or_b64 exec, exec, s[6:7]
	s_and_saveexec_b64 s[6:7], s[4:5]
	s_cbranch_execz .LBB6_1332
.LBB6_1331:
	v_bfe_u32 v2, v7, 16, 3
	v_ffbh_u32_e32 v13, v2
	v_min_u32_e32 v13, 32, v13
	v_lshrrev_b32_e32 v6, 19, v7
	v_subrev_u32_e32 v14, 28, v13
	v_and_b32_e32 v6, 15, v6
	v_lshlrev_b32_sdwa v14, v14, v7 dst_sel:DWORD dst_unused:UNUSED_PAD src0_sel:DWORD src1_sel:WORD_1
	v_bfe_u32 v12, v7, 19, 4
	v_sub_u32_e32 v13, 29, v13
	v_and_b32_e32 v14, 7, v14
	v_cmp_eq_u16_e32 vcc, 0, v6
	v_cndmask_b32_e32 v2, v2, v14, vcc
	v_cndmask_b32_e32 v6, v12, v13, vcc
	v_lshlrev_b32_e32 v12, 8, v7
	v_mov_b32_e32 v13, 0x3b800000
	v_lshlrev_b32_e32 v2, 20, v2
	v_and_b32_e32 v12, 0x80000000, v12
	v_lshl_add_u32 v6, v6, 23, v13
	v_or3_b32 v2, v12, v6, v2
.LBB6_1332:
	s_or_b64 exec, exec, s[6:7]
	s_movk_i32 s4, 0xff
	v_and_b32_sdwa v6, v3, s4 dst_sel:DWORD dst_unused:UNUSED_PAD src0_sel:WORD_1 src1_sel:DWORD
	s_movk_i32 s4, 0x7f
	v_cmp_lt_i16_e32 vcc, s4, v6
	s_mov_b64 s[4:5], 0
                                        ; implicit-def: $sgpr10
	s_and_saveexec_b64 s[6:7], vcc
	s_xor_b64 s[6:7], exec, s[6:7]
	s_cbranch_execnz .LBB6_3381
; %bb.1333:
	s_or_saveexec_b64 s[6:7], s[6:7]
	v_mov_b32_e32 v12, s10
	s_xor_b64 exec, exec, s[6:7]
	s_cbranch_execnz .LBB6_3384
.LBB6_1334:
	s_or_b64 exec, exec, s[6:7]
	s_and_saveexec_b64 s[6:7], s[4:5]
	s_cbranch_execz .LBB6_1336
.LBB6_1335:
	v_bfe_u32 v6, v3, 16, 3
	v_ffbh_u32_e32 v14, v6
	v_min_u32_e32 v14, 32, v14
	v_lshrrev_b32_e32 v12, 19, v3
	v_subrev_u32_e32 v15, 28, v14
	v_and_b32_e32 v12, 15, v12
	v_lshlrev_b32_sdwa v15, v15, v3 dst_sel:DWORD dst_unused:UNUSED_PAD src0_sel:DWORD src1_sel:WORD_1
	v_bfe_u32 v13, v3, 19, 4
	v_sub_u32_e32 v14, 29, v14
	v_and_b32_e32 v15, 7, v15
	v_cmp_eq_u16_e32 vcc, 0, v12
	v_cndmask_b32_e32 v6, v6, v15, vcc
	v_cndmask_b32_e32 v12, v13, v14, vcc
	v_lshlrev_b32_e32 v13, 8, v3
	v_mov_b32_e32 v14, 0x3b800000
	v_lshlrev_b32_e32 v6, 20, v6
	v_and_b32_e32 v13, 0x80000000, v13
	v_lshl_add_u32 v12, v12, 23, v14
	v_or3_b32 v12, v13, v12, v6
.LBB6_1336:
	s_or_b64 exec, exec, s[6:7]
	s_nop 0
	v_mfma_f32_16x16x4f32 a[0:3], v2, v12, a[0:3]
	s_movk_i32 s4, 0x7f
	v_cmp_gt_i16_sdwa s[6:7], v7, s4 src0_sel:BYTE_3 src1_sel:DWORD
	s_mov_b64 s[4:5], 0
                                        ; implicit-def: $sgpr10
	s_and_saveexec_b64 s[8:9], s[6:7]
	s_xor_b64 s[6:7], exec, s[8:9]
	s_cbranch_execnz .LBB6_3385
; %bb.1337:
	s_or_saveexec_b64 s[6:7], s[6:7]
	v_mov_b32_e32 v2, s10
	s_xor_b64 exec, exec, s[6:7]
	s_cbranch_execnz .LBB6_3388
.LBB6_1338:
	s_or_b64 exec, exec, s[6:7]
	s_and_saveexec_b64 s[6:7], s[4:5]
	s_cbranch_execz .LBB6_1340
.LBB6_1339:
	v_bfe_u32 v2, v7, 24, 3
	v_ffbh_u32_e32 v14, v2
	v_min_u32_e32 v14, 32, v14
	v_lshrrev_b32_e32 v12, 27, v7
	v_subrev_u32_e32 v15, 28, v14
	v_and_b32_e32 v6, 0x80000000, v7
	v_and_b32_e32 v12, 15, v12
	v_bfe_u32 v13, v7, 27, 4
	v_lshlrev_b32_sdwa v7, v15, v7 dst_sel:DWORD dst_unused:UNUSED_PAD src0_sel:DWORD src1_sel:BYTE_3
	v_sub_u32_e32 v14, 29, v14
	v_and_b32_e32 v7, 7, v7
	v_cmp_eq_u16_e32 vcc, 0, v12
	v_cndmask_b32_e32 v2, v2, v7, vcc
	v_cndmask_b32_e32 v7, v13, v14, vcc
	v_mov_b32_e32 v12, 0x3b800000
	v_lshlrev_b32_e32 v2, 20, v2
	v_lshl_add_u32 v7, v7, 23, v12
	v_or3_b32 v2, v6, v7, v2
.LBB6_1340:
	s_or_b64 exec, exec, s[6:7]
	s_movk_i32 s4, 0x7f
	v_cmp_gt_i16_sdwa s[6:7], v3, s4 src0_sel:BYTE_3 src1_sel:DWORD
	s_mov_b64 s[4:5], 0
                                        ; implicit-def: $sgpr10
	s_and_saveexec_b64 s[8:9], s[6:7]
	s_xor_b64 s[6:7], exec, s[8:9]
	s_cbranch_execnz .LBB6_3389
; %bb.1341:
	s_or_saveexec_b64 s[6:7], s[6:7]
	v_mov_b32_e32 v6, s10
	s_xor_b64 exec, exec, s[6:7]
	s_cbranch_execnz .LBB6_3392
.LBB6_1342:
	s_or_b64 exec, exec, s[6:7]
	s_and_saveexec_b64 s[6:7], s[4:5]
	s_cbranch_execz .LBB6_1344
.LBB6_1343:
	v_bfe_u32 v6, v3, 24, 3
	v_ffbh_u32_e32 v14, v6
	v_min_u32_e32 v14, 32, v14
	v_lshrrev_b32_e32 v12, 27, v3
	v_subrev_u32_e32 v15, 28, v14
	v_and_b32_e32 v7, 0x80000000, v3
	v_and_b32_e32 v12, 15, v12
	v_bfe_u32 v13, v3, 27, 4
	v_lshlrev_b32_sdwa v3, v15, v3 dst_sel:DWORD dst_unused:UNUSED_PAD src0_sel:DWORD src1_sel:BYTE_3
	v_sub_u32_e32 v14, 29, v14
	v_and_b32_e32 v3, 7, v3
	v_cmp_eq_u16_e32 vcc, 0, v12
	v_cndmask_b32_e32 v3, v6, v3, vcc
	v_cndmask_b32_e32 v6, v13, v14, vcc
	v_mov_b32_e32 v12, 0x3b800000
	v_lshlrev_b32_e32 v3, 20, v3
	v_lshl_add_u32 v6, v6, 23, v12
	v_or3_b32 v6, v7, v6, v3
.LBB6_1344:
	s_or_b64 exec, exec, s[6:7]
	s_nop 0
	v_mfma_f32_16x16x4f32 a[0:3], v2, v6, a[0:3]
	s_movk_i32 s4, 0x7f
	v_cmp_gt_i16_sdwa s[6:7], v8, s4 src0_sel:BYTE_0 src1_sel:DWORD
	s_mov_b64 s[4:5], 0
                                        ; implicit-def: $sgpr10
	s_and_saveexec_b64 s[8:9], s[6:7]
	s_xor_b64 s[6:7], exec, s[8:9]
	s_cbranch_execnz .LBB6_3393
; %bb.1345:
	s_or_saveexec_b64 s[6:7], s[6:7]
	v_mov_b32_e32 v2, s10
	s_xor_b64 exec, exec, s[6:7]
	s_cbranch_execnz .LBB6_3396
.LBB6_1346:
	s_or_b64 exec, exec, s[6:7]
	s_and_saveexec_b64 s[6:7], s[4:5]
	s_cbranch_execz .LBB6_1348
.LBB6_1347:
	v_and_b32_e32 v2, 7, v8
	v_ffbh_u32_e32 v6, v2
	v_min_u32_e32 v6, 32, v6
	v_lshrrev_b16_e32 v3, 3, v8
	v_subrev_u32_e32 v7, 28, v6
	v_and_b32_e32 v3, 15, v3
	v_lshlrev_b32_e32 v7, v7, v8
	v_sub_u32_e32 v6, 29, v6
	v_and_b32_e32 v7, 7, v7
	v_cmp_eq_u16_e32 vcc, 0, v3
	v_cndmask_b32_e32 v2, v2, v7, vcc
	v_cndmask_b32_e32 v3, v3, v6, vcc
	v_lshlrev_b32_e32 v6, 24, v8
	v_mov_b32_e32 v7, 0x3b800000
	v_lshlrev_b32_e32 v2, 20, v2
	v_and_b32_e32 v6, 0x80000000, v6
	v_lshl_add_u32 v3, v3, 23, v7
	v_or3_b32 v2, v6, v3, v2
.LBB6_1348:
	s_or_b64 exec, exec, s[6:7]
	s_movk_i32 s4, 0x7f
	v_cmp_gt_i16_sdwa s[6:7], v4, s4 src0_sel:BYTE_0 src1_sel:DWORD
	s_mov_b64 s[4:5], 0
                                        ; implicit-def: $sgpr10
	s_and_saveexec_b64 s[8:9], s[6:7]
	s_xor_b64 s[6:7], exec, s[8:9]
	s_cbranch_execnz .LBB6_3397
; %bb.1349:
	s_or_saveexec_b64 s[6:7], s[6:7]
	v_mov_b32_e32 v3, s10
	s_xor_b64 exec, exec, s[6:7]
	s_cbranch_execnz .LBB6_3400
.LBB6_1350:
	s_or_b64 exec, exec, s[6:7]
	s_and_saveexec_b64 s[6:7], s[4:5]
	s_cbranch_execz .LBB6_1352
.LBB6_1351:
	v_and_b32_e32 v3, 7, v4
	v_ffbh_u32_e32 v7, v3
	v_min_u32_e32 v7, 32, v7
	v_lshrrev_b16_e32 v6, 3, v4
	v_subrev_u32_e32 v12, 28, v7
	v_and_b32_e32 v6, 15, v6
	v_lshlrev_b32_e32 v12, v12, v4
	v_sub_u32_e32 v7, 29, v7
	v_and_b32_e32 v12, 7, v12
	v_cmp_eq_u16_e32 vcc, 0, v6
	v_cndmask_b32_e32 v3, v3, v12, vcc
	v_cndmask_b32_e32 v6, v6, v7, vcc
	v_lshlrev_b32_e32 v7, 24, v4
	v_mov_b32_e32 v12, 0x3b800000
	v_lshlrev_b32_e32 v3, 20, v3
	v_and_b32_e32 v7, 0x80000000, v7
	v_lshl_add_u32 v6, v6, 23, v12
	v_or3_b32 v3, v7, v6, v3
.LBB6_1352:
	s_or_b64 exec, exec, s[6:7]
	s_nop 0
	v_mfma_f32_16x16x4f32 a[0:3], v2, v3, a[0:3]
	v_lshrrev_b32_e32 v3, 8, v8
	s_movk_i32 s4, 0x7f
	v_cmp_gt_i16_sdwa s[6:7], v3, s4 src0_sel:BYTE_0 src1_sel:DWORD
	s_mov_b64 s[4:5], 0
                                        ; implicit-def: $sgpr10
	s_and_saveexec_b64 s[8:9], s[6:7]
	s_xor_b64 s[6:7], exec, s[8:9]
	s_cbranch_execnz .LBB6_3401
; %bb.1353:
	s_or_saveexec_b64 s[6:7], s[6:7]
	v_mov_b32_e32 v2, s10
	s_xor_b64 exec, exec, s[6:7]
	s_cbranch_execnz .LBB6_3404
.LBB6_1354:
	s_or_b64 exec, exec, s[6:7]
	s_and_saveexec_b64 s[6:7], s[4:5]
	s_cbranch_execz .LBB6_1356
.LBB6_1355:
	v_bfe_u32 v2, v8, 8, 3
	v_ffbh_u32_e32 v7, v2
	v_min_u32_e32 v7, 32, v7
	v_lshrrev_b16_e32 v6, 3, v3
	v_subrev_u32_e32 v12, 28, v7
	v_and_b32_e32 v6, 15, v6
	v_lshlrev_b32_e32 v3, v12, v3
	v_sub_u32_e32 v7, 29, v7
	v_and_b32_e32 v3, 7, v3
	v_cmp_eq_u16_e32 vcc, 0, v6
	v_cndmask_b32_e32 v2, v2, v3, vcc
	v_cndmask_b32_e32 v3, v6, v7, vcc
	v_lshlrev_b32_e32 v6, 16, v8
	v_mov_b32_e32 v7, 0x3b800000
	v_lshlrev_b32_e32 v2, 20, v2
	v_and_b32_e32 v6, 0x80000000, v6
	v_lshl_add_u32 v3, v3, 23, v7
	v_or3_b32 v2, v6, v3, v2
.LBB6_1356:
	s_or_b64 exec, exec, s[6:7]
	v_lshrrev_b32_e32 v3, 8, v4
	s_movk_i32 s4, 0x7f
	v_cmp_gt_i16_sdwa s[6:7], v3, s4 src0_sel:BYTE_0 src1_sel:DWORD
	s_mov_b64 s[4:5], 0
                                        ; implicit-def: $sgpr10
	s_and_saveexec_b64 s[8:9], s[6:7]
	s_xor_b64 s[6:7], exec, s[8:9]
	s_cbranch_execnz .LBB6_3405
; %bb.1357:
	s_or_saveexec_b64 s[6:7], s[6:7]
	v_mov_b32_e32 v6, s10
	s_xor_b64 exec, exec, s[6:7]
	s_cbranch_execnz .LBB6_3408
.LBB6_1358:
	s_or_b64 exec, exec, s[6:7]
	s_and_saveexec_b64 s[6:7], s[4:5]
	s_cbranch_execz .LBB6_1360
.LBB6_1359:
	v_bfe_u32 v6, v4, 8, 3
	v_ffbh_u32_e32 v12, v6
	v_min_u32_e32 v12, 32, v12
	v_lshrrev_b16_e32 v7, 3, v3
	v_subrev_u32_e32 v13, 28, v12
	v_and_b32_e32 v7, 15, v7
	v_lshlrev_b32_e32 v3, v13, v3
	v_sub_u32_e32 v12, 29, v12
	v_and_b32_e32 v3, 7, v3
	v_cmp_eq_u16_e32 vcc, 0, v7
	v_cndmask_b32_e32 v3, v6, v3, vcc
	v_cndmask_b32_e32 v6, v7, v12, vcc
	v_lshlrev_b32_e32 v7, 16, v4
	v_mov_b32_e32 v12, 0x3b800000
	v_lshlrev_b32_e32 v3, 20, v3
	v_and_b32_e32 v7, 0x80000000, v7
	v_lshl_add_u32 v6, v6, 23, v12
	v_or3_b32 v6, v7, v6, v3
.LBB6_1360:
	s_or_b64 exec, exec, s[6:7]
	s_nop 0
	v_mfma_f32_16x16x4f32 a[0:3], v2, v6, a[0:3]
	s_movk_i32 s4, 0xff
	v_and_b32_sdwa v3, v8, s4 dst_sel:DWORD dst_unused:UNUSED_PAD src0_sel:WORD_1 src1_sel:DWORD
	s_movk_i32 s4, 0x7f
	v_cmp_lt_i16_e32 vcc, s4, v3
	s_mov_b64 s[4:5], 0
                                        ; implicit-def: $sgpr10
	s_and_saveexec_b64 s[6:7], vcc
	s_xor_b64 s[6:7], exec, s[6:7]
	s_cbranch_execnz .LBB6_3409
; %bb.1361:
	s_or_saveexec_b64 s[6:7], s[6:7]
	v_mov_b32_e32 v2, s10
	s_xor_b64 exec, exec, s[6:7]
	s_cbranch_execnz .LBB6_3412
.LBB6_1362:
	s_or_b64 exec, exec, s[6:7]
	s_and_saveexec_b64 s[6:7], s[4:5]
	s_cbranch_execz .LBB6_1364
.LBB6_1363:
	v_bfe_u32 v2, v8, 16, 3
	v_ffbh_u32_e32 v7, v2
	v_min_u32_e32 v7, 32, v7
	v_lshrrev_b32_e32 v3, 19, v8
	v_subrev_u32_e32 v12, 28, v7
	v_and_b32_e32 v3, 15, v3
	v_lshlrev_b32_sdwa v12, v12, v8 dst_sel:DWORD dst_unused:UNUSED_PAD src0_sel:DWORD src1_sel:WORD_1
	v_bfe_u32 v6, v8, 19, 4
	v_sub_u32_e32 v7, 29, v7
	v_and_b32_e32 v12, 7, v12
	v_cmp_eq_u16_e32 vcc, 0, v3
	v_cndmask_b32_e32 v2, v2, v12, vcc
	v_cndmask_b32_e32 v3, v6, v7, vcc
	v_lshlrev_b32_e32 v6, 8, v8
	v_mov_b32_e32 v7, 0x3b800000
	v_lshlrev_b32_e32 v2, 20, v2
	v_and_b32_e32 v6, 0x80000000, v6
	v_lshl_add_u32 v3, v3, 23, v7
	v_or3_b32 v2, v6, v3, v2
.LBB6_1364:
	s_or_b64 exec, exec, s[6:7]
	s_movk_i32 s4, 0xff
	v_and_b32_sdwa v3, v4, s4 dst_sel:DWORD dst_unused:UNUSED_PAD src0_sel:WORD_1 src1_sel:DWORD
	s_movk_i32 s4, 0x7f
	v_cmp_lt_i16_e32 vcc, s4, v3
	s_mov_b64 s[4:5], 0
                                        ; implicit-def: $sgpr10
	s_and_saveexec_b64 s[6:7], vcc
	s_xor_b64 s[6:7], exec, s[6:7]
	s_cbranch_execnz .LBB6_3413
; %bb.1365:
	s_or_saveexec_b64 s[6:7], s[6:7]
	v_mov_b32_e32 v6, s10
	s_xor_b64 exec, exec, s[6:7]
	s_cbranch_execnz .LBB6_3416
.LBB6_1366:
	s_or_b64 exec, exec, s[6:7]
	s_and_saveexec_b64 s[6:7], s[4:5]
	s_cbranch_execz .LBB6_1368
.LBB6_1367:
	v_bfe_u32 v3, v4, 16, 3
	v_ffbh_u32_e32 v12, v3
	v_min_u32_e32 v12, 32, v12
	v_lshrrev_b32_e32 v6, 19, v4
	v_subrev_u32_e32 v13, 28, v12
	v_and_b32_e32 v6, 15, v6
	v_lshlrev_b32_sdwa v13, v13, v4 dst_sel:DWORD dst_unused:UNUSED_PAD src0_sel:DWORD src1_sel:WORD_1
	v_bfe_u32 v7, v4, 19, 4
	v_sub_u32_e32 v12, 29, v12
	v_and_b32_e32 v13, 7, v13
	v_cmp_eq_u16_e32 vcc, 0, v6
	v_cndmask_b32_e32 v3, v3, v13, vcc
	v_cndmask_b32_e32 v6, v7, v12, vcc
	v_lshlrev_b32_e32 v7, 8, v4
	v_mov_b32_e32 v12, 0x3b800000
	v_lshlrev_b32_e32 v3, 20, v3
	v_and_b32_e32 v7, 0x80000000, v7
	v_lshl_add_u32 v6, v6, 23, v12
	v_or3_b32 v6, v7, v6, v3
.LBB6_1368:
	s_or_b64 exec, exec, s[6:7]
	s_nop 0
	v_mfma_f32_16x16x4f32 a[0:3], v2, v6, a[0:3]
	s_movk_i32 s4, 0x7f
	v_cmp_gt_i16_sdwa s[6:7], v8, s4 src0_sel:BYTE_3 src1_sel:DWORD
	s_mov_b64 s[4:5], 0
                                        ; implicit-def: $sgpr10
	s_and_saveexec_b64 s[8:9], s[6:7]
	s_xor_b64 s[6:7], exec, s[8:9]
	s_cbranch_execnz .LBB6_3417
; %bb.1369:
	s_or_saveexec_b64 s[6:7], s[6:7]
	v_mov_b32_e32 v2, s10
	s_xor_b64 exec, exec, s[6:7]
	s_cbranch_execnz .LBB6_3420
.LBB6_1370:
	s_or_b64 exec, exec, s[6:7]
	s_and_saveexec_b64 s[6:7], s[4:5]
	s_cbranch_execz .LBB6_1372
.LBB6_1371:
	v_bfe_u32 v2, v8, 24, 3
	v_ffbh_u32_e32 v12, v2
	v_min_u32_e32 v12, 32, v12
	v_lshrrev_b32_e32 v6, 27, v8
	v_subrev_u32_e32 v13, 28, v12
	v_and_b32_e32 v3, 0x80000000, v8
	v_and_b32_e32 v6, 15, v6
	v_bfe_u32 v7, v8, 27, 4
	v_lshlrev_b32_sdwa v8, v13, v8 dst_sel:DWORD dst_unused:UNUSED_PAD src0_sel:DWORD src1_sel:BYTE_3
	v_sub_u32_e32 v12, 29, v12
	v_and_b32_e32 v8, 7, v8
	v_cmp_eq_u16_e32 vcc, 0, v6
	v_cndmask_b32_e32 v2, v2, v8, vcc
	v_cndmask_b32_e32 v6, v7, v12, vcc
	v_mov_b32_e32 v7, 0x3b800000
	v_lshlrev_b32_e32 v2, 20, v2
	v_lshl_add_u32 v6, v6, 23, v7
	v_or3_b32 v2, v3, v6, v2
.LBB6_1372:
	s_or_b64 exec, exec, s[6:7]
	s_movk_i32 s4, 0x7f
	v_cmp_gt_i16_sdwa s[6:7], v4, s4 src0_sel:BYTE_3 src1_sel:DWORD
	s_mov_b64 s[4:5], 0
                                        ; implicit-def: $sgpr10
	s_and_saveexec_b64 s[8:9], s[6:7]
	s_xor_b64 s[6:7], exec, s[8:9]
	s_cbranch_execnz .LBB6_3421
; %bb.1373:
	s_or_saveexec_b64 s[6:7], s[6:7]
	v_mov_b32_e32 v3, s10
	s_xor_b64 exec, exec, s[6:7]
	s_cbranch_execnz .LBB6_3424
.LBB6_1374:
	s_or_b64 exec, exec, s[6:7]
	s_and_saveexec_b64 s[6:7], s[4:5]
	s_cbranch_execz .LBB6_1376
.LBB6_1375:
	v_bfe_u32 v3, v4, 24, 3
	v_ffbh_u32_e32 v12, v3
	v_min_u32_e32 v12, 32, v12
	v_lshrrev_b32_e32 v7, 27, v4
	v_subrev_u32_e32 v13, 28, v12
	v_and_b32_e32 v6, 0x80000000, v4
	v_and_b32_e32 v7, 15, v7
	v_bfe_u32 v8, v4, 27, 4
	v_lshlrev_b32_sdwa v4, v13, v4 dst_sel:DWORD dst_unused:UNUSED_PAD src0_sel:DWORD src1_sel:BYTE_3
	v_sub_u32_e32 v12, 29, v12
	v_and_b32_e32 v4, 7, v4
	v_cmp_eq_u16_e32 vcc, 0, v7
	v_cndmask_b32_e32 v3, v3, v4, vcc
	v_cndmask_b32_e32 v4, v8, v12, vcc
	v_mov_b32_e32 v7, 0x3b800000
	v_lshlrev_b32_e32 v3, 20, v3
	v_lshl_add_u32 v4, v4, 23, v7
	v_or3_b32 v3, v6, v4, v3
.LBB6_1376:
	s_or_b64 exec, exec, s[6:7]
	s_nop 0
	v_mfma_f32_16x16x4f32 a[0:3], v2, v3, a[0:3]
	s_movk_i32 s4, 0x7f
	v_cmp_gt_i16_sdwa s[6:7], v9, s4 src0_sel:BYTE_0 src1_sel:DWORD
	s_mov_b64 s[4:5], 0
                                        ; implicit-def: $sgpr10
	s_and_saveexec_b64 s[8:9], s[6:7]
	s_xor_b64 s[6:7], exec, s[8:9]
	s_cbranch_execnz .LBB6_3425
; %bb.1377:
	s_or_saveexec_b64 s[6:7], s[6:7]
	v_mov_b32_e32 v2, s10
	s_xor_b64 exec, exec, s[6:7]
	s_cbranch_execnz .LBB6_3428
.LBB6_1378:
	s_or_b64 exec, exec, s[6:7]
	s_and_saveexec_b64 s[6:7], s[4:5]
	s_cbranch_execz .LBB6_1380
.LBB6_1379:
	v_mov_b32_e32 v2, 8
	v_and_b32_e32 v3, 7, v9
	v_lshrrev_b32_sdwa v2, v2, v9 dst_sel:BYTE_1 dst_unused:UNUSED_PAD src0_sel:DWORD src1_sel:DWORD
	v_ffbh_u32_e32 v4, v3
	v_or_b32_sdwa v2, v9, v2 dst_sel:DWORD dst_unused:UNUSED_PAD src0_sel:BYTE_0 src1_sel:DWORD
	v_min_u32_e32 v4, 32, v4
	v_lshrrev_b16_e32 v2, 3, v2
	v_subrev_u32_e32 v6, 28, v4
	v_and_b32_e32 v2, 15, v2
	v_lshlrev_b32_e32 v6, v6, v9
	v_sub_u32_e32 v4, 29, v4
	v_and_b32_e32 v6, 7, v6
	v_cmp_eq_u16_e32 vcc, 0, v2
	v_cndmask_b32_e32 v3, v3, v6, vcc
	v_cndmask_b32_e32 v2, v2, v4, vcc
	v_lshlrev_b32_e32 v4, 24, v9
	v_mov_b32_e32 v6, 0x3b800000
	v_lshlrev_b32_e32 v3, 20, v3
	v_and_b32_e32 v4, 0x80000000, v4
	v_lshl_add_u32 v2, v2, 23, v6
	v_or3_b32 v2, v4, v2, v3
.LBB6_1380:
	s_or_b64 exec, exec, s[6:7]
	s_movk_i32 s4, 0x7f
	v_cmp_gt_i16_sdwa s[6:7], v5, s4 src0_sel:BYTE_0 src1_sel:DWORD
	s_mov_b64 s[4:5], 0
                                        ; implicit-def: $sgpr10
	s_and_saveexec_b64 s[8:9], s[6:7]
	s_xor_b64 s[6:7], exec, s[8:9]
	s_cbranch_execnz .LBB6_3429
; %bb.1381:
	s_or_saveexec_b64 s[6:7], s[6:7]
	v_mov_b32_e32 v3, s10
	s_xor_b64 exec, exec, s[6:7]
	s_cbranch_execnz .LBB6_3432
.LBB6_1382:
	s_or_b64 exec, exec, s[6:7]
	s_and_saveexec_b64 s[6:7], s[4:5]
	s_cbranch_execz .LBB6_1384
.LBB6_1383:
	v_mov_b32_e32 v3, 8
	v_and_b32_e32 v4, 7, v5
	v_lshrrev_b32_sdwa v3, v3, v5 dst_sel:BYTE_1 dst_unused:UNUSED_PAD src0_sel:DWORD src1_sel:DWORD
	v_ffbh_u32_e32 v6, v4
	v_or_b32_sdwa v3, v5, v3 dst_sel:DWORD dst_unused:UNUSED_PAD src0_sel:BYTE_0 src1_sel:DWORD
	v_min_u32_e32 v6, 32, v6
	v_lshrrev_b16_e32 v3, 3, v3
	v_subrev_u32_e32 v7, 28, v6
	v_and_b32_e32 v3, 15, v3
	v_lshlrev_b32_e32 v7, v7, v5
	v_sub_u32_e32 v6, 29, v6
	v_and_b32_e32 v7, 7, v7
	v_cmp_eq_u16_e32 vcc, 0, v3
	v_cndmask_b32_e32 v4, v4, v7, vcc
	v_cndmask_b32_e32 v3, v3, v6, vcc
	v_lshlrev_b32_e32 v6, 24, v5
	v_mov_b32_e32 v7, 0x3b800000
	v_lshlrev_b32_e32 v4, 20, v4
	v_and_b32_e32 v6, 0x80000000, v6
	v_lshl_add_u32 v3, v3, 23, v7
	v_or3_b32 v3, v6, v3, v4
.LBB6_1384:
	s_or_b64 exec, exec, s[6:7]
	s_nop 0
	v_mfma_f32_16x16x4f32 a[0:3], v2, v3, a[0:3]
	v_lshrrev_b32_e32 v3, 8, v9
	s_movk_i32 s4, 0x7f
	v_cmp_gt_i16_sdwa s[6:7], v3, s4 src0_sel:BYTE_0 src1_sel:DWORD
	s_mov_b64 s[4:5], 0
                                        ; implicit-def: $sgpr10
	s_and_saveexec_b64 s[8:9], s[6:7]
	s_xor_b64 s[6:7], exec, s[8:9]
	s_cbranch_execnz .LBB6_3433
; %bb.1385:
	s_or_saveexec_b64 s[6:7], s[6:7]
	v_mov_b32_e32 v2, s10
	s_xor_b64 exec, exec, s[6:7]
	s_cbranch_execnz .LBB6_3436
.LBB6_1386:
	s_or_b64 exec, exec, s[6:7]
	s_and_saveexec_b64 s[6:7], s[4:5]
	s_cbranch_execz .LBB6_1388
.LBB6_1387:
	v_bfe_u32 v2, v9, 8, 3
	v_ffbh_u32_e32 v6, v2
	v_min_u32_e32 v6, 32, v6
	v_lshrrev_b16_e32 v4, 3, v3
	v_subrev_u32_e32 v7, 28, v6
	v_and_b32_e32 v4, 15, v4
	v_lshlrev_b32_e32 v3, v7, v3
	v_sub_u32_e32 v6, 29, v6
	v_and_b32_e32 v3, 7, v3
	v_cmp_eq_u16_e32 vcc, 0, v4
	v_cndmask_b32_e32 v2, v2, v3, vcc
	v_cndmask_b32_e32 v3, v4, v6, vcc
	v_lshlrev_b32_e32 v4, 16, v9
	v_mov_b32_e32 v6, 0x3b800000
	v_lshlrev_b32_e32 v2, 20, v2
	v_and_b32_e32 v4, 0x80000000, v4
	v_lshl_add_u32 v3, v3, 23, v6
	v_or3_b32 v2, v4, v3, v2
.LBB6_1388:
	s_or_b64 exec, exec, s[6:7]
	v_lshrrev_b32_e32 v3, 8, v5
	s_movk_i32 s4, 0x7f
	v_cmp_gt_i16_sdwa s[6:7], v3, s4 src0_sel:BYTE_0 src1_sel:DWORD
	s_mov_b64 s[4:5], 0
                                        ; implicit-def: $sgpr10
	s_and_saveexec_b64 s[8:9], s[6:7]
	s_xor_b64 s[6:7], exec, s[8:9]
	s_cbranch_execnz .LBB6_3437
; %bb.1389:
	s_or_saveexec_b64 s[6:7], s[6:7]
	v_mov_b32_e32 v4, s10
	s_xor_b64 exec, exec, s[6:7]
	s_cbranch_execnz .LBB6_3440
.LBB6_1390:
	s_or_b64 exec, exec, s[6:7]
	s_and_saveexec_b64 s[6:7], s[4:5]
	s_cbranch_execz .LBB6_1392
.LBB6_1391:
	v_bfe_u32 v4, v5, 8, 3
	v_ffbh_u32_e32 v7, v4
	v_min_u32_e32 v7, 32, v7
	v_lshrrev_b16_e32 v6, 3, v3
	v_subrev_u32_e32 v8, 28, v7
	v_and_b32_e32 v6, 15, v6
	v_lshlrev_b32_e32 v3, v8, v3
	v_sub_u32_e32 v7, 29, v7
	v_and_b32_e32 v3, 7, v3
	v_cmp_eq_u16_e32 vcc, 0, v6
	v_cndmask_b32_e32 v3, v4, v3, vcc
	v_cndmask_b32_e32 v4, v6, v7, vcc
	v_lshlrev_b32_e32 v6, 16, v5
	v_mov_b32_e32 v7, 0x3b800000
	v_lshlrev_b32_e32 v3, 20, v3
	v_and_b32_e32 v6, 0x80000000, v6
	v_lshl_add_u32 v4, v4, 23, v7
	v_or3_b32 v4, v6, v4, v3
.LBB6_1392:
	s_or_b64 exec, exec, s[6:7]
	s_nop 0
	v_mfma_f32_16x16x4f32 a[0:3], v2, v4, a[0:3]
	s_movk_i32 s4, 0xff
	v_and_b32_sdwa v3, v9, s4 dst_sel:DWORD dst_unused:UNUSED_PAD src0_sel:WORD_1 src1_sel:DWORD
	s_movk_i32 s4, 0x7f
	v_cmp_lt_i16_e32 vcc, s4, v3
	s_mov_b64 s[4:5], 0
                                        ; implicit-def: $sgpr10
	s_and_saveexec_b64 s[6:7], vcc
	s_xor_b64 s[6:7], exec, s[6:7]
	s_cbranch_execnz .LBB6_3441
; %bb.1393:
	s_or_saveexec_b64 s[6:7], s[6:7]
	v_mov_b32_e32 v2, s10
	s_xor_b64 exec, exec, s[6:7]
	s_cbranch_execnz .LBB6_3444
.LBB6_1394:
	s_or_b64 exec, exec, s[6:7]
	s_and_saveexec_b64 s[6:7], s[4:5]
	s_cbranch_execz .LBB6_1396
.LBB6_1395:
	v_bfe_u32 v2, v9, 16, 3
	v_ffbh_u32_e32 v6, v2
	v_min_u32_e32 v6, 32, v6
	v_lshrrev_b32_e32 v3, 19, v9
	v_subrev_u32_e32 v7, 28, v6
	v_and_b32_e32 v3, 15, v3
	v_lshlrev_b32_sdwa v7, v7, v9 dst_sel:DWORD dst_unused:UNUSED_PAD src0_sel:DWORD src1_sel:WORD_1
	v_bfe_u32 v4, v9, 19, 4
	v_sub_u32_e32 v6, 29, v6
	v_and_b32_e32 v7, 7, v7
	v_cmp_eq_u16_e32 vcc, 0, v3
	v_cndmask_b32_e32 v2, v2, v7, vcc
	v_cndmask_b32_e32 v3, v4, v6, vcc
	v_lshlrev_b32_e32 v4, 8, v9
	v_mov_b32_e32 v6, 0x3b800000
	v_lshlrev_b32_e32 v2, 20, v2
	v_and_b32_e32 v4, 0x80000000, v4
	v_lshl_add_u32 v3, v3, 23, v6
	v_or3_b32 v2, v4, v3, v2
.LBB6_1396:
	s_or_b64 exec, exec, s[6:7]
	s_movk_i32 s4, 0xff
	v_and_b32_sdwa v3, v5, s4 dst_sel:DWORD dst_unused:UNUSED_PAD src0_sel:WORD_1 src1_sel:DWORD
	s_movk_i32 s4, 0x7f
	v_cmp_lt_i16_e32 vcc, s4, v3
	s_mov_b64 s[4:5], 0
                                        ; implicit-def: $sgpr10
	s_and_saveexec_b64 s[6:7], vcc
	s_xor_b64 s[6:7], exec, s[6:7]
	s_cbranch_execnz .LBB6_3445
; %bb.1397:
	s_or_saveexec_b64 s[6:7], s[6:7]
	v_mov_b32_e32 v4, s10
	s_xor_b64 exec, exec, s[6:7]
	s_cbranch_execnz .LBB6_3448
.LBB6_1398:
	s_or_b64 exec, exec, s[6:7]
	s_and_saveexec_b64 s[6:7], s[4:5]
	s_cbranch_execz .LBB6_1400
.LBB6_1399:
	v_bfe_u32 v3, v5, 16, 3
	v_ffbh_u32_e32 v7, v3
	v_min_u32_e32 v7, 32, v7
	v_lshrrev_b32_e32 v4, 19, v5
	v_subrev_u32_e32 v8, 28, v7
	v_and_b32_e32 v4, 15, v4
	v_lshlrev_b32_sdwa v8, v8, v5 dst_sel:DWORD dst_unused:UNUSED_PAD src0_sel:DWORD src1_sel:WORD_1
	v_bfe_u32 v6, v5, 19, 4
	v_sub_u32_e32 v7, 29, v7
	v_and_b32_e32 v8, 7, v8
	v_cmp_eq_u16_e32 vcc, 0, v4
	v_cndmask_b32_e32 v3, v3, v8, vcc
	v_cndmask_b32_e32 v4, v6, v7, vcc
	v_lshlrev_b32_e32 v6, 8, v5
	v_mov_b32_e32 v7, 0x3b800000
	v_lshlrev_b32_e32 v3, 20, v3
	v_and_b32_e32 v6, 0x80000000, v6
	v_lshl_add_u32 v4, v4, 23, v7
	v_or3_b32 v4, v6, v4, v3
.LBB6_1400:
	s_or_b64 exec, exec, s[6:7]
	s_nop 0
	v_mfma_f32_16x16x4f32 a[0:3], v2, v4, a[0:3]
	s_movk_i32 s4, 0x7f
	v_cmp_gt_i16_sdwa s[6:7], v9, s4 src0_sel:BYTE_3 src1_sel:DWORD
	s_mov_b64 s[4:5], 0
                                        ; implicit-def: $sgpr10
	s_and_saveexec_b64 s[8:9], s[6:7]
	s_xor_b64 s[6:7], exec, s[8:9]
	s_cbranch_execnz .LBB6_3449
; %bb.1401:
	s_or_saveexec_b64 s[6:7], s[6:7]
	v_mov_b32_e32 v2, s10
	s_xor_b64 exec, exec, s[6:7]
	s_cbranch_execnz .LBB6_3452
.LBB6_1402:
	s_or_b64 exec, exec, s[6:7]
	s_and_saveexec_b64 s[6:7], s[4:5]
	s_cbranch_execz .LBB6_1404
.LBB6_1403:
	v_bfe_u32 v2, v9, 24, 3
	v_ffbh_u32_e32 v7, v2
	v_min_u32_e32 v7, 32, v7
	v_lshrrev_b32_e32 v4, 27, v9
	v_subrev_u32_e32 v8, 28, v7
	v_and_b32_e32 v4, 15, v4
	v_lshlrev_b32_sdwa v8, v8, v9 dst_sel:DWORD dst_unused:UNUSED_PAD src0_sel:DWORD src1_sel:BYTE_3
	v_bfe_u32 v6, v9, 27, 4
	v_sub_u32_e32 v7, 29, v7
	v_and_b32_e32 v8, 7, v8
	v_cmp_eq_u16_e32 vcc, 0, v4
	v_cndmask_b32_e32 v2, v2, v8, vcc
	v_cndmask_b32_e32 v4, v6, v7, vcc
	v_mov_b32_e32 v6, 0x3b800000
	v_and_b32_e32 v3, 0x80000000, v9
	v_lshlrev_b32_e32 v2, 20, v2
	v_lshl_add_u32 v4, v4, 23, v6
	v_or3_b32 v2, v3, v4, v2
.LBB6_1404:
	s_or_b64 exec, exec, s[6:7]
	s_movk_i32 s4, 0x7f
	v_cmp_gt_i16_sdwa s[6:7], v5, s4 src0_sel:BYTE_3 src1_sel:DWORD
	s_mov_b64 s[4:5], 0
                                        ; implicit-def: $sgpr10
	s_and_saveexec_b64 s[8:9], s[6:7]
	s_xor_b64 s[6:7], exec, s[8:9]
	s_cbranch_execnz .LBB6_3453
; %bb.1405:
	s_or_saveexec_b64 s[6:7], s[6:7]
	v_mov_b32_e32 v3, s10
	s_xor_b64 exec, exec, s[6:7]
	s_cbranch_execnz .LBB6_3456
.LBB6_1406:
	s_or_b64 exec, exec, s[6:7]
	s_and_saveexec_b64 s[6:7], s[4:5]
	s_cbranch_execz .LBB6_1408
.LBB6_1407:
	v_bfe_u32 v3, v5, 24, 3
	v_ffbh_u32_e32 v8, v3
	v_min_u32_e32 v8, 32, v8
	v_lshrrev_b32_e32 v6, 27, v5
	v_subrev_u32_e32 v9, 28, v8
	v_and_b32_e32 v4, 0x80000000, v5
	v_and_b32_e32 v6, 15, v6
	v_bfe_u32 v7, v5, 27, 4
	v_lshlrev_b32_sdwa v5, v9, v5 dst_sel:DWORD dst_unused:UNUSED_PAD src0_sel:DWORD src1_sel:BYTE_3
	v_sub_u32_e32 v8, 29, v8
	v_and_b32_e32 v5, 7, v5
	v_cmp_eq_u16_e32 vcc, 0, v6
	v_cndmask_b32_e32 v3, v3, v5, vcc
	v_cndmask_b32_e32 v5, v7, v8, vcc
	v_mov_b32_e32 v6, 0x3b800000
	v_lshlrev_b32_e32 v3, 20, v3
	v_lshl_add_u32 v5, v5, 23, v6
	v_or3_b32 v3, v4, v5, v3
.LBB6_1408:
	s_or_b64 exec, exec, s[6:7]
	s_nop 0
	v_mfma_f32_16x16x4f32 a[0:3], v2, v3, a[0:3]
	s_movk_i32 s4, 0x7f
                                        ; implicit-def: $sgpr10
	s_nop 7
	s_nop 1
	flat_store_dwordx4 v[10:11], a[0:3] offset:160
	flat_load_dwordx4 v[12:15], v[0:1] offset:8
	s_nop 0
	flat_load_dwordx2 v[10:11], v[0:1] offset:32
	s_waitcnt vmcnt(0) lgkmcnt(0)
	flat_load_dwordx4 v[6:9], v[12:13] offset:80
	flat_load_dwordx4 v[2:5], v[14:15] offset:112
	s_waitcnt vmcnt(0) lgkmcnt(0)
	v_cmp_gt_i16_sdwa s[6:7], v6, s4 src0_sel:BYTE_0 src1_sel:DWORD
	s_mov_b64 s[4:5], 0
	s_and_saveexec_b64 s[8:9], s[6:7]
	s_xor_b64 s[6:7], exec, s[8:9]
	s_cbranch_execnz .LBB6_3457
; %bb.1409:
	s_or_saveexec_b64 s[6:7], s[6:7]
	v_mov_b32_e32 v12, s10
	s_xor_b64 exec, exec, s[6:7]
	s_cbranch_execnz .LBB6_3460
.LBB6_1410:
	s_or_b64 exec, exec, s[6:7]
	s_and_saveexec_b64 s[6:7], s[4:5]
	s_cbranch_execz .LBB6_1412
.LBB6_1411:
	v_and_b32_e32 v12, 7, v6
	v_ffbh_u32_e32 v14, v12
	v_min_u32_e32 v14, 32, v14
	v_lshrrev_b16_e32 v13, 3, v6
	v_subrev_u32_e32 v15, 28, v14
	v_and_b32_e32 v13, 15, v13
	v_lshlrev_b32_e32 v15, v15, v6
	v_sub_u32_e32 v14, 29, v14
	v_and_b32_e32 v15, 7, v15
	v_cmp_eq_u16_e32 vcc, 0, v13
	v_cndmask_b32_e32 v12, v12, v15, vcc
	v_cndmask_b32_e32 v13, v13, v14, vcc
	v_lshlrev_b32_e32 v14, 24, v6
	v_mov_b32_e32 v15, 0x3b800000
	v_lshlrev_b32_e32 v12, 20, v12
	v_and_b32_e32 v14, 0x80000000, v14
	v_lshl_add_u32 v13, v13, 23, v15
	v_or3_b32 v12, v14, v13, v12
.LBB6_1412:
	s_or_b64 exec, exec, s[6:7]
	s_movk_i32 s4, 0x7f
	v_cmp_gt_i16_sdwa s[6:7], v2, s4 src0_sel:BYTE_0 src1_sel:DWORD
	s_mov_b64 s[4:5], 0
                                        ; implicit-def: $sgpr10
	s_and_saveexec_b64 s[8:9], s[6:7]
	s_xor_b64 s[6:7], exec, s[8:9]
	s_cbranch_execnz .LBB6_3461
; %bb.1413:
	s_or_saveexec_b64 s[6:7], s[6:7]
	v_mov_b32_e32 v13, s10
	s_xor_b64 exec, exec, s[6:7]
	s_cbranch_execnz .LBB6_3464
.LBB6_1414:
	s_or_b64 exec, exec, s[6:7]
	s_and_saveexec_b64 s[6:7], s[4:5]
	s_cbranch_execz .LBB6_1416
.LBB6_1415:
	v_and_b32_e32 v13, 7, v2
	v_ffbh_u32_e32 v15, v13
	v_min_u32_e32 v15, 32, v15
	v_lshrrev_b16_e32 v14, 3, v2
	v_subrev_u32_e32 v16, 28, v15
	v_and_b32_e32 v14, 15, v14
	v_lshlrev_b32_e32 v16, v16, v2
	v_sub_u32_e32 v15, 29, v15
	v_and_b32_e32 v16, 7, v16
	v_cmp_eq_u16_e32 vcc, 0, v14
	v_cndmask_b32_e32 v13, v13, v16, vcc
	v_cndmask_b32_e32 v14, v14, v15, vcc
	v_lshlrev_b32_e32 v15, 24, v2
	v_mov_b32_e32 v16, 0x3b800000
	v_lshlrev_b32_e32 v13, 20, v13
	v_and_b32_e32 v15, 0x80000000, v15
	v_lshl_add_u32 v14, v14, 23, v16
	v_or3_b32 v13, v15, v14, v13
.LBB6_1416:
	s_or_b64 exec, exec, s[6:7]
	flat_load_dwordx4 a[0:3], v[10:11] offset:176
	s_movk_i32 s4, 0x7f
                                        ; implicit-def: $sgpr10
	s_waitcnt vmcnt(0) lgkmcnt(0)
	v_mfma_f32_16x16x4f32 a[0:3], v12, v13, a[0:3]
	v_lshrrev_b32_e32 v13, 8, v6
	v_cmp_gt_i16_sdwa s[6:7], v13, s4 src0_sel:BYTE_0 src1_sel:DWORD
	s_mov_b64 s[4:5], 0
	s_and_saveexec_b64 s[8:9], s[6:7]
	s_xor_b64 s[6:7], exec, s[8:9]
	s_cbranch_execnz .LBB6_3465
; %bb.1417:
	s_or_saveexec_b64 s[6:7], s[6:7]
	v_mov_b32_e32 v12, s10
	s_xor_b64 exec, exec, s[6:7]
	s_cbranch_execnz .LBB6_3468
.LBB6_1418:
	s_or_b64 exec, exec, s[6:7]
	s_and_saveexec_b64 s[6:7], s[4:5]
	s_cbranch_execz .LBB6_1420
.LBB6_1419:
	v_bfe_u32 v12, v6, 8, 3
	v_ffbh_u32_e32 v15, v12
	v_min_u32_e32 v15, 32, v15
	v_lshrrev_b16_e32 v14, 3, v13
	v_subrev_u32_e32 v16, 28, v15
	v_and_b32_e32 v14, 15, v14
	v_lshlrev_b32_e32 v13, v16, v13
	v_sub_u32_e32 v15, 29, v15
	v_and_b32_e32 v13, 7, v13
	v_cmp_eq_u16_e32 vcc, 0, v14
	v_cndmask_b32_e32 v12, v12, v13, vcc
	v_cndmask_b32_e32 v13, v14, v15, vcc
	v_lshlrev_b32_e32 v14, 16, v6
	v_mov_b32_e32 v15, 0x3b800000
	v_lshlrev_b32_e32 v12, 20, v12
	v_and_b32_e32 v14, 0x80000000, v14
	v_lshl_add_u32 v13, v13, 23, v15
	v_or3_b32 v12, v14, v13, v12
.LBB6_1420:
	s_or_b64 exec, exec, s[6:7]
	v_lshrrev_b32_e32 v13, 8, v2
	s_movk_i32 s4, 0x7f
	v_cmp_gt_i16_sdwa s[6:7], v13, s4 src0_sel:BYTE_0 src1_sel:DWORD
	s_mov_b64 s[4:5], 0
                                        ; implicit-def: $sgpr10
	s_and_saveexec_b64 s[8:9], s[6:7]
	s_xor_b64 s[6:7], exec, s[8:9]
	s_cbranch_execnz .LBB6_3469
; %bb.1421:
	s_or_saveexec_b64 s[6:7], s[6:7]
	v_mov_b32_e32 v14, s10
	s_xor_b64 exec, exec, s[6:7]
	s_cbranch_execnz .LBB6_3472
.LBB6_1422:
	s_or_b64 exec, exec, s[6:7]
	s_and_saveexec_b64 s[6:7], s[4:5]
	s_cbranch_execz .LBB6_1424
.LBB6_1423:
	v_bfe_u32 v14, v2, 8, 3
	v_ffbh_u32_e32 v16, v14
	v_min_u32_e32 v16, 32, v16
	v_lshrrev_b16_e32 v15, 3, v13
	v_subrev_u32_e32 v17, 28, v16
	v_and_b32_e32 v15, 15, v15
	v_lshlrev_b32_e32 v13, v17, v13
	v_sub_u32_e32 v16, 29, v16
	v_and_b32_e32 v13, 7, v13
	v_cmp_eq_u16_e32 vcc, 0, v15
	v_cndmask_b32_e32 v13, v14, v13, vcc
	v_cndmask_b32_e32 v14, v15, v16, vcc
	v_lshlrev_b32_e32 v15, 16, v2
	v_mov_b32_e32 v16, 0x3b800000
	v_lshlrev_b32_e32 v13, 20, v13
	v_and_b32_e32 v15, 0x80000000, v15
	v_lshl_add_u32 v14, v14, 23, v16
	v_or3_b32 v14, v15, v14, v13
.LBB6_1424:
	s_or_b64 exec, exec, s[6:7]
	s_nop 0
	v_mfma_f32_16x16x4f32 a[0:3], v12, v14, a[0:3]
	s_movk_i32 s4, 0xff
	v_and_b32_sdwa v13, v6, s4 dst_sel:DWORD dst_unused:UNUSED_PAD src0_sel:WORD_1 src1_sel:DWORD
	s_movk_i32 s4, 0x7f
	v_cmp_lt_i16_e32 vcc, s4, v13
	s_mov_b64 s[4:5], 0
                                        ; implicit-def: $sgpr10
	s_and_saveexec_b64 s[6:7], vcc
	s_xor_b64 s[6:7], exec, s[6:7]
	s_cbranch_execnz .LBB6_3473
; %bb.1425:
	s_or_saveexec_b64 s[6:7], s[6:7]
	v_mov_b32_e32 v12, s10
	s_xor_b64 exec, exec, s[6:7]
	s_cbranch_execnz .LBB6_3476
.LBB6_1426:
	s_or_b64 exec, exec, s[6:7]
	s_and_saveexec_b64 s[6:7], s[4:5]
	s_cbranch_execz .LBB6_1428
.LBB6_1427:
	v_bfe_u32 v12, v6, 16, 3
	v_ffbh_u32_e32 v15, v12
	v_min_u32_e32 v15, 32, v15
	v_lshrrev_b32_e32 v13, 19, v6
	v_subrev_u32_e32 v16, 28, v15
	v_and_b32_e32 v13, 15, v13
	v_lshlrev_b32_sdwa v16, v16, v6 dst_sel:DWORD dst_unused:UNUSED_PAD src0_sel:DWORD src1_sel:WORD_1
	v_bfe_u32 v14, v6, 19, 4
	v_sub_u32_e32 v15, 29, v15
	v_and_b32_e32 v16, 7, v16
	v_cmp_eq_u16_e32 vcc, 0, v13
	v_cndmask_b32_e32 v12, v12, v16, vcc
	v_cndmask_b32_e32 v13, v14, v15, vcc
	v_lshlrev_b32_e32 v14, 8, v6
	v_mov_b32_e32 v15, 0x3b800000
	v_lshlrev_b32_e32 v12, 20, v12
	v_and_b32_e32 v14, 0x80000000, v14
	v_lshl_add_u32 v13, v13, 23, v15
	v_or3_b32 v12, v14, v13, v12
.LBB6_1428:
	s_or_b64 exec, exec, s[6:7]
	s_movk_i32 s4, 0xff
	v_and_b32_sdwa v13, v2, s4 dst_sel:DWORD dst_unused:UNUSED_PAD src0_sel:WORD_1 src1_sel:DWORD
	s_movk_i32 s4, 0x7f
	v_cmp_lt_i16_e32 vcc, s4, v13
	s_mov_b64 s[4:5], 0
                                        ; implicit-def: $sgpr10
	s_and_saveexec_b64 s[6:7], vcc
	s_xor_b64 s[6:7], exec, s[6:7]
	s_cbranch_execnz .LBB6_3477
; %bb.1429:
	s_or_saveexec_b64 s[6:7], s[6:7]
	v_mov_b32_e32 v14, s10
	s_xor_b64 exec, exec, s[6:7]
	s_cbranch_execnz .LBB6_3480
.LBB6_1430:
	s_or_b64 exec, exec, s[6:7]
	s_and_saveexec_b64 s[6:7], s[4:5]
	s_cbranch_execz .LBB6_1432
.LBB6_1431:
	v_bfe_u32 v13, v2, 16, 3
	v_ffbh_u32_e32 v16, v13
	v_min_u32_e32 v16, 32, v16
	v_lshrrev_b32_e32 v14, 19, v2
	v_subrev_u32_e32 v17, 28, v16
	v_and_b32_e32 v14, 15, v14
	v_lshlrev_b32_sdwa v17, v17, v2 dst_sel:DWORD dst_unused:UNUSED_PAD src0_sel:DWORD src1_sel:WORD_1
	v_bfe_u32 v15, v2, 19, 4
	v_sub_u32_e32 v16, 29, v16
	v_and_b32_e32 v17, 7, v17
	v_cmp_eq_u16_e32 vcc, 0, v14
	v_cndmask_b32_e32 v13, v13, v17, vcc
	v_cndmask_b32_e32 v14, v15, v16, vcc
	v_lshlrev_b32_e32 v15, 8, v2
	v_mov_b32_e32 v16, 0x3b800000
	v_lshlrev_b32_e32 v13, 20, v13
	v_and_b32_e32 v15, 0x80000000, v15
	v_lshl_add_u32 v14, v14, 23, v16
	v_or3_b32 v14, v15, v14, v13
.LBB6_1432:
	s_or_b64 exec, exec, s[6:7]
	s_nop 0
	v_mfma_f32_16x16x4f32 a[0:3], v12, v14, a[0:3]
	s_movk_i32 s4, 0x7f
	v_cmp_gt_i16_sdwa s[6:7], v6, s4 src0_sel:BYTE_3 src1_sel:DWORD
	s_mov_b64 s[4:5], 0
                                        ; implicit-def: $sgpr10
	s_and_saveexec_b64 s[8:9], s[6:7]
	s_xor_b64 s[6:7], exec, s[8:9]
	s_cbranch_execnz .LBB6_3481
; %bb.1433:
	s_or_saveexec_b64 s[6:7], s[6:7]
	v_mov_b32_e32 v12, s10
	s_xor_b64 exec, exec, s[6:7]
	s_cbranch_execnz .LBB6_3484
.LBB6_1434:
	s_or_b64 exec, exec, s[6:7]
	s_and_saveexec_b64 s[6:7], s[4:5]
	s_cbranch_execz .LBB6_1436
.LBB6_1435:
	v_bfe_u32 v12, v6, 24, 3
	v_ffbh_u32_e32 v16, v12
	v_min_u32_e32 v16, 32, v16
	v_lshrrev_b32_e32 v14, 27, v6
	v_subrev_u32_e32 v17, 28, v16
	v_and_b32_e32 v13, 0x80000000, v6
	v_and_b32_e32 v14, 15, v14
	v_bfe_u32 v15, v6, 27, 4
	v_lshlrev_b32_sdwa v6, v17, v6 dst_sel:DWORD dst_unused:UNUSED_PAD src0_sel:DWORD src1_sel:BYTE_3
	v_sub_u32_e32 v16, 29, v16
	v_and_b32_e32 v6, 7, v6
	v_cmp_eq_u16_e32 vcc, 0, v14
	v_cndmask_b32_e32 v6, v12, v6, vcc
	v_cndmask_b32_e32 v12, v15, v16, vcc
	v_mov_b32_e32 v14, 0x3b800000
	v_lshlrev_b32_e32 v6, 20, v6
	v_lshl_add_u32 v12, v12, 23, v14
	v_or3_b32 v12, v13, v12, v6
.LBB6_1436:
	s_or_b64 exec, exec, s[6:7]
	s_movk_i32 s4, 0x7f
	v_cmp_gt_i16_sdwa s[6:7], v2, s4 src0_sel:BYTE_3 src1_sel:DWORD
	s_mov_b64 s[4:5], 0
                                        ; implicit-def: $sgpr10
	s_and_saveexec_b64 s[8:9], s[6:7]
	s_xor_b64 s[6:7], exec, s[8:9]
	s_cbranch_execnz .LBB6_3485
; %bb.1437:
	s_or_saveexec_b64 s[6:7], s[6:7]
	v_mov_b32_e32 v6, s10
	s_xor_b64 exec, exec, s[6:7]
	s_cbranch_execnz .LBB6_3488
.LBB6_1438:
	s_or_b64 exec, exec, s[6:7]
	s_and_saveexec_b64 s[6:7], s[4:5]
	s_cbranch_execz .LBB6_1440
.LBB6_1439:
	v_bfe_u32 v6, v2, 24, 3
	v_ffbh_u32_e32 v16, v6
	v_min_u32_e32 v16, 32, v16
	v_lshrrev_b32_e32 v14, 27, v2
	v_subrev_u32_e32 v17, 28, v16
	v_and_b32_e32 v13, 0x80000000, v2
	v_and_b32_e32 v14, 15, v14
	v_bfe_u32 v15, v2, 27, 4
	v_lshlrev_b32_sdwa v2, v17, v2 dst_sel:DWORD dst_unused:UNUSED_PAD src0_sel:DWORD src1_sel:BYTE_3
	v_sub_u32_e32 v16, 29, v16
	v_and_b32_e32 v2, 7, v2
	v_cmp_eq_u16_e32 vcc, 0, v14
	v_cndmask_b32_e32 v2, v6, v2, vcc
	v_cndmask_b32_e32 v6, v15, v16, vcc
	v_mov_b32_e32 v14, 0x3b800000
	v_lshlrev_b32_e32 v2, 20, v2
	v_lshl_add_u32 v6, v6, 23, v14
	v_or3_b32 v6, v13, v6, v2
.LBB6_1440:
	s_or_b64 exec, exec, s[6:7]
	s_nop 0
	v_mfma_f32_16x16x4f32 a[0:3], v12, v6, a[0:3]
	s_movk_i32 s4, 0x7f
	v_cmp_gt_i16_sdwa s[6:7], v7, s4 src0_sel:BYTE_0 src1_sel:DWORD
	s_mov_b64 s[4:5], 0
                                        ; implicit-def: $sgpr10
	s_and_saveexec_b64 s[8:9], s[6:7]
	s_xor_b64 s[6:7], exec, s[8:9]
	s_cbranch_execnz .LBB6_3489
; %bb.1441:
	s_or_saveexec_b64 s[6:7], s[6:7]
	v_mov_b32_e32 v2, s10
	s_xor_b64 exec, exec, s[6:7]
	s_cbranch_execnz .LBB6_3492
.LBB6_1442:
	s_or_b64 exec, exec, s[6:7]
	s_and_saveexec_b64 s[6:7], s[4:5]
	s_cbranch_execz .LBB6_1444
.LBB6_1443:
	v_and_b32_e32 v2, 7, v7
	v_ffbh_u32_e32 v12, v2
	v_min_u32_e32 v12, 32, v12
	v_lshrrev_b16_e32 v6, 3, v7
	v_subrev_u32_e32 v13, 28, v12
	v_and_b32_e32 v6, 15, v6
	v_lshlrev_b32_e32 v13, v13, v7
	v_sub_u32_e32 v12, 29, v12
	v_and_b32_e32 v13, 7, v13
	v_cmp_eq_u16_e32 vcc, 0, v6
	v_cndmask_b32_e32 v2, v2, v13, vcc
	v_cndmask_b32_e32 v6, v6, v12, vcc
	v_lshlrev_b32_e32 v12, 24, v7
	v_mov_b32_e32 v13, 0x3b800000
	v_lshlrev_b32_e32 v2, 20, v2
	v_and_b32_e32 v12, 0x80000000, v12
	v_lshl_add_u32 v6, v6, 23, v13
	v_or3_b32 v2, v12, v6, v2
.LBB6_1444:
	s_or_b64 exec, exec, s[6:7]
	s_movk_i32 s4, 0x7f
	v_cmp_gt_i16_sdwa s[6:7], v3, s4 src0_sel:BYTE_0 src1_sel:DWORD
	s_mov_b64 s[4:5], 0
                                        ; implicit-def: $sgpr10
	s_and_saveexec_b64 s[8:9], s[6:7]
	s_xor_b64 s[6:7], exec, s[8:9]
	s_cbranch_execnz .LBB6_3493
; %bb.1445:
	s_or_saveexec_b64 s[6:7], s[6:7]
	v_mov_b32_e32 v6, s10
	s_xor_b64 exec, exec, s[6:7]
	s_cbranch_execnz .LBB6_3496
.LBB6_1446:
	s_or_b64 exec, exec, s[6:7]
	s_and_saveexec_b64 s[6:7], s[4:5]
	s_cbranch_execz .LBB6_1448
.LBB6_1447:
	v_and_b32_e32 v6, 7, v3
	v_ffbh_u32_e32 v13, v6
	v_min_u32_e32 v13, 32, v13
	v_lshrrev_b16_e32 v12, 3, v3
	v_subrev_u32_e32 v14, 28, v13
	v_and_b32_e32 v12, 15, v12
	v_lshlrev_b32_e32 v14, v14, v3
	v_sub_u32_e32 v13, 29, v13
	v_and_b32_e32 v14, 7, v14
	v_cmp_eq_u16_e32 vcc, 0, v12
	v_cndmask_b32_e32 v6, v6, v14, vcc
	v_cndmask_b32_e32 v12, v12, v13, vcc
	v_lshlrev_b32_e32 v13, 24, v3
	v_mov_b32_e32 v14, 0x3b800000
	v_lshlrev_b32_e32 v6, 20, v6
	v_and_b32_e32 v13, 0x80000000, v13
	v_lshl_add_u32 v12, v12, 23, v14
	v_or3_b32 v6, v13, v12, v6
.LBB6_1448:
	s_or_b64 exec, exec, s[6:7]
	s_nop 0
	v_mfma_f32_16x16x4f32 a[0:3], v2, v6, a[0:3]
	v_lshrrev_b32_e32 v6, 8, v7
	s_movk_i32 s4, 0x7f
	v_cmp_gt_i16_sdwa s[6:7], v6, s4 src0_sel:BYTE_0 src1_sel:DWORD
	s_mov_b64 s[4:5], 0
                                        ; implicit-def: $sgpr10
	s_and_saveexec_b64 s[8:9], s[6:7]
	s_xor_b64 s[6:7], exec, s[8:9]
	s_cbranch_execnz .LBB6_3497
; %bb.1449:
	s_or_saveexec_b64 s[6:7], s[6:7]
	v_mov_b32_e32 v2, s10
	s_xor_b64 exec, exec, s[6:7]
	s_cbranch_execnz .LBB6_3500
.LBB6_1450:
	s_or_b64 exec, exec, s[6:7]
	s_and_saveexec_b64 s[6:7], s[4:5]
	s_cbranch_execz .LBB6_1452
.LBB6_1451:
	v_bfe_u32 v2, v7, 8, 3
	v_ffbh_u32_e32 v13, v2
	v_min_u32_e32 v13, 32, v13
	v_lshrrev_b16_e32 v12, 3, v6
	v_subrev_u32_e32 v14, 28, v13
	v_and_b32_e32 v12, 15, v12
	v_lshlrev_b32_e32 v6, v14, v6
	v_sub_u32_e32 v13, 29, v13
	v_and_b32_e32 v6, 7, v6
	v_cmp_eq_u16_e32 vcc, 0, v12
	v_cndmask_b32_e32 v2, v2, v6, vcc
	v_cndmask_b32_e32 v6, v12, v13, vcc
	v_lshlrev_b32_e32 v12, 16, v7
	v_mov_b32_e32 v13, 0x3b800000
	v_lshlrev_b32_e32 v2, 20, v2
	v_and_b32_e32 v12, 0x80000000, v12
	v_lshl_add_u32 v6, v6, 23, v13
	v_or3_b32 v2, v12, v6, v2
.LBB6_1452:
	s_or_b64 exec, exec, s[6:7]
	v_lshrrev_b32_e32 v6, 8, v3
	s_movk_i32 s4, 0x7f
	v_cmp_gt_i16_sdwa s[6:7], v6, s4 src0_sel:BYTE_0 src1_sel:DWORD
	s_mov_b64 s[4:5], 0
                                        ; implicit-def: $sgpr10
	s_and_saveexec_b64 s[8:9], s[6:7]
	s_xor_b64 s[6:7], exec, s[8:9]
	s_cbranch_execnz .LBB6_3501
; %bb.1453:
	s_or_saveexec_b64 s[6:7], s[6:7]
	v_mov_b32_e32 v12, s10
	s_xor_b64 exec, exec, s[6:7]
	s_cbranch_execnz .LBB6_3504
.LBB6_1454:
	s_or_b64 exec, exec, s[6:7]
	s_and_saveexec_b64 s[6:7], s[4:5]
	s_cbranch_execz .LBB6_1456
.LBB6_1455:
	v_bfe_u32 v12, v3, 8, 3
	v_ffbh_u32_e32 v14, v12
	v_min_u32_e32 v14, 32, v14
	v_lshrrev_b16_e32 v13, 3, v6
	v_subrev_u32_e32 v15, 28, v14
	v_and_b32_e32 v13, 15, v13
	v_lshlrev_b32_e32 v6, v15, v6
	v_sub_u32_e32 v14, 29, v14
	v_and_b32_e32 v6, 7, v6
	v_cmp_eq_u16_e32 vcc, 0, v13
	v_cndmask_b32_e32 v6, v12, v6, vcc
	v_cndmask_b32_e32 v12, v13, v14, vcc
	v_lshlrev_b32_e32 v13, 16, v3
	v_mov_b32_e32 v14, 0x3b800000
	v_lshlrev_b32_e32 v6, 20, v6
	v_and_b32_e32 v13, 0x80000000, v13
	v_lshl_add_u32 v12, v12, 23, v14
	v_or3_b32 v12, v13, v12, v6
.LBB6_1456:
	s_or_b64 exec, exec, s[6:7]
	s_nop 0
	v_mfma_f32_16x16x4f32 a[0:3], v2, v12, a[0:3]
	s_movk_i32 s4, 0xff
	v_and_b32_sdwa v6, v7, s4 dst_sel:DWORD dst_unused:UNUSED_PAD src0_sel:WORD_1 src1_sel:DWORD
	s_movk_i32 s4, 0x7f
	v_cmp_lt_i16_e32 vcc, s4, v6
	s_mov_b64 s[4:5], 0
                                        ; implicit-def: $sgpr10
	s_and_saveexec_b64 s[6:7], vcc
	s_xor_b64 s[6:7], exec, s[6:7]
	s_cbranch_execnz .LBB6_3505
; %bb.1457:
	s_or_saveexec_b64 s[6:7], s[6:7]
	v_mov_b32_e32 v2, s10
	s_xor_b64 exec, exec, s[6:7]
	s_cbranch_execnz .LBB6_3508
.LBB6_1458:
	s_or_b64 exec, exec, s[6:7]
	s_and_saveexec_b64 s[6:7], s[4:5]
	s_cbranch_execz .LBB6_1460
.LBB6_1459:
	v_bfe_u32 v2, v7, 16, 3
	v_ffbh_u32_e32 v13, v2
	v_min_u32_e32 v13, 32, v13
	v_lshrrev_b32_e32 v6, 19, v7
	v_subrev_u32_e32 v14, 28, v13
	v_and_b32_e32 v6, 15, v6
	v_lshlrev_b32_sdwa v14, v14, v7 dst_sel:DWORD dst_unused:UNUSED_PAD src0_sel:DWORD src1_sel:WORD_1
	v_bfe_u32 v12, v7, 19, 4
	v_sub_u32_e32 v13, 29, v13
	v_and_b32_e32 v14, 7, v14
	v_cmp_eq_u16_e32 vcc, 0, v6
	v_cndmask_b32_e32 v2, v2, v14, vcc
	v_cndmask_b32_e32 v6, v12, v13, vcc
	v_lshlrev_b32_e32 v12, 8, v7
	v_mov_b32_e32 v13, 0x3b800000
	v_lshlrev_b32_e32 v2, 20, v2
	v_and_b32_e32 v12, 0x80000000, v12
	v_lshl_add_u32 v6, v6, 23, v13
	v_or3_b32 v2, v12, v6, v2
.LBB6_1460:
	s_or_b64 exec, exec, s[6:7]
	s_movk_i32 s4, 0xff
	v_and_b32_sdwa v6, v3, s4 dst_sel:DWORD dst_unused:UNUSED_PAD src0_sel:WORD_1 src1_sel:DWORD
	s_movk_i32 s4, 0x7f
	v_cmp_lt_i16_e32 vcc, s4, v6
	s_mov_b64 s[4:5], 0
                                        ; implicit-def: $sgpr10
	s_and_saveexec_b64 s[6:7], vcc
	s_xor_b64 s[6:7], exec, s[6:7]
	s_cbranch_execnz .LBB6_3509
; %bb.1461:
	s_or_saveexec_b64 s[6:7], s[6:7]
	v_mov_b32_e32 v12, s10
	s_xor_b64 exec, exec, s[6:7]
	s_cbranch_execnz .LBB6_3512
.LBB6_1462:
	s_or_b64 exec, exec, s[6:7]
	s_and_saveexec_b64 s[6:7], s[4:5]
	s_cbranch_execz .LBB6_1464
.LBB6_1463:
	v_bfe_u32 v6, v3, 16, 3
	v_ffbh_u32_e32 v14, v6
	v_min_u32_e32 v14, 32, v14
	v_lshrrev_b32_e32 v12, 19, v3
	v_subrev_u32_e32 v15, 28, v14
	v_and_b32_e32 v12, 15, v12
	v_lshlrev_b32_sdwa v15, v15, v3 dst_sel:DWORD dst_unused:UNUSED_PAD src0_sel:DWORD src1_sel:WORD_1
	v_bfe_u32 v13, v3, 19, 4
	v_sub_u32_e32 v14, 29, v14
	v_and_b32_e32 v15, 7, v15
	v_cmp_eq_u16_e32 vcc, 0, v12
	v_cndmask_b32_e32 v6, v6, v15, vcc
	v_cndmask_b32_e32 v12, v13, v14, vcc
	v_lshlrev_b32_e32 v13, 8, v3
	v_mov_b32_e32 v14, 0x3b800000
	v_lshlrev_b32_e32 v6, 20, v6
	v_and_b32_e32 v13, 0x80000000, v13
	v_lshl_add_u32 v12, v12, 23, v14
	v_or3_b32 v12, v13, v12, v6
.LBB6_1464:
	s_or_b64 exec, exec, s[6:7]
	s_nop 0
	v_mfma_f32_16x16x4f32 a[0:3], v2, v12, a[0:3]
	s_movk_i32 s4, 0x7f
	v_cmp_gt_i16_sdwa s[6:7], v7, s4 src0_sel:BYTE_3 src1_sel:DWORD
	s_mov_b64 s[4:5], 0
                                        ; implicit-def: $sgpr10
	s_and_saveexec_b64 s[8:9], s[6:7]
	s_xor_b64 s[6:7], exec, s[8:9]
	s_cbranch_execnz .LBB6_3513
; %bb.1465:
	s_or_saveexec_b64 s[6:7], s[6:7]
	v_mov_b32_e32 v2, s10
	s_xor_b64 exec, exec, s[6:7]
	s_cbranch_execnz .LBB6_3516
.LBB6_1466:
	s_or_b64 exec, exec, s[6:7]
	s_and_saveexec_b64 s[6:7], s[4:5]
	s_cbranch_execz .LBB6_1468
.LBB6_1467:
	v_bfe_u32 v2, v7, 24, 3
	v_ffbh_u32_e32 v14, v2
	v_min_u32_e32 v14, 32, v14
	v_lshrrev_b32_e32 v12, 27, v7
	v_subrev_u32_e32 v15, 28, v14
	v_and_b32_e32 v6, 0x80000000, v7
	v_and_b32_e32 v12, 15, v12
	v_bfe_u32 v13, v7, 27, 4
	v_lshlrev_b32_sdwa v7, v15, v7 dst_sel:DWORD dst_unused:UNUSED_PAD src0_sel:DWORD src1_sel:BYTE_3
	v_sub_u32_e32 v14, 29, v14
	v_and_b32_e32 v7, 7, v7
	v_cmp_eq_u16_e32 vcc, 0, v12
	v_cndmask_b32_e32 v2, v2, v7, vcc
	v_cndmask_b32_e32 v7, v13, v14, vcc
	v_mov_b32_e32 v12, 0x3b800000
	v_lshlrev_b32_e32 v2, 20, v2
	v_lshl_add_u32 v7, v7, 23, v12
	v_or3_b32 v2, v6, v7, v2
.LBB6_1468:
	s_or_b64 exec, exec, s[6:7]
	s_movk_i32 s4, 0x7f
	v_cmp_gt_i16_sdwa s[6:7], v3, s4 src0_sel:BYTE_3 src1_sel:DWORD
	s_mov_b64 s[4:5], 0
                                        ; implicit-def: $sgpr10
	s_and_saveexec_b64 s[8:9], s[6:7]
	s_xor_b64 s[6:7], exec, s[8:9]
	s_cbranch_execnz .LBB6_3517
; %bb.1469:
	s_or_saveexec_b64 s[6:7], s[6:7]
	v_mov_b32_e32 v6, s10
	s_xor_b64 exec, exec, s[6:7]
	s_cbranch_execnz .LBB6_3520
.LBB6_1470:
	s_or_b64 exec, exec, s[6:7]
	s_and_saveexec_b64 s[6:7], s[4:5]
	s_cbranch_execz .LBB6_1472
.LBB6_1471:
	v_bfe_u32 v6, v3, 24, 3
	v_ffbh_u32_e32 v14, v6
	v_min_u32_e32 v14, 32, v14
	v_lshrrev_b32_e32 v12, 27, v3
	v_subrev_u32_e32 v15, 28, v14
	v_and_b32_e32 v7, 0x80000000, v3
	v_and_b32_e32 v12, 15, v12
	v_bfe_u32 v13, v3, 27, 4
	v_lshlrev_b32_sdwa v3, v15, v3 dst_sel:DWORD dst_unused:UNUSED_PAD src0_sel:DWORD src1_sel:BYTE_3
	v_sub_u32_e32 v14, 29, v14
	v_and_b32_e32 v3, 7, v3
	v_cmp_eq_u16_e32 vcc, 0, v12
	v_cndmask_b32_e32 v3, v6, v3, vcc
	v_cndmask_b32_e32 v6, v13, v14, vcc
	v_mov_b32_e32 v12, 0x3b800000
	v_lshlrev_b32_e32 v3, 20, v3
	v_lshl_add_u32 v6, v6, 23, v12
	v_or3_b32 v6, v7, v6, v3
.LBB6_1472:
	s_or_b64 exec, exec, s[6:7]
	s_nop 0
	v_mfma_f32_16x16x4f32 a[0:3], v2, v6, a[0:3]
	s_movk_i32 s4, 0x7f
	v_cmp_gt_i16_sdwa s[6:7], v8, s4 src0_sel:BYTE_0 src1_sel:DWORD
	s_mov_b64 s[4:5], 0
                                        ; implicit-def: $sgpr10
	s_and_saveexec_b64 s[8:9], s[6:7]
	s_xor_b64 s[6:7], exec, s[8:9]
	s_cbranch_execnz .LBB6_3521
; %bb.1473:
	s_or_saveexec_b64 s[6:7], s[6:7]
	v_mov_b32_e32 v2, s10
	s_xor_b64 exec, exec, s[6:7]
	s_cbranch_execnz .LBB6_3524
.LBB6_1474:
	s_or_b64 exec, exec, s[6:7]
	s_and_saveexec_b64 s[6:7], s[4:5]
	s_cbranch_execz .LBB6_1476
.LBB6_1475:
	v_and_b32_e32 v2, 7, v8
	v_ffbh_u32_e32 v6, v2
	v_min_u32_e32 v6, 32, v6
	v_lshrrev_b16_e32 v3, 3, v8
	v_subrev_u32_e32 v7, 28, v6
	v_and_b32_e32 v3, 15, v3
	v_lshlrev_b32_e32 v7, v7, v8
	v_sub_u32_e32 v6, 29, v6
	v_and_b32_e32 v7, 7, v7
	v_cmp_eq_u16_e32 vcc, 0, v3
	v_cndmask_b32_e32 v2, v2, v7, vcc
	v_cndmask_b32_e32 v3, v3, v6, vcc
	v_lshlrev_b32_e32 v6, 24, v8
	v_mov_b32_e32 v7, 0x3b800000
	v_lshlrev_b32_e32 v2, 20, v2
	v_and_b32_e32 v6, 0x80000000, v6
	v_lshl_add_u32 v3, v3, 23, v7
	v_or3_b32 v2, v6, v3, v2
.LBB6_1476:
	s_or_b64 exec, exec, s[6:7]
	s_movk_i32 s4, 0x7f
	v_cmp_gt_i16_sdwa s[6:7], v4, s4 src0_sel:BYTE_0 src1_sel:DWORD
	s_mov_b64 s[4:5], 0
                                        ; implicit-def: $sgpr10
	s_and_saveexec_b64 s[8:9], s[6:7]
	s_xor_b64 s[6:7], exec, s[8:9]
	s_cbranch_execnz .LBB6_3525
; %bb.1477:
	s_or_saveexec_b64 s[6:7], s[6:7]
	v_mov_b32_e32 v3, s10
	s_xor_b64 exec, exec, s[6:7]
	s_cbranch_execnz .LBB6_3528
.LBB6_1478:
	s_or_b64 exec, exec, s[6:7]
	s_and_saveexec_b64 s[6:7], s[4:5]
	s_cbranch_execz .LBB6_1480
.LBB6_1479:
	v_and_b32_e32 v3, 7, v4
	v_ffbh_u32_e32 v7, v3
	v_min_u32_e32 v7, 32, v7
	v_lshrrev_b16_e32 v6, 3, v4
	v_subrev_u32_e32 v12, 28, v7
	v_and_b32_e32 v6, 15, v6
	v_lshlrev_b32_e32 v12, v12, v4
	v_sub_u32_e32 v7, 29, v7
	v_and_b32_e32 v12, 7, v12
	v_cmp_eq_u16_e32 vcc, 0, v6
	v_cndmask_b32_e32 v3, v3, v12, vcc
	v_cndmask_b32_e32 v6, v6, v7, vcc
	v_lshlrev_b32_e32 v7, 24, v4
	v_mov_b32_e32 v12, 0x3b800000
	v_lshlrev_b32_e32 v3, 20, v3
	v_and_b32_e32 v7, 0x80000000, v7
	v_lshl_add_u32 v6, v6, 23, v12
	v_or3_b32 v3, v7, v6, v3
.LBB6_1480:
	s_or_b64 exec, exec, s[6:7]
	s_nop 0
	v_mfma_f32_16x16x4f32 a[0:3], v2, v3, a[0:3]
	v_lshrrev_b32_e32 v3, 8, v8
	s_movk_i32 s4, 0x7f
	v_cmp_gt_i16_sdwa s[6:7], v3, s4 src0_sel:BYTE_0 src1_sel:DWORD
	s_mov_b64 s[4:5], 0
                                        ; implicit-def: $sgpr10
	s_and_saveexec_b64 s[8:9], s[6:7]
	s_xor_b64 s[6:7], exec, s[8:9]
	s_cbranch_execnz .LBB6_3529
; %bb.1481:
	s_or_saveexec_b64 s[6:7], s[6:7]
	v_mov_b32_e32 v2, s10
	s_xor_b64 exec, exec, s[6:7]
	s_cbranch_execnz .LBB6_3532
.LBB6_1482:
	s_or_b64 exec, exec, s[6:7]
	s_and_saveexec_b64 s[6:7], s[4:5]
	s_cbranch_execz .LBB6_1484
.LBB6_1483:
	v_bfe_u32 v2, v8, 8, 3
	v_ffbh_u32_e32 v7, v2
	v_min_u32_e32 v7, 32, v7
	v_lshrrev_b16_e32 v6, 3, v3
	v_subrev_u32_e32 v12, 28, v7
	v_and_b32_e32 v6, 15, v6
	v_lshlrev_b32_e32 v3, v12, v3
	v_sub_u32_e32 v7, 29, v7
	v_and_b32_e32 v3, 7, v3
	v_cmp_eq_u16_e32 vcc, 0, v6
	v_cndmask_b32_e32 v2, v2, v3, vcc
	v_cndmask_b32_e32 v3, v6, v7, vcc
	v_lshlrev_b32_e32 v6, 16, v8
	v_mov_b32_e32 v7, 0x3b800000
	v_lshlrev_b32_e32 v2, 20, v2
	v_and_b32_e32 v6, 0x80000000, v6
	v_lshl_add_u32 v3, v3, 23, v7
	v_or3_b32 v2, v6, v3, v2
.LBB6_1484:
	s_or_b64 exec, exec, s[6:7]
	v_lshrrev_b32_e32 v3, 8, v4
	s_movk_i32 s4, 0x7f
	v_cmp_gt_i16_sdwa s[6:7], v3, s4 src0_sel:BYTE_0 src1_sel:DWORD
	s_mov_b64 s[4:5], 0
                                        ; implicit-def: $sgpr10
	s_and_saveexec_b64 s[8:9], s[6:7]
	s_xor_b64 s[6:7], exec, s[8:9]
	s_cbranch_execnz .LBB6_3533
; %bb.1485:
	s_or_saveexec_b64 s[6:7], s[6:7]
	v_mov_b32_e32 v6, s10
	s_xor_b64 exec, exec, s[6:7]
	s_cbranch_execnz .LBB6_3536
.LBB6_1486:
	s_or_b64 exec, exec, s[6:7]
	s_and_saveexec_b64 s[6:7], s[4:5]
	s_cbranch_execz .LBB6_1488
.LBB6_1487:
	v_bfe_u32 v6, v4, 8, 3
	v_ffbh_u32_e32 v12, v6
	v_min_u32_e32 v12, 32, v12
	v_lshrrev_b16_e32 v7, 3, v3
	v_subrev_u32_e32 v13, 28, v12
	v_and_b32_e32 v7, 15, v7
	v_lshlrev_b32_e32 v3, v13, v3
	v_sub_u32_e32 v12, 29, v12
	v_and_b32_e32 v3, 7, v3
	v_cmp_eq_u16_e32 vcc, 0, v7
	v_cndmask_b32_e32 v3, v6, v3, vcc
	v_cndmask_b32_e32 v6, v7, v12, vcc
	v_lshlrev_b32_e32 v7, 16, v4
	v_mov_b32_e32 v12, 0x3b800000
	v_lshlrev_b32_e32 v3, 20, v3
	v_and_b32_e32 v7, 0x80000000, v7
	v_lshl_add_u32 v6, v6, 23, v12
	v_or3_b32 v6, v7, v6, v3
.LBB6_1488:
	s_or_b64 exec, exec, s[6:7]
	s_nop 0
	v_mfma_f32_16x16x4f32 a[0:3], v2, v6, a[0:3]
	s_movk_i32 s4, 0xff
	v_and_b32_sdwa v3, v8, s4 dst_sel:DWORD dst_unused:UNUSED_PAD src0_sel:WORD_1 src1_sel:DWORD
	s_movk_i32 s4, 0x7f
	v_cmp_lt_i16_e32 vcc, s4, v3
	s_mov_b64 s[4:5], 0
                                        ; implicit-def: $sgpr10
	s_and_saveexec_b64 s[6:7], vcc
	s_xor_b64 s[6:7], exec, s[6:7]
	s_cbranch_execnz .LBB6_3537
; %bb.1489:
	s_or_saveexec_b64 s[6:7], s[6:7]
	v_mov_b32_e32 v2, s10
	s_xor_b64 exec, exec, s[6:7]
	s_cbranch_execnz .LBB6_3540
.LBB6_1490:
	s_or_b64 exec, exec, s[6:7]
	s_and_saveexec_b64 s[6:7], s[4:5]
	s_cbranch_execz .LBB6_1492
.LBB6_1491:
	v_bfe_u32 v2, v8, 16, 3
	v_ffbh_u32_e32 v7, v2
	v_min_u32_e32 v7, 32, v7
	v_lshrrev_b32_e32 v3, 19, v8
	v_subrev_u32_e32 v12, 28, v7
	v_and_b32_e32 v3, 15, v3
	v_lshlrev_b32_sdwa v12, v12, v8 dst_sel:DWORD dst_unused:UNUSED_PAD src0_sel:DWORD src1_sel:WORD_1
	v_bfe_u32 v6, v8, 19, 4
	v_sub_u32_e32 v7, 29, v7
	v_and_b32_e32 v12, 7, v12
	v_cmp_eq_u16_e32 vcc, 0, v3
	v_cndmask_b32_e32 v2, v2, v12, vcc
	v_cndmask_b32_e32 v3, v6, v7, vcc
	v_lshlrev_b32_e32 v6, 8, v8
	v_mov_b32_e32 v7, 0x3b800000
	v_lshlrev_b32_e32 v2, 20, v2
	v_and_b32_e32 v6, 0x80000000, v6
	v_lshl_add_u32 v3, v3, 23, v7
	v_or3_b32 v2, v6, v3, v2
.LBB6_1492:
	s_or_b64 exec, exec, s[6:7]
	s_movk_i32 s4, 0xff
	v_and_b32_sdwa v3, v4, s4 dst_sel:DWORD dst_unused:UNUSED_PAD src0_sel:WORD_1 src1_sel:DWORD
	s_movk_i32 s4, 0x7f
	v_cmp_lt_i16_e32 vcc, s4, v3
	s_mov_b64 s[4:5], 0
                                        ; implicit-def: $sgpr10
	s_and_saveexec_b64 s[6:7], vcc
	s_xor_b64 s[6:7], exec, s[6:7]
	s_cbranch_execnz .LBB6_3541
; %bb.1493:
	s_or_saveexec_b64 s[6:7], s[6:7]
	v_mov_b32_e32 v6, s10
	s_xor_b64 exec, exec, s[6:7]
	s_cbranch_execnz .LBB6_3544
.LBB6_1494:
	s_or_b64 exec, exec, s[6:7]
	s_and_saveexec_b64 s[6:7], s[4:5]
	s_cbranch_execz .LBB6_1496
.LBB6_1495:
	v_bfe_u32 v3, v4, 16, 3
	v_ffbh_u32_e32 v12, v3
	v_min_u32_e32 v12, 32, v12
	v_lshrrev_b32_e32 v6, 19, v4
	v_subrev_u32_e32 v13, 28, v12
	v_and_b32_e32 v6, 15, v6
	v_lshlrev_b32_sdwa v13, v13, v4 dst_sel:DWORD dst_unused:UNUSED_PAD src0_sel:DWORD src1_sel:WORD_1
	v_bfe_u32 v7, v4, 19, 4
	v_sub_u32_e32 v12, 29, v12
	v_and_b32_e32 v13, 7, v13
	v_cmp_eq_u16_e32 vcc, 0, v6
	v_cndmask_b32_e32 v3, v3, v13, vcc
	v_cndmask_b32_e32 v6, v7, v12, vcc
	v_lshlrev_b32_e32 v7, 8, v4
	v_mov_b32_e32 v12, 0x3b800000
	v_lshlrev_b32_e32 v3, 20, v3
	v_and_b32_e32 v7, 0x80000000, v7
	v_lshl_add_u32 v6, v6, 23, v12
	v_or3_b32 v6, v7, v6, v3
.LBB6_1496:
	s_or_b64 exec, exec, s[6:7]
	s_nop 0
	v_mfma_f32_16x16x4f32 a[0:3], v2, v6, a[0:3]
	s_movk_i32 s4, 0x7f
	v_cmp_gt_i16_sdwa s[6:7], v8, s4 src0_sel:BYTE_3 src1_sel:DWORD
	s_mov_b64 s[4:5], 0
                                        ; implicit-def: $sgpr10
	s_and_saveexec_b64 s[8:9], s[6:7]
	s_xor_b64 s[6:7], exec, s[8:9]
	s_cbranch_execnz .LBB6_3545
; %bb.1497:
	s_or_saveexec_b64 s[6:7], s[6:7]
	v_mov_b32_e32 v2, s10
	s_xor_b64 exec, exec, s[6:7]
	s_cbranch_execnz .LBB6_3548
.LBB6_1498:
	s_or_b64 exec, exec, s[6:7]
	s_and_saveexec_b64 s[6:7], s[4:5]
	s_cbranch_execz .LBB6_1500
.LBB6_1499:
	v_bfe_u32 v2, v8, 24, 3
	v_ffbh_u32_e32 v12, v2
	v_min_u32_e32 v12, 32, v12
	v_lshrrev_b32_e32 v6, 27, v8
	v_subrev_u32_e32 v13, 28, v12
	v_and_b32_e32 v3, 0x80000000, v8
	v_and_b32_e32 v6, 15, v6
	v_bfe_u32 v7, v8, 27, 4
	v_lshlrev_b32_sdwa v8, v13, v8 dst_sel:DWORD dst_unused:UNUSED_PAD src0_sel:DWORD src1_sel:BYTE_3
	v_sub_u32_e32 v12, 29, v12
	v_and_b32_e32 v8, 7, v8
	v_cmp_eq_u16_e32 vcc, 0, v6
	v_cndmask_b32_e32 v2, v2, v8, vcc
	v_cndmask_b32_e32 v6, v7, v12, vcc
	v_mov_b32_e32 v7, 0x3b800000
	v_lshlrev_b32_e32 v2, 20, v2
	v_lshl_add_u32 v6, v6, 23, v7
	v_or3_b32 v2, v3, v6, v2
.LBB6_1500:
	s_or_b64 exec, exec, s[6:7]
	s_movk_i32 s4, 0x7f
	v_cmp_gt_i16_sdwa s[6:7], v4, s4 src0_sel:BYTE_3 src1_sel:DWORD
	s_mov_b64 s[4:5], 0
                                        ; implicit-def: $sgpr10
	s_and_saveexec_b64 s[8:9], s[6:7]
	s_xor_b64 s[6:7], exec, s[8:9]
	s_cbranch_execnz .LBB6_3549
; %bb.1501:
	s_or_saveexec_b64 s[6:7], s[6:7]
	v_mov_b32_e32 v3, s10
	s_xor_b64 exec, exec, s[6:7]
	s_cbranch_execnz .LBB6_3552
.LBB6_1502:
	s_or_b64 exec, exec, s[6:7]
	s_and_saveexec_b64 s[6:7], s[4:5]
	s_cbranch_execz .LBB6_1504
.LBB6_1503:
	v_bfe_u32 v3, v4, 24, 3
	v_ffbh_u32_e32 v12, v3
	v_min_u32_e32 v12, 32, v12
	v_lshrrev_b32_e32 v7, 27, v4
	v_subrev_u32_e32 v13, 28, v12
	v_and_b32_e32 v6, 0x80000000, v4
	v_and_b32_e32 v7, 15, v7
	v_bfe_u32 v8, v4, 27, 4
	v_lshlrev_b32_sdwa v4, v13, v4 dst_sel:DWORD dst_unused:UNUSED_PAD src0_sel:DWORD src1_sel:BYTE_3
	v_sub_u32_e32 v12, 29, v12
	v_and_b32_e32 v4, 7, v4
	v_cmp_eq_u16_e32 vcc, 0, v7
	v_cndmask_b32_e32 v3, v3, v4, vcc
	v_cndmask_b32_e32 v4, v8, v12, vcc
	v_mov_b32_e32 v7, 0x3b800000
	v_lshlrev_b32_e32 v3, 20, v3
	v_lshl_add_u32 v4, v4, 23, v7
	v_or3_b32 v3, v6, v4, v3
.LBB6_1504:
	s_or_b64 exec, exec, s[6:7]
	s_nop 0
	v_mfma_f32_16x16x4f32 a[0:3], v2, v3, a[0:3]
	s_movk_i32 s4, 0x7f
	v_cmp_gt_i16_sdwa s[6:7], v9, s4 src0_sel:BYTE_0 src1_sel:DWORD
	s_mov_b64 s[4:5], 0
                                        ; implicit-def: $sgpr10
	s_and_saveexec_b64 s[8:9], s[6:7]
	s_xor_b64 s[6:7], exec, s[8:9]
	s_cbranch_execnz .LBB6_3553
; %bb.1505:
	s_or_saveexec_b64 s[6:7], s[6:7]
	v_mov_b32_e32 v2, s10
	s_xor_b64 exec, exec, s[6:7]
	s_cbranch_execnz .LBB6_3556
.LBB6_1506:
	s_or_b64 exec, exec, s[6:7]
	s_and_saveexec_b64 s[6:7], s[4:5]
	s_cbranch_execz .LBB6_1508
.LBB6_1507:
	v_mov_b32_e32 v2, 8
	v_and_b32_e32 v3, 7, v9
	v_lshrrev_b32_sdwa v2, v2, v9 dst_sel:BYTE_1 dst_unused:UNUSED_PAD src0_sel:DWORD src1_sel:DWORD
	v_ffbh_u32_e32 v4, v3
	v_or_b32_sdwa v2, v9, v2 dst_sel:DWORD dst_unused:UNUSED_PAD src0_sel:BYTE_0 src1_sel:DWORD
	v_min_u32_e32 v4, 32, v4
	v_lshrrev_b16_e32 v2, 3, v2
	v_subrev_u32_e32 v6, 28, v4
	v_and_b32_e32 v2, 15, v2
	v_lshlrev_b32_e32 v6, v6, v9
	v_sub_u32_e32 v4, 29, v4
	v_and_b32_e32 v6, 7, v6
	v_cmp_eq_u16_e32 vcc, 0, v2
	v_cndmask_b32_e32 v3, v3, v6, vcc
	v_cndmask_b32_e32 v2, v2, v4, vcc
	v_lshlrev_b32_e32 v4, 24, v9
	v_mov_b32_e32 v6, 0x3b800000
	v_lshlrev_b32_e32 v3, 20, v3
	v_and_b32_e32 v4, 0x80000000, v4
	v_lshl_add_u32 v2, v2, 23, v6
	v_or3_b32 v2, v4, v2, v3
.LBB6_1508:
	s_or_b64 exec, exec, s[6:7]
	s_movk_i32 s4, 0x7f
	v_cmp_gt_i16_sdwa s[6:7], v5, s4 src0_sel:BYTE_0 src1_sel:DWORD
	s_mov_b64 s[4:5], 0
                                        ; implicit-def: $sgpr10
	s_and_saveexec_b64 s[8:9], s[6:7]
	s_xor_b64 s[6:7], exec, s[8:9]
	s_cbranch_execnz .LBB6_3557
; %bb.1509:
	s_or_saveexec_b64 s[6:7], s[6:7]
	v_mov_b32_e32 v3, s10
	s_xor_b64 exec, exec, s[6:7]
	s_cbranch_execnz .LBB6_3560
.LBB6_1510:
	s_or_b64 exec, exec, s[6:7]
	s_and_saveexec_b64 s[6:7], s[4:5]
	s_cbranch_execz .LBB6_1512
.LBB6_1511:
	v_mov_b32_e32 v3, 8
	v_and_b32_e32 v4, 7, v5
	v_lshrrev_b32_sdwa v3, v3, v5 dst_sel:BYTE_1 dst_unused:UNUSED_PAD src0_sel:DWORD src1_sel:DWORD
	v_ffbh_u32_e32 v6, v4
	v_or_b32_sdwa v3, v5, v3 dst_sel:DWORD dst_unused:UNUSED_PAD src0_sel:BYTE_0 src1_sel:DWORD
	v_min_u32_e32 v6, 32, v6
	v_lshrrev_b16_e32 v3, 3, v3
	v_subrev_u32_e32 v7, 28, v6
	v_and_b32_e32 v3, 15, v3
	v_lshlrev_b32_e32 v7, v7, v5
	v_sub_u32_e32 v6, 29, v6
	v_and_b32_e32 v7, 7, v7
	v_cmp_eq_u16_e32 vcc, 0, v3
	v_cndmask_b32_e32 v4, v4, v7, vcc
	v_cndmask_b32_e32 v3, v3, v6, vcc
	v_lshlrev_b32_e32 v6, 24, v5
	v_mov_b32_e32 v7, 0x3b800000
	v_lshlrev_b32_e32 v4, 20, v4
	v_and_b32_e32 v6, 0x80000000, v6
	v_lshl_add_u32 v3, v3, 23, v7
	v_or3_b32 v3, v6, v3, v4
.LBB6_1512:
	s_or_b64 exec, exec, s[6:7]
	s_nop 0
	v_mfma_f32_16x16x4f32 a[0:3], v2, v3, a[0:3]
	v_lshrrev_b32_e32 v3, 8, v9
	s_movk_i32 s4, 0x7f
	v_cmp_gt_i16_sdwa s[6:7], v3, s4 src0_sel:BYTE_0 src1_sel:DWORD
	s_mov_b64 s[4:5], 0
                                        ; implicit-def: $sgpr10
	s_and_saveexec_b64 s[8:9], s[6:7]
	s_xor_b64 s[6:7], exec, s[8:9]
	s_cbranch_execnz .LBB6_3561
; %bb.1513:
	s_or_saveexec_b64 s[6:7], s[6:7]
	v_mov_b32_e32 v2, s10
	s_xor_b64 exec, exec, s[6:7]
	s_cbranch_execnz .LBB6_3564
.LBB6_1514:
	s_or_b64 exec, exec, s[6:7]
	s_and_saveexec_b64 s[6:7], s[4:5]
	s_cbranch_execz .LBB6_1516
.LBB6_1515:
	v_bfe_u32 v2, v9, 8, 3
	v_ffbh_u32_e32 v6, v2
	v_min_u32_e32 v6, 32, v6
	v_lshrrev_b16_e32 v4, 3, v3
	v_subrev_u32_e32 v7, 28, v6
	v_and_b32_e32 v4, 15, v4
	v_lshlrev_b32_e32 v3, v7, v3
	v_sub_u32_e32 v6, 29, v6
	v_and_b32_e32 v3, 7, v3
	v_cmp_eq_u16_e32 vcc, 0, v4
	v_cndmask_b32_e32 v2, v2, v3, vcc
	v_cndmask_b32_e32 v3, v4, v6, vcc
	v_lshlrev_b32_e32 v4, 16, v9
	v_mov_b32_e32 v6, 0x3b800000
	v_lshlrev_b32_e32 v2, 20, v2
	v_and_b32_e32 v4, 0x80000000, v4
	v_lshl_add_u32 v3, v3, 23, v6
	v_or3_b32 v2, v4, v3, v2
.LBB6_1516:
	s_or_b64 exec, exec, s[6:7]
	v_lshrrev_b32_e32 v3, 8, v5
	s_movk_i32 s4, 0x7f
	v_cmp_gt_i16_sdwa s[6:7], v3, s4 src0_sel:BYTE_0 src1_sel:DWORD
	s_mov_b64 s[4:5], 0
                                        ; implicit-def: $sgpr10
	s_and_saveexec_b64 s[8:9], s[6:7]
	s_xor_b64 s[6:7], exec, s[8:9]
	s_cbranch_execnz .LBB6_3565
; %bb.1517:
	s_or_saveexec_b64 s[6:7], s[6:7]
	v_mov_b32_e32 v4, s10
	s_xor_b64 exec, exec, s[6:7]
	s_cbranch_execnz .LBB6_3568
.LBB6_1518:
	s_or_b64 exec, exec, s[6:7]
	s_and_saveexec_b64 s[6:7], s[4:5]
	s_cbranch_execz .LBB6_1520
.LBB6_1519:
	v_bfe_u32 v4, v5, 8, 3
	v_ffbh_u32_e32 v7, v4
	v_min_u32_e32 v7, 32, v7
	v_lshrrev_b16_e32 v6, 3, v3
	v_subrev_u32_e32 v8, 28, v7
	v_and_b32_e32 v6, 15, v6
	v_lshlrev_b32_e32 v3, v8, v3
	v_sub_u32_e32 v7, 29, v7
	v_and_b32_e32 v3, 7, v3
	v_cmp_eq_u16_e32 vcc, 0, v6
	v_cndmask_b32_e32 v3, v4, v3, vcc
	v_cndmask_b32_e32 v4, v6, v7, vcc
	v_lshlrev_b32_e32 v6, 16, v5
	v_mov_b32_e32 v7, 0x3b800000
	v_lshlrev_b32_e32 v3, 20, v3
	v_and_b32_e32 v6, 0x80000000, v6
	v_lshl_add_u32 v4, v4, 23, v7
	v_or3_b32 v4, v6, v4, v3
.LBB6_1520:
	s_or_b64 exec, exec, s[6:7]
	s_nop 0
	v_mfma_f32_16x16x4f32 a[0:3], v2, v4, a[0:3]
	s_movk_i32 s4, 0xff
	v_and_b32_sdwa v3, v9, s4 dst_sel:DWORD dst_unused:UNUSED_PAD src0_sel:WORD_1 src1_sel:DWORD
	s_movk_i32 s4, 0x7f
	v_cmp_lt_i16_e32 vcc, s4, v3
	s_mov_b64 s[4:5], 0
                                        ; implicit-def: $sgpr10
	s_and_saveexec_b64 s[6:7], vcc
	s_xor_b64 s[6:7], exec, s[6:7]
	s_cbranch_execnz .LBB6_3569
; %bb.1521:
	s_or_saveexec_b64 s[6:7], s[6:7]
	v_mov_b32_e32 v2, s10
	s_xor_b64 exec, exec, s[6:7]
	s_cbranch_execnz .LBB6_3572
.LBB6_1522:
	s_or_b64 exec, exec, s[6:7]
	s_and_saveexec_b64 s[6:7], s[4:5]
	s_cbranch_execz .LBB6_1524
.LBB6_1523:
	v_bfe_u32 v2, v9, 16, 3
	v_ffbh_u32_e32 v6, v2
	v_min_u32_e32 v6, 32, v6
	v_lshrrev_b32_e32 v3, 19, v9
	v_subrev_u32_e32 v7, 28, v6
	v_and_b32_e32 v3, 15, v3
	v_lshlrev_b32_sdwa v7, v7, v9 dst_sel:DWORD dst_unused:UNUSED_PAD src0_sel:DWORD src1_sel:WORD_1
	v_bfe_u32 v4, v9, 19, 4
	v_sub_u32_e32 v6, 29, v6
	v_and_b32_e32 v7, 7, v7
	v_cmp_eq_u16_e32 vcc, 0, v3
	v_cndmask_b32_e32 v2, v2, v7, vcc
	v_cndmask_b32_e32 v3, v4, v6, vcc
	v_lshlrev_b32_e32 v4, 8, v9
	v_mov_b32_e32 v6, 0x3b800000
	v_lshlrev_b32_e32 v2, 20, v2
	v_and_b32_e32 v4, 0x80000000, v4
	v_lshl_add_u32 v3, v3, 23, v6
	v_or3_b32 v2, v4, v3, v2
.LBB6_1524:
	s_or_b64 exec, exec, s[6:7]
	s_movk_i32 s4, 0xff
	v_and_b32_sdwa v3, v5, s4 dst_sel:DWORD dst_unused:UNUSED_PAD src0_sel:WORD_1 src1_sel:DWORD
	s_movk_i32 s4, 0x7f
	v_cmp_lt_i16_e32 vcc, s4, v3
	s_mov_b64 s[4:5], 0
                                        ; implicit-def: $sgpr10
	s_and_saveexec_b64 s[6:7], vcc
	s_xor_b64 s[6:7], exec, s[6:7]
	s_cbranch_execnz .LBB6_3573
; %bb.1525:
	s_or_saveexec_b64 s[6:7], s[6:7]
	v_mov_b32_e32 v4, s10
	s_xor_b64 exec, exec, s[6:7]
	s_cbranch_execnz .LBB6_3576
.LBB6_1526:
	s_or_b64 exec, exec, s[6:7]
	s_and_saveexec_b64 s[6:7], s[4:5]
	s_cbranch_execz .LBB6_1528
.LBB6_1527:
	v_bfe_u32 v3, v5, 16, 3
	v_ffbh_u32_e32 v7, v3
	v_min_u32_e32 v7, 32, v7
	v_lshrrev_b32_e32 v4, 19, v5
	v_subrev_u32_e32 v8, 28, v7
	v_and_b32_e32 v4, 15, v4
	v_lshlrev_b32_sdwa v8, v8, v5 dst_sel:DWORD dst_unused:UNUSED_PAD src0_sel:DWORD src1_sel:WORD_1
	v_bfe_u32 v6, v5, 19, 4
	v_sub_u32_e32 v7, 29, v7
	v_and_b32_e32 v8, 7, v8
	v_cmp_eq_u16_e32 vcc, 0, v4
	v_cndmask_b32_e32 v3, v3, v8, vcc
	v_cndmask_b32_e32 v4, v6, v7, vcc
	v_lshlrev_b32_e32 v6, 8, v5
	v_mov_b32_e32 v7, 0x3b800000
	v_lshlrev_b32_e32 v3, 20, v3
	v_and_b32_e32 v6, 0x80000000, v6
	v_lshl_add_u32 v4, v4, 23, v7
	v_or3_b32 v4, v6, v4, v3
.LBB6_1528:
	s_or_b64 exec, exec, s[6:7]
	s_nop 0
	v_mfma_f32_16x16x4f32 a[0:3], v2, v4, a[0:3]
	s_movk_i32 s4, 0x7f
	v_cmp_gt_i16_sdwa s[6:7], v9, s4 src0_sel:BYTE_3 src1_sel:DWORD
	s_mov_b64 s[4:5], 0
                                        ; implicit-def: $sgpr10
	s_and_saveexec_b64 s[8:9], s[6:7]
	s_xor_b64 s[6:7], exec, s[8:9]
	s_cbranch_execnz .LBB6_3577
; %bb.1529:
	s_or_saveexec_b64 s[6:7], s[6:7]
	v_mov_b32_e32 v2, s10
	s_xor_b64 exec, exec, s[6:7]
	s_cbranch_execnz .LBB6_3580
.LBB6_1530:
	s_or_b64 exec, exec, s[6:7]
	s_and_saveexec_b64 s[6:7], s[4:5]
	s_cbranch_execz .LBB6_1532
.LBB6_1531:
	v_bfe_u32 v2, v9, 24, 3
	v_ffbh_u32_e32 v7, v2
	v_min_u32_e32 v7, 32, v7
	v_lshrrev_b32_e32 v4, 27, v9
	v_subrev_u32_e32 v8, 28, v7
	v_and_b32_e32 v4, 15, v4
	v_lshlrev_b32_sdwa v8, v8, v9 dst_sel:DWORD dst_unused:UNUSED_PAD src0_sel:DWORD src1_sel:BYTE_3
	v_bfe_u32 v6, v9, 27, 4
	v_sub_u32_e32 v7, 29, v7
	v_and_b32_e32 v8, 7, v8
	v_cmp_eq_u16_e32 vcc, 0, v4
	v_cndmask_b32_e32 v2, v2, v8, vcc
	v_cndmask_b32_e32 v4, v6, v7, vcc
	v_mov_b32_e32 v6, 0x3b800000
	v_and_b32_e32 v3, 0x80000000, v9
	v_lshlrev_b32_e32 v2, 20, v2
	v_lshl_add_u32 v4, v4, 23, v6
	v_or3_b32 v2, v3, v4, v2
.LBB6_1532:
	s_or_b64 exec, exec, s[6:7]
	s_movk_i32 s4, 0x7f
	v_cmp_gt_i16_sdwa s[6:7], v5, s4 src0_sel:BYTE_3 src1_sel:DWORD
	s_mov_b64 s[4:5], 0
                                        ; implicit-def: $sgpr10
	s_and_saveexec_b64 s[8:9], s[6:7]
	s_xor_b64 s[6:7], exec, s[8:9]
	s_cbranch_execnz .LBB6_3581
; %bb.1533:
	s_or_saveexec_b64 s[6:7], s[6:7]
	v_mov_b32_e32 v3, s10
	s_xor_b64 exec, exec, s[6:7]
	s_cbranch_execnz .LBB6_3584
.LBB6_1534:
	s_or_b64 exec, exec, s[6:7]
	s_and_saveexec_b64 s[6:7], s[4:5]
	s_cbranch_execz .LBB6_1536
.LBB6_1535:
	v_bfe_u32 v3, v5, 24, 3
	v_ffbh_u32_e32 v8, v3
	v_min_u32_e32 v8, 32, v8
	v_lshrrev_b32_e32 v6, 27, v5
	v_subrev_u32_e32 v9, 28, v8
	v_and_b32_e32 v4, 0x80000000, v5
	v_and_b32_e32 v6, 15, v6
	v_bfe_u32 v7, v5, 27, 4
	v_lshlrev_b32_sdwa v5, v9, v5 dst_sel:DWORD dst_unused:UNUSED_PAD src0_sel:DWORD src1_sel:BYTE_3
	v_sub_u32_e32 v8, 29, v8
	v_and_b32_e32 v5, 7, v5
	v_cmp_eq_u16_e32 vcc, 0, v6
	v_cndmask_b32_e32 v3, v3, v5, vcc
	v_cndmask_b32_e32 v5, v7, v8, vcc
	v_mov_b32_e32 v6, 0x3b800000
	v_lshlrev_b32_e32 v3, 20, v3
	v_lshl_add_u32 v5, v5, 23, v6
	v_or3_b32 v3, v4, v5, v3
.LBB6_1536:
	s_or_b64 exec, exec, s[6:7]
	s_nop 0
	v_mfma_f32_16x16x4f32 a[0:3], v2, v3, a[0:3]
	s_movk_i32 s4, 0x7f
                                        ; implicit-def: $sgpr10
	s_nop 7
	s_nop 1
	flat_store_dwordx4 v[10:11], a[0:3] offset:176
	flat_load_dwordx4 v[12:15], v[0:1] offset:8
	s_nop 0
	flat_load_dwordx2 v[10:11], v[0:1] offset:32
	s_waitcnt vmcnt(0) lgkmcnt(0)
	flat_load_dwordx4 v[6:9], v[12:13] offset:112
	flat_load_dwordx4 v[2:5], v[14:15] offset:16
	s_waitcnt vmcnt(0) lgkmcnt(0)
	v_cmp_gt_i16_sdwa s[6:7], v6, s4 src0_sel:BYTE_0 src1_sel:DWORD
	s_mov_b64 s[4:5], 0
	s_and_saveexec_b64 s[8:9], s[6:7]
	s_xor_b64 s[6:7], exec, s[8:9]
	s_cbranch_execnz .LBB6_3585
; %bb.1537:
	s_or_saveexec_b64 s[6:7], s[6:7]
	v_mov_b32_e32 v12, s10
	s_xor_b64 exec, exec, s[6:7]
	s_cbranch_execnz .LBB6_3588
.LBB6_1538:
	s_or_b64 exec, exec, s[6:7]
	s_and_saveexec_b64 s[6:7], s[4:5]
	s_cbranch_execz .LBB6_1540
.LBB6_1539:
	v_and_b32_e32 v12, 7, v6
	v_ffbh_u32_e32 v14, v12
	v_min_u32_e32 v14, 32, v14
	v_lshrrev_b16_e32 v13, 3, v6
	v_subrev_u32_e32 v15, 28, v14
	v_and_b32_e32 v13, 15, v13
	v_lshlrev_b32_e32 v15, v15, v6
	v_sub_u32_e32 v14, 29, v14
	v_and_b32_e32 v15, 7, v15
	v_cmp_eq_u16_e32 vcc, 0, v13
	v_cndmask_b32_e32 v12, v12, v15, vcc
	v_cndmask_b32_e32 v13, v13, v14, vcc
	v_lshlrev_b32_e32 v14, 24, v6
	v_mov_b32_e32 v15, 0x3b800000
	v_lshlrev_b32_e32 v12, 20, v12
	v_and_b32_e32 v14, 0x80000000, v14
	v_lshl_add_u32 v13, v13, 23, v15
	v_or3_b32 v12, v14, v13, v12
.LBB6_1540:
	s_or_b64 exec, exec, s[6:7]
	s_movk_i32 s4, 0x7f
	v_cmp_gt_i16_sdwa s[6:7], v2, s4 src0_sel:BYTE_0 src1_sel:DWORD
	s_mov_b64 s[4:5], 0
                                        ; implicit-def: $sgpr10
	s_and_saveexec_b64 s[8:9], s[6:7]
	s_xor_b64 s[6:7], exec, s[8:9]
	s_cbranch_execnz .LBB6_3589
; %bb.1541:
	s_or_saveexec_b64 s[6:7], s[6:7]
	v_mov_b32_e32 v13, s10
	s_xor_b64 exec, exec, s[6:7]
	s_cbranch_execnz .LBB6_3592
.LBB6_1542:
	s_or_b64 exec, exec, s[6:7]
	s_and_saveexec_b64 s[6:7], s[4:5]
	s_cbranch_execz .LBB6_1544
.LBB6_1543:
	v_and_b32_e32 v13, 7, v2
	v_ffbh_u32_e32 v15, v13
	v_min_u32_e32 v15, 32, v15
	v_lshrrev_b16_e32 v14, 3, v2
	v_subrev_u32_e32 v16, 28, v15
	v_and_b32_e32 v14, 15, v14
	v_lshlrev_b32_e32 v16, v16, v2
	v_sub_u32_e32 v15, 29, v15
	v_and_b32_e32 v16, 7, v16
	v_cmp_eq_u16_e32 vcc, 0, v14
	v_cndmask_b32_e32 v13, v13, v16, vcc
	v_cndmask_b32_e32 v14, v14, v15, vcc
	v_lshlrev_b32_e32 v15, 24, v2
	v_mov_b32_e32 v16, 0x3b800000
	v_lshlrev_b32_e32 v13, 20, v13
	v_and_b32_e32 v15, 0x80000000, v15
	v_lshl_add_u32 v14, v14, 23, v16
	v_or3_b32 v13, v15, v14, v13
.LBB6_1544:
	s_or_b64 exec, exec, s[6:7]
	flat_load_dwordx4 a[0:3], v[10:11] offset:192
	s_movk_i32 s4, 0x7f
                                        ; implicit-def: $sgpr10
	s_waitcnt vmcnt(0) lgkmcnt(0)
	v_mfma_f32_16x16x4f32 a[0:3], v12, v13, a[0:3]
	v_lshrrev_b32_e32 v13, 8, v6
	v_cmp_gt_i16_sdwa s[6:7], v13, s4 src0_sel:BYTE_0 src1_sel:DWORD
	s_mov_b64 s[4:5], 0
	s_and_saveexec_b64 s[8:9], s[6:7]
	s_xor_b64 s[6:7], exec, s[8:9]
	s_cbranch_execnz .LBB6_3593
; %bb.1545:
	s_or_saveexec_b64 s[6:7], s[6:7]
	v_mov_b32_e32 v12, s10
	s_xor_b64 exec, exec, s[6:7]
	s_cbranch_execnz .LBB6_3596
.LBB6_1546:
	s_or_b64 exec, exec, s[6:7]
	s_and_saveexec_b64 s[6:7], s[4:5]
	s_cbranch_execz .LBB6_1548
.LBB6_1547:
	v_bfe_u32 v12, v6, 8, 3
	v_ffbh_u32_e32 v15, v12
	v_min_u32_e32 v15, 32, v15
	v_lshrrev_b16_e32 v14, 3, v13
	v_subrev_u32_e32 v16, 28, v15
	v_and_b32_e32 v14, 15, v14
	v_lshlrev_b32_e32 v13, v16, v13
	v_sub_u32_e32 v15, 29, v15
	v_and_b32_e32 v13, 7, v13
	v_cmp_eq_u16_e32 vcc, 0, v14
	v_cndmask_b32_e32 v12, v12, v13, vcc
	v_cndmask_b32_e32 v13, v14, v15, vcc
	v_lshlrev_b32_e32 v14, 16, v6
	v_mov_b32_e32 v15, 0x3b800000
	v_lshlrev_b32_e32 v12, 20, v12
	v_and_b32_e32 v14, 0x80000000, v14
	v_lshl_add_u32 v13, v13, 23, v15
	v_or3_b32 v12, v14, v13, v12
.LBB6_1548:
	s_or_b64 exec, exec, s[6:7]
	v_lshrrev_b32_e32 v13, 8, v2
	s_movk_i32 s4, 0x7f
	v_cmp_gt_i16_sdwa s[6:7], v13, s4 src0_sel:BYTE_0 src1_sel:DWORD
	s_mov_b64 s[4:5], 0
                                        ; implicit-def: $sgpr10
	s_and_saveexec_b64 s[8:9], s[6:7]
	s_xor_b64 s[6:7], exec, s[8:9]
	s_cbranch_execnz .LBB6_3597
; %bb.1549:
	s_or_saveexec_b64 s[6:7], s[6:7]
	v_mov_b32_e32 v14, s10
	s_xor_b64 exec, exec, s[6:7]
	s_cbranch_execnz .LBB6_3600
.LBB6_1550:
	s_or_b64 exec, exec, s[6:7]
	s_and_saveexec_b64 s[6:7], s[4:5]
	s_cbranch_execz .LBB6_1552
.LBB6_1551:
	v_bfe_u32 v14, v2, 8, 3
	v_ffbh_u32_e32 v16, v14
	v_min_u32_e32 v16, 32, v16
	v_lshrrev_b16_e32 v15, 3, v13
	v_subrev_u32_e32 v17, 28, v16
	v_and_b32_e32 v15, 15, v15
	v_lshlrev_b32_e32 v13, v17, v13
	v_sub_u32_e32 v16, 29, v16
	v_and_b32_e32 v13, 7, v13
	v_cmp_eq_u16_e32 vcc, 0, v15
	v_cndmask_b32_e32 v13, v14, v13, vcc
	v_cndmask_b32_e32 v14, v15, v16, vcc
	v_lshlrev_b32_e32 v15, 16, v2
	v_mov_b32_e32 v16, 0x3b800000
	v_lshlrev_b32_e32 v13, 20, v13
	v_and_b32_e32 v15, 0x80000000, v15
	v_lshl_add_u32 v14, v14, 23, v16
	v_or3_b32 v14, v15, v14, v13
.LBB6_1552:
	s_or_b64 exec, exec, s[6:7]
	s_nop 0
	v_mfma_f32_16x16x4f32 a[0:3], v12, v14, a[0:3]
	s_movk_i32 s4, 0xff
	v_and_b32_sdwa v13, v6, s4 dst_sel:DWORD dst_unused:UNUSED_PAD src0_sel:WORD_1 src1_sel:DWORD
	s_movk_i32 s4, 0x7f
	v_cmp_lt_i16_e32 vcc, s4, v13
	s_mov_b64 s[4:5], 0
                                        ; implicit-def: $sgpr10
	s_and_saveexec_b64 s[6:7], vcc
	s_xor_b64 s[6:7], exec, s[6:7]
	s_cbranch_execnz .LBB6_3601
; %bb.1553:
	s_or_saveexec_b64 s[6:7], s[6:7]
	v_mov_b32_e32 v12, s10
	s_xor_b64 exec, exec, s[6:7]
	s_cbranch_execnz .LBB6_3604
.LBB6_1554:
	s_or_b64 exec, exec, s[6:7]
	s_and_saveexec_b64 s[6:7], s[4:5]
	s_cbranch_execz .LBB6_1556
.LBB6_1555:
	v_bfe_u32 v12, v6, 16, 3
	v_ffbh_u32_e32 v15, v12
	v_min_u32_e32 v15, 32, v15
	v_lshrrev_b32_e32 v13, 19, v6
	v_subrev_u32_e32 v16, 28, v15
	v_and_b32_e32 v13, 15, v13
	v_lshlrev_b32_sdwa v16, v16, v6 dst_sel:DWORD dst_unused:UNUSED_PAD src0_sel:DWORD src1_sel:WORD_1
	v_bfe_u32 v14, v6, 19, 4
	v_sub_u32_e32 v15, 29, v15
	v_and_b32_e32 v16, 7, v16
	v_cmp_eq_u16_e32 vcc, 0, v13
	v_cndmask_b32_e32 v12, v12, v16, vcc
	v_cndmask_b32_e32 v13, v14, v15, vcc
	v_lshlrev_b32_e32 v14, 8, v6
	v_mov_b32_e32 v15, 0x3b800000
	v_lshlrev_b32_e32 v12, 20, v12
	v_and_b32_e32 v14, 0x80000000, v14
	v_lshl_add_u32 v13, v13, 23, v15
	v_or3_b32 v12, v14, v13, v12
.LBB6_1556:
	s_or_b64 exec, exec, s[6:7]
	s_movk_i32 s4, 0xff
	v_and_b32_sdwa v13, v2, s4 dst_sel:DWORD dst_unused:UNUSED_PAD src0_sel:WORD_1 src1_sel:DWORD
	s_movk_i32 s4, 0x7f
	v_cmp_lt_i16_e32 vcc, s4, v13
	s_mov_b64 s[4:5], 0
                                        ; implicit-def: $sgpr10
	s_and_saveexec_b64 s[6:7], vcc
	s_xor_b64 s[6:7], exec, s[6:7]
	s_cbranch_execnz .LBB6_3605
; %bb.1557:
	s_or_saveexec_b64 s[6:7], s[6:7]
	v_mov_b32_e32 v14, s10
	s_xor_b64 exec, exec, s[6:7]
	s_cbranch_execnz .LBB6_3608
.LBB6_1558:
	s_or_b64 exec, exec, s[6:7]
	s_and_saveexec_b64 s[6:7], s[4:5]
	s_cbranch_execz .LBB6_1560
.LBB6_1559:
	v_bfe_u32 v13, v2, 16, 3
	v_ffbh_u32_e32 v16, v13
	v_min_u32_e32 v16, 32, v16
	v_lshrrev_b32_e32 v14, 19, v2
	v_subrev_u32_e32 v17, 28, v16
	v_and_b32_e32 v14, 15, v14
	v_lshlrev_b32_sdwa v17, v17, v2 dst_sel:DWORD dst_unused:UNUSED_PAD src0_sel:DWORD src1_sel:WORD_1
	v_bfe_u32 v15, v2, 19, 4
	v_sub_u32_e32 v16, 29, v16
	v_and_b32_e32 v17, 7, v17
	v_cmp_eq_u16_e32 vcc, 0, v14
	v_cndmask_b32_e32 v13, v13, v17, vcc
	v_cndmask_b32_e32 v14, v15, v16, vcc
	v_lshlrev_b32_e32 v15, 8, v2
	v_mov_b32_e32 v16, 0x3b800000
	v_lshlrev_b32_e32 v13, 20, v13
	v_and_b32_e32 v15, 0x80000000, v15
	v_lshl_add_u32 v14, v14, 23, v16
	v_or3_b32 v14, v15, v14, v13
.LBB6_1560:
	s_or_b64 exec, exec, s[6:7]
	s_nop 0
	v_mfma_f32_16x16x4f32 a[0:3], v12, v14, a[0:3]
	s_movk_i32 s4, 0x7f
	v_cmp_gt_i16_sdwa s[6:7], v6, s4 src0_sel:BYTE_3 src1_sel:DWORD
	s_mov_b64 s[4:5], 0
                                        ; implicit-def: $sgpr10
	s_and_saveexec_b64 s[8:9], s[6:7]
	s_xor_b64 s[6:7], exec, s[8:9]
	s_cbranch_execnz .LBB6_3609
; %bb.1561:
	s_or_saveexec_b64 s[6:7], s[6:7]
	v_mov_b32_e32 v12, s10
	s_xor_b64 exec, exec, s[6:7]
	s_cbranch_execnz .LBB6_3612
.LBB6_1562:
	s_or_b64 exec, exec, s[6:7]
	s_and_saveexec_b64 s[6:7], s[4:5]
	s_cbranch_execz .LBB6_1564
.LBB6_1563:
	v_bfe_u32 v12, v6, 24, 3
	v_ffbh_u32_e32 v16, v12
	v_min_u32_e32 v16, 32, v16
	v_lshrrev_b32_e32 v14, 27, v6
	v_subrev_u32_e32 v17, 28, v16
	v_and_b32_e32 v13, 0x80000000, v6
	v_and_b32_e32 v14, 15, v14
	v_bfe_u32 v15, v6, 27, 4
	v_lshlrev_b32_sdwa v6, v17, v6 dst_sel:DWORD dst_unused:UNUSED_PAD src0_sel:DWORD src1_sel:BYTE_3
	v_sub_u32_e32 v16, 29, v16
	v_and_b32_e32 v6, 7, v6
	v_cmp_eq_u16_e32 vcc, 0, v14
	v_cndmask_b32_e32 v6, v12, v6, vcc
	v_cndmask_b32_e32 v12, v15, v16, vcc
	v_mov_b32_e32 v14, 0x3b800000
	v_lshlrev_b32_e32 v6, 20, v6
	v_lshl_add_u32 v12, v12, 23, v14
	v_or3_b32 v12, v13, v12, v6
.LBB6_1564:
	s_or_b64 exec, exec, s[6:7]
	s_movk_i32 s4, 0x7f
	v_cmp_gt_i16_sdwa s[6:7], v2, s4 src0_sel:BYTE_3 src1_sel:DWORD
	s_mov_b64 s[4:5], 0
                                        ; implicit-def: $sgpr10
	s_and_saveexec_b64 s[8:9], s[6:7]
	s_xor_b64 s[6:7], exec, s[8:9]
	s_cbranch_execnz .LBB6_3613
; %bb.1565:
	s_or_saveexec_b64 s[6:7], s[6:7]
	v_mov_b32_e32 v6, s10
	s_xor_b64 exec, exec, s[6:7]
	s_cbranch_execnz .LBB6_3616
.LBB6_1566:
	s_or_b64 exec, exec, s[6:7]
	s_and_saveexec_b64 s[6:7], s[4:5]
	s_cbranch_execz .LBB6_1568
.LBB6_1567:
	v_bfe_u32 v6, v2, 24, 3
	v_ffbh_u32_e32 v16, v6
	v_min_u32_e32 v16, 32, v16
	v_lshrrev_b32_e32 v14, 27, v2
	v_subrev_u32_e32 v17, 28, v16
	v_and_b32_e32 v13, 0x80000000, v2
	v_and_b32_e32 v14, 15, v14
	v_bfe_u32 v15, v2, 27, 4
	v_lshlrev_b32_sdwa v2, v17, v2 dst_sel:DWORD dst_unused:UNUSED_PAD src0_sel:DWORD src1_sel:BYTE_3
	v_sub_u32_e32 v16, 29, v16
	v_and_b32_e32 v2, 7, v2
	v_cmp_eq_u16_e32 vcc, 0, v14
	v_cndmask_b32_e32 v2, v6, v2, vcc
	v_cndmask_b32_e32 v6, v15, v16, vcc
	v_mov_b32_e32 v14, 0x3b800000
	v_lshlrev_b32_e32 v2, 20, v2
	v_lshl_add_u32 v6, v6, 23, v14
	v_or3_b32 v6, v13, v6, v2
.LBB6_1568:
	s_or_b64 exec, exec, s[6:7]
	s_nop 0
	v_mfma_f32_16x16x4f32 a[0:3], v12, v6, a[0:3]
	s_movk_i32 s4, 0x7f
	v_cmp_gt_i16_sdwa s[6:7], v7, s4 src0_sel:BYTE_0 src1_sel:DWORD
	s_mov_b64 s[4:5], 0
                                        ; implicit-def: $sgpr10
	s_and_saveexec_b64 s[8:9], s[6:7]
	s_xor_b64 s[6:7], exec, s[8:9]
	s_cbranch_execnz .LBB6_3617
; %bb.1569:
	s_or_saveexec_b64 s[6:7], s[6:7]
	v_mov_b32_e32 v2, s10
	s_xor_b64 exec, exec, s[6:7]
	s_cbranch_execnz .LBB6_3620
.LBB6_1570:
	s_or_b64 exec, exec, s[6:7]
	s_and_saveexec_b64 s[6:7], s[4:5]
	s_cbranch_execz .LBB6_1572
.LBB6_1571:
	v_and_b32_e32 v2, 7, v7
	v_ffbh_u32_e32 v12, v2
	v_min_u32_e32 v12, 32, v12
	v_lshrrev_b16_e32 v6, 3, v7
	v_subrev_u32_e32 v13, 28, v12
	v_and_b32_e32 v6, 15, v6
	v_lshlrev_b32_e32 v13, v13, v7
	v_sub_u32_e32 v12, 29, v12
	v_and_b32_e32 v13, 7, v13
	v_cmp_eq_u16_e32 vcc, 0, v6
	v_cndmask_b32_e32 v2, v2, v13, vcc
	v_cndmask_b32_e32 v6, v6, v12, vcc
	v_lshlrev_b32_e32 v12, 24, v7
	v_mov_b32_e32 v13, 0x3b800000
	v_lshlrev_b32_e32 v2, 20, v2
	v_and_b32_e32 v12, 0x80000000, v12
	v_lshl_add_u32 v6, v6, 23, v13
	v_or3_b32 v2, v12, v6, v2
.LBB6_1572:
	s_or_b64 exec, exec, s[6:7]
	s_movk_i32 s4, 0x7f
	v_cmp_gt_i16_sdwa s[6:7], v3, s4 src0_sel:BYTE_0 src1_sel:DWORD
	s_mov_b64 s[4:5], 0
                                        ; implicit-def: $sgpr10
	s_and_saveexec_b64 s[8:9], s[6:7]
	s_xor_b64 s[6:7], exec, s[8:9]
	s_cbranch_execnz .LBB6_3621
; %bb.1573:
	s_or_saveexec_b64 s[6:7], s[6:7]
	v_mov_b32_e32 v6, s10
	s_xor_b64 exec, exec, s[6:7]
	s_cbranch_execnz .LBB6_3624
.LBB6_1574:
	s_or_b64 exec, exec, s[6:7]
	s_and_saveexec_b64 s[6:7], s[4:5]
	s_cbranch_execz .LBB6_1576
.LBB6_1575:
	v_and_b32_e32 v6, 7, v3
	v_ffbh_u32_e32 v13, v6
	v_min_u32_e32 v13, 32, v13
	v_lshrrev_b16_e32 v12, 3, v3
	v_subrev_u32_e32 v14, 28, v13
	v_and_b32_e32 v12, 15, v12
	v_lshlrev_b32_e32 v14, v14, v3
	v_sub_u32_e32 v13, 29, v13
	v_and_b32_e32 v14, 7, v14
	v_cmp_eq_u16_e32 vcc, 0, v12
	v_cndmask_b32_e32 v6, v6, v14, vcc
	v_cndmask_b32_e32 v12, v12, v13, vcc
	v_lshlrev_b32_e32 v13, 24, v3
	v_mov_b32_e32 v14, 0x3b800000
	v_lshlrev_b32_e32 v6, 20, v6
	v_and_b32_e32 v13, 0x80000000, v13
	v_lshl_add_u32 v12, v12, 23, v14
	v_or3_b32 v6, v13, v12, v6
.LBB6_1576:
	s_or_b64 exec, exec, s[6:7]
	s_nop 0
	v_mfma_f32_16x16x4f32 a[0:3], v2, v6, a[0:3]
	v_lshrrev_b32_e32 v6, 8, v7
	s_movk_i32 s4, 0x7f
	v_cmp_gt_i16_sdwa s[6:7], v6, s4 src0_sel:BYTE_0 src1_sel:DWORD
	s_mov_b64 s[4:5], 0
                                        ; implicit-def: $sgpr10
	s_and_saveexec_b64 s[8:9], s[6:7]
	s_xor_b64 s[6:7], exec, s[8:9]
	s_cbranch_execnz .LBB6_3625
; %bb.1577:
	s_or_saveexec_b64 s[6:7], s[6:7]
	v_mov_b32_e32 v2, s10
	s_xor_b64 exec, exec, s[6:7]
	s_cbranch_execnz .LBB6_3628
.LBB6_1578:
	s_or_b64 exec, exec, s[6:7]
	s_and_saveexec_b64 s[6:7], s[4:5]
	s_cbranch_execz .LBB6_1580
.LBB6_1579:
	v_bfe_u32 v2, v7, 8, 3
	v_ffbh_u32_e32 v13, v2
	v_min_u32_e32 v13, 32, v13
	v_lshrrev_b16_e32 v12, 3, v6
	v_subrev_u32_e32 v14, 28, v13
	v_and_b32_e32 v12, 15, v12
	v_lshlrev_b32_e32 v6, v14, v6
	v_sub_u32_e32 v13, 29, v13
	v_and_b32_e32 v6, 7, v6
	v_cmp_eq_u16_e32 vcc, 0, v12
	v_cndmask_b32_e32 v2, v2, v6, vcc
	v_cndmask_b32_e32 v6, v12, v13, vcc
	v_lshlrev_b32_e32 v12, 16, v7
	v_mov_b32_e32 v13, 0x3b800000
	v_lshlrev_b32_e32 v2, 20, v2
	v_and_b32_e32 v12, 0x80000000, v12
	v_lshl_add_u32 v6, v6, 23, v13
	v_or3_b32 v2, v12, v6, v2
.LBB6_1580:
	s_or_b64 exec, exec, s[6:7]
	v_lshrrev_b32_e32 v6, 8, v3
	s_movk_i32 s4, 0x7f
	v_cmp_gt_i16_sdwa s[6:7], v6, s4 src0_sel:BYTE_0 src1_sel:DWORD
	s_mov_b64 s[4:5], 0
                                        ; implicit-def: $sgpr10
	s_and_saveexec_b64 s[8:9], s[6:7]
	s_xor_b64 s[6:7], exec, s[8:9]
	s_cbranch_execnz .LBB6_3629
; %bb.1581:
	s_or_saveexec_b64 s[6:7], s[6:7]
	v_mov_b32_e32 v12, s10
	s_xor_b64 exec, exec, s[6:7]
	s_cbranch_execnz .LBB6_3632
.LBB6_1582:
	s_or_b64 exec, exec, s[6:7]
	s_and_saveexec_b64 s[6:7], s[4:5]
	s_cbranch_execz .LBB6_1584
.LBB6_1583:
	v_bfe_u32 v12, v3, 8, 3
	v_ffbh_u32_e32 v14, v12
	v_min_u32_e32 v14, 32, v14
	v_lshrrev_b16_e32 v13, 3, v6
	v_subrev_u32_e32 v15, 28, v14
	v_and_b32_e32 v13, 15, v13
	v_lshlrev_b32_e32 v6, v15, v6
	v_sub_u32_e32 v14, 29, v14
	v_and_b32_e32 v6, 7, v6
	v_cmp_eq_u16_e32 vcc, 0, v13
	v_cndmask_b32_e32 v6, v12, v6, vcc
	v_cndmask_b32_e32 v12, v13, v14, vcc
	v_lshlrev_b32_e32 v13, 16, v3
	v_mov_b32_e32 v14, 0x3b800000
	v_lshlrev_b32_e32 v6, 20, v6
	v_and_b32_e32 v13, 0x80000000, v13
	v_lshl_add_u32 v12, v12, 23, v14
	v_or3_b32 v12, v13, v12, v6
.LBB6_1584:
	s_or_b64 exec, exec, s[6:7]
	s_nop 0
	v_mfma_f32_16x16x4f32 a[0:3], v2, v12, a[0:3]
	s_movk_i32 s4, 0xff
	v_and_b32_sdwa v6, v7, s4 dst_sel:DWORD dst_unused:UNUSED_PAD src0_sel:WORD_1 src1_sel:DWORD
	s_movk_i32 s4, 0x7f
	v_cmp_lt_i16_e32 vcc, s4, v6
	s_mov_b64 s[4:5], 0
                                        ; implicit-def: $sgpr10
	s_and_saveexec_b64 s[6:7], vcc
	s_xor_b64 s[6:7], exec, s[6:7]
	s_cbranch_execnz .LBB6_3633
; %bb.1585:
	s_or_saveexec_b64 s[6:7], s[6:7]
	v_mov_b32_e32 v2, s10
	s_xor_b64 exec, exec, s[6:7]
	s_cbranch_execnz .LBB6_3636
.LBB6_1586:
	s_or_b64 exec, exec, s[6:7]
	s_and_saveexec_b64 s[6:7], s[4:5]
	s_cbranch_execz .LBB6_1588
.LBB6_1587:
	v_bfe_u32 v2, v7, 16, 3
	v_ffbh_u32_e32 v13, v2
	v_min_u32_e32 v13, 32, v13
	v_lshrrev_b32_e32 v6, 19, v7
	v_subrev_u32_e32 v14, 28, v13
	v_and_b32_e32 v6, 15, v6
	v_lshlrev_b32_sdwa v14, v14, v7 dst_sel:DWORD dst_unused:UNUSED_PAD src0_sel:DWORD src1_sel:WORD_1
	v_bfe_u32 v12, v7, 19, 4
	v_sub_u32_e32 v13, 29, v13
	v_and_b32_e32 v14, 7, v14
	v_cmp_eq_u16_e32 vcc, 0, v6
	v_cndmask_b32_e32 v2, v2, v14, vcc
	v_cndmask_b32_e32 v6, v12, v13, vcc
	v_lshlrev_b32_e32 v12, 8, v7
	v_mov_b32_e32 v13, 0x3b800000
	v_lshlrev_b32_e32 v2, 20, v2
	v_and_b32_e32 v12, 0x80000000, v12
	v_lshl_add_u32 v6, v6, 23, v13
	v_or3_b32 v2, v12, v6, v2
.LBB6_1588:
	s_or_b64 exec, exec, s[6:7]
	s_movk_i32 s4, 0xff
	v_and_b32_sdwa v6, v3, s4 dst_sel:DWORD dst_unused:UNUSED_PAD src0_sel:WORD_1 src1_sel:DWORD
	s_movk_i32 s4, 0x7f
	v_cmp_lt_i16_e32 vcc, s4, v6
	s_mov_b64 s[4:5], 0
                                        ; implicit-def: $sgpr10
	s_and_saveexec_b64 s[6:7], vcc
	s_xor_b64 s[6:7], exec, s[6:7]
	s_cbranch_execnz .LBB6_3637
; %bb.1589:
	s_or_saveexec_b64 s[6:7], s[6:7]
	v_mov_b32_e32 v12, s10
	s_xor_b64 exec, exec, s[6:7]
	s_cbranch_execnz .LBB6_3640
.LBB6_1590:
	s_or_b64 exec, exec, s[6:7]
	s_and_saveexec_b64 s[6:7], s[4:5]
	s_cbranch_execz .LBB6_1592
.LBB6_1591:
	v_bfe_u32 v6, v3, 16, 3
	v_ffbh_u32_e32 v14, v6
	v_min_u32_e32 v14, 32, v14
	v_lshrrev_b32_e32 v12, 19, v3
	v_subrev_u32_e32 v15, 28, v14
	v_and_b32_e32 v12, 15, v12
	v_lshlrev_b32_sdwa v15, v15, v3 dst_sel:DWORD dst_unused:UNUSED_PAD src0_sel:DWORD src1_sel:WORD_1
	v_bfe_u32 v13, v3, 19, 4
	v_sub_u32_e32 v14, 29, v14
	v_and_b32_e32 v15, 7, v15
	v_cmp_eq_u16_e32 vcc, 0, v12
	v_cndmask_b32_e32 v6, v6, v15, vcc
	v_cndmask_b32_e32 v12, v13, v14, vcc
	v_lshlrev_b32_e32 v13, 8, v3
	v_mov_b32_e32 v14, 0x3b800000
	v_lshlrev_b32_e32 v6, 20, v6
	v_and_b32_e32 v13, 0x80000000, v13
	v_lshl_add_u32 v12, v12, 23, v14
	v_or3_b32 v12, v13, v12, v6
.LBB6_1592:
	s_or_b64 exec, exec, s[6:7]
	s_nop 0
	v_mfma_f32_16x16x4f32 a[0:3], v2, v12, a[0:3]
	s_movk_i32 s4, 0x7f
	v_cmp_gt_i16_sdwa s[6:7], v7, s4 src0_sel:BYTE_3 src1_sel:DWORD
	s_mov_b64 s[4:5], 0
                                        ; implicit-def: $sgpr10
	s_and_saveexec_b64 s[8:9], s[6:7]
	s_xor_b64 s[6:7], exec, s[8:9]
	s_cbranch_execnz .LBB6_3641
; %bb.1593:
	s_or_saveexec_b64 s[6:7], s[6:7]
	v_mov_b32_e32 v2, s10
	s_xor_b64 exec, exec, s[6:7]
	s_cbranch_execnz .LBB6_3644
.LBB6_1594:
	s_or_b64 exec, exec, s[6:7]
	s_and_saveexec_b64 s[6:7], s[4:5]
	s_cbranch_execz .LBB6_1596
.LBB6_1595:
	v_bfe_u32 v2, v7, 24, 3
	v_ffbh_u32_e32 v14, v2
	v_min_u32_e32 v14, 32, v14
	v_lshrrev_b32_e32 v12, 27, v7
	v_subrev_u32_e32 v15, 28, v14
	v_and_b32_e32 v6, 0x80000000, v7
	v_and_b32_e32 v12, 15, v12
	v_bfe_u32 v13, v7, 27, 4
	v_lshlrev_b32_sdwa v7, v15, v7 dst_sel:DWORD dst_unused:UNUSED_PAD src0_sel:DWORD src1_sel:BYTE_3
	v_sub_u32_e32 v14, 29, v14
	v_and_b32_e32 v7, 7, v7
	v_cmp_eq_u16_e32 vcc, 0, v12
	v_cndmask_b32_e32 v2, v2, v7, vcc
	v_cndmask_b32_e32 v7, v13, v14, vcc
	v_mov_b32_e32 v12, 0x3b800000
	v_lshlrev_b32_e32 v2, 20, v2
	v_lshl_add_u32 v7, v7, 23, v12
	v_or3_b32 v2, v6, v7, v2
.LBB6_1596:
	s_or_b64 exec, exec, s[6:7]
	s_movk_i32 s4, 0x7f
	v_cmp_gt_i16_sdwa s[6:7], v3, s4 src0_sel:BYTE_3 src1_sel:DWORD
	s_mov_b64 s[4:5], 0
                                        ; implicit-def: $sgpr10
	s_and_saveexec_b64 s[8:9], s[6:7]
	s_xor_b64 s[6:7], exec, s[8:9]
	s_cbranch_execnz .LBB6_3645
; %bb.1597:
	s_or_saveexec_b64 s[6:7], s[6:7]
	v_mov_b32_e32 v6, s10
	s_xor_b64 exec, exec, s[6:7]
	s_cbranch_execnz .LBB6_3648
.LBB6_1598:
	s_or_b64 exec, exec, s[6:7]
	s_and_saveexec_b64 s[6:7], s[4:5]
	s_cbranch_execz .LBB6_1600
.LBB6_1599:
	v_bfe_u32 v6, v3, 24, 3
	v_ffbh_u32_e32 v14, v6
	v_min_u32_e32 v14, 32, v14
	v_lshrrev_b32_e32 v12, 27, v3
	v_subrev_u32_e32 v15, 28, v14
	v_and_b32_e32 v7, 0x80000000, v3
	v_and_b32_e32 v12, 15, v12
	v_bfe_u32 v13, v3, 27, 4
	v_lshlrev_b32_sdwa v3, v15, v3 dst_sel:DWORD dst_unused:UNUSED_PAD src0_sel:DWORD src1_sel:BYTE_3
	v_sub_u32_e32 v14, 29, v14
	v_and_b32_e32 v3, 7, v3
	v_cmp_eq_u16_e32 vcc, 0, v12
	v_cndmask_b32_e32 v3, v6, v3, vcc
	v_cndmask_b32_e32 v6, v13, v14, vcc
	v_mov_b32_e32 v12, 0x3b800000
	v_lshlrev_b32_e32 v3, 20, v3
	v_lshl_add_u32 v6, v6, 23, v12
	v_or3_b32 v6, v7, v6, v3
.LBB6_1600:
	s_or_b64 exec, exec, s[6:7]
	s_nop 0
	v_mfma_f32_16x16x4f32 a[0:3], v2, v6, a[0:3]
	s_movk_i32 s4, 0x7f
	v_cmp_gt_i16_sdwa s[6:7], v8, s4 src0_sel:BYTE_0 src1_sel:DWORD
	s_mov_b64 s[4:5], 0
                                        ; implicit-def: $sgpr10
	s_and_saveexec_b64 s[8:9], s[6:7]
	s_xor_b64 s[6:7], exec, s[8:9]
	s_cbranch_execnz .LBB6_3649
; %bb.1601:
	s_or_saveexec_b64 s[6:7], s[6:7]
	v_mov_b32_e32 v2, s10
	s_xor_b64 exec, exec, s[6:7]
	s_cbranch_execnz .LBB6_3652
.LBB6_1602:
	s_or_b64 exec, exec, s[6:7]
	s_and_saveexec_b64 s[6:7], s[4:5]
	s_cbranch_execz .LBB6_1604
.LBB6_1603:
	v_and_b32_e32 v2, 7, v8
	v_ffbh_u32_e32 v6, v2
	v_min_u32_e32 v6, 32, v6
	v_lshrrev_b16_e32 v3, 3, v8
	v_subrev_u32_e32 v7, 28, v6
	v_and_b32_e32 v3, 15, v3
	v_lshlrev_b32_e32 v7, v7, v8
	v_sub_u32_e32 v6, 29, v6
	v_and_b32_e32 v7, 7, v7
	v_cmp_eq_u16_e32 vcc, 0, v3
	v_cndmask_b32_e32 v2, v2, v7, vcc
	v_cndmask_b32_e32 v3, v3, v6, vcc
	v_lshlrev_b32_e32 v6, 24, v8
	v_mov_b32_e32 v7, 0x3b800000
	v_lshlrev_b32_e32 v2, 20, v2
	v_and_b32_e32 v6, 0x80000000, v6
	v_lshl_add_u32 v3, v3, 23, v7
	v_or3_b32 v2, v6, v3, v2
.LBB6_1604:
	s_or_b64 exec, exec, s[6:7]
	s_movk_i32 s4, 0x7f
	v_cmp_gt_i16_sdwa s[6:7], v4, s4 src0_sel:BYTE_0 src1_sel:DWORD
	s_mov_b64 s[4:5], 0
                                        ; implicit-def: $sgpr10
	s_and_saveexec_b64 s[8:9], s[6:7]
	s_xor_b64 s[6:7], exec, s[8:9]
	s_cbranch_execnz .LBB6_3653
; %bb.1605:
	s_or_saveexec_b64 s[6:7], s[6:7]
	v_mov_b32_e32 v3, s10
	s_xor_b64 exec, exec, s[6:7]
	s_cbranch_execnz .LBB6_3656
.LBB6_1606:
	s_or_b64 exec, exec, s[6:7]
	s_and_saveexec_b64 s[6:7], s[4:5]
	s_cbranch_execz .LBB6_1608
.LBB6_1607:
	v_and_b32_e32 v3, 7, v4
	v_ffbh_u32_e32 v7, v3
	v_min_u32_e32 v7, 32, v7
	v_lshrrev_b16_e32 v6, 3, v4
	v_subrev_u32_e32 v12, 28, v7
	v_and_b32_e32 v6, 15, v6
	v_lshlrev_b32_e32 v12, v12, v4
	v_sub_u32_e32 v7, 29, v7
	v_and_b32_e32 v12, 7, v12
	v_cmp_eq_u16_e32 vcc, 0, v6
	v_cndmask_b32_e32 v3, v3, v12, vcc
	v_cndmask_b32_e32 v6, v6, v7, vcc
	v_lshlrev_b32_e32 v7, 24, v4
	v_mov_b32_e32 v12, 0x3b800000
	v_lshlrev_b32_e32 v3, 20, v3
	v_and_b32_e32 v7, 0x80000000, v7
	v_lshl_add_u32 v6, v6, 23, v12
	v_or3_b32 v3, v7, v6, v3
.LBB6_1608:
	s_or_b64 exec, exec, s[6:7]
	s_nop 0
	v_mfma_f32_16x16x4f32 a[0:3], v2, v3, a[0:3]
	v_lshrrev_b32_e32 v3, 8, v8
	s_movk_i32 s4, 0x7f
	v_cmp_gt_i16_sdwa s[6:7], v3, s4 src0_sel:BYTE_0 src1_sel:DWORD
	s_mov_b64 s[4:5], 0
                                        ; implicit-def: $sgpr10
	s_and_saveexec_b64 s[8:9], s[6:7]
	s_xor_b64 s[6:7], exec, s[8:9]
	s_cbranch_execnz .LBB6_3657
; %bb.1609:
	s_or_saveexec_b64 s[6:7], s[6:7]
	v_mov_b32_e32 v2, s10
	s_xor_b64 exec, exec, s[6:7]
	s_cbranch_execnz .LBB6_3660
.LBB6_1610:
	s_or_b64 exec, exec, s[6:7]
	s_and_saveexec_b64 s[6:7], s[4:5]
	s_cbranch_execz .LBB6_1612
.LBB6_1611:
	v_bfe_u32 v2, v8, 8, 3
	v_ffbh_u32_e32 v7, v2
	v_min_u32_e32 v7, 32, v7
	v_lshrrev_b16_e32 v6, 3, v3
	v_subrev_u32_e32 v12, 28, v7
	v_and_b32_e32 v6, 15, v6
	v_lshlrev_b32_e32 v3, v12, v3
	v_sub_u32_e32 v7, 29, v7
	v_and_b32_e32 v3, 7, v3
	v_cmp_eq_u16_e32 vcc, 0, v6
	v_cndmask_b32_e32 v2, v2, v3, vcc
	v_cndmask_b32_e32 v3, v6, v7, vcc
	v_lshlrev_b32_e32 v6, 16, v8
	v_mov_b32_e32 v7, 0x3b800000
	v_lshlrev_b32_e32 v2, 20, v2
	v_and_b32_e32 v6, 0x80000000, v6
	v_lshl_add_u32 v3, v3, 23, v7
	v_or3_b32 v2, v6, v3, v2
.LBB6_1612:
	s_or_b64 exec, exec, s[6:7]
	v_lshrrev_b32_e32 v3, 8, v4
	s_movk_i32 s4, 0x7f
	v_cmp_gt_i16_sdwa s[6:7], v3, s4 src0_sel:BYTE_0 src1_sel:DWORD
	s_mov_b64 s[4:5], 0
                                        ; implicit-def: $sgpr10
	s_and_saveexec_b64 s[8:9], s[6:7]
	s_xor_b64 s[6:7], exec, s[8:9]
	s_cbranch_execnz .LBB6_3661
; %bb.1613:
	s_or_saveexec_b64 s[6:7], s[6:7]
	v_mov_b32_e32 v6, s10
	s_xor_b64 exec, exec, s[6:7]
	s_cbranch_execnz .LBB6_3664
.LBB6_1614:
	s_or_b64 exec, exec, s[6:7]
	s_and_saveexec_b64 s[6:7], s[4:5]
	s_cbranch_execz .LBB6_1616
.LBB6_1615:
	v_bfe_u32 v6, v4, 8, 3
	v_ffbh_u32_e32 v12, v6
	v_min_u32_e32 v12, 32, v12
	v_lshrrev_b16_e32 v7, 3, v3
	v_subrev_u32_e32 v13, 28, v12
	v_and_b32_e32 v7, 15, v7
	v_lshlrev_b32_e32 v3, v13, v3
	v_sub_u32_e32 v12, 29, v12
	v_and_b32_e32 v3, 7, v3
	v_cmp_eq_u16_e32 vcc, 0, v7
	v_cndmask_b32_e32 v3, v6, v3, vcc
	v_cndmask_b32_e32 v6, v7, v12, vcc
	v_lshlrev_b32_e32 v7, 16, v4
	v_mov_b32_e32 v12, 0x3b800000
	v_lshlrev_b32_e32 v3, 20, v3
	v_and_b32_e32 v7, 0x80000000, v7
	v_lshl_add_u32 v6, v6, 23, v12
	v_or3_b32 v6, v7, v6, v3
.LBB6_1616:
	s_or_b64 exec, exec, s[6:7]
	s_nop 0
	v_mfma_f32_16x16x4f32 a[0:3], v2, v6, a[0:3]
	s_movk_i32 s4, 0xff
	v_and_b32_sdwa v3, v8, s4 dst_sel:DWORD dst_unused:UNUSED_PAD src0_sel:WORD_1 src1_sel:DWORD
	s_movk_i32 s4, 0x7f
	v_cmp_lt_i16_e32 vcc, s4, v3
	s_mov_b64 s[4:5], 0
                                        ; implicit-def: $sgpr10
	s_and_saveexec_b64 s[6:7], vcc
	s_xor_b64 s[6:7], exec, s[6:7]
	s_cbranch_execnz .LBB6_3665
; %bb.1617:
	s_or_saveexec_b64 s[6:7], s[6:7]
	v_mov_b32_e32 v2, s10
	s_xor_b64 exec, exec, s[6:7]
	s_cbranch_execnz .LBB6_3668
.LBB6_1618:
	s_or_b64 exec, exec, s[6:7]
	s_and_saveexec_b64 s[6:7], s[4:5]
	s_cbranch_execz .LBB6_1620
.LBB6_1619:
	v_bfe_u32 v2, v8, 16, 3
	v_ffbh_u32_e32 v7, v2
	v_min_u32_e32 v7, 32, v7
	v_lshrrev_b32_e32 v3, 19, v8
	v_subrev_u32_e32 v12, 28, v7
	v_and_b32_e32 v3, 15, v3
	v_lshlrev_b32_sdwa v12, v12, v8 dst_sel:DWORD dst_unused:UNUSED_PAD src0_sel:DWORD src1_sel:WORD_1
	v_bfe_u32 v6, v8, 19, 4
	v_sub_u32_e32 v7, 29, v7
	v_and_b32_e32 v12, 7, v12
	v_cmp_eq_u16_e32 vcc, 0, v3
	v_cndmask_b32_e32 v2, v2, v12, vcc
	v_cndmask_b32_e32 v3, v6, v7, vcc
	v_lshlrev_b32_e32 v6, 8, v8
	v_mov_b32_e32 v7, 0x3b800000
	v_lshlrev_b32_e32 v2, 20, v2
	v_and_b32_e32 v6, 0x80000000, v6
	v_lshl_add_u32 v3, v3, 23, v7
	v_or3_b32 v2, v6, v3, v2
.LBB6_1620:
	s_or_b64 exec, exec, s[6:7]
	s_movk_i32 s4, 0xff
	v_and_b32_sdwa v3, v4, s4 dst_sel:DWORD dst_unused:UNUSED_PAD src0_sel:WORD_1 src1_sel:DWORD
	s_movk_i32 s4, 0x7f
	v_cmp_lt_i16_e32 vcc, s4, v3
	s_mov_b64 s[4:5], 0
                                        ; implicit-def: $sgpr10
	s_and_saveexec_b64 s[6:7], vcc
	s_xor_b64 s[6:7], exec, s[6:7]
	s_cbranch_execnz .LBB6_3669
; %bb.1621:
	s_or_saveexec_b64 s[6:7], s[6:7]
	v_mov_b32_e32 v6, s10
	s_xor_b64 exec, exec, s[6:7]
	s_cbranch_execnz .LBB6_3672
.LBB6_1622:
	s_or_b64 exec, exec, s[6:7]
	s_and_saveexec_b64 s[6:7], s[4:5]
	s_cbranch_execz .LBB6_1624
.LBB6_1623:
	v_bfe_u32 v3, v4, 16, 3
	v_ffbh_u32_e32 v12, v3
	v_min_u32_e32 v12, 32, v12
	v_lshrrev_b32_e32 v6, 19, v4
	v_subrev_u32_e32 v13, 28, v12
	v_and_b32_e32 v6, 15, v6
	v_lshlrev_b32_sdwa v13, v13, v4 dst_sel:DWORD dst_unused:UNUSED_PAD src0_sel:DWORD src1_sel:WORD_1
	v_bfe_u32 v7, v4, 19, 4
	v_sub_u32_e32 v12, 29, v12
	v_and_b32_e32 v13, 7, v13
	v_cmp_eq_u16_e32 vcc, 0, v6
	v_cndmask_b32_e32 v3, v3, v13, vcc
	v_cndmask_b32_e32 v6, v7, v12, vcc
	v_lshlrev_b32_e32 v7, 8, v4
	v_mov_b32_e32 v12, 0x3b800000
	v_lshlrev_b32_e32 v3, 20, v3
	v_and_b32_e32 v7, 0x80000000, v7
	v_lshl_add_u32 v6, v6, 23, v12
	v_or3_b32 v6, v7, v6, v3
.LBB6_1624:
	s_or_b64 exec, exec, s[6:7]
	s_nop 0
	v_mfma_f32_16x16x4f32 a[0:3], v2, v6, a[0:3]
	s_movk_i32 s4, 0x7f
	v_cmp_gt_i16_sdwa s[6:7], v8, s4 src0_sel:BYTE_3 src1_sel:DWORD
	s_mov_b64 s[4:5], 0
                                        ; implicit-def: $sgpr10
	s_and_saveexec_b64 s[8:9], s[6:7]
	s_xor_b64 s[6:7], exec, s[8:9]
	s_cbranch_execnz .LBB6_3673
; %bb.1625:
	s_or_saveexec_b64 s[6:7], s[6:7]
	v_mov_b32_e32 v2, s10
	s_xor_b64 exec, exec, s[6:7]
	s_cbranch_execnz .LBB6_3676
.LBB6_1626:
	s_or_b64 exec, exec, s[6:7]
	s_and_saveexec_b64 s[6:7], s[4:5]
	s_cbranch_execz .LBB6_1628
.LBB6_1627:
	v_bfe_u32 v2, v8, 24, 3
	v_ffbh_u32_e32 v12, v2
	v_min_u32_e32 v12, 32, v12
	v_lshrrev_b32_e32 v6, 27, v8
	v_subrev_u32_e32 v13, 28, v12
	v_and_b32_e32 v3, 0x80000000, v8
	v_and_b32_e32 v6, 15, v6
	v_bfe_u32 v7, v8, 27, 4
	v_lshlrev_b32_sdwa v8, v13, v8 dst_sel:DWORD dst_unused:UNUSED_PAD src0_sel:DWORD src1_sel:BYTE_3
	v_sub_u32_e32 v12, 29, v12
	v_and_b32_e32 v8, 7, v8
	v_cmp_eq_u16_e32 vcc, 0, v6
	v_cndmask_b32_e32 v2, v2, v8, vcc
	v_cndmask_b32_e32 v6, v7, v12, vcc
	v_mov_b32_e32 v7, 0x3b800000
	v_lshlrev_b32_e32 v2, 20, v2
	v_lshl_add_u32 v6, v6, 23, v7
	v_or3_b32 v2, v3, v6, v2
.LBB6_1628:
	s_or_b64 exec, exec, s[6:7]
	s_movk_i32 s4, 0x7f
	v_cmp_gt_i16_sdwa s[6:7], v4, s4 src0_sel:BYTE_3 src1_sel:DWORD
	s_mov_b64 s[4:5], 0
                                        ; implicit-def: $sgpr10
	s_and_saveexec_b64 s[8:9], s[6:7]
	s_xor_b64 s[6:7], exec, s[8:9]
	s_cbranch_execnz .LBB6_3677
; %bb.1629:
	s_or_saveexec_b64 s[6:7], s[6:7]
	v_mov_b32_e32 v3, s10
	s_xor_b64 exec, exec, s[6:7]
	s_cbranch_execnz .LBB6_3680
.LBB6_1630:
	s_or_b64 exec, exec, s[6:7]
	s_and_saveexec_b64 s[6:7], s[4:5]
	s_cbranch_execz .LBB6_1632
.LBB6_1631:
	v_bfe_u32 v3, v4, 24, 3
	v_ffbh_u32_e32 v12, v3
	v_min_u32_e32 v12, 32, v12
	v_lshrrev_b32_e32 v7, 27, v4
	v_subrev_u32_e32 v13, 28, v12
	v_and_b32_e32 v6, 0x80000000, v4
	v_and_b32_e32 v7, 15, v7
	v_bfe_u32 v8, v4, 27, 4
	v_lshlrev_b32_sdwa v4, v13, v4 dst_sel:DWORD dst_unused:UNUSED_PAD src0_sel:DWORD src1_sel:BYTE_3
	v_sub_u32_e32 v12, 29, v12
	v_and_b32_e32 v4, 7, v4
	v_cmp_eq_u16_e32 vcc, 0, v7
	v_cndmask_b32_e32 v3, v3, v4, vcc
	v_cndmask_b32_e32 v4, v8, v12, vcc
	v_mov_b32_e32 v7, 0x3b800000
	v_lshlrev_b32_e32 v3, 20, v3
	v_lshl_add_u32 v4, v4, 23, v7
	v_or3_b32 v3, v6, v4, v3
.LBB6_1632:
	s_or_b64 exec, exec, s[6:7]
	s_nop 0
	v_mfma_f32_16x16x4f32 a[0:3], v2, v3, a[0:3]
	s_movk_i32 s4, 0x7f
	v_cmp_gt_i16_sdwa s[6:7], v9, s4 src0_sel:BYTE_0 src1_sel:DWORD
	s_mov_b64 s[4:5], 0
                                        ; implicit-def: $sgpr10
	s_and_saveexec_b64 s[8:9], s[6:7]
	s_xor_b64 s[6:7], exec, s[8:9]
	s_cbranch_execnz .LBB6_3681
; %bb.1633:
	s_or_saveexec_b64 s[6:7], s[6:7]
	v_mov_b32_e32 v2, s10
	s_xor_b64 exec, exec, s[6:7]
	s_cbranch_execnz .LBB6_3684
.LBB6_1634:
	s_or_b64 exec, exec, s[6:7]
	s_and_saveexec_b64 s[6:7], s[4:5]
	s_cbranch_execz .LBB6_1636
.LBB6_1635:
	v_mov_b32_e32 v2, 8
	v_and_b32_e32 v3, 7, v9
	v_lshrrev_b32_sdwa v2, v2, v9 dst_sel:BYTE_1 dst_unused:UNUSED_PAD src0_sel:DWORD src1_sel:DWORD
	v_ffbh_u32_e32 v4, v3
	v_or_b32_sdwa v2, v9, v2 dst_sel:DWORD dst_unused:UNUSED_PAD src0_sel:BYTE_0 src1_sel:DWORD
	v_min_u32_e32 v4, 32, v4
	v_lshrrev_b16_e32 v2, 3, v2
	v_subrev_u32_e32 v6, 28, v4
	v_and_b32_e32 v2, 15, v2
	v_lshlrev_b32_e32 v6, v6, v9
	v_sub_u32_e32 v4, 29, v4
	v_and_b32_e32 v6, 7, v6
	v_cmp_eq_u16_e32 vcc, 0, v2
	v_cndmask_b32_e32 v3, v3, v6, vcc
	v_cndmask_b32_e32 v2, v2, v4, vcc
	v_lshlrev_b32_e32 v4, 24, v9
	v_mov_b32_e32 v6, 0x3b800000
	v_lshlrev_b32_e32 v3, 20, v3
	v_and_b32_e32 v4, 0x80000000, v4
	v_lshl_add_u32 v2, v2, 23, v6
	v_or3_b32 v2, v4, v2, v3
.LBB6_1636:
	s_or_b64 exec, exec, s[6:7]
	s_movk_i32 s4, 0x7f
	v_cmp_gt_i16_sdwa s[6:7], v5, s4 src0_sel:BYTE_0 src1_sel:DWORD
	s_mov_b64 s[4:5], 0
                                        ; implicit-def: $sgpr10
	s_and_saveexec_b64 s[8:9], s[6:7]
	s_xor_b64 s[6:7], exec, s[8:9]
	s_cbranch_execnz .LBB6_3685
; %bb.1637:
	s_or_saveexec_b64 s[6:7], s[6:7]
	v_mov_b32_e32 v3, s10
	s_xor_b64 exec, exec, s[6:7]
	s_cbranch_execnz .LBB6_3688
.LBB6_1638:
	s_or_b64 exec, exec, s[6:7]
	s_and_saveexec_b64 s[6:7], s[4:5]
	s_cbranch_execz .LBB6_1640
.LBB6_1639:
	v_mov_b32_e32 v3, 8
	v_and_b32_e32 v4, 7, v5
	v_lshrrev_b32_sdwa v3, v3, v5 dst_sel:BYTE_1 dst_unused:UNUSED_PAD src0_sel:DWORD src1_sel:DWORD
	v_ffbh_u32_e32 v6, v4
	v_or_b32_sdwa v3, v5, v3 dst_sel:DWORD dst_unused:UNUSED_PAD src0_sel:BYTE_0 src1_sel:DWORD
	v_min_u32_e32 v6, 32, v6
	v_lshrrev_b16_e32 v3, 3, v3
	v_subrev_u32_e32 v7, 28, v6
	v_and_b32_e32 v3, 15, v3
	v_lshlrev_b32_e32 v7, v7, v5
	v_sub_u32_e32 v6, 29, v6
	v_and_b32_e32 v7, 7, v7
	v_cmp_eq_u16_e32 vcc, 0, v3
	v_cndmask_b32_e32 v4, v4, v7, vcc
	v_cndmask_b32_e32 v3, v3, v6, vcc
	v_lshlrev_b32_e32 v6, 24, v5
	v_mov_b32_e32 v7, 0x3b800000
	v_lshlrev_b32_e32 v4, 20, v4
	v_and_b32_e32 v6, 0x80000000, v6
	v_lshl_add_u32 v3, v3, 23, v7
	v_or3_b32 v3, v6, v3, v4
.LBB6_1640:
	s_or_b64 exec, exec, s[6:7]
	s_nop 0
	v_mfma_f32_16x16x4f32 a[0:3], v2, v3, a[0:3]
	v_lshrrev_b32_e32 v3, 8, v9
	s_movk_i32 s4, 0x7f
	v_cmp_gt_i16_sdwa s[6:7], v3, s4 src0_sel:BYTE_0 src1_sel:DWORD
	s_mov_b64 s[4:5], 0
                                        ; implicit-def: $sgpr10
	s_and_saveexec_b64 s[8:9], s[6:7]
	s_xor_b64 s[6:7], exec, s[8:9]
	s_cbranch_execnz .LBB6_3689
; %bb.1641:
	s_or_saveexec_b64 s[6:7], s[6:7]
	v_mov_b32_e32 v2, s10
	s_xor_b64 exec, exec, s[6:7]
	s_cbranch_execnz .LBB6_3692
.LBB6_1642:
	s_or_b64 exec, exec, s[6:7]
	s_and_saveexec_b64 s[6:7], s[4:5]
	s_cbranch_execz .LBB6_1644
.LBB6_1643:
	v_bfe_u32 v2, v9, 8, 3
	v_ffbh_u32_e32 v6, v2
	v_min_u32_e32 v6, 32, v6
	v_lshrrev_b16_e32 v4, 3, v3
	v_subrev_u32_e32 v7, 28, v6
	v_and_b32_e32 v4, 15, v4
	v_lshlrev_b32_e32 v3, v7, v3
	v_sub_u32_e32 v6, 29, v6
	v_and_b32_e32 v3, 7, v3
	v_cmp_eq_u16_e32 vcc, 0, v4
	v_cndmask_b32_e32 v2, v2, v3, vcc
	v_cndmask_b32_e32 v3, v4, v6, vcc
	v_lshlrev_b32_e32 v4, 16, v9
	v_mov_b32_e32 v6, 0x3b800000
	v_lshlrev_b32_e32 v2, 20, v2
	v_and_b32_e32 v4, 0x80000000, v4
	v_lshl_add_u32 v3, v3, 23, v6
	v_or3_b32 v2, v4, v3, v2
.LBB6_1644:
	s_or_b64 exec, exec, s[6:7]
	v_lshrrev_b32_e32 v3, 8, v5
	s_movk_i32 s4, 0x7f
	v_cmp_gt_i16_sdwa s[6:7], v3, s4 src0_sel:BYTE_0 src1_sel:DWORD
	s_mov_b64 s[4:5], 0
                                        ; implicit-def: $sgpr10
	s_and_saveexec_b64 s[8:9], s[6:7]
	s_xor_b64 s[6:7], exec, s[8:9]
	s_cbranch_execnz .LBB6_3693
; %bb.1645:
	s_or_saveexec_b64 s[6:7], s[6:7]
	v_mov_b32_e32 v4, s10
	s_xor_b64 exec, exec, s[6:7]
	s_cbranch_execnz .LBB6_3696
.LBB6_1646:
	s_or_b64 exec, exec, s[6:7]
	s_and_saveexec_b64 s[6:7], s[4:5]
	s_cbranch_execz .LBB6_1648
.LBB6_1647:
	v_bfe_u32 v4, v5, 8, 3
	v_ffbh_u32_e32 v7, v4
	v_min_u32_e32 v7, 32, v7
	v_lshrrev_b16_e32 v6, 3, v3
	v_subrev_u32_e32 v8, 28, v7
	v_and_b32_e32 v6, 15, v6
	v_lshlrev_b32_e32 v3, v8, v3
	v_sub_u32_e32 v7, 29, v7
	v_and_b32_e32 v3, 7, v3
	v_cmp_eq_u16_e32 vcc, 0, v6
	v_cndmask_b32_e32 v3, v4, v3, vcc
	v_cndmask_b32_e32 v4, v6, v7, vcc
	v_lshlrev_b32_e32 v6, 16, v5
	v_mov_b32_e32 v7, 0x3b800000
	v_lshlrev_b32_e32 v3, 20, v3
	v_and_b32_e32 v6, 0x80000000, v6
	v_lshl_add_u32 v4, v4, 23, v7
	v_or3_b32 v4, v6, v4, v3
.LBB6_1648:
	s_or_b64 exec, exec, s[6:7]
	s_nop 0
	v_mfma_f32_16x16x4f32 a[0:3], v2, v4, a[0:3]
	s_movk_i32 s4, 0xff
	v_and_b32_sdwa v3, v9, s4 dst_sel:DWORD dst_unused:UNUSED_PAD src0_sel:WORD_1 src1_sel:DWORD
	s_movk_i32 s4, 0x7f
	v_cmp_lt_i16_e32 vcc, s4, v3
	s_mov_b64 s[4:5], 0
                                        ; implicit-def: $sgpr10
	s_and_saveexec_b64 s[6:7], vcc
	s_xor_b64 s[6:7], exec, s[6:7]
	s_cbranch_execnz .LBB6_3697
; %bb.1649:
	s_or_saveexec_b64 s[6:7], s[6:7]
	v_mov_b32_e32 v2, s10
	s_xor_b64 exec, exec, s[6:7]
	s_cbranch_execnz .LBB6_3700
.LBB6_1650:
	s_or_b64 exec, exec, s[6:7]
	s_and_saveexec_b64 s[6:7], s[4:5]
	s_cbranch_execz .LBB6_1652
.LBB6_1651:
	v_bfe_u32 v2, v9, 16, 3
	v_ffbh_u32_e32 v6, v2
	v_min_u32_e32 v6, 32, v6
	v_lshrrev_b32_e32 v3, 19, v9
	v_subrev_u32_e32 v7, 28, v6
	v_and_b32_e32 v3, 15, v3
	v_lshlrev_b32_sdwa v7, v7, v9 dst_sel:DWORD dst_unused:UNUSED_PAD src0_sel:DWORD src1_sel:WORD_1
	v_bfe_u32 v4, v9, 19, 4
	v_sub_u32_e32 v6, 29, v6
	v_and_b32_e32 v7, 7, v7
	v_cmp_eq_u16_e32 vcc, 0, v3
	v_cndmask_b32_e32 v2, v2, v7, vcc
	v_cndmask_b32_e32 v3, v4, v6, vcc
	v_lshlrev_b32_e32 v4, 8, v9
	v_mov_b32_e32 v6, 0x3b800000
	v_lshlrev_b32_e32 v2, 20, v2
	v_and_b32_e32 v4, 0x80000000, v4
	v_lshl_add_u32 v3, v3, 23, v6
	v_or3_b32 v2, v4, v3, v2
.LBB6_1652:
	s_or_b64 exec, exec, s[6:7]
	s_movk_i32 s4, 0xff
	v_and_b32_sdwa v3, v5, s4 dst_sel:DWORD dst_unused:UNUSED_PAD src0_sel:WORD_1 src1_sel:DWORD
	s_movk_i32 s4, 0x7f
	v_cmp_lt_i16_e32 vcc, s4, v3
	s_mov_b64 s[4:5], 0
                                        ; implicit-def: $sgpr10
	s_and_saveexec_b64 s[6:7], vcc
	s_xor_b64 s[6:7], exec, s[6:7]
	s_cbranch_execnz .LBB6_3701
; %bb.1653:
	s_or_saveexec_b64 s[6:7], s[6:7]
	v_mov_b32_e32 v4, s10
	s_xor_b64 exec, exec, s[6:7]
	s_cbranch_execnz .LBB6_3704
.LBB6_1654:
	s_or_b64 exec, exec, s[6:7]
	s_and_saveexec_b64 s[6:7], s[4:5]
	s_cbranch_execz .LBB6_1656
.LBB6_1655:
	v_bfe_u32 v3, v5, 16, 3
	v_ffbh_u32_e32 v7, v3
	v_min_u32_e32 v7, 32, v7
	v_lshrrev_b32_e32 v4, 19, v5
	v_subrev_u32_e32 v8, 28, v7
	v_and_b32_e32 v4, 15, v4
	v_lshlrev_b32_sdwa v8, v8, v5 dst_sel:DWORD dst_unused:UNUSED_PAD src0_sel:DWORD src1_sel:WORD_1
	v_bfe_u32 v6, v5, 19, 4
	v_sub_u32_e32 v7, 29, v7
	v_and_b32_e32 v8, 7, v8
	v_cmp_eq_u16_e32 vcc, 0, v4
	v_cndmask_b32_e32 v3, v3, v8, vcc
	v_cndmask_b32_e32 v4, v6, v7, vcc
	v_lshlrev_b32_e32 v6, 8, v5
	v_mov_b32_e32 v7, 0x3b800000
	v_lshlrev_b32_e32 v3, 20, v3
	v_and_b32_e32 v6, 0x80000000, v6
	v_lshl_add_u32 v4, v4, 23, v7
	v_or3_b32 v4, v6, v4, v3
.LBB6_1656:
	s_or_b64 exec, exec, s[6:7]
	s_nop 0
	v_mfma_f32_16x16x4f32 a[0:3], v2, v4, a[0:3]
	s_movk_i32 s4, 0x7f
	v_cmp_gt_i16_sdwa s[6:7], v9, s4 src0_sel:BYTE_3 src1_sel:DWORD
	s_mov_b64 s[4:5], 0
                                        ; implicit-def: $sgpr10
	s_and_saveexec_b64 s[8:9], s[6:7]
	s_xor_b64 s[6:7], exec, s[8:9]
	s_cbranch_execnz .LBB6_3705
; %bb.1657:
	s_or_saveexec_b64 s[6:7], s[6:7]
	v_mov_b32_e32 v2, s10
	s_xor_b64 exec, exec, s[6:7]
	s_cbranch_execnz .LBB6_3708
.LBB6_1658:
	s_or_b64 exec, exec, s[6:7]
	s_and_saveexec_b64 s[6:7], s[4:5]
	s_cbranch_execz .LBB6_1660
.LBB6_1659:
	v_bfe_u32 v2, v9, 24, 3
	v_ffbh_u32_e32 v7, v2
	v_min_u32_e32 v7, 32, v7
	v_lshrrev_b32_e32 v4, 27, v9
	v_subrev_u32_e32 v8, 28, v7
	v_and_b32_e32 v4, 15, v4
	v_lshlrev_b32_sdwa v8, v8, v9 dst_sel:DWORD dst_unused:UNUSED_PAD src0_sel:DWORD src1_sel:BYTE_3
	v_bfe_u32 v6, v9, 27, 4
	v_sub_u32_e32 v7, 29, v7
	v_and_b32_e32 v8, 7, v8
	v_cmp_eq_u16_e32 vcc, 0, v4
	v_cndmask_b32_e32 v2, v2, v8, vcc
	v_cndmask_b32_e32 v4, v6, v7, vcc
	v_mov_b32_e32 v6, 0x3b800000
	v_and_b32_e32 v3, 0x80000000, v9
	v_lshlrev_b32_e32 v2, 20, v2
	v_lshl_add_u32 v4, v4, 23, v6
	v_or3_b32 v2, v3, v4, v2
.LBB6_1660:
	s_or_b64 exec, exec, s[6:7]
	s_movk_i32 s4, 0x7f
	v_cmp_gt_i16_sdwa s[6:7], v5, s4 src0_sel:BYTE_3 src1_sel:DWORD
	s_mov_b64 s[4:5], 0
                                        ; implicit-def: $sgpr10
	s_and_saveexec_b64 s[8:9], s[6:7]
	s_xor_b64 s[6:7], exec, s[8:9]
	s_cbranch_execnz .LBB6_3709
; %bb.1661:
	s_or_saveexec_b64 s[6:7], s[6:7]
	v_mov_b32_e32 v3, s10
	s_xor_b64 exec, exec, s[6:7]
	s_cbranch_execnz .LBB6_3712
.LBB6_1662:
	s_or_b64 exec, exec, s[6:7]
	s_and_saveexec_b64 s[6:7], s[4:5]
	s_cbranch_execz .LBB6_1664
.LBB6_1663:
	v_bfe_u32 v3, v5, 24, 3
	v_ffbh_u32_e32 v8, v3
	v_min_u32_e32 v8, 32, v8
	v_lshrrev_b32_e32 v6, 27, v5
	v_subrev_u32_e32 v9, 28, v8
	v_and_b32_e32 v4, 0x80000000, v5
	v_and_b32_e32 v6, 15, v6
	v_bfe_u32 v7, v5, 27, 4
	v_lshlrev_b32_sdwa v5, v9, v5 dst_sel:DWORD dst_unused:UNUSED_PAD src0_sel:DWORD src1_sel:BYTE_3
	v_sub_u32_e32 v8, 29, v8
	v_and_b32_e32 v5, 7, v5
	v_cmp_eq_u16_e32 vcc, 0, v6
	v_cndmask_b32_e32 v3, v3, v5, vcc
	v_cndmask_b32_e32 v5, v7, v8, vcc
	v_mov_b32_e32 v6, 0x3b800000
	v_lshlrev_b32_e32 v3, 20, v3
	v_lshl_add_u32 v5, v5, 23, v6
	v_or3_b32 v3, v4, v5, v3
.LBB6_1664:
	s_or_b64 exec, exec, s[6:7]
	s_nop 0
	v_mfma_f32_16x16x4f32 a[0:3], v2, v3, a[0:3]
	s_movk_i32 s4, 0x7f
                                        ; implicit-def: $sgpr10
	s_nop 7
	s_nop 1
	flat_store_dwordx4 v[10:11], a[0:3] offset:192
	flat_load_dwordx4 v[12:15], v[0:1] offset:8
	s_nop 0
	flat_load_dwordx2 v[10:11], v[0:1] offset:32
	s_waitcnt vmcnt(0) lgkmcnt(0)
	flat_load_dwordx4 v[6:9], v[12:13] offset:112
	flat_load_dwordx4 v[2:5], v[14:15] offset:48
	s_waitcnt vmcnt(0) lgkmcnt(0)
	v_cmp_gt_i16_sdwa s[6:7], v6, s4 src0_sel:BYTE_0 src1_sel:DWORD
	s_mov_b64 s[4:5], 0
	s_and_saveexec_b64 s[8:9], s[6:7]
	s_xor_b64 s[6:7], exec, s[8:9]
	s_cbranch_execnz .LBB6_3713
; %bb.1665:
	s_or_saveexec_b64 s[6:7], s[6:7]
	v_mov_b32_e32 v12, s10
	s_xor_b64 exec, exec, s[6:7]
	s_cbranch_execnz .LBB6_3716
.LBB6_1666:
	s_or_b64 exec, exec, s[6:7]
	s_and_saveexec_b64 s[6:7], s[4:5]
	s_cbranch_execz .LBB6_1668
.LBB6_1667:
	v_and_b32_e32 v12, 7, v6
	v_ffbh_u32_e32 v14, v12
	v_min_u32_e32 v14, 32, v14
	v_lshrrev_b16_e32 v13, 3, v6
	v_subrev_u32_e32 v15, 28, v14
	v_and_b32_e32 v13, 15, v13
	v_lshlrev_b32_e32 v15, v15, v6
	v_sub_u32_e32 v14, 29, v14
	v_and_b32_e32 v15, 7, v15
	v_cmp_eq_u16_e32 vcc, 0, v13
	v_cndmask_b32_e32 v12, v12, v15, vcc
	v_cndmask_b32_e32 v13, v13, v14, vcc
	v_lshlrev_b32_e32 v14, 24, v6
	v_mov_b32_e32 v15, 0x3b800000
	v_lshlrev_b32_e32 v12, 20, v12
	v_and_b32_e32 v14, 0x80000000, v14
	v_lshl_add_u32 v13, v13, 23, v15
	v_or3_b32 v12, v14, v13, v12
.LBB6_1668:
	s_or_b64 exec, exec, s[6:7]
	s_movk_i32 s4, 0x7f
	v_cmp_gt_i16_sdwa s[6:7], v2, s4 src0_sel:BYTE_0 src1_sel:DWORD
	s_mov_b64 s[4:5], 0
                                        ; implicit-def: $sgpr10
	s_and_saveexec_b64 s[8:9], s[6:7]
	s_xor_b64 s[6:7], exec, s[8:9]
	s_cbranch_execnz .LBB6_3717
; %bb.1669:
	s_or_saveexec_b64 s[6:7], s[6:7]
	v_mov_b32_e32 v13, s10
	s_xor_b64 exec, exec, s[6:7]
	s_cbranch_execnz .LBB6_3720
.LBB6_1670:
	s_or_b64 exec, exec, s[6:7]
	s_and_saveexec_b64 s[6:7], s[4:5]
	s_cbranch_execz .LBB6_1672
.LBB6_1671:
	v_and_b32_e32 v13, 7, v2
	v_ffbh_u32_e32 v15, v13
	v_min_u32_e32 v15, 32, v15
	v_lshrrev_b16_e32 v14, 3, v2
	v_subrev_u32_e32 v16, 28, v15
	v_and_b32_e32 v14, 15, v14
	v_lshlrev_b32_e32 v16, v16, v2
	v_sub_u32_e32 v15, 29, v15
	v_and_b32_e32 v16, 7, v16
	v_cmp_eq_u16_e32 vcc, 0, v14
	v_cndmask_b32_e32 v13, v13, v16, vcc
	v_cndmask_b32_e32 v14, v14, v15, vcc
	v_lshlrev_b32_e32 v15, 24, v2
	v_mov_b32_e32 v16, 0x3b800000
	v_lshlrev_b32_e32 v13, 20, v13
	v_and_b32_e32 v15, 0x80000000, v15
	v_lshl_add_u32 v14, v14, 23, v16
	v_or3_b32 v13, v15, v14, v13
.LBB6_1672:
	s_or_b64 exec, exec, s[6:7]
	flat_load_dwordx4 a[0:3], v[10:11] offset:208
	s_movk_i32 s4, 0x7f
                                        ; implicit-def: $sgpr10
	s_waitcnt vmcnt(0) lgkmcnt(0)
	v_mfma_f32_16x16x4f32 a[0:3], v12, v13, a[0:3]
	v_lshrrev_b32_e32 v13, 8, v6
	v_cmp_gt_i16_sdwa s[6:7], v13, s4 src0_sel:BYTE_0 src1_sel:DWORD
	s_mov_b64 s[4:5], 0
	s_and_saveexec_b64 s[8:9], s[6:7]
	s_xor_b64 s[6:7], exec, s[8:9]
	s_cbranch_execnz .LBB6_3721
; %bb.1673:
	s_or_saveexec_b64 s[6:7], s[6:7]
	v_mov_b32_e32 v12, s10
	s_xor_b64 exec, exec, s[6:7]
	s_cbranch_execnz .LBB6_3724
.LBB6_1674:
	s_or_b64 exec, exec, s[6:7]
	s_and_saveexec_b64 s[6:7], s[4:5]
	s_cbranch_execz .LBB6_1676
.LBB6_1675:
	v_bfe_u32 v12, v6, 8, 3
	v_ffbh_u32_e32 v15, v12
	v_min_u32_e32 v15, 32, v15
	v_lshrrev_b16_e32 v14, 3, v13
	v_subrev_u32_e32 v16, 28, v15
	v_and_b32_e32 v14, 15, v14
	v_lshlrev_b32_e32 v13, v16, v13
	v_sub_u32_e32 v15, 29, v15
	v_and_b32_e32 v13, 7, v13
	v_cmp_eq_u16_e32 vcc, 0, v14
	v_cndmask_b32_e32 v12, v12, v13, vcc
	v_cndmask_b32_e32 v13, v14, v15, vcc
	v_lshlrev_b32_e32 v14, 16, v6
	v_mov_b32_e32 v15, 0x3b800000
	v_lshlrev_b32_e32 v12, 20, v12
	v_and_b32_e32 v14, 0x80000000, v14
	v_lshl_add_u32 v13, v13, 23, v15
	v_or3_b32 v12, v14, v13, v12
.LBB6_1676:
	s_or_b64 exec, exec, s[6:7]
	v_lshrrev_b32_e32 v13, 8, v2
	s_movk_i32 s4, 0x7f
	v_cmp_gt_i16_sdwa s[6:7], v13, s4 src0_sel:BYTE_0 src1_sel:DWORD
	s_mov_b64 s[4:5], 0
                                        ; implicit-def: $sgpr10
	s_and_saveexec_b64 s[8:9], s[6:7]
	s_xor_b64 s[6:7], exec, s[8:9]
	s_cbranch_execnz .LBB6_3725
; %bb.1677:
	s_or_saveexec_b64 s[6:7], s[6:7]
	v_mov_b32_e32 v14, s10
	s_xor_b64 exec, exec, s[6:7]
	s_cbranch_execnz .LBB6_3728
.LBB6_1678:
	s_or_b64 exec, exec, s[6:7]
	s_and_saveexec_b64 s[6:7], s[4:5]
	s_cbranch_execz .LBB6_1680
.LBB6_1679:
	v_bfe_u32 v14, v2, 8, 3
	v_ffbh_u32_e32 v16, v14
	v_min_u32_e32 v16, 32, v16
	v_lshrrev_b16_e32 v15, 3, v13
	v_subrev_u32_e32 v17, 28, v16
	v_and_b32_e32 v15, 15, v15
	v_lshlrev_b32_e32 v13, v17, v13
	v_sub_u32_e32 v16, 29, v16
	v_and_b32_e32 v13, 7, v13
	v_cmp_eq_u16_e32 vcc, 0, v15
	v_cndmask_b32_e32 v13, v14, v13, vcc
	v_cndmask_b32_e32 v14, v15, v16, vcc
	v_lshlrev_b32_e32 v15, 16, v2
	v_mov_b32_e32 v16, 0x3b800000
	v_lshlrev_b32_e32 v13, 20, v13
	v_and_b32_e32 v15, 0x80000000, v15
	v_lshl_add_u32 v14, v14, 23, v16
	v_or3_b32 v14, v15, v14, v13
.LBB6_1680:
	s_or_b64 exec, exec, s[6:7]
	s_nop 0
	v_mfma_f32_16x16x4f32 a[0:3], v12, v14, a[0:3]
	s_movk_i32 s4, 0xff
	v_and_b32_sdwa v13, v6, s4 dst_sel:DWORD dst_unused:UNUSED_PAD src0_sel:WORD_1 src1_sel:DWORD
	s_movk_i32 s4, 0x7f
	v_cmp_lt_i16_e32 vcc, s4, v13
	s_mov_b64 s[4:5], 0
                                        ; implicit-def: $sgpr10
	s_and_saveexec_b64 s[6:7], vcc
	s_xor_b64 s[6:7], exec, s[6:7]
	s_cbranch_execnz .LBB6_3729
; %bb.1681:
	s_or_saveexec_b64 s[6:7], s[6:7]
	v_mov_b32_e32 v12, s10
	s_xor_b64 exec, exec, s[6:7]
	s_cbranch_execnz .LBB6_3732
.LBB6_1682:
	s_or_b64 exec, exec, s[6:7]
	s_and_saveexec_b64 s[6:7], s[4:5]
	s_cbranch_execz .LBB6_1684
.LBB6_1683:
	v_bfe_u32 v12, v6, 16, 3
	v_ffbh_u32_e32 v15, v12
	v_min_u32_e32 v15, 32, v15
	v_lshrrev_b32_e32 v13, 19, v6
	v_subrev_u32_e32 v16, 28, v15
	v_and_b32_e32 v13, 15, v13
	v_lshlrev_b32_sdwa v16, v16, v6 dst_sel:DWORD dst_unused:UNUSED_PAD src0_sel:DWORD src1_sel:WORD_1
	v_bfe_u32 v14, v6, 19, 4
	v_sub_u32_e32 v15, 29, v15
	v_and_b32_e32 v16, 7, v16
	v_cmp_eq_u16_e32 vcc, 0, v13
	v_cndmask_b32_e32 v12, v12, v16, vcc
	v_cndmask_b32_e32 v13, v14, v15, vcc
	v_lshlrev_b32_e32 v14, 8, v6
	v_mov_b32_e32 v15, 0x3b800000
	v_lshlrev_b32_e32 v12, 20, v12
	v_and_b32_e32 v14, 0x80000000, v14
	v_lshl_add_u32 v13, v13, 23, v15
	v_or3_b32 v12, v14, v13, v12
.LBB6_1684:
	s_or_b64 exec, exec, s[6:7]
	s_movk_i32 s4, 0xff
	v_and_b32_sdwa v13, v2, s4 dst_sel:DWORD dst_unused:UNUSED_PAD src0_sel:WORD_1 src1_sel:DWORD
	s_movk_i32 s4, 0x7f
	v_cmp_lt_i16_e32 vcc, s4, v13
	s_mov_b64 s[4:5], 0
                                        ; implicit-def: $sgpr10
	s_and_saveexec_b64 s[6:7], vcc
	s_xor_b64 s[6:7], exec, s[6:7]
	s_cbranch_execnz .LBB6_3733
; %bb.1685:
	s_or_saveexec_b64 s[6:7], s[6:7]
	v_mov_b32_e32 v14, s10
	s_xor_b64 exec, exec, s[6:7]
	s_cbranch_execnz .LBB6_3736
.LBB6_1686:
	s_or_b64 exec, exec, s[6:7]
	s_and_saveexec_b64 s[6:7], s[4:5]
	s_cbranch_execz .LBB6_1688
.LBB6_1687:
	v_bfe_u32 v13, v2, 16, 3
	v_ffbh_u32_e32 v16, v13
	v_min_u32_e32 v16, 32, v16
	v_lshrrev_b32_e32 v14, 19, v2
	v_subrev_u32_e32 v17, 28, v16
	v_and_b32_e32 v14, 15, v14
	v_lshlrev_b32_sdwa v17, v17, v2 dst_sel:DWORD dst_unused:UNUSED_PAD src0_sel:DWORD src1_sel:WORD_1
	v_bfe_u32 v15, v2, 19, 4
	v_sub_u32_e32 v16, 29, v16
	v_and_b32_e32 v17, 7, v17
	v_cmp_eq_u16_e32 vcc, 0, v14
	v_cndmask_b32_e32 v13, v13, v17, vcc
	v_cndmask_b32_e32 v14, v15, v16, vcc
	v_lshlrev_b32_e32 v15, 8, v2
	v_mov_b32_e32 v16, 0x3b800000
	v_lshlrev_b32_e32 v13, 20, v13
	v_and_b32_e32 v15, 0x80000000, v15
	v_lshl_add_u32 v14, v14, 23, v16
	v_or3_b32 v14, v15, v14, v13
.LBB6_1688:
	s_or_b64 exec, exec, s[6:7]
	s_nop 0
	v_mfma_f32_16x16x4f32 a[0:3], v12, v14, a[0:3]
	s_movk_i32 s4, 0x7f
	v_cmp_gt_i16_sdwa s[6:7], v6, s4 src0_sel:BYTE_3 src1_sel:DWORD
	s_mov_b64 s[4:5], 0
                                        ; implicit-def: $sgpr10
	s_and_saveexec_b64 s[8:9], s[6:7]
	s_xor_b64 s[6:7], exec, s[8:9]
	s_cbranch_execnz .LBB6_3737
; %bb.1689:
	s_or_saveexec_b64 s[6:7], s[6:7]
	v_mov_b32_e32 v12, s10
	s_xor_b64 exec, exec, s[6:7]
	s_cbranch_execnz .LBB6_3740
.LBB6_1690:
	s_or_b64 exec, exec, s[6:7]
	s_and_saveexec_b64 s[6:7], s[4:5]
	s_cbranch_execz .LBB6_1692
.LBB6_1691:
	v_bfe_u32 v12, v6, 24, 3
	v_ffbh_u32_e32 v16, v12
	v_min_u32_e32 v16, 32, v16
	v_lshrrev_b32_e32 v14, 27, v6
	v_subrev_u32_e32 v17, 28, v16
	v_and_b32_e32 v13, 0x80000000, v6
	v_and_b32_e32 v14, 15, v14
	v_bfe_u32 v15, v6, 27, 4
	v_lshlrev_b32_sdwa v6, v17, v6 dst_sel:DWORD dst_unused:UNUSED_PAD src0_sel:DWORD src1_sel:BYTE_3
	v_sub_u32_e32 v16, 29, v16
	v_and_b32_e32 v6, 7, v6
	v_cmp_eq_u16_e32 vcc, 0, v14
	v_cndmask_b32_e32 v6, v12, v6, vcc
	v_cndmask_b32_e32 v12, v15, v16, vcc
	v_mov_b32_e32 v14, 0x3b800000
	v_lshlrev_b32_e32 v6, 20, v6
	v_lshl_add_u32 v12, v12, 23, v14
	v_or3_b32 v12, v13, v12, v6
.LBB6_1692:
	s_or_b64 exec, exec, s[6:7]
	s_movk_i32 s4, 0x7f
	v_cmp_gt_i16_sdwa s[6:7], v2, s4 src0_sel:BYTE_3 src1_sel:DWORD
	s_mov_b64 s[4:5], 0
                                        ; implicit-def: $sgpr10
	s_and_saveexec_b64 s[8:9], s[6:7]
	s_xor_b64 s[6:7], exec, s[8:9]
	s_cbranch_execnz .LBB6_3741
; %bb.1693:
	s_or_saveexec_b64 s[6:7], s[6:7]
	v_mov_b32_e32 v6, s10
	s_xor_b64 exec, exec, s[6:7]
	s_cbranch_execnz .LBB6_3744
.LBB6_1694:
	s_or_b64 exec, exec, s[6:7]
	s_and_saveexec_b64 s[6:7], s[4:5]
	s_cbranch_execz .LBB6_1696
.LBB6_1695:
	v_bfe_u32 v6, v2, 24, 3
	v_ffbh_u32_e32 v16, v6
	v_min_u32_e32 v16, 32, v16
	v_lshrrev_b32_e32 v14, 27, v2
	v_subrev_u32_e32 v17, 28, v16
	v_and_b32_e32 v13, 0x80000000, v2
	v_and_b32_e32 v14, 15, v14
	v_bfe_u32 v15, v2, 27, 4
	v_lshlrev_b32_sdwa v2, v17, v2 dst_sel:DWORD dst_unused:UNUSED_PAD src0_sel:DWORD src1_sel:BYTE_3
	v_sub_u32_e32 v16, 29, v16
	v_and_b32_e32 v2, 7, v2
	v_cmp_eq_u16_e32 vcc, 0, v14
	v_cndmask_b32_e32 v2, v6, v2, vcc
	v_cndmask_b32_e32 v6, v15, v16, vcc
	v_mov_b32_e32 v14, 0x3b800000
	v_lshlrev_b32_e32 v2, 20, v2
	v_lshl_add_u32 v6, v6, 23, v14
	v_or3_b32 v6, v13, v6, v2
.LBB6_1696:
	s_or_b64 exec, exec, s[6:7]
	s_nop 0
	v_mfma_f32_16x16x4f32 a[0:3], v12, v6, a[0:3]
	s_movk_i32 s4, 0x7f
	v_cmp_gt_i16_sdwa s[6:7], v7, s4 src0_sel:BYTE_0 src1_sel:DWORD
	s_mov_b64 s[4:5], 0
                                        ; implicit-def: $sgpr10
	s_and_saveexec_b64 s[8:9], s[6:7]
	s_xor_b64 s[6:7], exec, s[8:9]
	s_cbranch_execnz .LBB6_3745
; %bb.1697:
	s_or_saveexec_b64 s[6:7], s[6:7]
	v_mov_b32_e32 v2, s10
	s_xor_b64 exec, exec, s[6:7]
	s_cbranch_execnz .LBB6_3748
.LBB6_1698:
	s_or_b64 exec, exec, s[6:7]
	s_and_saveexec_b64 s[6:7], s[4:5]
	s_cbranch_execz .LBB6_1700
.LBB6_1699:
	v_and_b32_e32 v2, 7, v7
	v_ffbh_u32_e32 v12, v2
	v_min_u32_e32 v12, 32, v12
	v_lshrrev_b16_e32 v6, 3, v7
	v_subrev_u32_e32 v13, 28, v12
	v_and_b32_e32 v6, 15, v6
	v_lshlrev_b32_e32 v13, v13, v7
	v_sub_u32_e32 v12, 29, v12
	v_and_b32_e32 v13, 7, v13
	v_cmp_eq_u16_e32 vcc, 0, v6
	v_cndmask_b32_e32 v2, v2, v13, vcc
	v_cndmask_b32_e32 v6, v6, v12, vcc
	v_lshlrev_b32_e32 v12, 24, v7
	v_mov_b32_e32 v13, 0x3b800000
	v_lshlrev_b32_e32 v2, 20, v2
	v_and_b32_e32 v12, 0x80000000, v12
	v_lshl_add_u32 v6, v6, 23, v13
	v_or3_b32 v2, v12, v6, v2
.LBB6_1700:
	s_or_b64 exec, exec, s[6:7]
	s_movk_i32 s4, 0x7f
	v_cmp_gt_i16_sdwa s[6:7], v3, s4 src0_sel:BYTE_0 src1_sel:DWORD
	s_mov_b64 s[4:5], 0
                                        ; implicit-def: $sgpr10
	s_and_saveexec_b64 s[8:9], s[6:7]
	s_xor_b64 s[6:7], exec, s[8:9]
	s_cbranch_execnz .LBB6_3749
; %bb.1701:
	s_or_saveexec_b64 s[6:7], s[6:7]
	v_mov_b32_e32 v6, s10
	s_xor_b64 exec, exec, s[6:7]
	s_cbranch_execnz .LBB6_3752
.LBB6_1702:
	s_or_b64 exec, exec, s[6:7]
	s_and_saveexec_b64 s[6:7], s[4:5]
	s_cbranch_execz .LBB6_1704
.LBB6_1703:
	v_and_b32_e32 v6, 7, v3
	v_ffbh_u32_e32 v13, v6
	v_min_u32_e32 v13, 32, v13
	v_lshrrev_b16_e32 v12, 3, v3
	v_subrev_u32_e32 v14, 28, v13
	v_and_b32_e32 v12, 15, v12
	v_lshlrev_b32_e32 v14, v14, v3
	v_sub_u32_e32 v13, 29, v13
	v_and_b32_e32 v14, 7, v14
	v_cmp_eq_u16_e32 vcc, 0, v12
	v_cndmask_b32_e32 v6, v6, v14, vcc
	v_cndmask_b32_e32 v12, v12, v13, vcc
	v_lshlrev_b32_e32 v13, 24, v3
	v_mov_b32_e32 v14, 0x3b800000
	v_lshlrev_b32_e32 v6, 20, v6
	v_and_b32_e32 v13, 0x80000000, v13
	v_lshl_add_u32 v12, v12, 23, v14
	v_or3_b32 v6, v13, v12, v6
.LBB6_1704:
	s_or_b64 exec, exec, s[6:7]
	s_nop 0
	v_mfma_f32_16x16x4f32 a[0:3], v2, v6, a[0:3]
	v_lshrrev_b32_e32 v6, 8, v7
	s_movk_i32 s4, 0x7f
	v_cmp_gt_i16_sdwa s[6:7], v6, s4 src0_sel:BYTE_0 src1_sel:DWORD
	s_mov_b64 s[4:5], 0
                                        ; implicit-def: $sgpr10
	s_and_saveexec_b64 s[8:9], s[6:7]
	s_xor_b64 s[6:7], exec, s[8:9]
	s_cbranch_execnz .LBB6_3753
; %bb.1705:
	s_or_saveexec_b64 s[6:7], s[6:7]
	v_mov_b32_e32 v2, s10
	s_xor_b64 exec, exec, s[6:7]
	s_cbranch_execnz .LBB6_3756
.LBB6_1706:
	s_or_b64 exec, exec, s[6:7]
	s_and_saveexec_b64 s[6:7], s[4:5]
	s_cbranch_execz .LBB6_1708
.LBB6_1707:
	v_bfe_u32 v2, v7, 8, 3
	v_ffbh_u32_e32 v13, v2
	v_min_u32_e32 v13, 32, v13
	v_lshrrev_b16_e32 v12, 3, v6
	v_subrev_u32_e32 v14, 28, v13
	v_and_b32_e32 v12, 15, v12
	v_lshlrev_b32_e32 v6, v14, v6
	v_sub_u32_e32 v13, 29, v13
	v_and_b32_e32 v6, 7, v6
	v_cmp_eq_u16_e32 vcc, 0, v12
	v_cndmask_b32_e32 v2, v2, v6, vcc
	v_cndmask_b32_e32 v6, v12, v13, vcc
	v_lshlrev_b32_e32 v12, 16, v7
	v_mov_b32_e32 v13, 0x3b800000
	v_lshlrev_b32_e32 v2, 20, v2
	v_and_b32_e32 v12, 0x80000000, v12
	v_lshl_add_u32 v6, v6, 23, v13
	v_or3_b32 v2, v12, v6, v2
.LBB6_1708:
	s_or_b64 exec, exec, s[6:7]
	v_lshrrev_b32_e32 v6, 8, v3
	s_movk_i32 s4, 0x7f
	v_cmp_gt_i16_sdwa s[6:7], v6, s4 src0_sel:BYTE_0 src1_sel:DWORD
	s_mov_b64 s[4:5], 0
                                        ; implicit-def: $sgpr10
	s_and_saveexec_b64 s[8:9], s[6:7]
	s_xor_b64 s[6:7], exec, s[8:9]
	s_cbranch_execnz .LBB6_3757
; %bb.1709:
	s_or_saveexec_b64 s[6:7], s[6:7]
	v_mov_b32_e32 v12, s10
	s_xor_b64 exec, exec, s[6:7]
	s_cbranch_execnz .LBB6_3760
.LBB6_1710:
	s_or_b64 exec, exec, s[6:7]
	s_and_saveexec_b64 s[6:7], s[4:5]
	s_cbranch_execz .LBB6_1712
.LBB6_1711:
	v_bfe_u32 v12, v3, 8, 3
	v_ffbh_u32_e32 v14, v12
	v_min_u32_e32 v14, 32, v14
	v_lshrrev_b16_e32 v13, 3, v6
	v_subrev_u32_e32 v15, 28, v14
	v_and_b32_e32 v13, 15, v13
	v_lshlrev_b32_e32 v6, v15, v6
	v_sub_u32_e32 v14, 29, v14
	v_and_b32_e32 v6, 7, v6
	v_cmp_eq_u16_e32 vcc, 0, v13
	v_cndmask_b32_e32 v6, v12, v6, vcc
	v_cndmask_b32_e32 v12, v13, v14, vcc
	v_lshlrev_b32_e32 v13, 16, v3
	v_mov_b32_e32 v14, 0x3b800000
	v_lshlrev_b32_e32 v6, 20, v6
	v_and_b32_e32 v13, 0x80000000, v13
	v_lshl_add_u32 v12, v12, 23, v14
	v_or3_b32 v12, v13, v12, v6
.LBB6_1712:
	s_or_b64 exec, exec, s[6:7]
	s_nop 0
	v_mfma_f32_16x16x4f32 a[0:3], v2, v12, a[0:3]
	s_movk_i32 s4, 0xff
	v_and_b32_sdwa v6, v7, s4 dst_sel:DWORD dst_unused:UNUSED_PAD src0_sel:WORD_1 src1_sel:DWORD
	s_movk_i32 s4, 0x7f
	v_cmp_lt_i16_e32 vcc, s4, v6
	s_mov_b64 s[4:5], 0
                                        ; implicit-def: $sgpr10
	s_and_saveexec_b64 s[6:7], vcc
	s_xor_b64 s[6:7], exec, s[6:7]
	s_cbranch_execnz .LBB6_3761
; %bb.1713:
	s_or_saveexec_b64 s[6:7], s[6:7]
	v_mov_b32_e32 v2, s10
	s_xor_b64 exec, exec, s[6:7]
	s_cbranch_execnz .LBB6_3764
.LBB6_1714:
	s_or_b64 exec, exec, s[6:7]
	s_and_saveexec_b64 s[6:7], s[4:5]
	s_cbranch_execz .LBB6_1716
.LBB6_1715:
	v_bfe_u32 v2, v7, 16, 3
	v_ffbh_u32_e32 v13, v2
	v_min_u32_e32 v13, 32, v13
	v_lshrrev_b32_e32 v6, 19, v7
	v_subrev_u32_e32 v14, 28, v13
	v_and_b32_e32 v6, 15, v6
	v_lshlrev_b32_sdwa v14, v14, v7 dst_sel:DWORD dst_unused:UNUSED_PAD src0_sel:DWORD src1_sel:WORD_1
	v_bfe_u32 v12, v7, 19, 4
	v_sub_u32_e32 v13, 29, v13
	v_and_b32_e32 v14, 7, v14
	v_cmp_eq_u16_e32 vcc, 0, v6
	v_cndmask_b32_e32 v2, v2, v14, vcc
	v_cndmask_b32_e32 v6, v12, v13, vcc
	v_lshlrev_b32_e32 v12, 8, v7
	v_mov_b32_e32 v13, 0x3b800000
	v_lshlrev_b32_e32 v2, 20, v2
	v_and_b32_e32 v12, 0x80000000, v12
	v_lshl_add_u32 v6, v6, 23, v13
	v_or3_b32 v2, v12, v6, v2
.LBB6_1716:
	s_or_b64 exec, exec, s[6:7]
	s_movk_i32 s4, 0xff
	v_and_b32_sdwa v6, v3, s4 dst_sel:DWORD dst_unused:UNUSED_PAD src0_sel:WORD_1 src1_sel:DWORD
	s_movk_i32 s4, 0x7f
	v_cmp_lt_i16_e32 vcc, s4, v6
	s_mov_b64 s[4:5], 0
                                        ; implicit-def: $sgpr10
	s_and_saveexec_b64 s[6:7], vcc
	s_xor_b64 s[6:7], exec, s[6:7]
	s_cbranch_execnz .LBB6_3765
; %bb.1717:
	s_or_saveexec_b64 s[6:7], s[6:7]
	v_mov_b32_e32 v12, s10
	s_xor_b64 exec, exec, s[6:7]
	s_cbranch_execnz .LBB6_3768
.LBB6_1718:
	s_or_b64 exec, exec, s[6:7]
	s_and_saveexec_b64 s[6:7], s[4:5]
	s_cbranch_execz .LBB6_1720
.LBB6_1719:
	v_bfe_u32 v6, v3, 16, 3
	v_ffbh_u32_e32 v14, v6
	v_min_u32_e32 v14, 32, v14
	v_lshrrev_b32_e32 v12, 19, v3
	v_subrev_u32_e32 v15, 28, v14
	v_and_b32_e32 v12, 15, v12
	v_lshlrev_b32_sdwa v15, v15, v3 dst_sel:DWORD dst_unused:UNUSED_PAD src0_sel:DWORD src1_sel:WORD_1
	v_bfe_u32 v13, v3, 19, 4
	v_sub_u32_e32 v14, 29, v14
	v_and_b32_e32 v15, 7, v15
	v_cmp_eq_u16_e32 vcc, 0, v12
	v_cndmask_b32_e32 v6, v6, v15, vcc
	v_cndmask_b32_e32 v12, v13, v14, vcc
	v_lshlrev_b32_e32 v13, 8, v3
	v_mov_b32_e32 v14, 0x3b800000
	v_lshlrev_b32_e32 v6, 20, v6
	v_and_b32_e32 v13, 0x80000000, v13
	v_lshl_add_u32 v12, v12, 23, v14
	v_or3_b32 v12, v13, v12, v6
.LBB6_1720:
	s_or_b64 exec, exec, s[6:7]
	s_nop 0
	v_mfma_f32_16x16x4f32 a[0:3], v2, v12, a[0:3]
	s_movk_i32 s4, 0x7f
	v_cmp_gt_i16_sdwa s[6:7], v7, s4 src0_sel:BYTE_3 src1_sel:DWORD
	s_mov_b64 s[4:5], 0
                                        ; implicit-def: $sgpr10
	s_and_saveexec_b64 s[8:9], s[6:7]
	s_xor_b64 s[6:7], exec, s[8:9]
	s_cbranch_execnz .LBB6_3769
; %bb.1721:
	s_or_saveexec_b64 s[6:7], s[6:7]
	v_mov_b32_e32 v2, s10
	s_xor_b64 exec, exec, s[6:7]
	s_cbranch_execnz .LBB6_3772
.LBB6_1722:
	s_or_b64 exec, exec, s[6:7]
	s_and_saveexec_b64 s[6:7], s[4:5]
	s_cbranch_execz .LBB6_1724
.LBB6_1723:
	v_bfe_u32 v2, v7, 24, 3
	v_ffbh_u32_e32 v14, v2
	v_min_u32_e32 v14, 32, v14
	v_lshrrev_b32_e32 v12, 27, v7
	v_subrev_u32_e32 v15, 28, v14
	v_and_b32_e32 v6, 0x80000000, v7
	v_and_b32_e32 v12, 15, v12
	v_bfe_u32 v13, v7, 27, 4
	v_lshlrev_b32_sdwa v7, v15, v7 dst_sel:DWORD dst_unused:UNUSED_PAD src0_sel:DWORD src1_sel:BYTE_3
	v_sub_u32_e32 v14, 29, v14
	v_and_b32_e32 v7, 7, v7
	v_cmp_eq_u16_e32 vcc, 0, v12
	v_cndmask_b32_e32 v2, v2, v7, vcc
	v_cndmask_b32_e32 v7, v13, v14, vcc
	v_mov_b32_e32 v12, 0x3b800000
	v_lshlrev_b32_e32 v2, 20, v2
	v_lshl_add_u32 v7, v7, 23, v12
	v_or3_b32 v2, v6, v7, v2
.LBB6_1724:
	s_or_b64 exec, exec, s[6:7]
	s_movk_i32 s4, 0x7f
	v_cmp_gt_i16_sdwa s[6:7], v3, s4 src0_sel:BYTE_3 src1_sel:DWORD
	s_mov_b64 s[4:5], 0
                                        ; implicit-def: $sgpr10
	s_and_saveexec_b64 s[8:9], s[6:7]
	s_xor_b64 s[6:7], exec, s[8:9]
	s_cbranch_execnz .LBB6_3773
; %bb.1725:
	s_or_saveexec_b64 s[6:7], s[6:7]
	v_mov_b32_e32 v6, s10
	s_xor_b64 exec, exec, s[6:7]
	s_cbranch_execnz .LBB6_3776
.LBB6_1726:
	s_or_b64 exec, exec, s[6:7]
	s_and_saveexec_b64 s[6:7], s[4:5]
	s_cbranch_execz .LBB6_1728
.LBB6_1727:
	v_bfe_u32 v6, v3, 24, 3
	v_ffbh_u32_e32 v14, v6
	v_min_u32_e32 v14, 32, v14
	v_lshrrev_b32_e32 v12, 27, v3
	v_subrev_u32_e32 v15, 28, v14
	v_and_b32_e32 v7, 0x80000000, v3
	v_and_b32_e32 v12, 15, v12
	v_bfe_u32 v13, v3, 27, 4
	v_lshlrev_b32_sdwa v3, v15, v3 dst_sel:DWORD dst_unused:UNUSED_PAD src0_sel:DWORD src1_sel:BYTE_3
	v_sub_u32_e32 v14, 29, v14
	v_and_b32_e32 v3, 7, v3
	v_cmp_eq_u16_e32 vcc, 0, v12
	v_cndmask_b32_e32 v3, v6, v3, vcc
	v_cndmask_b32_e32 v6, v13, v14, vcc
	v_mov_b32_e32 v12, 0x3b800000
	v_lshlrev_b32_e32 v3, 20, v3
	v_lshl_add_u32 v6, v6, 23, v12
	v_or3_b32 v6, v7, v6, v3
.LBB6_1728:
	s_or_b64 exec, exec, s[6:7]
	s_nop 0
	v_mfma_f32_16x16x4f32 a[0:3], v2, v6, a[0:3]
	s_movk_i32 s4, 0x7f
	v_cmp_gt_i16_sdwa s[6:7], v8, s4 src0_sel:BYTE_0 src1_sel:DWORD
	s_mov_b64 s[4:5], 0
                                        ; implicit-def: $sgpr10
	s_and_saveexec_b64 s[8:9], s[6:7]
	s_xor_b64 s[6:7], exec, s[8:9]
	s_cbranch_execnz .LBB6_3777
; %bb.1729:
	s_or_saveexec_b64 s[6:7], s[6:7]
	v_mov_b32_e32 v2, s10
	s_xor_b64 exec, exec, s[6:7]
	s_cbranch_execnz .LBB6_3780
.LBB6_1730:
	s_or_b64 exec, exec, s[6:7]
	s_and_saveexec_b64 s[6:7], s[4:5]
	s_cbranch_execz .LBB6_1732
.LBB6_1731:
	v_and_b32_e32 v2, 7, v8
	v_ffbh_u32_e32 v6, v2
	v_min_u32_e32 v6, 32, v6
	v_lshrrev_b16_e32 v3, 3, v8
	v_subrev_u32_e32 v7, 28, v6
	v_and_b32_e32 v3, 15, v3
	v_lshlrev_b32_e32 v7, v7, v8
	v_sub_u32_e32 v6, 29, v6
	v_and_b32_e32 v7, 7, v7
	v_cmp_eq_u16_e32 vcc, 0, v3
	v_cndmask_b32_e32 v2, v2, v7, vcc
	v_cndmask_b32_e32 v3, v3, v6, vcc
	v_lshlrev_b32_e32 v6, 24, v8
	v_mov_b32_e32 v7, 0x3b800000
	v_lshlrev_b32_e32 v2, 20, v2
	v_and_b32_e32 v6, 0x80000000, v6
	v_lshl_add_u32 v3, v3, 23, v7
	v_or3_b32 v2, v6, v3, v2
.LBB6_1732:
	s_or_b64 exec, exec, s[6:7]
	s_movk_i32 s4, 0x7f
	v_cmp_gt_i16_sdwa s[6:7], v4, s4 src0_sel:BYTE_0 src1_sel:DWORD
	s_mov_b64 s[4:5], 0
                                        ; implicit-def: $sgpr10
	s_and_saveexec_b64 s[8:9], s[6:7]
	s_xor_b64 s[6:7], exec, s[8:9]
	s_cbranch_execnz .LBB6_3781
; %bb.1733:
	s_or_saveexec_b64 s[6:7], s[6:7]
	v_mov_b32_e32 v3, s10
	s_xor_b64 exec, exec, s[6:7]
	s_cbranch_execnz .LBB6_3784
.LBB6_1734:
	s_or_b64 exec, exec, s[6:7]
	s_and_saveexec_b64 s[6:7], s[4:5]
	s_cbranch_execz .LBB6_1736
.LBB6_1735:
	v_and_b32_e32 v3, 7, v4
	v_ffbh_u32_e32 v7, v3
	v_min_u32_e32 v7, 32, v7
	v_lshrrev_b16_e32 v6, 3, v4
	v_subrev_u32_e32 v12, 28, v7
	v_and_b32_e32 v6, 15, v6
	v_lshlrev_b32_e32 v12, v12, v4
	v_sub_u32_e32 v7, 29, v7
	v_and_b32_e32 v12, 7, v12
	v_cmp_eq_u16_e32 vcc, 0, v6
	v_cndmask_b32_e32 v3, v3, v12, vcc
	v_cndmask_b32_e32 v6, v6, v7, vcc
	v_lshlrev_b32_e32 v7, 24, v4
	v_mov_b32_e32 v12, 0x3b800000
	v_lshlrev_b32_e32 v3, 20, v3
	v_and_b32_e32 v7, 0x80000000, v7
	v_lshl_add_u32 v6, v6, 23, v12
	v_or3_b32 v3, v7, v6, v3
.LBB6_1736:
	s_or_b64 exec, exec, s[6:7]
	s_nop 0
	v_mfma_f32_16x16x4f32 a[0:3], v2, v3, a[0:3]
	v_lshrrev_b32_e32 v3, 8, v8
	s_movk_i32 s4, 0x7f
	v_cmp_gt_i16_sdwa s[6:7], v3, s4 src0_sel:BYTE_0 src1_sel:DWORD
	s_mov_b64 s[4:5], 0
                                        ; implicit-def: $sgpr10
	s_and_saveexec_b64 s[8:9], s[6:7]
	s_xor_b64 s[6:7], exec, s[8:9]
	s_cbranch_execnz .LBB6_3785
; %bb.1737:
	s_or_saveexec_b64 s[6:7], s[6:7]
	v_mov_b32_e32 v2, s10
	s_xor_b64 exec, exec, s[6:7]
	s_cbranch_execnz .LBB6_3788
.LBB6_1738:
	s_or_b64 exec, exec, s[6:7]
	s_and_saveexec_b64 s[6:7], s[4:5]
	s_cbranch_execz .LBB6_1740
.LBB6_1739:
	v_bfe_u32 v2, v8, 8, 3
	v_ffbh_u32_e32 v7, v2
	v_min_u32_e32 v7, 32, v7
	v_lshrrev_b16_e32 v6, 3, v3
	v_subrev_u32_e32 v12, 28, v7
	v_and_b32_e32 v6, 15, v6
	v_lshlrev_b32_e32 v3, v12, v3
	v_sub_u32_e32 v7, 29, v7
	v_and_b32_e32 v3, 7, v3
	v_cmp_eq_u16_e32 vcc, 0, v6
	v_cndmask_b32_e32 v2, v2, v3, vcc
	v_cndmask_b32_e32 v3, v6, v7, vcc
	v_lshlrev_b32_e32 v6, 16, v8
	v_mov_b32_e32 v7, 0x3b800000
	v_lshlrev_b32_e32 v2, 20, v2
	v_and_b32_e32 v6, 0x80000000, v6
	v_lshl_add_u32 v3, v3, 23, v7
	v_or3_b32 v2, v6, v3, v2
.LBB6_1740:
	s_or_b64 exec, exec, s[6:7]
	v_lshrrev_b32_e32 v3, 8, v4
	s_movk_i32 s4, 0x7f
	v_cmp_gt_i16_sdwa s[6:7], v3, s4 src0_sel:BYTE_0 src1_sel:DWORD
	s_mov_b64 s[4:5], 0
                                        ; implicit-def: $sgpr10
	s_and_saveexec_b64 s[8:9], s[6:7]
	s_xor_b64 s[6:7], exec, s[8:9]
	s_cbranch_execnz .LBB6_3789
; %bb.1741:
	s_or_saveexec_b64 s[6:7], s[6:7]
	v_mov_b32_e32 v6, s10
	s_xor_b64 exec, exec, s[6:7]
	s_cbranch_execnz .LBB6_3792
.LBB6_1742:
	s_or_b64 exec, exec, s[6:7]
	s_and_saveexec_b64 s[6:7], s[4:5]
	s_cbranch_execz .LBB6_1744
.LBB6_1743:
	v_bfe_u32 v6, v4, 8, 3
	v_ffbh_u32_e32 v12, v6
	v_min_u32_e32 v12, 32, v12
	v_lshrrev_b16_e32 v7, 3, v3
	v_subrev_u32_e32 v13, 28, v12
	v_and_b32_e32 v7, 15, v7
	v_lshlrev_b32_e32 v3, v13, v3
	v_sub_u32_e32 v12, 29, v12
	v_and_b32_e32 v3, 7, v3
	v_cmp_eq_u16_e32 vcc, 0, v7
	v_cndmask_b32_e32 v3, v6, v3, vcc
	v_cndmask_b32_e32 v6, v7, v12, vcc
	v_lshlrev_b32_e32 v7, 16, v4
	v_mov_b32_e32 v12, 0x3b800000
	v_lshlrev_b32_e32 v3, 20, v3
	v_and_b32_e32 v7, 0x80000000, v7
	v_lshl_add_u32 v6, v6, 23, v12
	v_or3_b32 v6, v7, v6, v3
.LBB6_1744:
	s_or_b64 exec, exec, s[6:7]
	s_nop 0
	v_mfma_f32_16x16x4f32 a[0:3], v2, v6, a[0:3]
	s_movk_i32 s4, 0xff
	v_and_b32_sdwa v3, v8, s4 dst_sel:DWORD dst_unused:UNUSED_PAD src0_sel:WORD_1 src1_sel:DWORD
	s_movk_i32 s4, 0x7f
	v_cmp_lt_i16_e32 vcc, s4, v3
	s_mov_b64 s[4:5], 0
                                        ; implicit-def: $sgpr10
	s_and_saveexec_b64 s[6:7], vcc
	s_xor_b64 s[6:7], exec, s[6:7]
	s_cbranch_execnz .LBB6_3793
; %bb.1745:
	s_or_saveexec_b64 s[6:7], s[6:7]
	v_mov_b32_e32 v2, s10
	s_xor_b64 exec, exec, s[6:7]
	s_cbranch_execnz .LBB6_3796
.LBB6_1746:
	s_or_b64 exec, exec, s[6:7]
	s_and_saveexec_b64 s[6:7], s[4:5]
	s_cbranch_execz .LBB6_1748
.LBB6_1747:
	v_bfe_u32 v2, v8, 16, 3
	v_ffbh_u32_e32 v7, v2
	v_min_u32_e32 v7, 32, v7
	v_lshrrev_b32_e32 v3, 19, v8
	v_subrev_u32_e32 v12, 28, v7
	v_and_b32_e32 v3, 15, v3
	v_lshlrev_b32_sdwa v12, v12, v8 dst_sel:DWORD dst_unused:UNUSED_PAD src0_sel:DWORD src1_sel:WORD_1
	v_bfe_u32 v6, v8, 19, 4
	v_sub_u32_e32 v7, 29, v7
	v_and_b32_e32 v12, 7, v12
	v_cmp_eq_u16_e32 vcc, 0, v3
	v_cndmask_b32_e32 v2, v2, v12, vcc
	v_cndmask_b32_e32 v3, v6, v7, vcc
	v_lshlrev_b32_e32 v6, 8, v8
	v_mov_b32_e32 v7, 0x3b800000
	v_lshlrev_b32_e32 v2, 20, v2
	v_and_b32_e32 v6, 0x80000000, v6
	v_lshl_add_u32 v3, v3, 23, v7
	v_or3_b32 v2, v6, v3, v2
.LBB6_1748:
	s_or_b64 exec, exec, s[6:7]
	s_movk_i32 s4, 0xff
	v_and_b32_sdwa v3, v4, s4 dst_sel:DWORD dst_unused:UNUSED_PAD src0_sel:WORD_1 src1_sel:DWORD
	s_movk_i32 s4, 0x7f
	v_cmp_lt_i16_e32 vcc, s4, v3
	s_mov_b64 s[4:5], 0
                                        ; implicit-def: $sgpr10
	s_and_saveexec_b64 s[6:7], vcc
	s_xor_b64 s[6:7], exec, s[6:7]
	s_cbranch_execnz .LBB6_3797
; %bb.1749:
	s_or_saveexec_b64 s[6:7], s[6:7]
	v_mov_b32_e32 v6, s10
	s_xor_b64 exec, exec, s[6:7]
	s_cbranch_execnz .LBB6_3800
.LBB6_1750:
	s_or_b64 exec, exec, s[6:7]
	s_and_saveexec_b64 s[6:7], s[4:5]
	s_cbranch_execz .LBB6_1752
.LBB6_1751:
	v_bfe_u32 v3, v4, 16, 3
	v_ffbh_u32_e32 v12, v3
	v_min_u32_e32 v12, 32, v12
	v_lshrrev_b32_e32 v6, 19, v4
	v_subrev_u32_e32 v13, 28, v12
	v_and_b32_e32 v6, 15, v6
	v_lshlrev_b32_sdwa v13, v13, v4 dst_sel:DWORD dst_unused:UNUSED_PAD src0_sel:DWORD src1_sel:WORD_1
	v_bfe_u32 v7, v4, 19, 4
	v_sub_u32_e32 v12, 29, v12
	v_and_b32_e32 v13, 7, v13
	v_cmp_eq_u16_e32 vcc, 0, v6
	v_cndmask_b32_e32 v3, v3, v13, vcc
	v_cndmask_b32_e32 v6, v7, v12, vcc
	v_lshlrev_b32_e32 v7, 8, v4
	v_mov_b32_e32 v12, 0x3b800000
	v_lshlrev_b32_e32 v3, 20, v3
	v_and_b32_e32 v7, 0x80000000, v7
	v_lshl_add_u32 v6, v6, 23, v12
	v_or3_b32 v6, v7, v6, v3
.LBB6_1752:
	s_or_b64 exec, exec, s[6:7]
	s_nop 0
	v_mfma_f32_16x16x4f32 a[0:3], v2, v6, a[0:3]
	s_movk_i32 s4, 0x7f
	v_cmp_gt_i16_sdwa s[6:7], v8, s4 src0_sel:BYTE_3 src1_sel:DWORD
	s_mov_b64 s[4:5], 0
                                        ; implicit-def: $sgpr10
	s_and_saveexec_b64 s[8:9], s[6:7]
	s_xor_b64 s[6:7], exec, s[8:9]
	s_cbranch_execnz .LBB6_3801
; %bb.1753:
	s_or_saveexec_b64 s[6:7], s[6:7]
	v_mov_b32_e32 v2, s10
	s_xor_b64 exec, exec, s[6:7]
	s_cbranch_execnz .LBB6_3804
.LBB6_1754:
	s_or_b64 exec, exec, s[6:7]
	s_and_saveexec_b64 s[6:7], s[4:5]
	s_cbranch_execz .LBB6_1756
.LBB6_1755:
	v_bfe_u32 v2, v8, 24, 3
	v_ffbh_u32_e32 v12, v2
	v_min_u32_e32 v12, 32, v12
	v_lshrrev_b32_e32 v6, 27, v8
	v_subrev_u32_e32 v13, 28, v12
	v_and_b32_e32 v3, 0x80000000, v8
	v_and_b32_e32 v6, 15, v6
	v_bfe_u32 v7, v8, 27, 4
	v_lshlrev_b32_sdwa v8, v13, v8 dst_sel:DWORD dst_unused:UNUSED_PAD src0_sel:DWORD src1_sel:BYTE_3
	v_sub_u32_e32 v12, 29, v12
	v_and_b32_e32 v8, 7, v8
	v_cmp_eq_u16_e32 vcc, 0, v6
	v_cndmask_b32_e32 v2, v2, v8, vcc
	v_cndmask_b32_e32 v6, v7, v12, vcc
	v_mov_b32_e32 v7, 0x3b800000
	v_lshlrev_b32_e32 v2, 20, v2
	v_lshl_add_u32 v6, v6, 23, v7
	v_or3_b32 v2, v3, v6, v2
.LBB6_1756:
	s_or_b64 exec, exec, s[6:7]
	s_movk_i32 s4, 0x7f
	v_cmp_gt_i16_sdwa s[6:7], v4, s4 src0_sel:BYTE_3 src1_sel:DWORD
	s_mov_b64 s[4:5], 0
                                        ; implicit-def: $sgpr10
	s_and_saveexec_b64 s[8:9], s[6:7]
	s_xor_b64 s[6:7], exec, s[8:9]
	s_cbranch_execnz .LBB6_3805
; %bb.1757:
	s_or_saveexec_b64 s[6:7], s[6:7]
	v_mov_b32_e32 v3, s10
	s_xor_b64 exec, exec, s[6:7]
	s_cbranch_execnz .LBB6_3808
.LBB6_1758:
	s_or_b64 exec, exec, s[6:7]
	s_and_saveexec_b64 s[6:7], s[4:5]
	s_cbranch_execz .LBB6_1760
.LBB6_1759:
	v_bfe_u32 v3, v4, 24, 3
	v_ffbh_u32_e32 v12, v3
	v_min_u32_e32 v12, 32, v12
	v_lshrrev_b32_e32 v7, 27, v4
	v_subrev_u32_e32 v13, 28, v12
	v_and_b32_e32 v6, 0x80000000, v4
	v_and_b32_e32 v7, 15, v7
	v_bfe_u32 v8, v4, 27, 4
	v_lshlrev_b32_sdwa v4, v13, v4 dst_sel:DWORD dst_unused:UNUSED_PAD src0_sel:DWORD src1_sel:BYTE_3
	v_sub_u32_e32 v12, 29, v12
	v_and_b32_e32 v4, 7, v4
	v_cmp_eq_u16_e32 vcc, 0, v7
	v_cndmask_b32_e32 v3, v3, v4, vcc
	v_cndmask_b32_e32 v4, v8, v12, vcc
	v_mov_b32_e32 v7, 0x3b800000
	v_lshlrev_b32_e32 v3, 20, v3
	v_lshl_add_u32 v4, v4, 23, v7
	v_or3_b32 v3, v6, v4, v3
.LBB6_1760:
	s_or_b64 exec, exec, s[6:7]
	s_nop 0
	v_mfma_f32_16x16x4f32 a[0:3], v2, v3, a[0:3]
	s_movk_i32 s4, 0x7f
	v_cmp_gt_i16_sdwa s[6:7], v9, s4 src0_sel:BYTE_0 src1_sel:DWORD
	s_mov_b64 s[4:5], 0
                                        ; implicit-def: $sgpr10
	s_and_saveexec_b64 s[8:9], s[6:7]
	s_xor_b64 s[6:7], exec, s[8:9]
	s_cbranch_execnz .LBB6_3809
; %bb.1761:
	s_or_saveexec_b64 s[6:7], s[6:7]
	v_mov_b32_e32 v2, s10
	s_xor_b64 exec, exec, s[6:7]
	s_cbranch_execnz .LBB6_3812
.LBB6_1762:
	s_or_b64 exec, exec, s[6:7]
	s_and_saveexec_b64 s[6:7], s[4:5]
	s_cbranch_execz .LBB6_1764
.LBB6_1763:
	v_mov_b32_e32 v2, 8
	v_and_b32_e32 v3, 7, v9
	v_lshrrev_b32_sdwa v2, v2, v9 dst_sel:BYTE_1 dst_unused:UNUSED_PAD src0_sel:DWORD src1_sel:DWORD
	v_ffbh_u32_e32 v4, v3
	v_or_b32_sdwa v2, v9, v2 dst_sel:DWORD dst_unused:UNUSED_PAD src0_sel:BYTE_0 src1_sel:DWORD
	v_min_u32_e32 v4, 32, v4
	v_lshrrev_b16_e32 v2, 3, v2
	v_subrev_u32_e32 v6, 28, v4
	v_and_b32_e32 v2, 15, v2
	v_lshlrev_b32_e32 v6, v6, v9
	v_sub_u32_e32 v4, 29, v4
	v_and_b32_e32 v6, 7, v6
	v_cmp_eq_u16_e32 vcc, 0, v2
	v_cndmask_b32_e32 v3, v3, v6, vcc
	v_cndmask_b32_e32 v2, v2, v4, vcc
	v_lshlrev_b32_e32 v4, 24, v9
	v_mov_b32_e32 v6, 0x3b800000
	v_lshlrev_b32_e32 v3, 20, v3
	v_and_b32_e32 v4, 0x80000000, v4
	v_lshl_add_u32 v2, v2, 23, v6
	v_or3_b32 v2, v4, v2, v3
.LBB6_1764:
	s_or_b64 exec, exec, s[6:7]
	s_movk_i32 s4, 0x7f
	v_cmp_gt_i16_sdwa s[6:7], v5, s4 src0_sel:BYTE_0 src1_sel:DWORD
	s_mov_b64 s[4:5], 0
                                        ; implicit-def: $sgpr10
	s_and_saveexec_b64 s[8:9], s[6:7]
	s_xor_b64 s[6:7], exec, s[8:9]
	s_cbranch_execnz .LBB6_3813
; %bb.1765:
	s_or_saveexec_b64 s[6:7], s[6:7]
	v_mov_b32_e32 v3, s10
	s_xor_b64 exec, exec, s[6:7]
	s_cbranch_execnz .LBB6_3816
.LBB6_1766:
	s_or_b64 exec, exec, s[6:7]
	s_and_saveexec_b64 s[6:7], s[4:5]
	s_cbranch_execz .LBB6_1768
.LBB6_1767:
	v_mov_b32_e32 v3, 8
	v_and_b32_e32 v4, 7, v5
	v_lshrrev_b32_sdwa v3, v3, v5 dst_sel:BYTE_1 dst_unused:UNUSED_PAD src0_sel:DWORD src1_sel:DWORD
	v_ffbh_u32_e32 v6, v4
	v_or_b32_sdwa v3, v5, v3 dst_sel:DWORD dst_unused:UNUSED_PAD src0_sel:BYTE_0 src1_sel:DWORD
	v_min_u32_e32 v6, 32, v6
	v_lshrrev_b16_e32 v3, 3, v3
	v_subrev_u32_e32 v7, 28, v6
	v_and_b32_e32 v3, 15, v3
	v_lshlrev_b32_e32 v7, v7, v5
	v_sub_u32_e32 v6, 29, v6
	v_and_b32_e32 v7, 7, v7
	v_cmp_eq_u16_e32 vcc, 0, v3
	v_cndmask_b32_e32 v4, v4, v7, vcc
	v_cndmask_b32_e32 v3, v3, v6, vcc
	v_lshlrev_b32_e32 v6, 24, v5
	v_mov_b32_e32 v7, 0x3b800000
	v_lshlrev_b32_e32 v4, 20, v4
	v_and_b32_e32 v6, 0x80000000, v6
	v_lshl_add_u32 v3, v3, 23, v7
	v_or3_b32 v3, v6, v3, v4
.LBB6_1768:
	s_or_b64 exec, exec, s[6:7]
	s_nop 0
	v_mfma_f32_16x16x4f32 a[0:3], v2, v3, a[0:3]
	v_lshrrev_b32_e32 v3, 8, v9
	s_movk_i32 s4, 0x7f
	v_cmp_gt_i16_sdwa s[6:7], v3, s4 src0_sel:BYTE_0 src1_sel:DWORD
	s_mov_b64 s[4:5], 0
                                        ; implicit-def: $sgpr10
	s_and_saveexec_b64 s[8:9], s[6:7]
	s_xor_b64 s[6:7], exec, s[8:9]
	s_cbranch_execnz .LBB6_3817
; %bb.1769:
	s_or_saveexec_b64 s[6:7], s[6:7]
	v_mov_b32_e32 v2, s10
	s_xor_b64 exec, exec, s[6:7]
	s_cbranch_execnz .LBB6_3820
.LBB6_1770:
	s_or_b64 exec, exec, s[6:7]
	s_and_saveexec_b64 s[6:7], s[4:5]
	s_cbranch_execz .LBB6_1772
.LBB6_1771:
	v_bfe_u32 v2, v9, 8, 3
	v_ffbh_u32_e32 v6, v2
	v_min_u32_e32 v6, 32, v6
	v_lshrrev_b16_e32 v4, 3, v3
	v_subrev_u32_e32 v7, 28, v6
	v_and_b32_e32 v4, 15, v4
	v_lshlrev_b32_e32 v3, v7, v3
	v_sub_u32_e32 v6, 29, v6
	v_and_b32_e32 v3, 7, v3
	v_cmp_eq_u16_e32 vcc, 0, v4
	v_cndmask_b32_e32 v2, v2, v3, vcc
	v_cndmask_b32_e32 v3, v4, v6, vcc
	v_lshlrev_b32_e32 v4, 16, v9
	v_mov_b32_e32 v6, 0x3b800000
	v_lshlrev_b32_e32 v2, 20, v2
	v_and_b32_e32 v4, 0x80000000, v4
	v_lshl_add_u32 v3, v3, 23, v6
	v_or3_b32 v2, v4, v3, v2
.LBB6_1772:
	s_or_b64 exec, exec, s[6:7]
	v_lshrrev_b32_e32 v3, 8, v5
	s_movk_i32 s4, 0x7f
	v_cmp_gt_i16_sdwa s[6:7], v3, s4 src0_sel:BYTE_0 src1_sel:DWORD
	s_mov_b64 s[4:5], 0
                                        ; implicit-def: $sgpr10
	s_and_saveexec_b64 s[8:9], s[6:7]
	s_xor_b64 s[6:7], exec, s[8:9]
	s_cbranch_execnz .LBB6_3821
; %bb.1773:
	s_or_saveexec_b64 s[6:7], s[6:7]
	v_mov_b32_e32 v4, s10
	s_xor_b64 exec, exec, s[6:7]
	s_cbranch_execnz .LBB6_3824
.LBB6_1774:
	s_or_b64 exec, exec, s[6:7]
	s_and_saveexec_b64 s[6:7], s[4:5]
	s_cbranch_execz .LBB6_1776
.LBB6_1775:
	v_bfe_u32 v4, v5, 8, 3
	v_ffbh_u32_e32 v7, v4
	v_min_u32_e32 v7, 32, v7
	v_lshrrev_b16_e32 v6, 3, v3
	v_subrev_u32_e32 v8, 28, v7
	v_and_b32_e32 v6, 15, v6
	v_lshlrev_b32_e32 v3, v8, v3
	v_sub_u32_e32 v7, 29, v7
	v_and_b32_e32 v3, 7, v3
	v_cmp_eq_u16_e32 vcc, 0, v6
	v_cndmask_b32_e32 v3, v4, v3, vcc
	v_cndmask_b32_e32 v4, v6, v7, vcc
	v_lshlrev_b32_e32 v6, 16, v5
	v_mov_b32_e32 v7, 0x3b800000
	v_lshlrev_b32_e32 v3, 20, v3
	v_and_b32_e32 v6, 0x80000000, v6
	v_lshl_add_u32 v4, v4, 23, v7
	v_or3_b32 v4, v6, v4, v3
.LBB6_1776:
	s_or_b64 exec, exec, s[6:7]
	s_nop 0
	v_mfma_f32_16x16x4f32 a[0:3], v2, v4, a[0:3]
	s_movk_i32 s4, 0xff
	v_and_b32_sdwa v3, v9, s4 dst_sel:DWORD dst_unused:UNUSED_PAD src0_sel:WORD_1 src1_sel:DWORD
	s_movk_i32 s4, 0x7f
	v_cmp_lt_i16_e32 vcc, s4, v3
	s_mov_b64 s[4:5], 0
                                        ; implicit-def: $sgpr10
	s_and_saveexec_b64 s[6:7], vcc
	s_xor_b64 s[6:7], exec, s[6:7]
	s_cbranch_execnz .LBB6_3825
; %bb.1777:
	s_or_saveexec_b64 s[6:7], s[6:7]
	v_mov_b32_e32 v2, s10
	s_xor_b64 exec, exec, s[6:7]
	s_cbranch_execnz .LBB6_3828
.LBB6_1778:
	s_or_b64 exec, exec, s[6:7]
	s_and_saveexec_b64 s[6:7], s[4:5]
	s_cbranch_execz .LBB6_1780
.LBB6_1779:
	v_bfe_u32 v2, v9, 16, 3
	v_ffbh_u32_e32 v6, v2
	v_min_u32_e32 v6, 32, v6
	v_lshrrev_b32_e32 v3, 19, v9
	v_subrev_u32_e32 v7, 28, v6
	v_and_b32_e32 v3, 15, v3
	v_lshlrev_b32_sdwa v7, v7, v9 dst_sel:DWORD dst_unused:UNUSED_PAD src0_sel:DWORD src1_sel:WORD_1
	v_bfe_u32 v4, v9, 19, 4
	v_sub_u32_e32 v6, 29, v6
	v_and_b32_e32 v7, 7, v7
	v_cmp_eq_u16_e32 vcc, 0, v3
	v_cndmask_b32_e32 v2, v2, v7, vcc
	v_cndmask_b32_e32 v3, v4, v6, vcc
	v_lshlrev_b32_e32 v4, 8, v9
	v_mov_b32_e32 v6, 0x3b800000
	v_lshlrev_b32_e32 v2, 20, v2
	v_and_b32_e32 v4, 0x80000000, v4
	v_lshl_add_u32 v3, v3, 23, v6
	v_or3_b32 v2, v4, v3, v2
.LBB6_1780:
	s_or_b64 exec, exec, s[6:7]
	s_movk_i32 s4, 0xff
	v_and_b32_sdwa v3, v5, s4 dst_sel:DWORD dst_unused:UNUSED_PAD src0_sel:WORD_1 src1_sel:DWORD
	s_movk_i32 s4, 0x7f
	v_cmp_lt_i16_e32 vcc, s4, v3
	s_mov_b64 s[4:5], 0
                                        ; implicit-def: $sgpr10
	s_and_saveexec_b64 s[6:7], vcc
	s_xor_b64 s[6:7], exec, s[6:7]
	s_cbranch_execnz .LBB6_3829
; %bb.1781:
	s_or_saveexec_b64 s[6:7], s[6:7]
	v_mov_b32_e32 v4, s10
	s_xor_b64 exec, exec, s[6:7]
	s_cbranch_execnz .LBB6_3832
.LBB6_1782:
	s_or_b64 exec, exec, s[6:7]
	s_and_saveexec_b64 s[6:7], s[4:5]
	s_cbranch_execz .LBB6_1784
.LBB6_1783:
	v_bfe_u32 v3, v5, 16, 3
	v_ffbh_u32_e32 v7, v3
	v_min_u32_e32 v7, 32, v7
	v_lshrrev_b32_e32 v4, 19, v5
	v_subrev_u32_e32 v8, 28, v7
	v_and_b32_e32 v4, 15, v4
	v_lshlrev_b32_sdwa v8, v8, v5 dst_sel:DWORD dst_unused:UNUSED_PAD src0_sel:DWORD src1_sel:WORD_1
	v_bfe_u32 v6, v5, 19, 4
	v_sub_u32_e32 v7, 29, v7
	v_and_b32_e32 v8, 7, v8
	v_cmp_eq_u16_e32 vcc, 0, v4
	v_cndmask_b32_e32 v3, v3, v8, vcc
	v_cndmask_b32_e32 v4, v6, v7, vcc
	v_lshlrev_b32_e32 v6, 8, v5
	v_mov_b32_e32 v7, 0x3b800000
	v_lshlrev_b32_e32 v3, 20, v3
	v_and_b32_e32 v6, 0x80000000, v6
	v_lshl_add_u32 v4, v4, 23, v7
	v_or3_b32 v4, v6, v4, v3
.LBB6_1784:
	s_or_b64 exec, exec, s[6:7]
	s_nop 0
	v_mfma_f32_16x16x4f32 a[0:3], v2, v4, a[0:3]
	s_movk_i32 s4, 0x7f
	v_cmp_gt_i16_sdwa s[6:7], v9, s4 src0_sel:BYTE_3 src1_sel:DWORD
	s_mov_b64 s[4:5], 0
                                        ; implicit-def: $sgpr10
	s_and_saveexec_b64 s[8:9], s[6:7]
	s_xor_b64 s[6:7], exec, s[8:9]
	s_cbranch_execnz .LBB6_3833
; %bb.1785:
	s_or_saveexec_b64 s[6:7], s[6:7]
	v_mov_b32_e32 v2, s10
	s_xor_b64 exec, exec, s[6:7]
	s_cbranch_execnz .LBB6_3836
.LBB6_1786:
	s_or_b64 exec, exec, s[6:7]
	s_and_saveexec_b64 s[6:7], s[4:5]
	s_cbranch_execz .LBB6_1788
.LBB6_1787:
	v_bfe_u32 v2, v9, 24, 3
	v_ffbh_u32_e32 v7, v2
	v_min_u32_e32 v7, 32, v7
	v_lshrrev_b32_e32 v4, 27, v9
	v_subrev_u32_e32 v8, 28, v7
	v_and_b32_e32 v4, 15, v4
	v_lshlrev_b32_sdwa v8, v8, v9 dst_sel:DWORD dst_unused:UNUSED_PAD src0_sel:DWORD src1_sel:BYTE_3
	v_bfe_u32 v6, v9, 27, 4
	v_sub_u32_e32 v7, 29, v7
	v_and_b32_e32 v8, 7, v8
	v_cmp_eq_u16_e32 vcc, 0, v4
	v_cndmask_b32_e32 v2, v2, v8, vcc
	v_cndmask_b32_e32 v4, v6, v7, vcc
	v_mov_b32_e32 v6, 0x3b800000
	v_and_b32_e32 v3, 0x80000000, v9
	v_lshlrev_b32_e32 v2, 20, v2
	v_lshl_add_u32 v4, v4, 23, v6
	v_or3_b32 v2, v3, v4, v2
.LBB6_1788:
	s_or_b64 exec, exec, s[6:7]
	s_movk_i32 s4, 0x7f
	v_cmp_gt_i16_sdwa s[6:7], v5, s4 src0_sel:BYTE_3 src1_sel:DWORD
	s_mov_b64 s[4:5], 0
                                        ; implicit-def: $sgpr10
	s_and_saveexec_b64 s[8:9], s[6:7]
	s_xor_b64 s[6:7], exec, s[8:9]
	s_cbranch_execnz .LBB6_3837
; %bb.1789:
	s_or_saveexec_b64 s[6:7], s[6:7]
	v_mov_b32_e32 v3, s10
	s_xor_b64 exec, exec, s[6:7]
	s_cbranch_execnz .LBB6_3840
.LBB6_1790:
	s_or_b64 exec, exec, s[6:7]
	s_and_saveexec_b64 s[6:7], s[4:5]
	s_cbranch_execz .LBB6_1792
.LBB6_1791:
	v_bfe_u32 v3, v5, 24, 3
	v_ffbh_u32_e32 v8, v3
	v_min_u32_e32 v8, 32, v8
	v_lshrrev_b32_e32 v6, 27, v5
	v_subrev_u32_e32 v9, 28, v8
	v_and_b32_e32 v4, 0x80000000, v5
	v_and_b32_e32 v6, 15, v6
	v_bfe_u32 v7, v5, 27, 4
	v_lshlrev_b32_sdwa v5, v9, v5 dst_sel:DWORD dst_unused:UNUSED_PAD src0_sel:DWORD src1_sel:BYTE_3
	v_sub_u32_e32 v8, 29, v8
	v_and_b32_e32 v5, 7, v5
	v_cmp_eq_u16_e32 vcc, 0, v6
	v_cndmask_b32_e32 v3, v3, v5, vcc
	v_cndmask_b32_e32 v5, v7, v8, vcc
	v_mov_b32_e32 v6, 0x3b800000
	v_lshlrev_b32_e32 v3, 20, v3
	v_lshl_add_u32 v5, v5, 23, v6
	v_or3_b32 v3, v4, v5, v3
.LBB6_1792:
	s_or_b64 exec, exec, s[6:7]
	s_nop 0
	v_mfma_f32_16x16x4f32 a[0:3], v2, v3, a[0:3]
	s_movk_i32 s4, 0x7f
                                        ; implicit-def: $sgpr10
	s_nop 7
	s_nop 1
	flat_store_dwordx4 v[10:11], a[0:3] offset:208
	flat_load_dwordx4 v[12:15], v[0:1] offset:8
	s_nop 0
	flat_load_dwordx2 v[10:11], v[0:1] offset:32
	s_waitcnt vmcnt(0) lgkmcnt(0)
	flat_load_dwordx4 v[6:9], v[12:13] offset:112
	flat_load_dwordx4 v[2:5], v[14:15] offset:80
	s_waitcnt vmcnt(0) lgkmcnt(0)
	v_cmp_gt_i16_sdwa s[6:7], v6, s4 src0_sel:BYTE_0 src1_sel:DWORD
	s_mov_b64 s[4:5], 0
	s_and_saveexec_b64 s[8:9], s[6:7]
	s_xor_b64 s[6:7], exec, s[8:9]
	s_cbranch_execnz .LBB6_3841
; %bb.1793:
	s_or_saveexec_b64 s[6:7], s[6:7]
	v_mov_b32_e32 v12, s10
	s_xor_b64 exec, exec, s[6:7]
	s_cbranch_execnz .LBB6_3844
.LBB6_1794:
	s_or_b64 exec, exec, s[6:7]
	s_and_saveexec_b64 s[6:7], s[4:5]
	s_cbranch_execz .LBB6_1796
.LBB6_1795:
	v_and_b32_e32 v12, 7, v6
	v_ffbh_u32_e32 v14, v12
	v_min_u32_e32 v14, 32, v14
	v_lshrrev_b16_e32 v13, 3, v6
	v_subrev_u32_e32 v15, 28, v14
	v_and_b32_e32 v13, 15, v13
	v_lshlrev_b32_e32 v15, v15, v6
	v_sub_u32_e32 v14, 29, v14
	v_and_b32_e32 v15, 7, v15
	v_cmp_eq_u16_e32 vcc, 0, v13
	v_cndmask_b32_e32 v12, v12, v15, vcc
	v_cndmask_b32_e32 v13, v13, v14, vcc
	v_lshlrev_b32_e32 v14, 24, v6
	v_mov_b32_e32 v15, 0x3b800000
	v_lshlrev_b32_e32 v12, 20, v12
	v_and_b32_e32 v14, 0x80000000, v14
	v_lshl_add_u32 v13, v13, 23, v15
	v_or3_b32 v12, v14, v13, v12
.LBB6_1796:
	s_or_b64 exec, exec, s[6:7]
	s_movk_i32 s4, 0x7f
	v_cmp_gt_i16_sdwa s[6:7], v2, s4 src0_sel:BYTE_0 src1_sel:DWORD
	s_mov_b64 s[4:5], 0
                                        ; implicit-def: $sgpr10
	s_and_saveexec_b64 s[8:9], s[6:7]
	s_xor_b64 s[6:7], exec, s[8:9]
	s_cbranch_execnz .LBB6_3845
; %bb.1797:
	s_or_saveexec_b64 s[6:7], s[6:7]
	v_mov_b32_e32 v13, s10
	s_xor_b64 exec, exec, s[6:7]
	s_cbranch_execnz .LBB6_3848
.LBB6_1798:
	s_or_b64 exec, exec, s[6:7]
	s_and_saveexec_b64 s[6:7], s[4:5]
	s_cbranch_execz .LBB6_1800
.LBB6_1799:
	v_and_b32_e32 v13, 7, v2
	v_ffbh_u32_e32 v15, v13
	v_min_u32_e32 v15, 32, v15
	v_lshrrev_b16_e32 v14, 3, v2
	v_subrev_u32_e32 v16, 28, v15
	v_and_b32_e32 v14, 15, v14
	v_lshlrev_b32_e32 v16, v16, v2
	v_sub_u32_e32 v15, 29, v15
	v_and_b32_e32 v16, 7, v16
	v_cmp_eq_u16_e32 vcc, 0, v14
	v_cndmask_b32_e32 v13, v13, v16, vcc
	v_cndmask_b32_e32 v14, v14, v15, vcc
	v_lshlrev_b32_e32 v15, 24, v2
	v_mov_b32_e32 v16, 0x3b800000
	v_lshlrev_b32_e32 v13, 20, v13
	v_and_b32_e32 v15, 0x80000000, v15
	v_lshl_add_u32 v14, v14, 23, v16
	v_or3_b32 v13, v15, v14, v13
.LBB6_1800:
	s_or_b64 exec, exec, s[6:7]
	flat_load_dwordx4 a[0:3], v[10:11] offset:224
	s_movk_i32 s4, 0x7f
                                        ; implicit-def: $sgpr10
	s_waitcnt vmcnt(0) lgkmcnt(0)
	v_mfma_f32_16x16x4f32 a[0:3], v12, v13, a[0:3]
	v_lshrrev_b32_e32 v13, 8, v6
	v_cmp_gt_i16_sdwa s[6:7], v13, s4 src0_sel:BYTE_0 src1_sel:DWORD
	s_mov_b64 s[4:5], 0
	s_and_saveexec_b64 s[8:9], s[6:7]
	s_xor_b64 s[6:7], exec, s[8:9]
	s_cbranch_execnz .LBB6_3849
; %bb.1801:
	s_or_saveexec_b64 s[6:7], s[6:7]
	v_mov_b32_e32 v12, s10
	s_xor_b64 exec, exec, s[6:7]
	s_cbranch_execnz .LBB6_3852
.LBB6_1802:
	s_or_b64 exec, exec, s[6:7]
	s_and_saveexec_b64 s[6:7], s[4:5]
	s_cbranch_execz .LBB6_1804
.LBB6_1803:
	v_bfe_u32 v12, v6, 8, 3
	v_ffbh_u32_e32 v15, v12
	v_min_u32_e32 v15, 32, v15
	v_lshrrev_b16_e32 v14, 3, v13
	v_subrev_u32_e32 v16, 28, v15
	v_and_b32_e32 v14, 15, v14
	v_lshlrev_b32_e32 v13, v16, v13
	v_sub_u32_e32 v15, 29, v15
	v_and_b32_e32 v13, 7, v13
	v_cmp_eq_u16_e32 vcc, 0, v14
	v_cndmask_b32_e32 v12, v12, v13, vcc
	v_cndmask_b32_e32 v13, v14, v15, vcc
	v_lshlrev_b32_e32 v14, 16, v6
	v_mov_b32_e32 v15, 0x3b800000
	v_lshlrev_b32_e32 v12, 20, v12
	v_and_b32_e32 v14, 0x80000000, v14
	v_lshl_add_u32 v13, v13, 23, v15
	v_or3_b32 v12, v14, v13, v12
.LBB6_1804:
	s_or_b64 exec, exec, s[6:7]
	v_lshrrev_b32_e32 v13, 8, v2
	s_movk_i32 s4, 0x7f
	v_cmp_gt_i16_sdwa s[6:7], v13, s4 src0_sel:BYTE_0 src1_sel:DWORD
	s_mov_b64 s[4:5], 0
                                        ; implicit-def: $sgpr10
	s_and_saveexec_b64 s[8:9], s[6:7]
	s_xor_b64 s[6:7], exec, s[8:9]
	s_cbranch_execnz .LBB6_3853
; %bb.1805:
	s_or_saveexec_b64 s[6:7], s[6:7]
	v_mov_b32_e32 v14, s10
	s_xor_b64 exec, exec, s[6:7]
	s_cbranch_execnz .LBB6_3856
.LBB6_1806:
	s_or_b64 exec, exec, s[6:7]
	s_and_saveexec_b64 s[6:7], s[4:5]
	s_cbranch_execz .LBB6_1808
.LBB6_1807:
	v_bfe_u32 v14, v2, 8, 3
	v_ffbh_u32_e32 v16, v14
	v_min_u32_e32 v16, 32, v16
	v_lshrrev_b16_e32 v15, 3, v13
	v_subrev_u32_e32 v17, 28, v16
	v_and_b32_e32 v15, 15, v15
	v_lshlrev_b32_e32 v13, v17, v13
	v_sub_u32_e32 v16, 29, v16
	v_and_b32_e32 v13, 7, v13
	v_cmp_eq_u16_e32 vcc, 0, v15
	v_cndmask_b32_e32 v13, v14, v13, vcc
	v_cndmask_b32_e32 v14, v15, v16, vcc
	v_lshlrev_b32_e32 v15, 16, v2
	v_mov_b32_e32 v16, 0x3b800000
	v_lshlrev_b32_e32 v13, 20, v13
	v_and_b32_e32 v15, 0x80000000, v15
	v_lshl_add_u32 v14, v14, 23, v16
	v_or3_b32 v14, v15, v14, v13
.LBB6_1808:
	s_or_b64 exec, exec, s[6:7]
	s_nop 0
	v_mfma_f32_16x16x4f32 a[0:3], v12, v14, a[0:3]
	s_movk_i32 s4, 0xff
	v_and_b32_sdwa v13, v6, s4 dst_sel:DWORD dst_unused:UNUSED_PAD src0_sel:WORD_1 src1_sel:DWORD
	s_movk_i32 s4, 0x7f
	v_cmp_lt_i16_e32 vcc, s4, v13
	s_mov_b64 s[4:5], 0
                                        ; implicit-def: $sgpr10
	s_and_saveexec_b64 s[6:7], vcc
	s_xor_b64 s[6:7], exec, s[6:7]
	s_cbranch_execnz .LBB6_3857
; %bb.1809:
	s_or_saveexec_b64 s[6:7], s[6:7]
	v_mov_b32_e32 v12, s10
	s_xor_b64 exec, exec, s[6:7]
	s_cbranch_execnz .LBB6_3860
.LBB6_1810:
	s_or_b64 exec, exec, s[6:7]
	s_and_saveexec_b64 s[6:7], s[4:5]
	s_cbranch_execz .LBB6_1812
.LBB6_1811:
	v_bfe_u32 v12, v6, 16, 3
	v_ffbh_u32_e32 v15, v12
	v_min_u32_e32 v15, 32, v15
	v_lshrrev_b32_e32 v13, 19, v6
	v_subrev_u32_e32 v16, 28, v15
	v_and_b32_e32 v13, 15, v13
	v_lshlrev_b32_sdwa v16, v16, v6 dst_sel:DWORD dst_unused:UNUSED_PAD src0_sel:DWORD src1_sel:WORD_1
	v_bfe_u32 v14, v6, 19, 4
	v_sub_u32_e32 v15, 29, v15
	v_and_b32_e32 v16, 7, v16
	v_cmp_eq_u16_e32 vcc, 0, v13
	v_cndmask_b32_e32 v12, v12, v16, vcc
	v_cndmask_b32_e32 v13, v14, v15, vcc
	v_lshlrev_b32_e32 v14, 8, v6
	v_mov_b32_e32 v15, 0x3b800000
	v_lshlrev_b32_e32 v12, 20, v12
	v_and_b32_e32 v14, 0x80000000, v14
	v_lshl_add_u32 v13, v13, 23, v15
	v_or3_b32 v12, v14, v13, v12
.LBB6_1812:
	s_or_b64 exec, exec, s[6:7]
	s_movk_i32 s4, 0xff
	v_and_b32_sdwa v13, v2, s4 dst_sel:DWORD dst_unused:UNUSED_PAD src0_sel:WORD_1 src1_sel:DWORD
	s_movk_i32 s4, 0x7f
	v_cmp_lt_i16_e32 vcc, s4, v13
	s_mov_b64 s[4:5], 0
                                        ; implicit-def: $sgpr10
	s_and_saveexec_b64 s[6:7], vcc
	s_xor_b64 s[6:7], exec, s[6:7]
	s_cbranch_execnz .LBB6_3861
; %bb.1813:
	s_or_saveexec_b64 s[6:7], s[6:7]
	v_mov_b32_e32 v14, s10
	s_xor_b64 exec, exec, s[6:7]
	s_cbranch_execnz .LBB6_3864
.LBB6_1814:
	s_or_b64 exec, exec, s[6:7]
	s_and_saveexec_b64 s[6:7], s[4:5]
	s_cbranch_execz .LBB6_1816
.LBB6_1815:
	v_bfe_u32 v13, v2, 16, 3
	v_ffbh_u32_e32 v16, v13
	v_min_u32_e32 v16, 32, v16
	v_lshrrev_b32_e32 v14, 19, v2
	v_subrev_u32_e32 v17, 28, v16
	v_and_b32_e32 v14, 15, v14
	v_lshlrev_b32_sdwa v17, v17, v2 dst_sel:DWORD dst_unused:UNUSED_PAD src0_sel:DWORD src1_sel:WORD_1
	v_bfe_u32 v15, v2, 19, 4
	v_sub_u32_e32 v16, 29, v16
	v_and_b32_e32 v17, 7, v17
	v_cmp_eq_u16_e32 vcc, 0, v14
	v_cndmask_b32_e32 v13, v13, v17, vcc
	v_cndmask_b32_e32 v14, v15, v16, vcc
	v_lshlrev_b32_e32 v15, 8, v2
	v_mov_b32_e32 v16, 0x3b800000
	v_lshlrev_b32_e32 v13, 20, v13
	v_and_b32_e32 v15, 0x80000000, v15
	v_lshl_add_u32 v14, v14, 23, v16
	v_or3_b32 v14, v15, v14, v13
.LBB6_1816:
	s_or_b64 exec, exec, s[6:7]
	s_nop 0
	v_mfma_f32_16x16x4f32 a[0:3], v12, v14, a[0:3]
	s_movk_i32 s4, 0x7f
	v_cmp_gt_i16_sdwa s[6:7], v6, s4 src0_sel:BYTE_3 src1_sel:DWORD
	s_mov_b64 s[4:5], 0
                                        ; implicit-def: $sgpr10
	s_and_saveexec_b64 s[8:9], s[6:7]
	s_xor_b64 s[6:7], exec, s[8:9]
	s_cbranch_execnz .LBB6_3865
; %bb.1817:
	s_or_saveexec_b64 s[6:7], s[6:7]
	v_mov_b32_e32 v12, s10
	s_xor_b64 exec, exec, s[6:7]
	s_cbranch_execnz .LBB6_3868
.LBB6_1818:
	s_or_b64 exec, exec, s[6:7]
	s_and_saveexec_b64 s[6:7], s[4:5]
	s_cbranch_execz .LBB6_1820
.LBB6_1819:
	v_bfe_u32 v12, v6, 24, 3
	v_ffbh_u32_e32 v16, v12
	v_min_u32_e32 v16, 32, v16
	v_lshrrev_b32_e32 v14, 27, v6
	v_subrev_u32_e32 v17, 28, v16
	v_and_b32_e32 v13, 0x80000000, v6
	v_and_b32_e32 v14, 15, v14
	v_bfe_u32 v15, v6, 27, 4
	v_lshlrev_b32_sdwa v6, v17, v6 dst_sel:DWORD dst_unused:UNUSED_PAD src0_sel:DWORD src1_sel:BYTE_3
	v_sub_u32_e32 v16, 29, v16
	v_and_b32_e32 v6, 7, v6
	v_cmp_eq_u16_e32 vcc, 0, v14
	v_cndmask_b32_e32 v6, v12, v6, vcc
	v_cndmask_b32_e32 v12, v15, v16, vcc
	v_mov_b32_e32 v14, 0x3b800000
	v_lshlrev_b32_e32 v6, 20, v6
	v_lshl_add_u32 v12, v12, 23, v14
	v_or3_b32 v12, v13, v12, v6
.LBB6_1820:
	s_or_b64 exec, exec, s[6:7]
	s_movk_i32 s4, 0x7f
	v_cmp_gt_i16_sdwa s[6:7], v2, s4 src0_sel:BYTE_3 src1_sel:DWORD
	s_mov_b64 s[4:5], 0
                                        ; implicit-def: $sgpr10
	s_and_saveexec_b64 s[8:9], s[6:7]
	s_xor_b64 s[6:7], exec, s[8:9]
	s_cbranch_execnz .LBB6_3869
; %bb.1821:
	s_or_saveexec_b64 s[6:7], s[6:7]
	v_mov_b32_e32 v6, s10
	s_xor_b64 exec, exec, s[6:7]
	s_cbranch_execnz .LBB6_3872
.LBB6_1822:
	s_or_b64 exec, exec, s[6:7]
	s_and_saveexec_b64 s[6:7], s[4:5]
	s_cbranch_execz .LBB6_1824
.LBB6_1823:
	v_bfe_u32 v6, v2, 24, 3
	v_ffbh_u32_e32 v16, v6
	v_min_u32_e32 v16, 32, v16
	v_lshrrev_b32_e32 v14, 27, v2
	v_subrev_u32_e32 v17, 28, v16
	v_and_b32_e32 v13, 0x80000000, v2
	v_and_b32_e32 v14, 15, v14
	v_bfe_u32 v15, v2, 27, 4
	v_lshlrev_b32_sdwa v2, v17, v2 dst_sel:DWORD dst_unused:UNUSED_PAD src0_sel:DWORD src1_sel:BYTE_3
	v_sub_u32_e32 v16, 29, v16
	v_and_b32_e32 v2, 7, v2
	v_cmp_eq_u16_e32 vcc, 0, v14
	v_cndmask_b32_e32 v2, v6, v2, vcc
	v_cndmask_b32_e32 v6, v15, v16, vcc
	v_mov_b32_e32 v14, 0x3b800000
	v_lshlrev_b32_e32 v2, 20, v2
	v_lshl_add_u32 v6, v6, 23, v14
	v_or3_b32 v6, v13, v6, v2
.LBB6_1824:
	s_or_b64 exec, exec, s[6:7]
	s_nop 0
	v_mfma_f32_16x16x4f32 a[0:3], v12, v6, a[0:3]
	s_movk_i32 s4, 0x7f
	v_cmp_gt_i16_sdwa s[6:7], v7, s4 src0_sel:BYTE_0 src1_sel:DWORD
	s_mov_b64 s[4:5], 0
                                        ; implicit-def: $sgpr10
	s_and_saveexec_b64 s[8:9], s[6:7]
	s_xor_b64 s[6:7], exec, s[8:9]
	s_cbranch_execnz .LBB6_3873
; %bb.1825:
	s_or_saveexec_b64 s[6:7], s[6:7]
	v_mov_b32_e32 v2, s10
	s_xor_b64 exec, exec, s[6:7]
	s_cbranch_execnz .LBB6_3876
.LBB6_1826:
	s_or_b64 exec, exec, s[6:7]
	s_and_saveexec_b64 s[6:7], s[4:5]
	s_cbranch_execz .LBB6_1828
.LBB6_1827:
	v_and_b32_e32 v2, 7, v7
	v_ffbh_u32_e32 v12, v2
	v_min_u32_e32 v12, 32, v12
	v_lshrrev_b16_e32 v6, 3, v7
	v_subrev_u32_e32 v13, 28, v12
	v_and_b32_e32 v6, 15, v6
	v_lshlrev_b32_e32 v13, v13, v7
	v_sub_u32_e32 v12, 29, v12
	v_and_b32_e32 v13, 7, v13
	v_cmp_eq_u16_e32 vcc, 0, v6
	v_cndmask_b32_e32 v2, v2, v13, vcc
	v_cndmask_b32_e32 v6, v6, v12, vcc
	v_lshlrev_b32_e32 v12, 24, v7
	v_mov_b32_e32 v13, 0x3b800000
	v_lshlrev_b32_e32 v2, 20, v2
	v_and_b32_e32 v12, 0x80000000, v12
	v_lshl_add_u32 v6, v6, 23, v13
	v_or3_b32 v2, v12, v6, v2
.LBB6_1828:
	s_or_b64 exec, exec, s[6:7]
	s_movk_i32 s4, 0x7f
	v_cmp_gt_i16_sdwa s[6:7], v3, s4 src0_sel:BYTE_0 src1_sel:DWORD
	s_mov_b64 s[4:5], 0
                                        ; implicit-def: $sgpr10
	s_and_saveexec_b64 s[8:9], s[6:7]
	s_xor_b64 s[6:7], exec, s[8:9]
	s_cbranch_execnz .LBB6_3877
; %bb.1829:
	s_or_saveexec_b64 s[6:7], s[6:7]
	v_mov_b32_e32 v6, s10
	s_xor_b64 exec, exec, s[6:7]
	s_cbranch_execnz .LBB6_3880
.LBB6_1830:
	s_or_b64 exec, exec, s[6:7]
	s_and_saveexec_b64 s[6:7], s[4:5]
	s_cbranch_execz .LBB6_1832
.LBB6_1831:
	v_and_b32_e32 v6, 7, v3
	v_ffbh_u32_e32 v13, v6
	v_min_u32_e32 v13, 32, v13
	v_lshrrev_b16_e32 v12, 3, v3
	v_subrev_u32_e32 v14, 28, v13
	v_and_b32_e32 v12, 15, v12
	v_lshlrev_b32_e32 v14, v14, v3
	v_sub_u32_e32 v13, 29, v13
	v_and_b32_e32 v14, 7, v14
	v_cmp_eq_u16_e32 vcc, 0, v12
	v_cndmask_b32_e32 v6, v6, v14, vcc
	v_cndmask_b32_e32 v12, v12, v13, vcc
	v_lshlrev_b32_e32 v13, 24, v3
	v_mov_b32_e32 v14, 0x3b800000
	v_lshlrev_b32_e32 v6, 20, v6
	v_and_b32_e32 v13, 0x80000000, v13
	v_lshl_add_u32 v12, v12, 23, v14
	v_or3_b32 v6, v13, v12, v6
.LBB6_1832:
	s_or_b64 exec, exec, s[6:7]
	s_nop 0
	v_mfma_f32_16x16x4f32 a[0:3], v2, v6, a[0:3]
	v_lshrrev_b32_e32 v6, 8, v7
	s_movk_i32 s4, 0x7f
	v_cmp_gt_i16_sdwa s[6:7], v6, s4 src0_sel:BYTE_0 src1_sel:DWORD
	s_mov_b64 s[4:5], 0
                                        ; implicit-def: $sgpr10
	s_and_saveexec_b64 s[8:9], s[6:7]
	s_xor_b64 s[6:7], exec, s[8:9]
	s_cbranch_execnz .LBB6_3881
; %bb.1833:
	s_or_saveexec_b64 s[6:7], s[6:7]
	v_mov_b32_e32 v2, s10
	s_xor_b64 exec, exec, s[6:7]
	s_cbranch_execnz .LBB6_3884
.LBB6_1834:
	s_or_b64 exec, exec, s[6:7]
	s_and_saveexec_b64 s[6:7], s[4:5]
	s_cbranch_execz .LBB6_1836
.LBB6_1835:
	v_bfe_u32 v2, v7, 8, 3
	v_ffbh_u32_e32 v13, v2
	v_min_u32_e32 v13, 32, v13
	v_lshrrev_b16_e32 v12, 3, v6
	v_subrev_u32_e32 v14, 28, v13
	v_and_b32_e32 v12, 15, v12
	v_lshlrev_b32_e32 v6, v14, v6
	v_sub_u32_e32 v13, 29, v13
	v_and_b32_e32 v6, 7, v6
	v_cmp_eq_u16_e32 vcc, 0, v12
	v_cndmask_b32_e32 v2, v2, v6, vcc
	v_cndmask_b32_e32 v6, v12, v13, vcc
	v_lshlrev_b32_e32 v12, 16, v7
	v_mov_b32_e32 v13, 0x3b800000
	v_lshlrev_b32_e32 v2, 20, v2
	v_and_b32_e32 v12, 0x80000000, v12
	v_lshl_add_u32 v6, v6, 23, v13
	v_or3_b32 v2, v12, v6, v2
.LBB6_1836:
	s_or_b64 exec, exec, s[6:7]
	v_lshrrev_b32_e32 v6, 8, v3
	s_movk_i32 s4, 0x7f
	v_cmp_gt_i16_sdwa s[6:7], v6, s4 src0_sel:BYTE_0 src1_sel:DWORD
	s_mov_b64 s[4:5], 0
                                        ; implicit-def: $sgpr10
	s_and_saveexec_b64 s[8:9], s[6:7]
	s_xor_b64 s[6:7], exec, s[8:9]
	s_cbranch_execnz .LBB6_3885
; %bb.1837:
	s_or_saveexec_b64 s[6:7], s[6:7]
	v_mov_b32_e32 v12, s10
	s_xor_b64 exec, exec, s[6:7]
	s_cbranch_execnz .LBB6_3888
.LBB6_1838:
	s_or_b64 exec, exec, s[6:7]
	s_and_saveexec_b64 s[6:7], s[4:5]
	s_cbranch_execz .LBB6_1840
.LBB6_1839:
	v_bfe_u32 v12, v3, 8, 3
	v_ffbh_u32_e32 v14, v12
	v_min_u32_e32 v14, 32, v14
	v_lshrrev_b16_e32 v13, 3, v6
	v_subrev_u32_e32 v15, 28, v14
	v_and_b32_e32 v13, 15, v13
	v_lshlrev_b32_e32 v6, v15, v6
	v_sub_u32_e32 v14, 29, v14
	v_and_b32_e32 v6, 7, v6
	v_cmp_eq_u16_e32 vcc, 0, v13
	v_cndmask_b32_e32 v6, v12, v6, vcc
	v_cndmask_b32_e32 v12, v13, v14, vcc
	v_lshlrev_b32_e32 v13, 16, v3
	v_mov_b32_e32 v14, 0x3b800000
	v_lshlrev_b32_e32 v6, 20, v6
	v_and_b32_e32 v13, 0x80000000, v13
	v_lshl_add_u32 v12, v12, 23, v14
	v_or3_b32 v12, v13, v12, v6
.LBB6_1840:
	s_or_b64 exec, exec, s[6:7]
	s_nop 0
	v_mfma_f32_16x16x4f32 a[0:3], v2, v12, a[0:3]
	s_movk_i32 s4, 0xff
	v_and_b32_sdwa v6, v7, s4 dst_sel:DWORD dst_unused:UNUSED_PAD src0_sel:WORD_1 src1_sel:DWORD
	s_movk_i32 s4, 0x7f
	v_cmp_lt_i16_e32 vcc, s4, v6
	s_mov_b64 s[4:5], 0
                                        ; implicit-def: $sgpr10
	s_and_saveexec_b64 s[6:7], vcc
	s_xor_b64 s[6:7], exec, s[6:7]
	s_cbranch_execnz .LBB6_3889
; %bb.1841:
	s_or_saveexec_b64 s[6:7], s[6:7]
	v_mov_b32_e32 v2, s10
	s_xor_b64 exec, exec, s[6:7]
	s_cbranch_execnz .LBB6_3892
.LBB6_1842:
	s_or_b64 exec, exec, s[6:7]
	s_and_saveexec_b64 s[6:7], s[4:5]
	s_cbranch_execz .LBB6_1844
.LBB6_1843:
	v_bfe_u32 v2, v7, 16, 3
	v_ffbh_u32_e32 v13, v2
	v_min_u32_e32 v13, 32, v13
	v_lshrrev_b32_e32 v6, 19, v7
	v_subrev_u32_e32 v14, 28, v13
	v_and_b32_e32 v6, 15, v6
	v_lshlrev_b32_sdwa v14, v14, v7 dst_sel:DWORD dst_unused:UNUSED_PAD src0_sel:DWORD src1_sel:WORD_1
	v_bfe_u32 v12, v7, 19, 4
	v_sub_u32_e32 v13, 29, v13
	v_and_b32_e32 v14, 7, v14
	v_cmp_eq_u16_e32 vcc, 0, v6
	v_cndmask_b32_e32 v2, v2, v14, vcc
	v_cndmask_b32_e32 v6, v12, v13, vcc
	v_lshlrev_b32_e32 v12, 8, v7
	v_mov_b32_e32 v13, 0x3b800000
	v_lshlrev_b32_e32 v2, 20, v2
	v_and_b32_e32 v12, 0x80000000, v12
	v_lshl_add_u32 v6, v6, 23, v13
	v_or3_b32 v2, v12, v6, v2
.LBB6_1844:
	s_or_b64 exec, exec, s[6:7]
	s_movk_i32 s4, 0xff
	v_and_b32_sdwa v6, v3, s4 dst_sel:DWORD dst_unused:UNUSED_PAD src0_sel:WORD_1 src1_sel:DWORD
	s_movk_i32 s4, 0x7f
	v_cmp_lt_i16_e32 vcc, s4, v6
	s_mov_b64 s[4:5], 0
                                        ; implicit-def: $sgpr10
	s_and_saveexec_b64 s[6:7], vcc
	s_xor_b64 s[6:7], exec, s[6:7]
	s_cbranch_execnz .LBB6_3893
; %bb.1845:
	s_or_saveexec_b64 s[6:7], s[6:7]
	v_mov_b32_e32 v12, s10
	s_xor_b64 exec, exec, s[6:7]
	s_cbranch_execnz .LBB6_3896
.LBB6_1846:
	s_or_b64 exec, exec, s[6:7]
	s_and_saveexec_b64 s[6:7], s[4:5]
	s_cbranch_execz .LBB6_1848
.LBB6_1847:
	v_bfe_u32 v6, v3, 16, 3
	v_ffbh_u32_e32 v14, v6
	v_min_u32_e32 v14, 32, v14
	v_lshrrev_b32_e32 v12, 19, v3
	v_subrev_u32_e32 v15, 28, v14
	v_and_b32_e32 v12, 15, v12
	v_lshlrev_b32_sdwa v15, v15, v3 dst_sel:DWORD dst_unused:UNUSED_PAD src0_sel:DWORD src1_sel:WORD_1
	v_bfe_u32 v13, v3, 19, 4
	v_sub_u32_e32 v14, 29, v14
	v_and_b32_e32 v15, 7, v15
	v_cmp_eq_u16_e32 vcc, 0, v12
	v_cndmask_b32_e32 v6, v6, v15, vcc
	v_cndmask_b32_e32 v12, v13, v14, vcc
	v_lshlrev_b32_e32 v13, 8, v3
	v_mov_b32_e32 v14, 0x3b800000
	v_lshlrev_b32_e32 v6, 20, v6
	v_and_b32_e32 v13, 0x80000000, v13
	v_lshl_add_u32 v12, v12, 23, v14
	v_or3_b32 v12, v13, v12, v6
.LBB6_1848:
	s_or_b64 exec, exec, s[6:7]
	s_nop 0
	v_mfma_f32_16x16x4f32 a[0:3], v2, v12, a[0:3]
	s_movk_i32 s4, 0x7f
	v_cmp_gt_i16_sdwa s[6:7], v7, s4 src0_sel:BYTE_3 src1_sel:DWORD
	s_mov_b64 s[4:5], 0
                                        ; implicit-def: $sgpr10
	s_and_saveexec_b64 s[8:9], s[6:7]
	s_xor_b64 s[6:7], exec, s[8:9]
	s_cbranch_execnz .LBB6_3897
; %bb.1849:
	s_or_saveexec_b64 s[6:7], s[6:7]
	v_mov_b32_e32 v2, s10
	s_xor_b64 exec, exec, s[6:7]
	s_cbranch_execnz .LBB6_3900
.LBB6_1850:
	s_or_b64 exec, exec, s[6:7]
	s_and_saveexec_b64 s[6:7], s[4:5]
	s_cbranch_execz .LBB6_1852
.LBB6_1851:
	v_bfe_u32 v2, v7, 24, 3
	v_ffbh_u32_e32 v14, v2
	v_min_u32_e32 v14, 32, v14
	v_lshrrev_b32_e32 v12, 27, v7
	v_subrev_u32_e32 v15, 28, v14
	v_and_b32_e32 v6, 0x80000000, v7
	v_and_b32_e32 v12, 15, v12
	v_bfe_u32 v13, v7, 27, 4
	v_lshlrev_b32_sdwa v7, v15, v7 dst_sel:DWORD dst_unused:UNUSED_PAD src0_sel:DWORD src1_sel:BYTE_3
	v_sub_u32_e32 v14, 29, v14
	v_and_b32_e32 v7, 7, v7
	v_cmp_eq_u16_e32 vcc, 0, v12
	v_cndmask_b32_e32 v2, v2, v7, vcc
	v_cndmask_b32_e32 v7, v13, v14, vcc
	v_mov_b32_e32 v12, 0x3b800000
	v_lshlrev_b32_e32 v2, 20, v2
	v_lshl_add_u32 v7, v7, 23, v12
	v_or3_b32 v2, v6, v7, v2
.LBB6_1852:
	s_or_b64 exec, exec, s[6:7]
	s_movk_i32 s4, 0x7f
	v_cmp_gt_i16_sdwa s[6:7], v3, s4 src0_sel:BYTE_3 src1_sel:DWORD
	s_mov_b64 s[4:5], 0
                                        ; implicit-def: $sgpr10
	s_and_saveexec_b64 s[8:9], s[6:7]
	s_xor_b64 s[6:7], exec, s[8:9]
	s_cbranch_execnz .LBB6_3901
; %bb.1853:
	s_or_saveexec_b64 s[6:7], s[6:7]
	v_mov_b32_e32 v6, s10
	s_xor_b64 exec, exec, s[6:7]
	s_cbranch_execnz .LBB6_3904
.LBB6_1854:
	s_or_b64 exec, exec, s[6:7]
	s_and_saveexec_b64 s[6:7], s[4:5]
	s_cbranch_execz .LBB6_1856
.LBB6_1855:
	v_bfe_u32 v6, v3, 24, 3
	v_ffbh_u32_e32 v14, v6
	v_min_u32_e32 v14, 32, v14
	v_lshrrev_b32_e32 v12, 27, v3
	v_subrev_u32_e32 v15, 28, v14
	v_and_b32_e32 v7, 0x80000000, v3
	v_and_b32_e32 v12, 15, v12
	v_bfe_u32 v13, v3, 27, 4
	v_lshlrev_b32_sdwa v3, v15, v3 dst_sel:DWORD dst_unused:UNUSED_PAD src0_sel:DWORD src1_sel:BYTE_3
	v_sub_u32_e32 v14, 29, v14
	v_and_b32_e32 v3, 7, v3
	v_cmp_eq_u16_e32 vcc, 0, v12
	v_cndmask_b32_e32 v3, v6, v3, vcc
	v_cndmask_b32_e32 v6, v13, v14, vcc
	v_mov_b32_e32 v12, 0x3b800000
	v_lshlrev_b32_e32 v3, 20, v3
	v_lshl_add_u32 v6, v6, 23, v12
	v_or3_b32 v6, v7, v6, v3
.LBB6_1856:
	s_or_b64 exec, exec, s[6:7]
	s_nop 0
	v_mfma_f32_16x16x4f32 a[0:3], v2, v6, a[0:3]
	s_movk_i32 s4, 0x7f
	v_cmp_gt_i16_sdwa s[6:7], v8, s4 src0_sel:BYTE_0 src1_sel:DWORD
	s_mov_b64 s[4:5], 0
                                        ; implicit-def: $sgpr10
	s_and_saveexec_b64 s[8:9], s[6:7]
	s_xor_b64 s[6:7], exec, s[8:9]
	s_cbranch_execnz .LBB6_3905
; %bb.1857:
	s_or_saveexec_b64 s[6:7], s[6:7]
	v_mov_b32_e32 v2, s10
	s_xor_b64 exec, exec, s[6:7]
	s_cbranch_execnz .LBB6_3908
.LBB6_1858:
	s_or_b64 exec, exec, s[6:7]
	s_and_saveexec_b64 s[6:7], s[4:5]
	s_cbranch_execz .LBB6_1860
.LBB6_1859:
	v_and_b32_e32 v2, 7, v8
	v_ffbh_u32_e32 v6, v2
	v_min_u32_e32 v6, 32, v6
	v_lshrrev_b16_e32 v3, 3, v8
	v_subrev_u32_e32 v7, 28, v6
	v_and_b32_e32 v3, 15, v3
	v_lshlrev_b32_e32 v7, v7, v8
	v_sub_u32_e32 v6, 29, v6
	v_and_b32_e32 v7, 7, v7
	v_cmp_eq_u16_e32 vcc, 0, v3
	v_cndmask_b32_e32 v2, v2, v7, vcc
	v_cndmask_b32_e32 v3, v3, v6, vcc
	v_lshlrev_b32_e32 v6, 24, v8
	v_mov_b32_e32 v7, 0x3b800000
	v_lshlrev_b32_e32 v2, 20, v2
	v_and_b32_e32 v6, 0x80000000, v6
	v_lshl_add_u32 v3, v3, 23, v7
	v_or3_b32 v2, v6, v3, v2
.LBB6_1860:
	s_or_b64 exec, exec, s[6:7]
	s_movk_i32 s4, 0x7f
	v_cmp_gt_i16_sdwa s[6:7], v4, s4 src0_sel:BYTE_0 src1_sel:DWORD
	s_mov_b64 s[4:5], 0
                                        ; implicit-def: $sgpr10
	s_and_saveexec_b64 s[8:9], s[6:7]
	s_xor_b64 s[6:7], exec, s[8:9]
	s_cbranch_execnz .LBB6_3909
; %bb.1861:
	s_or_saveexec_b64 s[6:7], s[6:7]
	v_mov_b32_e32 v3, s10
	s_xor_b64 exec, exec, s[6:7]
	s_cbranch_execnz .LBB6_3912
.LBB6_1862:
	s_or_b64 exec, exec, s[6:7]
	s_and_saveexec_b64 s[6:7], s[4:5]
	s_cbranch_execz .LBB6_1864
.LBB6_1863:
	v_and_b32_e32 v3, 7, v4
	v_ffbh_u32_e32 v7, v3
	v_min_u32_e32 v7, 32, v7
	v_lshrrev_b16_e32 v6, 3, v4
	v_subrev_u32_e32 v12, 28, v7
	v_and_b32_e32 v6, 15, v6
	v_lshlrev_b32_e32 v12, v12, v4
	v_sub_u32_e32 v7, 29, v7
	v_and_b32_e32 v12, 7, v12
	v_cmp_eq_u16_e32 vcc, 0, v6
	v_cndmask_b32_e32 v3, v3, v12, vcc
	v_cndmask_b32_e32 v6, v6, v7, vcc
	v_lshlrev_b32_e32 v7, 24, v4
	v_mov_b32_e32 v12, 0x3b800000
	v_lshlrev_b32_e32 v3, 20, v3
	v_and_b32_e32 v7, 0x80000000, v7
	v_lshl_add_u32 v6, v6, 23, v12
	v_or3_b32 v3, v7, v6, v3
.LBB6_1864:
	s_or_b64 exec, exec, s[6:7]
	s_nop 0
	v_mfma_f32_16x16x4f32 a[0:3], v2, v3, a[0:3]
	v_lshrrev_b32_e32 v3, 8, v8
	s_movk_i32 s4, 0x7f
	v_cmp_gt_i16_sdwa s[6:7], v3, s4 src0_sel:BYTE_0 src1_sel:DWORD
	s_mov_b64 s[4:5], 0
                                        ; implicit-def: $sgpr10
	s_and_saveexec_b64 s[8:9], s[6:7]
	s_xor_b64 s[6:7], exec, s[8:9]
	s_cbranch_execnz .LBB6_3913
; %bb.1865:
	s_or_saveexec_b64 s[6:7], s[6:7]
	v_mov_b32_e32 v2, s10
	s_xor_b64 exec, exec, s[6:7]
	s_cbranch_execnz .LBB6_3916
.LBB6_1866:
	s_or_b64 exec, exec, s[6:7]
	s_and_saveexec_b64 s[6:7], s[4:5]
	s_cbranch_execz .LBB6_1868
.LBB6_1867:
	v_bfe_u32 v2, v8, 8, 3
	v_ffbh_u32_e32 v7, v2
	v_min_u32_e32 v7, 32, v7
	v_lshrrev_b16_e32 v6, 3, v3
	v_subrev_u32_e32 v12, 28, v7
	v_and_b32_e32 v6, 15, v6
	v_lshlrev_b32_e32 v3, v12, v3
	v_sub_u32_e32 v7, 29, v7
	v_and_b32_e32 v3, 7, v3
	v_cmp_eq_u16_e32 vcc, 0, v6
	v_cndmask_b32_e32 v2, v2, v3, vcc
	v_cndmask_b32_e32 v3, v6, v7, vcc
	v_lshlrev_b32_e32 v6, 16, v8
	v_mov_b32_e32 v7, 0x3b800000
	v_lshlrev_b32_e32 v2, 20, v2
	v_and_b32_e32 v6, 0x80000000, v6
	v_lshl_add_u32 v3, v3, 23, v7
	v_or3_b32 v2, v6, v3, v2
.LBB6_1868:
	s_or_b64 exec, exec, s[6:7]
	v_lshrrev_b32_e32 v3, 8, v4
	s_movk_i32 s4, 0x7f
	v_cmp_gt_i16_sdwa s[6:7], v3, s4 src0_sel:BYTE_0 src1_sel:DWORD
	s_mov_b64 s[4:5], 0
                                        ; implicit-def: $sgpr10
	s_and_saveexec_b64 s[8:9], s[6:7]
	s_xor_b64 s[6:7], exec, s[8:9]
	s_cbranch_execnz .LBB6_3917
; %bb.1869:
	s_or_saveexec_b64 s[6:7], s[6:7]
	v_mov_b32_e32 v6, s10
	s_xor_b64 exec, exec, s[6:7]
	s_cbranch_execnz .LBB6_3920
.LBB6_1870:
	s_or_b64 exec, exec, s[6:7]
	s_and_saveexec_b64 s[6:7], s[4:5]
	s_cbranch_execz .LBB6_1872
.LBB6_1871:
	v_bfe_u32 v6, v4, 8, 3
	v_ffbh_u32_e32 v12, v6
	v_min_u32_e32 v12, 32, v12
	v_lshrrev_b16_e32 v7, 3, v3
	v_subrev_u32_e32 v13, 28, v12
	v_and_b32_e32 v7, 15, v7
	v_lshlrev_b32_e32 v3, v13, v3
	v_sub_u32_e32 v12, 29, v12
	v_and_b32_e32 v3, 7, v3
	v_cmp_eq_u16_e32 vcc, 0, v7
	v_cndmask_b32_e32 v3, v6, v3, vcc
	v_cndmask_b32_e32 v6, v7, v12, vcc
	v_lshlrev_b32_e32 v7, 16, v4
	v_mov_b32_e32 v12, 0x3b800000
	v_lshlrev_b32_e32 v3, 20, v3
	v_and_b32_e32 v7, 0x80000000, v7
	v_lshl_add_u32 v6, v6, 23, v12
	v_or3_b32 v6, v7, v6, v3
.LBB6_1872:
	s_or_b64 exec, exec, s[6:7]
	s_nop 0
	v_mfma_f32_16x16x4f32 a[0:3], v2, v6, a[0:3]
	s_movk_i32 s4, 0xff
	v_and_b32_sdwa v3, v8, s4 dst_sel:DWORD dst_unused:UNUSED_PAD src0_sel:WORD_1 src1_sel:DWORD
	s_movk_i32 s4, 0x7f
	v_cmp_lt_i16_e32 vcc, s4, v3
	s_mov_b64 s[4:5], 0
                                        ; implicit-def: $sgpr10
	s_and_saveexec_b64 s[6:7], vcc
	s_xor_b64 s[6:7], exec, s[6:7]
	s_cbranch_execnz .LBB6_3921
; %bb.1873:
	s_or_saveexec_b64 s[6:7], s[6:7]
	v_mov_b32_e32 v2, s10
	s_xor_b64 exec, exec, s[6:7]
	s_cbranch_execnz .LBB6_3924
.LBB6_1874:
	s_or_b64 exec, exec, s[6:7]
	s_and_saveexec_b64 s[6:7], s[4:5]
	s_cbranch_execz .LBB6_1876
.LBB6_1875:
	v_bfe_u32 v2, v8, 16, 3
	v_ffbh_u32_e32 v7, v2
	v_min_u32_e32 v7, 32, v7
	v_lshrrev_b32_e32 v3, 19, v8
	v_subrev_u32_e32 v12, 28, v7
	v_and_b32_e32 v3, 15, v3
	v_lshlrev_b32_sdwa v12, v12, v8 dst_sel:DWORD dst_unused:UNUSED_PAD src0_sel:DWORD src1_sel:WORD_1
	v_bfe_u32 v6, v8, 19, 4
	v_sub_u32_e32 v7, 29, v7
	v_and_b32_e32 v12, 7, v12
	v_cmp_eq_u16_e32 vcc, 0, v3
	v_cndmask_b32_e32 v2, v2, v12, vcc
	v_cndmask_b32_e32 v3, v6, v7, vcc
	v_lshlrev_b32_e32 v6, 8, v8
	v_mov_b32_e32 v7, 0x3b800000
	v_lshlrev_b32_e32 v2, 20, v2
	v_and_b32_e32 v6, 0x80000000, v6
	v_lshl_add_u32 v3, v3, 23, v7
	v_or3_b32 v2, v6, v3, v2
.LBB6_1876:
	s_or_b64 exec, exec, s[6:7]
	s_movk_i32 s4, 0xff
	v_and_b32_sdwa v3, v4, s4 dst_sel:DWORD dst_unused:UNUSED_PAD src0_sel:WORD_1 src1_sel:DWORD
	s_movk_i32 s4, 0x7f
	v_cmp_lt_i16_e32 vcc, s4, v3
	s_mov_b64 s[4:5], 0
                                        ; implicit-def: $sgpr10
	s_and_saveexec_b64 s[6:7], vcc
	s_xor_b64 s[6:7], exec, s[6:7]
	s_cbranch_execnz .LBB6_3925
; %bb.1877:
	s_or_saveexec_b64 s[6:7], s[6:7]
	v_mov_b32_e32 v6, s10
	s_xor_b64 exec, exec, s[6:7]
	s_cbranch_execnz .LBB6_3928
.LBB6_1878:
	s_or_b64 exec, exec, s[6:7]
	s_and_saveexec_b64 s[6:7], s[4:5]
	s_cbranch_execz .LBB6_1880
.LBB6_1879:
	v_bfe_u32 v3, v4, 16, 3
	v_ffbh_u32_e32 v12, v3
	v_min_u32_e32 v12, 32, v12
	v_lshrrev_b32_e32 v6, 19, v4
	v_subrev_u32_e32 v13, 28, v12
	v_and_b32_e32 v6, 15, v6
	v_lshlrev_b32_sdwa v13, v13, v4 dst_sel:DWORD dst_unused:UNUSED_PAD src0_sel:DWORD src1_sel:WORD_1
	v_bfe_u32 v7, v4, 19, 4
	v_sub_u32_e32 v12, 29, v12
	v_and_b32_e32 v13, 7, v13
	v_cmp_eq_u16_e32 vcc, 0, v6
	v_cndmask_b32_e32 v3, v3, v13, vcc
	v_cndmask_b32_e32 v6, v7, v12, vcc
	v_lshlrev_b32_e32 v7, 8, v4
	v_mov_b32_e32 v12, 0x3b800000
	v_lshlrev_b32_e32 v3, 20, v3
	v_and_b32_e32 v7, 0x80000000, v7
	v_lshl_add_u32 v6, v6, 23, v12
	v_or3_b32 v6, v7, v6, v3
.LBB6_1880:
	s_or_b64 exec, exec, s[6:7]
	s_nop 0
	v_mfma_f32_16x16x4f32 a[0:3], v2, v6, a[0:3]
	s_movk_i32 s4, 0x7f
	v_cmp_gt_i16_sdwa s[6:7], v8, s4 src0_sel:BYTE_3 src1_sel:DWORD
	s_mov_b64 s[4:5], 0
                                        ; implicit-def: $sgpr10
	s_and_saveexec_b64 s[8:9], s[6:7]
	s_xor_b64 s[6:7], exec, s[8:9]
	s_cbranch_execnz .LBB6_3929
; %bb.1881:
	s_or_saveexec_b64 s[6:7], s[6:7]
	v_mov_b32_e32 v2, s10
	s_xor_b64 exec, exec, s[6:7]
	s_cbranch_execnz .LBB6_3932
.LBB6_1882:
	s_or_b64 exec, exec, s[6:7]
	s_and_saveexec_b64 s[6:7], s[4:5]
	s_cbranch_execz .LBB6_1884
.LBB6_1883:
	v_bfe_u32 v2, v8, 24, 3
	v_ffbh_u32_e32 v12, v2
	v_min_u32_e32 v12, 32, v12
	v_lshrrev_b32_e32 v6, 27, v8
	v_subrev_u32_e32 v13, 28, v12
	v_and_b32_e32 v3, 0x80000000, v8
	v_and_b32_e32 v6, 15, v6
	v_bfe_u32 v7, v8, 27, 4
	v_lshlrev_b32_sdwa v8, v13, v8 dst_sel:DWORD dst_unused:UNUSED_PAD src0_sel:DWORD src1_sel:BYTE_3
	v_sub_u32_e32 v12, 29, v12
	v_and_b32_e32 v8, 7, v8
	v_cmp_eq_u16_e32 vcc, 0, v6
	v_cndmask_b32_e32 v2, v2, v8, vcc
	v_cndmask_b32_e32 v6, v7, v12, vcc
	v_mov_b32_e32 v7, 0x3b800000
	v_lshlrev_b32_e32 v2, 20, v2
	v_lshl_add_u32 v6, v6, 23, v7
	v_or3_b32 v2, v3, v6, v2
.LBB6_1884:
	s_or_b64 exec, exec, s[6:7]
	s_movk_i32 s4, 0x7f
	v_cmp_gt_i16_sdwa s[6:7], v4, s4 src0_sel:BYTE_3 src1_sel:DWORD
	s_mov_b64 s[4:5], 0
                                        ; implicit-def: $sgpr10
	s_and_saveexec_b64 s[8:9], s[6:7]
	s_xor_b64 s[6:7], exec, s[8:9]
	s_cbranch_execnz .LBB6_3933
; %bb.1885:
	s_or_saveexec_b64 s[6:7], s[6:7]
	v_mov_b32_e32 v3, s10
	s_xor_b64 exec, exec, s[6:7]
	s_cbranch_execnz .LBB6_3936
.LBB6_1886:
	s_or_b64 exec, exec, s[6:7]
	s_and_saveexec_b64 s[6:7], s[4:5]
	s_cbranch_execz .LBB6_1888
.LBB6_1887:
	v_bfe_u32 v3, v4, 24, 3
	v_ffbh_u32_e32 v12, v3
	v_min_u32_e32 v12, 32, v12
	v_lshrrev_b32_e32 v7, 27, v4
	v_subrev_u32_e32 v13, 28, v12
	v_and_b32_e32 v6, 0x80000000, v4
	v_and_b32_e32 v7, 15, v7
	v_bfe_u32 v8, v4, 27, 4
	v_lshlrev_b32_sdwa v4, v13, v4 dst_sel:DWORD dst_unused:UNUSED_PAD src0_sel:DWORD src1_sel:BYTE_3
	v_sub_u32_e32 v12, 29, v12
	v_and_b32_e32 v4, 7, v4
	v_cmp_eq_u16_e32 vcc, 0, v7
	v_cndmask_b32_e32 v3, v3, v4, vcc
	v_cndmask_b32_e32 v4, v8, v12, vcc
	v_mov_b32_e32 v7, 0x3b800000
	v_lshlrev_b32_e32 v3, 20, v3
	v_lshl_add_u32 v4, v4, 23, v7
	v_or3_b32 v3, v6, v4, v3
.LBB6_1888:
	s_or_b64 exec, exec, s[6:7]
	s_nop 0
	v_mfma_f32_16x16x4f32 a[0:3], v2, v3, a[0:3]
	s_movk_i32 s4, 0x7f
	v_cmp_gt_i16_sdwa s[6:7], v9, s4 src0_sel:BYTE_0 src1_sel:DWORD
	s_mov_b64 s[4:5], 0
                                        ; implicit-def: $sgpr10
	s_and_saveexec_b64 s[8:9], s[6:7]
	s_xor_b64 s[6:7], exec, s[8:9]
	s_cbranch_execnz .LBB6_3937
; %bb.1889:
	s_or_saveexec_b64 s[6:7], s[6:7]
	v_mov_b32_e32 v2, s10
	s_xor_b64 exec, exec, s[6:7]
	s_cbranch_execnz .LBB6_3940
.LBB6_1890:
	s_or_b64 exec, exec, s[6:7]
	s_and_saveexec_b64 s[6:7], s[4:5]
	s_cbranch_execz .LBB6_1892
.LBB6_1891:
	v_mov_b32_e32 v2, 8
	v_and_b32_e32 v3, 7, v9
	v_lshrrev_b32_sdwa v2, v2, v9 dst_sel:BYTE_1 dst_unused:UNUSED_PAD src0_sel:DWORD src1_sel:DWORD
	v_ffbh_u32_e32 v4, v3
	v_or_b32_sdwa v2, v9, v2 dst_sel:DWORD dst_unused:UNUSED_PAD src0_sel:BYTE_0 src1_sel:DWORD
	v_min_u32_e32 v4, 32, v4
	v_lshrrev_b16_e32 v2, 3, v2
	v_subrev_u32_e32 v6, 28, v4
	v_and_b32_e32 v2, 15, v2
	v_lshlrev_b32_e32 v6, v6, v9
	v_sub_u32_e32 v4, 29, v4
	v_and_b32_e32 v6, 7, v6
	v_cmp_eq_u16_e32 vcc, 0, v2
	v_cndmask_b32_e32 v3, v3, v6, vcc
	v_cndmask_b32_e32 v2, v2, v4, vcc
	v_lshlrev_b32_e32 v4, 24, v9
	v_mov_b32_e32 v6, 0x3b800000
	v_lshlrev_b32_e32 v3, 20, v3
	v_and_b32_e32 v4, 0x80000000, v4
	v_lshl_add_u32 v2, v2, 23, v6
	v_or3_b32 v2, v4, v2, v3
.LBB6_1892:
	s_or_b64 exec, exec, s[6:7]
	s_movk_i32 s4, 0x7f
	v_cmp_gt_i16_sdwa s[6:7], v5, s4 src0_sel:BYTE_0 src1_sel:DWORD
	s_mov_b64 s[4:5], 0
                                        ; implicit-def: $sgpr10
	s_and_saveexec_b64 s[8:9], s[6:7]
	s_xor_b64 s[6:7], exec, s[8:9]
	s_cbranch_execnz .LBB6_3941
; %bb.1893:
	s_or_saveexec_b64 s[6:7], s[6:7]
	v_mov_b32_e32 v3, s10
	s_xor_b64 exec, exec, s[6:7]
	s_cbranch_execnz .LBB6_3944
.LBB6_1894:
	s_or_b64 exec, exec, s[6:7]
	s_and_saveexec_b64 s[6:7], s[4:5]
	s_cbranch_execz .LBB6_1896
.LBB6_1895:
	v_mov_b32_e32 v3, 8
	v_and_b32_e32 v4, 7, v5
	v_lshrrev_b32_sdwa v3, v3, v5 dst_sel:BYTE_1 dst_unused:UNUSED_PAD src0_sel:DWORD src1_sel:DWORD
	v_ffbh_u32_e32 v6, v4
	v_or_b32_sdwa v3, v5, v3 dst_sel:DWORD dst_unused:UNUSED_PAD src0_sel:BYTE_0 src1_sel:DWORD
	v_min_u32_e32 v6, 32, v6
	v_lshrrev_b16_e32 v3, 3, v3
	v_subrev_u32_e32 v7, 28, v6
	v_and_b32_e32 v3, 15, v3
	v_lshlrev_b32_e32 v7, v7, v5
	v_sub_u32_e32 v6, 29, v6
	v_and_b32_e32 v7, 7, v7
	v_cmp_eq_u16_e32 vcc, 0, v3
	v_cndmask_b32_e32 v4, v4, v7, vcc
	v_cndmask_b32_e32 v3, v3, v6, vcc
	v_lshlrev_b32_e32 v6, 24, v5
	v_mov_b32_e32 v7, 0x3b800000
	v_lshlrev_b32_e32 v4, 20, v4
	v_and_b32_e32 v6, 0x80000000, v6
	v_lshl_add_u32 v3, v3, 23, v7
	v_or3_b32 v3, v6, v3, v4
.LBB6_1896:
	s_or_b64 exec, exec, s[6:7]
	s_nop 0
	v_mfma_f32_16x16x4f32 a[0:3], v2, v3, a[0:3]
	v_lshrrev_b32_e32 v3, 8, v9
	s_movk_i32 s4, 0x7f
	v_cmp_gt_i16_sdwa s[6:7], v3, s4 src0_sel:BYTE_0 src1_sel:DWORD
	s_mov_b64 s[4:5], 0
                                        ; implicit-def: $sgpr10
	s_and_saveexec_b64 s[8:9], s[6:7]
	s_xor_b64 s[6:7], exec, s[8:9]
	s_cbranch_execnz .LBB6_3945
; %bb.1897:
	s_or_saveexec_b64 s[6:7], s[6:7]
	v_mov_b32_e32 v2, s10
	s_xor_b64 exec, exec, s[6:7]
	s_cbranch_execnz .LBB6_3948
.LBB6_1898:
	s_or_b64 exec, exec, s[6:7]
	s_and_saveexec_b64 s[6:7], s[4:5]
	s_cbranch_execz .LBB6_1900
.LBB6_1899:
	v_bfe_u32 v2, v9, 8, 3
	v_ffbh_u32_e32 v6, v2
	v_min_u32_e32 v6, 32, v6
	v_lshrrev_b16_e32 v4, 3, v3
	v_subrev_u32_e32 v7, 28, v6
	v_and_b32_e32 v4, 15, v4
	v_lshlrev_b32_e32 v3, v7, v3
	v_sub_u32_e32 v6, 29, v6
	v_and_b32_e32 v3, 7, v3
	v_cmp_eq_u16_e32 vcc, 0, v4
	v_cndmask_b32_e32 v2, v2, v3, vcc
	v_cndmask_b32_e32 v3, v4, v6, vcc
	v_lshlrev_b32_e32 v4, 16, v9
	v_mov_b32_e32 v6, 0x3b800000
	v_lshlrev_b32_e32 v2, 20, v2
	v_and_b32_e32 v4, 0x80000000, v4
	v_lshl_add_u32 v3, v3, 23, v6
	v_or3_b32 v2, v4, v3, v2
.LBB6_1900:
	s_or_b64 exec, exec, s[6:7]
	v_lshrrev_b32_e32 v3, 8, v5
	s_movk_i32 s4, 0x7f
	v_cmp_gt_i16_sdwa s[6:7], v3, s4 src0_sel:BYTE_0 src1_sel:DWORD
	s_mov_b64 s[4:5], 0
                                        ; implicit-def: $sgpr10
	s_and_saveexec_b64 s[8:9], s[6:7]
	s_xor_b64 s[6:7], exec, s[8:9]
	s_cbranch_execnz .LBB6_3949
; %bb.1901:
	s_or_saveexec_b64 s[6:7], s[6:7]
	v_mov_b32_e32 v4, s10
	s_xor_b64 exec, exec, s[6:7]
	s_cbranch_execnz .LBB6_3952
.LBB6_1902:
	s_or_b64 exec, exec, s[6:7]
	s_and_saveexec_b64 s[6:7], s[4:5]
	s_cbranch_execz .LBB6_1904
.LBB6_1903:
	v_bfe_u32 v4, v5, 8, 3
	v_ffbh_u32_e32 v7, v4
	v_min_u32_e32 v7, 32, v7
	v_lshrrev_b16_e32 v6, 3, v3
	v_subrev_u32_e32 v8, 28, v7
	v_and_b32_e32 v6, 15, v6
	v_lshlrev_b32_e32 v3, v8, v3
	v_sub_u32_e32 v7, 29, v7
	v_and_b32_e32 v3, 7, v3
	v_cmp_eq_u16_e32 vcc, 0, v6
	v_cndmask_b32_e32 v3, v4, v3, vcc
	v_cndmask_b32_e32 v4, v6, v7, vcc
	v_lshlrev_b32_e32 v6, 16, v5
	v_mov_b32_e32 v7, 0x3b800000
	v_lshlrev_b32_e32 v3, 20, v3
	v_and_b32_e32 v6, 0x80000000, v6
	v_lshl_add_u32 v4, v4, 23, v7
	v_or3_b32 v4, v6, v4, v3
.LBB6_1904:
	s_or_b64 exec, exec, s[6:7]
	s_nop 0
	v_mfma_f32_16x16x4f32 a[0:3], v2, v4, a[0:3]
	s_movk_i32 s4, 0xff
	v_and_b32_sdwa v3, v9, s4 dst_sel:DWORD dst_unused:UNUSED_PAD src0_sel:WORD_1 src1_sel:DWORD
	s_movk_i32 s4, 0x7f
	v_cmp_lt_i16_e32 vcc, s4, v3
	s_mov_b64 s[4:5], 0
                                        ; implicit-def: $sgpr10
	s_and_saveexec_b64 s[6:7], vcc
	s_xor_b64 s[6:7], exec, s[6:7]
	s_cbranch_execnz .LBB6_3953
; %bb.1905:
	s_or_saveexec_b64 s[6:7], s[6:7]
	v_mov_b32_e32 v2, s10
	s_xor_b64 exec, exec, s[6:7]
	s_cbranch_execnz .LBB6_3956
.LBB6_1906:
	s_or_b64 exec, exec, s[6:7]
	s_and_saveexec_b64 s[6:7], s[4:5]
	s_cbranch_execz .LBB6_1908
.LBB6_1907:
	v_bfe_u32 v2, v9, 16, 3
	v_ffbh_u32_e32 v6, v2
	v_min_u32_e32 v6, 32, v6
	v_lshrrev_b32_e32 v3, 19, v9
	v_subrev_u32_e32 v7, 28, v6
	v_and_b32_e32 v3, 15, v3
	v_lshlrev_b32_sdwa v7, v7, v9 dst_sel:DWORD dst_unused:UNUSED_PAD src0_sel:DWORD src1_sel:WORD_1
	v_bfe_u32 v4, v9, 19, 4
	v_sub_u32_e32 v6, 29, v6
	v_and_b32_e32 v7, 7, v7
	v_cmp_eq_u16_e32 vcc, 0, v3
	v_cndmask_b32_e32 v2, v2, v7, vcc
	v_cndmask_b32_e32 v3, v4, v6, vcc
	v_lshlrev_b32_e32 v4, 8, v9
	v_mov_b32_e32 v6, 0x3b800000
	v_lshlrev_b32_e32 v2, 20, v2
	v_and_b32_e32 v4, 0x80000000, v4
	v_lshl_add_u32 v3, v3, 23, v6
	v_or3_b32 v2, v4, v3, v2
.LBB6_1908:
	s_or_b64 exec, exec, s[6:7]
	s_movk_i32 s4, 0xff
	v_and_b32_sdwa v3, v5, s4 dst_sel:DWORD dst_unused:UNUSED_PAD src0_sel:WORD_1 src1_sel:DWORD
	s_movk_i32 s4, 0x7f
	v_cmp_lt_i16_e32 vcc, s4, v3
	s_mov_b64 s[4:5], 0
                                        ; implicit-def: $sgpr10
	s_and_saveexec_b64 s[6:7], vcc
	s_xor_b64 s[6:7], exec, s[6:7]
	s_cbranch_execnz .LBB6_3957
; %bb.1909:
	s_or_saveexec_b64 s[6:7], s[6:7]
	v_mov_b32_e32 v4, s10
	s_xor_b64 exec, exec, s[6:7]
	s_cbranch_execnz .LBB6_3960
.LBB6_1910:
	s_or_b64 exec, exec, s[6:7]
	s_and_saveexec_b64 s[6:7], s[4:5]
	s_cbranch_execz .LBB6_1912
.LBB6_1911:
	v_bfe_u32 v3, v5, 16, 3
	v_ffbh_u32_e32 v7, v3
	v_min_u32_e32 v7, 32, v7
	v_lshrrev_b32_e32 v4, 19, v5
	v_subrev_u32_e32 v8, 28, v7
	v_and_b32_e32 v4, 15, v4
	v_lshlrev_b32_sdwa v8, v8, v5 dst_sel:DWORD dst_unused:UNUSED_PAD src0_sel:DWORD src1_sel:WORD_1
	v_bfe_u32 v6, v5, 19, 4
	v_sub_u32_e32 v7, 29, v7
	v_and_b32_e32 v8, 7, v8
	v_cmp_eq_u16_e32 vcc, 0, v4
	v_cndmask_b32_e32 v3, v3, v8, vcc
	v_cndmask_b32_e32 v4, v6, v7, vcc
	v_lshlrev_b32_e32 v6, 8, v5
	v_mov_b32_e32 v7, 0x3b800000
	v_lshlrev_b32_e32 v3, 20, v3
	v_and_b32_e32 v6, 0x80000000, v6
	v_lshl_add_u32 v4, v4, 23, v7
	v_or3_b32 v4, v6, v4, v3
.LBB6_1912:
	s_or_b64 exec, exec, s[6:7]
	s_nop 0
	v_mfma_f32_16x16x4f32 a[0:3], v2, v4, a[0:3]
	s_movk_i32 s4, 0x7f
	v_cmp_gt_i16_sdwa s[6:7], v9, s4 src0_sel:BYTE_3 src1_sel:DWORD
	s_mov_b64 s[4:5], 0
                                        ; implicit-def: $sgpr10
	s_and_saveexec_b64 s[8:9], s[6:7]
	s_xor_b64 s[6:7], exec, s[8:9]
	s_cbranch_execnz .LBB6_3961
; %bb.1913:
	s_or_saveexec_b64 s[6:7], s[6:7]
	v_mov_b32_e32 v2, s10
	s_xor_b64 exec, exec, s[6:7]
	s_cbranch_execnz .LBB6_3964
.LBB6_1914:
	s_or_b64 exec, exec, s[6:7]
	s_and_saveexec_b64 s[6:7], s[4:5]
	s_cbranch_execz .LBB6_1916
.LBB6_1915:
	v_bfe_u32 v2, v9, 24, 3
	v_ffbh_u32_e32 v7, v2
	v_min_u32_e32 v7, 32, v7
	v_lshrrev_b32_e32 v4, 27, v9
	v_subrev_u32_e32 v8, 28, v7
	v_and_b32_e32 v4, 15, v4
	v_lshlrev_b32_sdwa v8, v8, v9 dst_sel:DWORD dst_unused:UNUSED_PAD src0_sel:DWORD src1_sel:BYTE_3
	v_bfe_u32 v6, v9, 27, 4
	v_sub_u32_e32 v7, 29, v7
	v_and_b32_e32 v8, 7, v8
	v_cmp_eq_u16_e32 vcc, 0, v4
	v_cndmask_b32_e32 v2, v2, v8, vcc
	v_cndmask_b32_e32 v4, v6, v7, vcc
	v_mov_b32_e32 v6, 0x3b800000
	v_and_b32_e32 v3, 0x80000000, v9
	v_lshlrev_b32_e32 v2, 20, v2
	v_lshl_add_u32 v4, v4, 23, v6
	v_or3_b32 v2, v3, v4, v2
.LBB6_1916:
	s_or_b64 exec, exec, s[6:7]
	s_movk_i32 s4, 0x7f
	v_cmp_gt_i16_sdwa s[6:7], v5, s4 src0_sel:BYTE_3 src1_sel:DWORD
	s_mov_b64 s[4:5], 0
                                        ; implicit-def: $sgpr10
	s_and_saveexec_b64 s[8:9], s[6:7]
	s_xor_b64 s[6:7], exec, s[8:9]
	s_cbranch_execnz .LBB6_3965
; %bb.1917:
	s_or_saveexec_b64 s[6:7], s[6:7]
	v_mov_b32_e32 v3, s10
	s_xor_b64 exec, exec, s[6:7]
	s_cbranch_execnz .LBB6_3968
.LBB6_1918:
	s_or_b64 exec, exec, s[6:7]
	s_and_saveexec_b64 s[6:7], s[4:5]
	s_cbranch_execz .LBB6_1920
.LBB6_1919:
	v_bfe_u32 v3, v5, 24, 3
	v_ffbh_u32_e32 v8, v3
	v_min_u32_e32 v8, 32, v8
	v_lshrrev_b32_e32 v6, 27, v5
	v_subrev_u32_e32 v9, 28, v8
	v_and_b32_e32 v4, 0x80000000, v5
	v_and_b32_e32 v6, 15, v6
	v_bfe_u32 v7, v5, 27, 4
	v_lshlrev_b32_sdwa v5, v9, v5 dst_sel:DWORD dst_unused:UNUSED_PAD src0_sel:DWORD src1_sel:BYTE_3
	v_sub_u32_e32 v8, 29, v8
	v_and_b32_e32 v5, 7, v5
	v_cmp_eq_u16_e32 vcc, 0, v6
	v_cndmask_b32_e32 v3, v3, v5, vcc
	v_cndmask_b32_e32 v5, v7, v8, vcc
	v_mov_b32_e32 v6, 0x3b800000
	v_lshlrev_b32_e32 v3, 20, v3
	v_lshl_add_u32 v5, v5, 23, v6
	v_or3_b32 v3, v4, v5, v3
.LBB6_1920:
	s_or_b64 exec, exec, s[6:7]
	s_nop 0
	v_mfma_f32_16x16x4f32 a[0:3], v2, v3, a[0:3]
	s_nop 7
	s_nop 2
	flat_store_dwordx4 v[10:11], a[0:3] offset:224
	flat_load_dwordx4 v[10:13], v[0:1] offset:8
	s_waitcnt vmcnt(0) lgkmcnt(0)
	flat_load_dwordx4 v[6:9], v[10:11] offset:112
	flat_load_dwordx4 v[2:5], v[12:13] offset:112
	; sched_barrier mask(0x00000000)
	s_waitcnt lgkmcnt(0)
	s_barrier
	; sched_barrier mask(0x00000000)
	flat_load_dwordx2 v[0:1], v[0:1] offset:32
	s_movk_i32 s4, 0x7f
	s_waitcnt vmcnt(0)
	v_cmp_gt_i16_sdwa s[6:7], v6, s4 src0_sel:BYTE_0 src1_sel:DWORD
	s_mov_b64 s[4:5], 0
                                        ; implicit-def: $sgpr10
	s_and_saveexec_b64 s[8:9], s[6:7]
	s_xor_b64 s[6:7], exec, s[8:9]
	s_cbranch_execnz .LBB6_3969
; %bb.1921:
	s_or_saveexec_b64 s[6:7], s[6:7]
	v_mov_b32_e32 v10, s10
	s_xor_b64 exec, exec, s[6:7]
	s_cbranch_execnz .LBB6_3972
.LBB6_1922:
	s_or_b64 exec, exec, s[6:7]
	s_and_saveexec_b64 s[6:7], s[4:5]
	s_cbranch_execz .LBB6_1924
.LBB6_1923:
	v_and_b32_e32 v10, 7, v6
	v_ffbh_u32_e32 v12, v10
	v_min_u32_e32 v12, 32, v12
	v_lshrrev_b16_e32 v11, 3, v6
	v_subrev_u32_e32 v13, 28, v12
	v_and_b32_e32 v11, 15, v11
	v_lshlrev_b32_e32 v13, v13, v6
	v_sub_u32_e32 v12, 29, v12
	v_and_b32_e32 v13, 7, v13
	v_cmp_eq_u16_e32 vcc, 0, v11
	v_cndmask_b32_e32 v10, v10, v13, vcc
	v_cndmask_b32_e32 v11, v11, v12, vcc
	v_lshlrev_b32_e32 v12, 24, v6
	v_mov_b32_e32 v13, 0x3b800000
	v_lshlrev_b32_e32 v10, 20, v10
	v_and_b32_e32 v12, 0x80000000, v12
	v_lshl_add_u32 v11, v11, 23, v13
	v_or3_b32 v10, v12, v11, v10
.LBB6_1924:
	s_or_b64 exec, exec, s[6:7]
	s_movk_i32 s4, 0x7f
	v_cmp_gt_i16_sdwa s[6:7], v2, s4 src0_sel:BYTE_0 src1_sel:DWORD
	s_mov_b64 s[4:5], 0
                                        ; implicit-def: $sgpr10
	s_and_saveexec_b64 s[8:9], s[6:7]
	s_xor_b64 s[6:7], exec, s[8:9]
	s_cbranch_execnz .LBB6_3973
; %bb.1925:
	s_or_saveexec_b64 s[6:7], s[6:7]
	v_mov_b32_e32 v11, s10
	s_xor_b64 exec, exec, s[6:7]
	s_cbranch_execnz .LBB6_3976
.LBB6_1926:
	s_or_b64 exec, exec, s[6:7]
	s_and_saveexec_b64 s[6:7], s[4:5]
	s_cbranch_execz .LBB6_1928
.LBB6_1927:
	v_and_b32_e32 v11, 7, v2
	v_ffbh_u32_e32 v13, v11
	v_min_u32_e32 v13, 32, v13
	v_lshrrev_b16_e32 v12, 3, v2
	v_subrev_u32_e32 v14, 28, v13
	v_and_b32_e32 v12, 15, v12
	v_lshlrev_b32_e32 v14, v14, v2
	v_sub_u32_e32 v13, 29, v13
	v_and_b32_e32 v14, 7, v14
	v_cmp_eq_u16_e32 vcc, 0, v12
	v_cndmask_b32_e32 v11, v11, v14, vcc
	v_cndmask_b32_e32 v12, v12, v13, vcc
	v_lshlrev_b32_e32 v13, 24, v2
	v_mov_b32_e32 v14, 0x3b800000
	v_lshlrev_b32_e32 v11, 20, v11
	v_and_b32_e32 v13, 0x80000000, v13
	v_lshl_add_u32 v12, v12, 23, v14
	v_or3_b32 v11, v13, v12, v11
.LBB6_1928:
	s_or_b64 exec, exec, s[6:7]
	s_waitcnt lgkmcnt(0)
	flat_load_dwordx4 a[0:3], v[0:1] offset:240
	s_movk_i32 s4, 0x7f
                                        ; implicit-def: $sgpr10
	s_waitcnt vmcnt(0) lgkmcnt(0)
	v_mfma_f32_16x16x4f32 a[0:3], v10, v11, a[0:3]
	v_lshrrev_b32_e32 v11, 8, v6
	v_cmp_gt_i16_sdwa s[6:7], v11, s4 src0_sel:BYTE_0 src1_sel:DWORD
	s_mov_b64 s[4:5], 0
	s_and_saveexec_b64 s[8:9], s[6:7]
	s_xor_b64 s[6:7], exec, s[8:9]
	s_cbranch_execnz .LBB6_3977
; %bb.1929:
	s_or_saveexec_b64 s[6:7], s[6:7]
	v_mov_b32_e32 v10, s10
	s_xor_b64 exec, exec, s[6:7]
	s_cbranch_execnz .LBB6_3980
.LBB6_1930:
	s_or_b64 exec, exec, s[6:7]
	s_and_saveexec_b64 s[6:7], s[4:5]
	s_cbranch_execz .LBB6_1932
.LBB6_1931:
	v_bfe_u32 v10, v6, 8, 3
	v_ffbh_u32_e32 v13, v10
	v_min_u32_e32 v13, 32, v13
	v_lshrrev_b16_e32 v12, 3, v11
	v_subrev_u32_e32 v14, 28, v13
	v_and_b32_e32 v12, 15, v12
	v_lshlrev_b32_e32 v11, v14, v11
	v_sub_u32_e32 v13, 29, v13
	v_and_b32_e32 v11, 7, v11
	v_cmp_eq_u16_e32 vcc, 0, v12
	v_cndmask_b32_e32 v10, v10, v11, vcc
	v_cndmask_b32_e32 v11, v12, v13, vcc
	v_lshlrev_b32_e32 v12, 16, v6
	v_mov_b32_e32 v13, 0x3b800000
	v_lshlrev_b32_e32 v10, 20, v10
	v_and_b32_e32 v12, 0x80000000, v12
	v_lshl_add_u32 v11, v11, 23, v13
	v_or3_b32 v10, v12, v11, v10
.LBB6_1932:
	s_or_b64 exec, exec, s[6:7]
	v_lshrrev_b32_e32 v11, 8, v2
	s_movk_i32 s4, 0x7f
	v_cmp_gt_i16_sdwa s[6:7], v11, s4 src0_sel:BYTE_0 src1_sel:DWORD
	s_mov_b64 s[4:5], 0
                                        ; implicit-def: $sgpr10
	s_and_saveexec_b64 s[8:9], s[6:7]
	s_xor_b64 s[6:7], exec, s[8:9]
	s_cbranch_execnz .LBB6_3981
; %bb.1933:
	s_or_saveexec_b64 s[6:7], s[6:7]
	v_mov_b32_e32 v12, s10
	s_xor_b64 exec, exec, s[6:7]
	s_cbranch_execnz .LBB6_3984
.LBB6_1934:
	s_or_b64 exec, exec, s[6:7]
	s_and_saveexec_b64 s[6:7], s[4:5]
	s_cbranch_execz .LBB6_1936
.LBB6_1935:
	v_bfe_u32 v12, v2, 8, 3
	v_ffbh_u32_e32 v14, v12
	v_min_u32_e32 v14, 32, v14
	v_lshrrev_b16_e32 v13, 3, v11
	v_subrev_u32_e32 v15, 28, v14
	v_and_b32_e32 v13, 15, v13
	v_lshlrev_b32_e32 v11, v15, v11
	v_sub_u32_e32 v14, 29, v14
	v_and_b32_e32 v11, 7, v11
	v_cmp_eq_u16_e32 vcc, 0, v13
	v_cndmask_b32_e32 v11, v12, v11, vcc
	v_cndmask_b32_e32 v12, v13, v14, vcc
	v_lshlrev_b32_e32 v13, 16, v2
	v_mov_b32_e32 v14, 0x3b800000
	v_lshlrev_b32_e32 v11, 20, v11
	v_and_b32_e32 v13, 0x80000000, v13
	v_lshl_add_u32 v12, v12, 23, v14
	v_or3_b32 v12, v13, v12, v11
.LBB6_1936:
	s_or_b64 exec, exec, s[6:7]
	s_nop 0
	v_mfma_f32_16x16x4f32 a[0:3], v10, v12, a[0:3]
	s_movk_i32 s4, 0xff
	v_and_b32_sdwa v11, v6, s4 dst_sel:DWORD dst_unused:UNUSED_PAD src0_sel:WORD_1 src1_sel:DWORD
	s_movk_i32 s4, 0x7f
	v_cmp_lt_i16_e32 vcc, s4, v11
	s_mov_b64 s[4:5], 0
                                        ; implicit-def: $sgpr10
	s_and_saveexec_b64 s[6:7], vcc
	s_xor_b64 s[6:7], exec, s[6:7]
	s_cbranch_execnz .LBB6_3985
; %bb.1937:
	s_or_saveexec_b64 s[6:7], s[6:7]
	v_mov_b32_e32 v10, s10
	s_xor_b64 exec, exec, s[6:7]
	s_cbranch_execnz .LBB6_3988
.LBB6_1938:
	s_or_b64 exec, exec, s[6:7]
	s_and_saveexec_b64 s[6:7], s[4:5]
	s_cbranch_execz .LBB6_1940
.LBB6_1939:
	v_bfe_u32 v10, v6, 16, 3
	v_ffbh_u32_e32 v13, v10
	v_min_u32_e32 v13, 32, v13
	v_lshrrev_b32_e32 v11, 19, v6
	v_subrev_u32_e32 v14, 28, v13
	v_and_b32_e32 v11, 15, v11
	v_lshlrev_b32_sdwa v14, v14, v6 dst_sel:DWORD dst_unused:UNUSED_PAD src0_sel:DWORD src1_sel:WORD_1
	v_bfe_u32 v12, v6, 19, 4
	v_sub_u32_e32 v13, 29, v13
	v_and_b32_e32 v14, 7, v14
	v_cmp_eq_u16_e32 vcc, 0, v11
	v_cndmask_b32_e32 v10, v10, v14, vcc
	v_cndmask_b32_e32 v11, v12, v13, vcc
	v_lshlrev_b32_e32 v12, 8, v6
	v_mov_b32_e32 v13, 0x3b800000
	v_lshlrev_b32_e32 v10, 20, v10
	v_and_b32_e32 v12, 0x80000000, v12
	v_lshl_add_u32 v11, v11, 23, v13
	v_or3_b32 v10, v12, v11, v10
.LBB6_1940:
	s_or_b64 exec, exec, s[6:7]
	s_movk_i32 s4, 0xff
	v_and_b32_sdwa v11, v2, s4 dst_sel:DWORD dst_unused:UNUSED_PAD src0_sel:WORD_1 src1_sel:DWORD
	s_movk_i32 s4, 0x7f
	v_cmp_lt_i16_e32 vcc, s4, v11
	s_mov_b64 s[4:5], 0
                                        ; implicit-def: $sgpr10
	s_and_saveexec_b64 s[6:7], vcc
	s_xor_b64 s[6:7], exec, s[6:7]
	s_cbranch_execnz .LBB6_3989
; %bb.1941:
	s_or_saveexec_b64 s[6:7], s[6:7]
	v_mov_b32_e32 v12, s10
	s_xor_b64 exec, exec, s[6:7]
	s_cbranch_execnz .LBB6_3992
.LBB6_1942:
	s_or_b64 exec, exec, s[6:7]
	s_and_saveexec_b64 s[6:7], s[4:5]
	s_cbranch_execz .LBB6_1944
.LBB6_1943:
	v_bfe_u32 v11, v2, 16, 3
	v_ffbh_u32_e32 v14, v11
	v_min_u32_e32 v14, 32, v14
	v_lshrrev_b32_e32 v12, 19, v2
	v_subrev_u32_e32 v15, 28, v14
	v_and_b32_e32 v12, 15, v12
	v_lshlrev_b32_sdwa v15, v15, v2 dst_sel:DWORD dst_unused:UNUSED_PAD src0_sel:DWORD src1_sel:WORD_1
	v_bfe_u32 v13, v2, 19, 4
	v_sub_u32_e32 v14, 29, v14
	v_and_b32_e32 v15, 7, v15
	v_cmp_eq_u16_e32 vcc, 0, v12
	v_cndmask_b32_e32 v11, v11, v15, vcc
	v_cndmask_b32_e32 v12, v13, v14, vcc
	v_lshlrev_b32_e32 v13, 8, v2
	v_mov_b32_e32 v14, 0x3b800000
	v_lshlrev_b32_e32 v11, 20, v11
	v_and_b32_e32 v13, 0x80000000, v13
	v_lshl_add_u32 v12, v12, 23, v14
	v_or3_b32 v12, v13, v12, v11
.LBB6_1944:
	s_or_b64 exec, exec, s[6:7]
	s_nop 0
	v_mfma_f32_16x16x4f32 a[0:3], v10, v12, a[0:3]
	s_movk_i32 s4, 0x7f
	v_cmp_gt_i16_sdwa s[6:7], v6, s4 src0_sel:BYTE_3 src1_sel:DWORD
	s_mov_b64 s[4:5], 0
                                        ; implicit-def: $sgpr10
	s_and_saveexec_b64 s[8:9], s[6:7]
	s_xor_b64 s[6:7], exec, s[8:9]
	s_cbranch_execnz .LBB6_3993
; %bb.1945:
	s_or_saveexec_b64 s[6:7], s[6:7]
	v_mov_b32_e32 v10, s10
	s_xor_b64 exec, exec, s[6:7]
	s_cbranch_execnz .LBB6_3996
.LBB6_1946:
	s_or_b64 exec, exec, s[6:7]
	s_and_saveexec_b64 s[6:7], s[4:5]
	s_cbranch_execz .LBB6_1948
.LBB6_1947:
	v_bfe_u32 v10, v6, 24, 3
	v_ffbh_u32_e32 v14, v10
	v_min_u32_e32 v14, 32, v14
	v_lshrrev_b32_e32 v12, 27, v6
	v_subrev_u32_e32 v15, 28, v14
	v_and_b32_e32 v11, 0x80000000, v6
	v_and_b32_e32 v12, 15, v12
	v_bfe_u32 v13, v6, 27, 4
	v_lshlrev_b32_sdwa v6, v15, v6 dst_sel:DWORD dst_unused:UNUSED_PAD src0_sel:DWORD src1_sel:BYTE_3
	v_sub_u32_e32 v14, 29, v14
	v_and_b32_e32 v6, 7, v6
	v_cmp_eq_u16_e32 vcc, 0, v12
	v_cndmask_b32_e32 v6, v10, v6, vcc
	v_cndmask_b32_e32 v10, v13, v14, vcc
	v_mov_b32_e32 v12, 0x3b800000
	v_lshlrev_b32_e32 v6, 20, v6
	v_lshl_add_u32 v10, v10, 23, v12
	v_or3_b32 v10, v11, v10, v6
.LBB6_1948:
	s_or_b64 exec, exec, s[6:7]
	s_movk_i32 s4, 0x7f
	v_cmp_gt_i16_sdwa s[6:7], v2, s4 src0_sel:BYTE_3 src1_sel:DWORD
	s_mov_b64 s[4:5], 0
                                        ; implicit-def: $sgpr10
	s_and_saveexec_b64 s[8:9], s[6:7]
	s_xor_b64 s[6:7], exec, s[8:9]
	s_cbranch_execnz .LBB6_3997
; %bb.1949:
	s_or_saveexec_b64 s[6:7], s[6:7]
	v_mov_b32_e32 v6, s10
	s_xor_b64 exec, exec, s[6:7]
	s_cbranch_execnz .LBB6_4000
.LBB6_1950:
	s_or_b64 exec, exec, s[6:7]
	s_and_saveexec_b64 s[6:7], s[4:5]
	s_cbranch_execz .LBB6_1952
.LBB6_1951:
	v_bfe_u32 v6, v2, 24, 3
	v_ffbh_u32_e32 v14, v6
	v_min_u32_e32 v14, 32, v14
	v_lshrrev_b32_e32 v12, 27, v2
	v_subrev_u32_e32 v15, 28, v14
	v_and_b32_e32 v11, 0x80000000, v2
	v_and_b32_e32 v12, 15, v12
	v_bfe_u32 v13, v2, 27, 4
	v_lshlrev_b32_sdwa v2, v15, v2 dst_sel:DWORD dst_unused:UNUSED_PAD src0_sel:DWORD src1_sel:BYTE_3
	v_sub_u32_e32 v14, 29, v14
	v_and_b32_e32 v2, 7, v2
	v_cmp_eq_u16_e32 vcc, 0, v12
	v_cndmask_b32_e32 v2, v6, v2, vcc
	v_cndmask_b32_e32 v6, v13, v14, vcc
	v_mov_b32_e32 v12, 0x3b800000
	v_lshlrev_b32_e32 v2, 20, v2
	v_lshl_add_u32 v6, v6, 23, v12
	v_or3_b32 v6, v11, v6, v2
.LBB6_1952:
	s_or_b64 exec, exec, s[6:7]
	s_nop 0
	v_mfma_f32_16x16x4f32 a[0:3], v10, v6, a[0:3]
	s_movk_i32 s4, 0x7f
	v_cmp_gt_i16_sdwa s[6:7], v7, s4 src0_sel:BYTE_0 src1_sel:DWORD
	s_mov_b64 s[4:5], 0
                                        ; implicit-def: $sgpr10
	s_and_saveexec_b64 s[8:9], s[6:7]
	s_xor_b64 s[6:7], exec, s[8:9]
	s_cbranch_execnz .LBB6_4001
; %bb.1953:
	s_or_saveexec_b64 s[6:7], s[6:7]
	v_mov_b32_e32 v2, s10
	s_xor_b64 exec, exec, s[6:7]
	s_cbranch_execnz .LBB6_4004
.LBB6_1954:
	s_or_b64 exec, exec, s[6:7]
	s_and_saveexec_b64 s[6:7], s[4:5]
	s_cbranch_execz .LBB6_1956
.LBB6_1955:
	v_and_b32_e32 v2, 7, v7
	v_ffbh_u32_e32 v10, v2
	v_min_u32_e32 v10, 32, v10
	v_lshrrev_b16_e32 v6, 3, v7
	v_subrev_u32_e32 v11, 28, v10
	v_and_b32_e32 v6, 15, v6
	v_lshlrev_b32_e32 v11, v11, v7
	v_sub_u32_e32 v10, 29, v10
	v_and_b32_e32 v11, 7, v11
	v_cmp_eq_u16_e32 vcc, 0, v6
	v_cndmask_b32_e32 v2, v2, v11, vcc
	v_cndmask_b32_e32 v6, v6, v10, vcc
	v_lshlrev_b32_e32 v10, 24, v7
	v_mov_b32_e32 v11, 0x3b800000
	v_lshlrev_b32_e32 v2, 20, v2
	v_and_b32_e32 v10, 0x80000000, v10
	v_lshl_add_u32 v6, v6, 23, v11
	v_or3_b32 v2, v10, v6, v2
.LBB6_1956:
	s_or_b64 exec, exec, s[6:7]
	s_movk_i32 s4, 0x7f
	v_cmp_gt_i16_sdwa s[6:7], v3, s4 src0_sel:BYTE_0 src1_sel:DWORD
	s_mov_b64 s[4:5], 0
                                        ; implicit-def: $sgpr10
	s_and_saveexec_b64 s[8:9], s[6:7]
	s_xor_b64 s[6:7], exec, s[8:9]
	s_cbranch_execnz .LBB6_4005
; %bb.1957:
	s_or_saveexec_b64 s[6:7], s[6:7]
	v_mov_b32_e32 v6, s10
	s_xor_b64 exec, exec, s[6:7]
	s_cbranch_execnz .LBB6_4008
.LBB6_1958:
	s_or_b64 exec, exec, s[6:7]
	s_and_saveexec_b64 s[6:7], s[4:5]
	s_cbranch_execz .LBB6_1960
.LBB6_1959:
	v_and_b32_e32 v6, 7, v3
	v_ffbh_u32_e32 v11, v6
	v_min_u32_e32 v11, 32, v11
	v_lshrrev_b16_e32 v10, 3, v3
	v_subrev_u32_e32 v12, 28, v11
	v_and_b32_e32 v10, 15, v10
	v_lshlrev_b32_e32 v12, v12, v3
	v_sub_u32_e32 v11, 29, v11
	v_and_b32_e32 v12, 7, v12
	v_cmp_eq_u16_e32 vcc, 0, v10
	v_cndmask_b32_e32 v6, v6, v12, vcc
	v_cndmask_b32_e32 v10, v10, v11, vcc
	v_lshlrev_b32_e32 v11, 24, v3
	v_mov_b32_e32 v12, 0x3b800000
	v_lshlrev_b32_e32 v6, 20, v6
	v_and_b32_e32 v11, 0x80000000, v11
	v_lshl_add_u32 v10, v10, 23, v12
	v_or3_b32 v6, v11, v10, v6
.LBB6_1960:
	s_or_b64 exec, exec, s[6:7]
	s_nop 0
	v_mfma_f32_16x16x4f32 a[0:3], v2, v6, a[0:3]
	v_lshrrev_b32_e32 v6, 8, v7
	s_movk_i32 s4, 0x7f
	v_cmp_gt_i16_sdwa s[6:7], v6, s4 src0_sel:BYTE_0 src1_sel:DWORD
	s_mov_b64 s[4:5], 0
                                        ; implicit-def: $sgpr10
	s_and_saveexec_b64 s[8:9], s[6:7]
	s_xor_b64 s[6:7], exec, s[8:9]
	s_cbranch_execnz .LBB6_4009
; %bb.1961:
	s_or_saveexec_b64 s[6:7], s[6:7]
	v_mov_b32_e32 v2, s10
	s_xor_b64 exec, exec, s[6:7]
	s_cbranch_execnz .LBB6_4012
.LBB6_1962:
	s_or_b64 exec, exec, s[6:7]
	s_and_saveexec_b64 s[6:7], s[4:5]
	s_cbranch_execz .LBB6_1964
.LBB6_1963:
	v_bfe_u32 v2, v7, 8, 3
	v_ffbh_u32_e32 v11, v2
	v_min_u32_e32 v11, 32, v11
	v_lshrrev_b16_e32 v10, 3, v6
	v_subrev_u32_e32 v12, 28, v11
	v_and_b32_e32 v10, 15, v10
	v_lshlrev_b32_e32 v6, v12, v6
	v_sub_u32_e32 v11, 29, v11
	v_and_b32_e32 v6, 7, v6
	v_cmp_eq_u16_e32 vcc, 0, v10
	v_cndmask_b32_e32 v2, v2, v6, vcc
	v_cndmask_b32_e32 v6, v10, v11, vcc
	v_lshlrev_b32_e32 v10, 16, v7
	v_mov_b32_e32 v11, 0x3b800000
	v_lshlrev_b32_e32 v2, 20, v2
	v_and_b32_e32 v10, 0x80000000, v10
	v_lshl_add_u32 v6, v6, 23, v11
	v_or3_b32 v2, v10, v6, v2
.LBB6_1964:
	s_or_b64 exec, exec, s[6:7]
	v_lshrrev_b32_e32 v6, 8, v3
	s_movk_i32 s4, 0x7f
	v_cmp_gt_i16_sdwa s[6:7], v6, s4 src0_sel:BYTE_0 src1_sel:DWORD
	s_mov_b64 s[4:5], 0
                                        ; implicit-def: $sgpr10
	s_and_saveexec_b64 s[8:9], s[6:7]
	s_xor_b64 s[6:7], exec, s[8:9]
	s_cbranch_execnz .LBB6_4013
; %bb.1965:
	s_or_saveexec_b64 s[6:7], s[6:7]
	v_mov_b32_e32 v10, s10
	s_xor_b64 exec, exec, s[6:7]
	s_cbranch_execnz .LBB6_4016
.LBB6_1966:
	s_or_b64 exec, exec, s[6:7]
	s_and_saveexec_b64 s[6:7], s[4:5]
	s_cbranch_execz .LBB6_1968
.LBB6_1967:
	v_bfe_u32 v10, v3, 8, 3
	v_ffbh_u32_e32 v12, v10
	v_min_u32_e32 v12, 32, v12
	v_lshrrev_b16_e32 v11, 3, v6
	v_subrev_u32_e32 v13, 28, v12
	v_and_b32_e32 v11, 15, v11
	v_lshlrev_b32_e32 v6, v13, v6
	v_sub_u32_e32 v12, 29, v12
	v_and_b32_e32 v6, 7, v6
	v_cmp_eq_u16_e32 vcc, 0, v11
	v_cndmask_b32_e32 v6, v10, v6, vcc
	v_cndmask_b32_e32 v10, v11, v12, vcc
	v_lshlrev_b32_e32 v11, 16, v3
	v_mov_b32_e32 v12, 0x3b800000
	v_lshlrev_b32_e32 v6, 20, v6
	v_and_b32_e32 v11, 0x80000000, v11
	v_lshl_add_u32 v10, v10, 23, v12
	v_or3_b32 v10, v11, v10, v6
.LBB6_1968:
	s_or_b64 exec, exec, s[6:7]
	s_nop 0
	v_mfma_f32_16x16x4f32 a[0:3], v2, v10, a[0:3]
	s_movk_i32 s4, 0xff
	v_and_b32_sdwa v6, v7, s4 dst_sel:DWORD dst_unused:UNUSED_PAD src0_sel:WORD_1 src1_sel:DWORD
	s_movk_i32 s4, 0x7f
	v_cmp_lt_i16_e32 vcc, s4, v6
	s_mov_b64 s[4:5], 0
                                        ; implicit-def: $sgpr10
	s_and_saveexec_b64 s[6:7], vcc
	s_xor_b64 s[6:7], exec, s[6:7]
	s_cbranch_execnz .LBB6_4017
; %bb.1969:
	s_or_saveexec_b64 s[6:7], s[6:7]
	v_mov_b32_e32 v2, s10
	s_xor_b64 exec, exec, s[6:7]
	s_cbranch_execnz .LBB6_4020
.LBB6_1970:
	s_or_b64 exec, exec, s[6:7]
	s_and_saveexec_b64 s[6:7], s[4:5]
	s_cbranch_execz .LBB6_1972
.LBB6_1971:
	v_bfe_u32 v2, v7, 16, 3
	v_ffbh_u32_e32 v11, v2
	v_min_u32_e32 v11, 32, v11
	v_lshrrev_b32_e32 v6, 19, v7
	v_subrev_u32_e32 v12, 28, v11
	v_and_b32_e32 v6, 15, v6
	v_lshlrev_b32_sdwa v12, v12, v7 dst_sel:DWORD dst_unused:UNUSED_PAD src0_sel:DWORD src1_sel:WORD_1
	v_bfe_u32 v10, v7, 19, 4
	v_sub_u32_e32 v11, 29, v11
	v_and_b32_e32 v12, 7, v12
	v_cmp_eq_u16_e32 vcc, 0, v6
	v_cndmask_b32_e32 v2, v2, v12, vcc
	v_cndmask_b32_e32 v6, v10, v11, vcc
	v_lshlrev_b32_e32 v10, 8, v7
	v_mov_b32_e32 v11, 0x3b800000
	v_lshlrev_b32_e32 v2, 20, v2
	v_and_b32_e32 v10, 0x80000000, v10
	v_lshl_add_u32 v6, v6, 23, v11
	v_or3_b32 v2, v10, v6, v2
.LBB6_1972:
	s_or_b64 exec, exec, s[6:7]
	s_movk_i32 s4, 0xff
	v_and_b32_sdwa v6, v3, s4 dst_sel:DWORD dst_unused:UNUSED_PAD src0_sel:WORD_1 src1_sel:DWORD
	s_movk_i32 s4, 0x7f
	v_cmp_lt_i16_e32 vcc, s4, v6
	s_mov_b64 s[4:5], 0
                                        ; implicit-def: $sgpr10
	s_and_saveexec_b64 s[6:7], vcc
	s_xor_b64 s[6:7], exec, s[6:7]
	s_cbranch_execnz .LBB6_4021
; %bb.1973:
	s_or_saveexec_b64 s[6:7], s[6:7]
	v_mov_b32_e32 v10, s10
	s_xor_b64 exec, exec, s[6:7]
	s_cbranch_execnz .LBB6_4024
.LBB6_1974:
	s_or_b64 exec, exec, s[6:7]
	s_and_saveexec_b64 s[6:7], s[4:5]
	s_cbranch_execz .LBB6_1976
.LBB6_1975:
	v_bfe_u32 v6, v3, 16, 3
	v_ffbh_u32_e32 v12, v6
	v_min_u32_e32 v12, 32, v12
	v_lshrrev_b32_e32 v10, 19, v3
	v_subrev_u32_e32 v13, 28, v12
	v_and_b32_e32 v10, 15, v10
	v_lshlrev_b32_sdwa v13, v13, v3 dst_sel:DWORD dst_unused:UNUSED_PAD src0_sel:DWORD src1_sel:WORD_1
	v_bfe_u32 v11, v3, 19, 4
	v_sub_u32_e32 v12, 29, v12
	v_and_b32_e32 v13, 7, v13
	v_cmp_eq_u16_e32 vcc, 0, v10
	v_cndmask_b32_e32 v6, v6, v13, vcc
	v_cndmask_b32_e32 v10, v11, v12, vcc
	v_lshlrev_b32_e32 v11, 8, v3
	v_mov_b32_e32 v12, 0x3b800000
	v_lshlrev_b32_e32 v6, 20, v6
	v_and_b32_e32 v11, 0x80000000, v11
	v_lshl_add_u32 v10, v10, 23, v12
	v_or3_b32 v10, v11, v10, v6
.LBB6_1976:
	s_or_b64 exec, exec, s[6:7]
	s_nop 0
	v_mfma_f32_16x16x4f32 a[0:3], v2, v10, a[0:3]
	s_movk_i32 s4, 0x7f
	v_cmp_gt_i16_sdwa s[6:7], v7, s4 src0_sel:BYTE_3 src1_sel:DWORD
	s_mov_b64 s[4:5], 0
                                        ; implicit-def: $sgpr10
	s_and_saveexec_b64 s[8:9], s[6:7]
	s_xor_b64 s[6:7], exec, s[8:9]
	s_cbranch_execnz .LBB6_4025
; %bb.1977:
	s_or_saveexec_b64 s[6:7], s[6:7]
	v_mov_b32_e32 v2, s10
	s_xor_b64 exec, exec, s[6:7]
	s_cbranch_execnz .LBB6_4028
.LBB6_1978:
	s_or_b64 exec, exec, s[6:7]
	s_and_saveexec_b64 s[6:7], s[4:5]
	s_cbranch_execz .LBB6_1980
.LBB6_1979:
	v_bfe_u32 v2, v7, 24, 3
	v_ffbh_u32_e32 v12, v2
	v_min_u32_e32 v12, 32, v12
	v_lshrrev_b32_e32 v10, 27, v7
	v_subrev_u32_e32 v13, 28, v12
	v_and_b32_e32 v6, 0x80000000, v7
	v_and_b32_e32 v10, 15, v10
	v_bfe_u32 v11, v7, 27, 4
	v_lshlrev_b32_sdwa v7, v13, v7 dst_sel:DWORD dst_unused:UNUSED_PAD src0_sel:DWORD src1_sel:BYTE_3
	v_sub_u32_e32 v12, 29, v12
	v_and_b32_e32 v7, 7, v7
	v_cmp_eq_u16_e32 vcc, 0, v10
	v_cndmask_b32_e32 v2, v2, v7, vcc
	v_cndmask_b32_e32 v7, v11, v12, vcc
	v_mov_b32_e32 v10, 0x3b800000
	v_lshlrev_b32_e32 v2, 20, v2
	v_lshl_add_u32 v7, v7, 23, v10
	v_or3_b32 v2, v6, v7, v2
.LBB6_1980:
	s_or_b64 exec, exec, s[6:7]
	s_movk_i32 s4, 0x7f
	v_cmp_gt_i16_sdwa s[6:7], v3, s4 src0_sel:BYTE_3 src1_sel:DWORD
	s_mov_b64 s[4:5], 0
                                        ; implicit-def: $sgpr10
	s_and_saveexec_b64 s[8:9], s[6:7]
	s_xor_b64 s[6:7], exec, s[8:9]
	s_cbranch_execnz .LBB6_4029
; %bb.1981:
	s_or_saveexec_b64 s[6:7], s[6:7]
	v_mov_b32_e32 v6, s10
	s_xor_b64 exec, exec, s[6:7]
	s_cbranch_execnz .LBB6_4032
.LBB6_1982:
	s_or_b64 exec, exec, s[6:7]
	s_and_saveexec_b64 s[6:7], s[4:5]
	s_cbranch_execz .LBB6_1984
.LBB6_1983:
	v_bfe_u32 v6, v3, 24, 3
	v_ffbh_u32_e32 v12, v6
	v_min_u32_e32 v12, 32, v12
	v_lshrrev_b32_e32 v10, 27, v3
	v_subrev_u32_e32 v13, 28, v12
	v_and_b32_e32 v7, 0x80000000, v3
	v_and_b32_e32 v10, 15, v10
	v_bfe_u32 v11, v3, 27, 4
	v_lshlrev_b32_sdwa v3, v13, v3 dst_sel:DWORD dst_unused:UNUSED_PAD src0_sel:DWORD src1_sel:BYTE_3
	v_sub_u32_e32 v12, 29, v12
	v_and_b32_e32 v3, 7, v3
	v_cmp_eq_u16_e32 vcc, 0, v10
	v_cndmask_b32_e32 v3, v6, v3, vcc
	v_cndmask_b32_e32 v6, v11, v12, vcc
	v_mov_b32_e32 v10, 0x3b800000
	v_lshlrev_b32_e32 v3, 20, v3
	v_lshl_add_u32 v6, v6, 23, v10
	v_or3_b32 v6, v7, v6, v3
.LBB6_1984:
	s_or_b64 exec, exec, s[6:7]
	s_nop 0
	v_mfma_f32_16x16x4f32 a[0:3], v2, v6, a[0:3]
	s_movk_i32 s4, 0x7f
	v_cmp_gt_i16_sdwa s[6:7], v8, s4 src0_sel:BYTE_0 src1_sel:DWORD
	s_mov_b64 s[4:5], 0
                                        ; implicit-def: $sgpr10
	s_and_saveexec_b64 s[8:9], s[6:7]
	s_xor_b64 s[6:7], exec, s[8:9]
	s_cbranch_execnz .LBB6_4033
; %bb.1985:
	s_or_saveexec_b64 s[6:7], s[6:7]
	v_mov_b32_e32 v2, s10
	s_xor_b64 exec, exec, s[6:7]
	s_cbranch_execnz .LBB6_4036
.LBB6_1986:
	s_or_b64 exec, exec, s[6:7]
	s_and_saveexec_b64 s[6:7], s[4:5]
	s_cbranch_execz .LBB6_1988
.LBB6_1987:
	v_and_b32_e32 v2, 7, v8
	v_ffbh_u32_e32 v6, v2
	v_min_u32_e32 v6, 32, v6
	v_lshrrev_b16_e32 v3, 3, v8
	v_subrev_u32_e32 v7, 28, v6
	v_and_b32_e32 v3, 15, v3
	v_lshlrev_b32_e32 v7, v7, v8
	v_sub_u32_e32 v6, 29, v6
	v_and_b32_e32 v7, 7, v7
	v_cmp_eq_u16_e32 vcc, 0, v3
	v_cndmask_b32_e32 v2, v2, v7, vcc
	v_cndmask_b32_e32 v3, v3, v6, vcc
	v_lshlrev_b32_e32 v6, 24, v8
	v_mov_b32_e32 v7, 0x3b800000
	v_lshlrev_b32_e32 v2, 20, v2
	v_and_b32_e32 v6, 0x80000000, v6
	v_lshl_add_u32 v3, v3, 23, v7
	v_or3_b32 v2, v6, v3, v2
.LBB6_1988:
	s_or_b64 exec, exec, s[6:7]
	s_movk_i32 s4, 0x7f
	v_cmp_gt_i16_sdwa s[6:7], v4, s4 src0_sel:BYTE_0 src1_sel:DWORD
	s_mov_b64 s[4:5], 0
                                        ; implicit-def: $sgpr10
	s_and_saveexec_b64 s[8:9], s[6:7]
	s_xor_b64 s[6:7], exec, s[8:9]
	s_cbranch_execnz .LBB6_4037
; %bb.1989:
	s_or_saveexec_b64 s[6:7], s[6:7]
	v_mov_b32_e32 v3, s10
	s_xor_b64 exec, exec, s[6:7]
	s_cbranch_execnz .LBB6_4040
.LBB6_1990:
	s_or_b64 exec, exec, s[6:7]
	s_and_saveexec_b64 s[6:7], s[4:5]
	s_cbranch_execz .LBB6_1992
.LBB6_1991:
	v_and_b32_e32 v3, 7, v4
	v_ffbh_u32_e32 v7, v3
	v_min_u32_e32 v7, 32, v7
	v_lshrrev_b16_e32 v6, 3, v4
	v_subrev_u32_e32 v10, 28, v7
	v_and_b32_e32 v6, 15, v6
	v_lshlrev_b32_e32 v10, v10, v4
	v_sub_u32_e32 v7, 29, v7
	v_and_b32_e32 v10, 7, v10
	v_cmp_eq_u16_e32 vcc, 0, v6
	v_cndmask_b32_e32 v3, v3, v10, vcc
	v_cndmask_b32_e32 v6, v6, v7, vcc
	v_lshlrev_b32_e32 v7, 24, v4
	v_mov_b32_e32 v10, 0x3b800000
	v_lshlrev_b32_e32 v3, 20, v3
	v_and_b32_e32 v7, 0x80000000, v7
	v_lshl_add_u32 v6, v6, 23, v10
	v_or3_b32 v3, v7, v6, v3
.LBB6_1992:
	s_or_b64 exec, exec, s[6:7]
	s_nop 0
	v_mfma_f32_16x16x4f32 a[0:3], v2, v3, a[0:3]
	v_lshrrev_b32_e32 v3, 8, v8
	s_movk_i32 s4, 0x7f
	v_cmp_gt_i16_sdwa s[6:7], v3, s4 src0_sel:BYTE_0 src1_sel:DWORD
	s_mov_b64 s[4:5], 0
                                        ; implicit-def: $sgpr10
	s_and_saveexec_b64 s[8:9], s[6:7]
	s_xor_b64 s[6:7], exec, s[8:9]
	s_cbranch_execnz .LBB6_4041
; %bb.1993:
	s_or_saveexec_b64 s[6:7], s[6:7]
	v_mov_b32_e32 v2, s10
	s_xor_b64 exec, exec, s[6:7]
	s_cbranch_execnz .LBB6_4044
.LBB6_1994:
	s_or_b64 exec, exec, s[6:7]
	s_and_saveexec_b64 s[6:7], s[4:5]
	s_cbranch_execz .LBB6_1996
.LBB6_1995:
	v_bfe_u32 v2, v8, 8, 3
	v_ffbh_u32_e32 v7, v2
	v_min_u32_e32 v7, 32, v7
	v_lshrrev_b16_e32 v6, 3, v3
	v_subrev_u32_e32 v10, 28, v7
	v_and_b32_e32 v6, 15, v6
	v_lshlrev_b32_e32 v3, v10, v3
	v_sub_u32_e32 v7, 29, v7
	v_and_b32_e32 v3, 7, v3
	v_cmp_eq_u16_e32 vcc, 0, v6
	v_cndmask_b32_e32 v2, v2, v3, vcc
	v_cndmask_b32_e32 v3, v6, v7, vcc
	v_lshlrev_b32_e32 v6, 16, v8
	v_mov_b32_e32 v7, 0x3b800000
	v_lshlrev_b32_e32 v2, 20, v2
	v_and_b32_e32 v6, 0x80000000, v6
	v_lshl_add_u32 v3, v3, 23, v7
	v_or3_b32 v2, v6, v3, v2
.LBB6_1996:
	s_or_b64 exec, exec, s[6:7]
	v_lshrrev_b32_e32 v3, 8, v4
	s_movk_i32 s4, 0x7f
	v_cmp_gt_i16_sdwa s[6:7], v3, s4 src0_sel:BYTE_0 src1_sel:DWORD
	s_mov_b64 s[4:5], 0
                                        ; implicit-def: $sgpr10
	s_and_saveexec_b64 s[8:9], s[6:7]
	s_xor_b64 s[6:7], exec, s[8:9]
	s_cbranch_execnz .LBB6_4045
; %bb.1997:
	s_or_saveexec_b64 s[6:7], s[6:7]
	v_mov_b32_e32 v6, s10
	s_xor_b64 exec, exec, s[6:7]
	s_cbranch_execnz .LBB6_4048
.LBB6_1998:
	s_or_b64 exec, exec, s[6:7]
	s_and_saveexec_b64 s[6:7], s[4:5]
	s_cbranch_execz .LBB6_2000
.LBB6_1999:
	v_bfe_u32 v6, v4, 8, 3
	v_ffbh_u32_e32 v10, v6
	v_min_u32_e32 v10, 32, v10
	v_lshrrev_b16_e32 v7, 3, v3
	v_subrev_u32_e32 v11, 28, v10
	v_and_b32_e32 v7, 15, v7
	v_lshlrev_b32_e32 v3, v11, v3
	v_sub_u32_e32 v10, 29, v10
	v_and_b32_e32 v3, 7, v3
	v_cmp_eq_u16_e32 vcc, 0, v7
	v_cndmask_b32_e32 v3, v6, v3, vcc
	v_cndmask_b32_e32 v6, v7, v10, vcc
	v_lshlrev_b32_e32 v7, 16, v4
	v_mov_b32_e32 v10, 0x3b800000
	v_lshlrev_b32_e32 v3, 20, v3
	v_and_b32_e32 v7, 0x80000000, v7
	v_lshl_add_u32 v6, v6, 23, v10
	v_or3_b32 v6, v7, v6, v3
.LBB6_2000:
	s_or_b64 exec, exec, s[6:7]
	s_nop 0
	v_mfma_f32_16x16x4f32 a[0:3], v2, v6, a[0:3]
	s_movk_i32 s4, 0xff
	v_and_b32_sdwa v3, v8, s4 dst_sel:DWORD dst_unused:UNUSED_PAD src0_sel:WORD_1 src1_sel:DWORD
	s_movk_i32 s4, 0x7f
	v_cmp_lt_i16_e32 vcc, s4, v3
	s_mov_b64 s[4:5], 0
                                        ; implicit-def: $sgpr10
	s_and_saveexec_b64 s[6:7], vcc
	s_xor_b64 s[6:7], exec, s[6:7]
	s_cbranch_execnz .LBB6_4049
; %bb.2001:
	s_or_saveexec_b64 s[6:7], s[6:7]
	v_mov_b32_e32 v2, s10
	s_xor_b64 exec, exec, s[6:7]
	s_cbranch_execnz .LBB6_4052
.LBB6_2002:
	s_or_b64 exec, exec, s[6:7]
	s_and_saveexec_b64 s[6:7], s[4:5]
	s_cbranch_execz .LBB6_2004
.LBB6_2003:
	v_bfe_u32 v2, v8, 16, 3
	v_ffbh_u32_e32 v7, v2
	v_min_u32_e32 v7, 32, v7
	v_lshrrev_b32_e32 v3, 19, v8
	v_subrev_u32_e32 v10, 28, v7
	v_and_b32_e32 v3, 15, v3
	v_lshlrev_b32_sdwa v10, v10, v8 dst_sel:DWORD dst_unused:UNUSED_PAD src0_sel:DWORD src1_sel:WORD_1
	v_bfe_u32 v6, v8, 19, 4
	v_sub_u32_e32 v7, 29, v7
	v_and_b32_e32 v10, 7, v10
	v_cmp_eq_u16_e32 vcc, 0, v3
	v_cndmask_b32_e32 v2, v2, v10, vcc
	v_cndmask_b32_e32 v3, v6, v7, vcc
	v_lshlrev_b32_e32 v6, 8, v8
	v_mov_b32_e32 v7, 0x3b800000
	v_lshlrev_b32_e32 v2, 20, v2
	v_and_b32_e32 v6, 0x80000000, v6
	v_lshl_add_u32 v3, v3, 23, v7
	v_or3_b32 v2, v6, v3, v2
.LBB6_2004:
	s_or_b64 exec, exec, s[6:7]
	s_movk_i32 s4, 0xff
	v_and_b32_sdwa v3, v4, s4 dst_sel:DWORD dst_unused:UNUSED_PAD src0_sel:WORD_1 src1_sel:DWORD
	s_movk_i32 s4, 0x7f
	v_cmp_lt_i16_e32 vcc, s4, v3
	s_mov_b64 s[4:5], 0
                                        ; implicit-def: $sgpr10
	s_and_saveexec_b64 s[6:7], vcc
	s_xor_b64 s[6:7], exec, s[6:7]
	s_cbranch_execnz .LBB6_4053
; %bb.2005:
	s_or_saveexec_b64 s[6:7], s[6:7]
	v_mov_b32_e32 v6, s10
	s_xor_b64 exec, exec, s[6:7]
	s_cbranch_execnz .LBB6_4056
.LBB6_2006:
	s_or_b64 exec, exec, s[6:7]
	s_and_saveexec_b64 s[6:7], s[4:5]
	s_cbranch_execz .LBB6_2008
.LBB6_2007:
	v_bfe_u32 v3, v4, 16, 3
	v_ffbh_u32_e32 v10, v3
	v_min_u32_e32 v10, 32, v10
	v_lshrrev_b32_e32 v6, 19, v4
	v_subrev_u32_e32 v11, 28, v10
	v_and_b32_e32 v6, 15, v6
	v_lshlrev_b32_sdwa v11, v11, v4 dst_sel:DWORD dst_unused:UNUSED_PAD src0_sel:DWORD src1_sel:WORD_1
	v_bfe_u32 v7, v4, 19, 4
	v_sub_u32_e32 v10, 29, v10
	v_and_b32_e32 v11, 7, v11
	v_cmp_eq_u16_e32 vcc, 0, v6
	v_cndmask_b32_e32 v3, v3, v11, vcc
	v_cndmask_b32_e32 v6, v7, v10, vcc
	v_lshlrev_b32_e32 v7, 8, v4
	v_mov_b32_e32 v10, 0x3b800000
	v_lshlrev_b32_e32 v3, 20, v3
	v_and_b32_e32 v7, 0x80000000, v7
	v_lshl_add_u32 v6, v6, 23, v10
	v_or3_b32 v6, v7, v6, v3
.LBB6_2008:
	s_or_b64 exec, exec, s[6:7]
	s_nop 0
	v_mfma_f32_16x16x4f32 a[0:3], v2, v6, a[0:3]
	s_movk_i32 s4, 0x7f
	v_cmp_gt_i16_sdwa s[6:7], v8, s4 src0_sel:BYTE_3 src1_sel:DWORD
	s_mov_b64 s[4:5], 0
                                        ; implicit-def: $sgpr10
	s_and_saveexec_b64 s[8:9], s[6:7]
	s_xor_b64 s[6:7], exec, s[8:9]
	s_cbranch_execnz .LBB6_4057
; %bb.2009:
	s_or_saveexec_b64 s[6:7], s[6:7]
	v_mov_b32_e32 v2, s10
	s_xor_b64 exec, exec, s[6:7]
	s_cbranch_execnz .LBB6_4060
.LBB6_2010:
	s_or_b64 exec, exec, s[6:7]
	s_and_saveexec_b64 s[6:7], s[4:5]
	s_cbranch_execz .LBB6_2012
.LBB6_2011:
	v_bfe_u32 v2, v8, 24, 3
	v_ffbh_u32_e32 v10, v2
	v_min_u32_e32 v10, 32, v10
	v_lshrrev_b32_e32 v6, 27, v8
	v_subrev_u32_e32 v11, 28, v10
	v_and_b32_e32 v3, 0x80000000, v8
	v_and_b32_e32 v6, 15, v6
	v_bfe_u32 v7, v8, 27, 4
	v_lshlrev_b32_sdwa v8, v11, v8 dst_sel:DWORD dst_unused:UNUSED_PAD src0_sel:DWORD src1_sel:BYTE_3
	v_sub_u32_e32 v10, 29, v10
	v_and_b32_e32 v8, 7, v8
	v_cmp_eq_u16_e32 vcc, 0, v6
	v_cndmask_b32_e32 v2, v2, v8, vcc
	v_cndmask_b32_e32 v6, v7, v10, vcc
	v_mov_b32_e32 v7, 0x3b800000
	v_lshlrev_b32_e32 v2, 20, v2
	v_lshl_add_u32 v6, v6, 23, v7
	v_or3_b32 v2, v3, v6, v2
.LBB6_2012:
	s_or_b64 exec, exec, s[6:7]
	s_movk_i32 s4, 0x7f
	v_cmp_gt_i16_sdwa s[6:7], v4, s4 src0_sel:BYTE_3 src1_sel:DWORD
	s_mov_b64 s[4:5], 0
                                        ; implicit-def: $sgpr10
	s_and_saveexec_b64 s[8:9], s[6:7]
	s_xor_b64 s[6:7], exec, s[8:9]
	s_cbranch_execnz .LBB6_4061
; %bb.2013:
	s_or_saveexec_b64 s[6:7], s[6:7]
	v_mov_b32_e32 v3, s10
	s_xor_b64 exec, exec, s[6:7]
	s_cbranch_execnz .LBB6_4064
.LBB6_2014:
	s_or_b64 exec, exec, s[6:7]
	s_and_saveexec_b64 s[6:7], s[4:5]
	s_cbranch_execz .LBB6_2016
.LBB6_2015:
	v_bfe_u32 v3, v4, 24, 3
	v_ffbh_u32_e32 v10, v3
	v_min_u32_e32 v10, 32, v10
	v_lshrrev_b32_e32 v7, 27, v4
	v_subrev_u32_e32 v11, 28, v10
	v_and_b32_e32 v6, 0x80000000, v4
	v_and_b32_e32 v7, 15, v7
	v_bfe_u32 v8, v4, 27, 4
	v_lshlrev_b32_sdwa v4, v11, v4 dst_sel:DWORD dst_unused:UNUSED_PAD src0_sel:DWORD src1_sel:BYTE_3
	v_sub_u32_e32 v10, 29, v10
	v_and_b32_e32 v4, 7, v4
	v_cmp_eq_u16_e32 vcc, 0, v7
	v_cndmask_b32_e32 v3, v3, v4, vcc
	v_cndmask_b32_e32 v4, v8, v10, vcc
	v_mov_b32_e32 v7, 0x3b800000
	v_lshlrev_b32_e32 v3, 20, v3
	v_lshl_add_u32 v4, v4, 23, v7
	v_or3_b32 v3, v6, v4, v3
.LBB6_2016:
	s_or_b64 exec, exec, s[6:7]
	s_nop 0
	v_mfma_f32_16x16x4f32 a[0:3], v2, v3, a[0:3]
	s_movk_i32 s4, 0x7f
	v_cmp_gt_i16_sdwa s[6:7], v9, s4 src0_sel:BYTE_0 src1_sel:DWORD
	s_mov_b64 s[4:5], 0
                                        ; implicit-def: $sgpr10
	s_and_saveexec_b64 s[8:9], s[6:7]
	s_xor_b64 s[6:7], exec, s[8:9]
	s_cbranch_execnz .LBB6_4065
; %bb.2017:
	s_or_saveexec_b64 s[6:7], s[6:7]
	v_mov_b32_e32 v2, s10
	s_xor_b64 exec, exec, s[6:7]
	s_cbranch_execnz .LBB6_4068
.LBB6_2018:
	s_or_b64 exec, exec, s[6:7]
	s_and_saveexec_b64 s[6:7], s[4:5]
	s_cbranch_execz .LBB6_2020
.LBB6_2019:
	v_mov_b32_e32 v2, 8
	v_and_b32_e32 v3, 7, v9
	v_lshrrev_b32_sdwa v2, v2, v9 dst_sel:BYTE_1 dst_unused:UNUSED_PAD src0_sel:DWORD src1_sel:DWORD
	v_ffbh_u32_e32 v4, v3
	v_or_b32_sdwa v2, v9, v2 dst_sel:DWORD dst_unused:UNUSED_PAD src0_sel:BYTE_0 src1_sel:DWORD
	v_min_u32_e32 v4, 32, v4
	v_lshrrev_b16_e32 v2, 3, v2
	v_subrev_u32_e32 v6, 28, v4
	v_and_b32_e32 v2, 15, v2
	v_lshlrev_b32_e32 v6, v6, v9
	v_sub_u32_e32 v4, 29, v4
	v_and_b32_e32 v6, 7, v6
	v_cmp_eq_u16_e32 vcc, 0, v2
	v_cndmask_b32_e32 v3, v3, v6, vcc
	v_cndmask_b32_e32 v2, v2, v4, vcc
	v_lshlrev_b32_e32 v4, 24, v9
	v_mov_b32_e32 v6, 0x3b800000
	v_lshlrev_b32_e32 v3, 20, v3
	v_and_b32_e32 v4, 0x80000000, v4
	v_lshl_add_u32 v2, v2, 23, v6
	v_or3_b32 v2, v4, v2, v3
.LBB6_2020:
	s_or_b64 exec, exec, s[6:7]
	s_movk_i32 s4, 0x7f
	v_cmp_gt_i16_sdwa s[6:7], v5, s4 src0_sel:BYTE_0 src1_sel:DWORD
	s_mov_b64 s[4:5], 0
                                        ; implicit-def: $sgpr10
	s_and_saveexec_b64 s[8:9], s[6:7]
	s_xor_b64 s[6:7], exec, s[8:9]
	s_cbranch_execnz .LBB6_4069
; %bb.2021:
	s_or_saveexec_b64 s[6:7], s[6:7]
	v_mov_b32_e32 v3, s10
	s_xor_b64 exec, exec, s[6:7]
	s_cbranch_execnz .LBB6_4072
.LBB6_2022:
	s_or_b64 exec, exec, s[6:7]
	s_and_saveexec_b64 s[6:7], s[4:5]
	s_cbranch_execz .LBB6_2024
.LBB6_2023:
	v_mov_b32_e32 v3, 8
	v_and_b32_e32 v4, 7, v5
	v_lshrrev_b32_sdwa v3, v3, v5 dst_sel:BYTE_1 dst_unused:UNUSED_PAD src0_sel:DWORD src1_sel:DWORD
	v_ffbh_u32_e32 v6, v4
	v_or_b32_sdwa v3, v5, v3 dst_sel:DWORD dst_unused:UNUSED_PAD src0_sel:BYTE_0 src1_sel:DWORD
	v_min_u32_e32 v6, 32, v6
	v_lshrrev_b16_e32 v3, 3, v3
	v_subrev_u32_e32 v7, 28, v6
	v_and_b32_e32 v3, 15, v3
	v_lshlrev_b32_e32 v7, v7, v5
	v_sub_u32_e32 v6, 29, v6
	v_and_b32_e32 v7, 7, v7
	v_cmp_eq_u16_e32 vcc, 0, v3
	v_cndmask_b32_e32 v4, v4, v7, vcc
	v_cndmask_b32_e32 v3, v3, v6, vcc
	v_lshlrev_b32_e32 v6, 24, v5
	v_mov_b32_e32 v7, 0x3b800000
	v_lshlrev_b32_e32 v4, 20, v4
	v_and_b32_e32 v6, 0x80000000, v6
	v_lshl_add_u32 v3, v3, 23, v7
	v_or3_b32 v3, v6, v3, v4
.LBB6_2024:
	s_or_b64 exec, exec, s[6:7]
	s_nop 0
	v_mfma_f32_16x16x4f32 a[0:3], v2, v3, a[0:3]
	v_lshrrev_b32_e32 v3, 8, v9
	s_movk_i32 s4, 0x7f
	v_cmp_gt_i16_sdwa s[6:7], v3, s4 src0_sel:BYTE_0 src1_sel:DWORD
	s_mov_b64 s[4:5], 0
                                        ; implicit-def: $sgpr10
	s_and_saveexec_b64 s[8:9], s[6:7]
	s_xor_b64 s[6:7], exec, s[8:9]
	s_cbranch_execnz .LBB6_4073
; %bb.2025:
	s_or_saveexec_b64 s[6:7], s[6:7]
	v_mov_b32_e32 v2, s10
	s_xor_b64 exec, exec, s[6:7]
	s_cbranch_execnz .LBB6_4076
.LBB6_2026:
	s_or_b64 exec, exec, s[6:7]
	s_and_saveexec_b64 s[6:7], s[4:5]
	s_cbranch_execz .LBB6_2028
.LBB6_2027:
	v_bfe_u32 v2, v9, 8, 3
	v_ffbh_u32_e32 v6, v2
	v_min_u32_e32 v6, 32, v6
	v_lshrrev_b16_e32 v4, 3, v3
	v_subrev_u32_e32 v7, 28, v6
	v_and_b32_e32 v4, 15, v4
	v_lshlrev_b32_e32 v3, v7, v3
	v_sub_u32_e32 v6, 29, v6
	v_and_b32_e32 v3, 7, v3
	v_cmp_eq_u16_e32 vcc, 0, v4
	v_cndmask_b32_e32 v2, v2, v3, vcc
	v_cndmask_b32_e32 v3, v4, v6, vcc
	v_lshlrev_b32_e32 v4, 16, v9
	v_mov_b32_e32 v6, 0x3b800000
	v_lshlrev_b32_e32 v2, 20, v2
	v_and_b32_e32 v4, 0x80000000, v4
	v_lshl_add_u32 v3, v3, 23, v6
	v_or3_b32 v2, v4, v3, v2
.LBB6_2028:
	s_or_b64 exec, exec, s[6:7]
	v_lshrrev_b32_e32 v3, 8, v5
	s_movk_i32 s4, 0x7f
	v_cmp_gt_i16_sdwa s[6:7], v3, s4 src0_sel:BYTE_0 src1_sel:DWORD
	s_mov_b64 s[4:5], 0
                                        ; implicit-def: $sgpr10
	s_and_saveexec_b64 s[8:9], s[6:7]
	s_xor_b64 s[6:7], exec, s[8:9]
	s_cbranch_execnz .LBB6_4077
; %bb.2029:
	s_or_saveexec_b64 s[6:7], s[6:7]
	v_mov_b32_e32 v4, s10
	s_xor_b64 exec, exec, s[6:7]
	s_cbranch_execnz .LBB6_4080
.LBB6_2030:
	s_or_b64 exec, exec, s[6:7]
	s_and_saveexec_b64 s[6:7], s[4:5]
	s_cbranch_execz .LBB6_2032
.LBB6_2031:
	v_bfe_u32 v4, v5, 8, 3
	v_ffbh_u32_e32 v7, v4
	v_min_u32_e32 v7, 32, v7
	v_lshrrev_b16_e32 v6, 3, v3
	v_subrev_u32_e32 v8, 28, v7
	v_and_b32_e32 v6, 15, v6
	v_lshlrev_b32_e32 v3, v8, v3
	v_sub_u32_e32 v7, 29, v7
	v_and_b32_e32 v3, 7, v3
	v_cmp_eq_u16_e32 vcc, 0, v6
	v_cndmask_b32_e32 v3, v4, v3, vcc
	v_cndmask_b32_e32 v4, v6, v7, vcc
	v_lshlrev_b32_e32 v6, 16, v5
	v_mov_b32_e32 v7, 0x3b800000
	v_lshlrev_b32_e32 v3, 20, v3
	v_and_b32_e32 v6, 0x80000000, v6
	v_lshl_add_u32 v4, v4, 23, v7
	v_or3_b32 v4, v6, v4, v3
.LBB6_2032:
	s_or_b64 exec, exec, s[6:7]
	s_nop 0
	v_mfma_f32_16x16x4f32 a[0:3], v2, v4, a[0:3]
	s_movk_i32 s4, 0xff
	v_and_b32_sdwa v3, v9, s4 dst_sel:DWORD dst_unused:UNUSED_PAD src0_sel:WORD_1 src1_sel:DWORD
	s_movk_i32 s4, 0x7f
	v_cmp_lt_i16_e32 vcc, s4, v3
	s_mov_b64 s[4:5], 0
                                        ; implicit-def: $sgpr10
	s_and_saveexec_b64 s[6:7], vcc
	s_xor_b64 s[6:7], exec, s[6:7]
	s_cbranch_execnz .LBB6_4081
; %bb.2033:
	s_or_saveexec_b64 s[6:7], s[6:7]
	v_mov_b32_e32 v2, s10
	s_xor_b64 exec, exec, s[6:7]
	s_cbranch_execnz .LBB6_4084
.LBB6_2034:
	s_or_b64 exec, exec, s[6:7]
	s_and_saveexec_b64 s[6:7], s[4:5]
	s_cbranch_execz .LBB6_2036
.LBB6_2035:
	v_bfe_u32 v2, v9, 16, 3
	v_ffbh_u32_e32 v6, v2
	v_min_u32_e32 v6, 32, v6
	v_lshrrev_b32_e32 v3, 19, v9
	v_subrev_u32_e32 v7, 28, v6
	v_and_b32_e32 v3, 15, v3
	v_lshlrev_b32_sdwa v7, v7, v9 dst_sel:DWORD dst_unused:UNUSED_PAD src0_sel:DWORD src1_sel:WORD_1
	v_bfe_u32 v4, v9, 19, 4
	v_sub_u32_e32 v6, 29, v6
	v_and_b32_e32 v7, 7, v7
	v_cmp_eq_u16_e32 vcc, 0, v3
	v_cndmask_b32_e32 v2, v2, v7, vcc
	v_cndmask_b32_e32 v3, v4, v6, vcc
	v_lshlrev_b32_e32 v4, 8, v9
	v_mov_b32_e32 v6, 0x3b800000
	v_lshlrev_b32_e32 v2, 20, v2
	v_and_b32_e32 v4, 0x80000000, v4
	v_lshl_add_u32 v3, v3, 23, v6
	v_or3_b32 v2, v4, v3, v2
.LBB6_2036:
	s_or_b64 exec, exec, s[6:7]
	s_movk_i32 s4, 0xff
	v_and_b32_sdwa v3, v5, s4 dst_sel:DWORD dst_unused:UNUSED_PAD src0_sel:WORD_1 src1_sel:DWORD
	s_movk_i32 s4, 0x7f
	v_cmp_lt_i16_e32 vcc, s4, v3
	s_mov_b64 s[4:5], 0
                                        ; implicit-def: $sgpr10
	s_and_saveexec_b64 s[6:7], vcc
	s_xor_b64 s[6:7], exec, s[6:7]
	s_cbranch_execnz .LBB6_4085
; %bb.2037:
	s_or_saveexec_b64 s[6:7], s[6:7]
	v_mov_b32_e32 v4, s10
	s_xor_b64 exec, exec, s[6:7]
	s_cbranch_execnz .LBB6_4088
.LBB6_2038:
	s_or_b64 exec, exec, s[6:7]
	s_and_saveexec_b64 s[6:7], s[4:5]
	s_cbranch_execz .LBB6_2040
.LBB6_2039:
	v_bfe_u32 v3, v5, 16, 3
	v_ffbh_u32_e32 v7, v3
	v_min_u32_e32 v7, 32, v7
	v_lshrrev_b32_e32 v4, 19, v5
	v_subrev_u32_e32 v8, 28, v7
	v_and_b32_e32 v4, 15, v4
	v_lshlrev_b32_sdwa v8, v8, v5 dst_sel:DWORD dst_unused:UNUSED_PAD src0_sel:DWORD src1_sel:WORD_1
	v_bfe_u32 v6, v5, 19, 4
	v_sub_u32_e32 v7, 29, v7
	v_and_b32_e32 v8, 7, v8
	v_cmp_eq_u16_e32 vcc, 0, v4
	v_cndmask_b32_e32 v3, v3, v8, vcc
	v_cndmask_b32_e32 v4, v6, v7, vcc
	v_lshlrev_b32_e32 v6, 8, v5
	v_mov_b32_e32 v7, 0x3b800000
	v_lshlrev_b32_e32 v3, 20, v3
	v_and_b32_e32 v6, 0x80000000, v6
	v_lshl_add_u32 v4, v4, 23, v7
	v_or3_b32 v4, v6, v4, v3
.LBB6_2040:
	s_or_b64 exec, exec, s[6:7]
	s_nop 0
	v_mfma_f32_16x16x4f32 a[0:3], v2, v4, a[0:3]
	s_movk_i32 s4, 0x7f
	v_cmp_gt_i16_sdwa s[6:7], v9, s4 src0_sel:BYTE_3 src1_sel:DWORD
	s_mov_b64 s[4:5], 0
                                        ; implicit-def: $sgpr10
	s_and_saveexec_b64 s[8:9], s[6:7]
	s_xor_b64 s[6:7], exec, s[8:9]
	s_cbranch_execnz .LBB6_4089
; %bb.2041:
	s_or_saveexec_b64 s[6:7], s[6:7]
	v_mov_b32_e32 v2, s10
	s_xor_b64 exec, exec, s[6:7]
	s_cbranch_execnz .LBB6_4092
.LBB6_2042:
	s_or_b64 exec, exec, s[6:7]
	s_and_saveexec_b64 s[6:7], s[4:5]
	s_cbranch_execz .LBB6_2044
.LBB6_2043:
	v_bfe_u32 v2, v9, 24, 3
	v_ffbh_u32_e32 v7, v2
	v_min_u32_e32 v7, 32, v7
	v_lshrrev_b32_e32 v4, 27, v9
	v_subrev_u32_e32 v8, 28, v7
	v_and_b32_e32 v4, 15, v4
	v_lshlrev_b32_sdwa v8, v8, v9 dst_sel:DWORD dst_unused:UNUSED_PAD src0_sel:DWORD src1_sel:BYTE_3
	v_bfe_u32 v6, v9, 27, 4
	v_sub_u32_e32 v7, 29, v7
	v_and_b32_e32 v8, 7, v8
	v_cmp_eq_u16_e32 vcc, 0, v4
	v_cndmask_b32_e32 v2, v2, v8, vcc
	v_cndmask_b32_e32 v4, v6, v7, vcc
	v_mov_b32_e32 v6, 0x3b800000
	v_and_b32_e32 v3, 0x80000000, v9
	v_lshlrev_b32_e32 v2, 20, v2
	v_lshl_add_u32 v4, v4, 23, v6
	v_or3_b32 v2, v3, v4, v2
.LBB6_2044:
	s_or_b64 exec, exec, s[6:7]
	s_movk_i32 s4, 0x7f
	v_cmp_gt_i16_sdwa s[6:7], v5, s4 src0_sel:BYTE_3 src1_sel:DWORD
	s_mov_b64 s[4:5], 0
                                        ; implicit-def: $sgpr10
	s_and_saveexec_b64 s[8:9], s[6:7]
	s_xor_b64 s[6:7], exec, s[8:9]
	s_cbranch_execnz .LBB6_4093
; %bb.2045:
	s_or_saveexec_b64 s[6:7], s[6:7]
	v_mov_b32_e32 v3, s10
	s_xor_b64 exec, exec, s[6:7]
	s_cbranch_execnz .LBB6_4096
.LBB6_2046:
	s_or_b64 exec, exec, s[6:7]
	s_and_saveexec_b64 s[6:7], s[4:5]
	s_cbranch_execz .LBB6_2048
.LBB6_2047:
	v_bfe_u32 v3, v5, 24, 3
	v_ffbh_u32_e32 v8, v3
	v_min_u32_e32 v8, 32, v8
	v_lshrrev_b32_e32 v6, 27, v5
	v_subrev_u32_e32 v9, 28, v8
	v_and_b32_e32 v4, 0x80000000, v5
	v_and_b32_e32 v6, 15, v6
	v_bfe_u32 v7, v5, 27, 4
	v_lshlrev_b32_sdwa v5, v9, v5 dst_sel:DWORD dst_unused:UNUSED_PAD src0_sel:DWORD src1_sel:BYTE_3
	v_sub_u32_e32 v8, 29, v8
	v_and_b32_e32 v5, 7, v5
	v_cmp_eq_u16_e32 vcc, 0, v6
	v_cndmask_b32_e32 v3, v3, v5, vcc
	v_cndmask_b32_e32 v5, v7, v8, vcc
	v_mov_b32_e32 v6, 0x3b800000
	v_lshlrev_b32_e32 v3, 20, v3
	v_lshl_add_u32 v5, v5, 23, v6
	v_or3_b32 v3, v4, v5, v3
.LBB6_2048:
	s_or_b64 exec, exec, s[6:7]
	s_nop 0
	v_mfma_f32_16x16x4f32 a[0:3], v2, v3, a[0:3]
	s_nop 7
	s_nop 2
	flat_store_dwordx4 v[0:1], a[0:3] offset:240
	s_waitcnt vmcnt(0) lgkmcnt(0)
	s_setpc_b64 s[30:31]
.LBB6_2049:
	s_movk_i32 s4, 0x80
	v_cmp_eq_u16_sdwa s[12:13], v6, s4 src0_sel:BYTE_0 src1_sel:DWORD
	s_mov_b64 s[4:5], -1
                                        ; implicit-def: $sgpr10
	s_and_saveexec_b64 s[8:9], s[12:13]
; %bb.2050:
	s_mov_b32 s10, 0x7f800001
	s_xor_b64 s[4:5], exec, -1
; %bb.2051:
	s_or_b64 exec, exec, s[8:9]
	s_and_b64 s[4:5], s[4:5], exec
	s_or_saveexec_b64 s[6:7], s[6:7]
	v_mov_b32_e32 v12, s10
	s_xor_b64 exec, exec, s[6:7]
	s_cbranch_execz .LBB6_2
.LBB6_2052:
	v_mov_b32_e32 v12, 0
	v_cmp_ne_u16_sdwa s[8:9], v6, v12 src0_sel:BYTE_0 src1_sel:DWORD
	s_andn2_b64 s[4:5], s[4:5], exec
	s_and_b64 s[8:9], s[8:9], exec
	s_or_b64 s[4:5], s[4:5], s[8:9]
	s_or_b64 exec, exec, s[6:7]
	s_and_saveexec_b64 s[6:7], s[4:5]
	s_cbranch_execnz .LBB6_3
	s_branch .LBB6_4
.LBB6_2053:
	s_movk_i32 s4, 0x80
	v_cmp_eq_u16_sdwa s[12:13], v2, s4 src0_sel:BYTE_0 src1_sel:DWORD
	s_mov_b64 s[4:5], -1
                                        ; implicit-def: $sgpr10
	s_and_saveexec_b64 s[8:9], s[12:13]
; %bb.2054:
	s_mov_b32 s10, 0x7f800001
	s_xor_b64 s[4:5], exec, -1
; %bb.2055:
	s_or_b64 exec, exec, s[8:9]
	s_and_b64 s[4:5], s[4:5], exec
	s_or_saveexec_b64 s[6:7], s[6:7]
	v_mov_b32_e32 v13, s10
	s_xor_b64 exec, exec, s[6:7]
	s_cbranch_execz .LBB6_6
.LBB6_2056:
	v_mov_b32_e32 v13, 0
	v_cmp_ne_u16_sdwa s[8:9], v2, v13 src0_sel:BYTE_0 src1_sel:DWORD
	s_andn2_b64 s[4:5], s[4:5], exec
	s_and_b64 s[8:9], s[8:9], exec
	s_or_b64 s[4:5], s[4:5], s[8:9]
	s_or_b64 exec, exec, s[6:7]
	s_and_saveexec_b64 s[6:7], s[4:5]
	s_cbranch_execnz .LBB6_7
	s_branch .LBB6_8
.LBB6_2057:
	s_movk_i32 s4, 0x80
	v_cmp_eq_u16_sdwa s[12:13], v13, s4 src0_sel:BYTE_0 src1_sel:DWORD
	s_mov_b64 s[4:5], -1
                                        ; implicit-def: $sgpr10
	s_and_saveexec_b64 s[8:9], s[12:13]
; %bb.2058:
	s_mov_b32 s10, 0x7f800001
	s_xor_b64 s[4:5], exec, -1
; %bb.2059:
	s_or_b64 exec, exec, s[8:9]
	s_and_b64 s[4:5], s[4:5], exec
	s_or_saveexec_b64 s[6:7], s[6:7]
	v_mov_b32_e32 v12, s10
	s_xor_b64 exec, exec, s[6:7]
	s_cbranch_execz .LBB6_10
.LBB6_2060:
	v_mov_b32_e32 v12, 0
	v_cmp_ne_u16_sdwa s[8:9], v13, v12 src0_sel:BYTE_0 src1_sel:DWORD
	s_andn2_b64 s[4:5], s[4:5], exec
	s_and_b64 s[8:9], s[8:9], exec
	s_or_b64 s[4:5], s[4:5], s[8:9]
	s_or_b64 exec, exec, s[6:7]
	s_and_saveexec_b64 s[6:7], s[4:5]
	s_cbranch_execnz .LBB6_11
	s_branch .LBB6_12
.LBB6_2061:
	s_movk_i32 s4, 0x80
	v_cmp_eq_u16_sdwa s[12:13], v13, s4 src0_sel:BYTE_0 src1_sel:DWORD
	s_mov_b64 s[4:5], -1
                                        ; implicit-def: $sgpr10
	s_and_saveexec_b64 s[8:9], s[12:13]
; %bb.2062:
	s_mov_b32 s10, 0x7f800001
	s_xor_b64 s[4:5], exec, -1
; %bb.2063:
	s_or_b64 exec, exec, s[8:9]
	s_and_b64 s[4:5], s[4:5], exec
	s_or_saveexec_b64 s[6:7], s[6:7]
	v_mov_b32_e32 v14, s10
	s_xor_b64 exec, exec, s[6:7]
	s_cbranch_execz .LBB6_14
.LBB6_2064:
	v_mov_b32_e32 v14, 0
	v_cmp_ne_u16_sdwa s[8:9], v13, v14 src0_sel:BYTE_0 src1_sel:DWORD
	s_andn2_b64 s[4:5], s[4:5], exec
	s_and_b64 s[8:9], s[8:9], exec
	s_or_b64 s[4:5], s[4:5], s[8:9]
	s_or_b64 exec, exec, s[6:7]
	s_and_saveexec_b64 s[6:7], s[4:5]
	s_cbranch_execnz .LBB6_15
	s_branch .LBB6_16
.LBB6_2065:
	s_movk_i32 s4, 0x80
	v_cmp_eq_u16_e32 vcc, s4, v13
	s_mov_b64 s[4:5], -1
                                        ; implicit-def: $sgpr10
	s_and_saveexec_b64 s[8:9], vcc
; %bb.2066:
	s_mov_b32 s10, 0x7f800001
	s_xor_b64 s[4:5], exec, -1
; %bb.2067:
	s_or_b64 exec, exec, s[8:9]
	s_and_b64 s[4:5], s[4:5], exec
                                        ; implicit-def: $vgpr13
	s_or_saveexec_b64 s[6:7], s[6:7]
	v_mov_b32_e32 v12, s10
	s_xor_b64 exec, exec, s[6:7]
	s_cbranch_execz .LBB6_18
.LBB6_2068:
	v_cmp_ne_u16_e32 vcc, 0, v13
	s_andn2_b64 s[4:5], s[4:5], exec
	s_and_b64 s[8:9], vcc, exec
	v_mov_b32_e32 v12, 0
	s_or_b64 s[4:5], s[4:5], s[8:9]
	s_or_b64 exec, exec, s[6:7]
	s_and_saveexec_b64 s[6:7], s[4:5]
	s_cbranch_execnz .LBB6_19
	s_branch .LBB6_20
.LBB6_2069:
	s_movk_i32 s4, 0x80
	v_cmp_eq_u16_e32 vcc, s4, v13
	s_mov_b64 s[4:5], -1
                                        ; implicit-def: $sgpr10
	s_and_saveexec_b64 s[8:9], vcc
; %bb.2070:
	s_mov_b32 s10, 0x7f800001
	s_xor_b64 s[4:5], exec, -1
; %bb.2071:
	s_or_b64 exec, exec, s[8:9]
	s_and_b64 s[4:5], s[4:5], exec
                                        ; implicit-def: $vgpr13
	s_or_saveexec_b64 s[6:7], s[6:7]
	v_mov_b32_e32 v14, s10
	s_xor_b64 exec, exec, s[6:7]
	s_cbranch_execz .LBB6_22
.LBB6_2072:
	v_cmp_ne_u16_e32 vcc, 0, v13
	s_andn2_b64 s[4:5], s[4:5], exec
	s_and_b64 s[8:9], vcc, exec
	v_mov_b32_e32 v14, 0
	s_or_b64 s[4:5], s[4:5], s[8:9]
	s_or_b64 exec, exec, s[6:7]
	s_and_saveexec_b64 s[6:7], s[4:5]
	s_cbranch_execnz .LBB6_23
	s_branch .LBB6_24
.LBB6_2073:
	s_movk_i32 s4, 0x80
	v_cmp_eq_u16_sdwa s[12:13], v6, s4 src0_sel:BYTE_3 src1_sel:DWORD
	s_mov_b64 s[4:5], -1
                                        ; implicit-def: $sgpr10
	s_and_saveexec_b64 s[8:9], s[12:13]
; %bb.2074:
	s_mov_b32 s10, 0x7f800001
	s_xor_b64 s[4:5], exec, -1
; %bb.2075:
	s_or_b64 exec, exec, s[8:9]
	s_and_b64 s[4:5], s[4:5], exec
	s_or_saveexec_b64 s[6:7], s[6:7]
	v_mov_b32_e32 v12, s10
	s_xor_b64 exec, exec, s[6:7]
	s_cbranch_execz .LBB6_26
.LBB6_2076:
	v_mov_b32_e32 v12, 0
	v_cmp_ne_u16_sdwa s[8:9], v6, v12 src0_sel:BYTE_3 src1_sel:DWORD
	s_andn2_b64 s[4:5], s[4:5], exec
	s_and_b64 s[8:9], s[8:9], exec
	s_or_b64 s[4:5], s[4:5], s[8:9]
	s_or_b64 exec, exec, s[6:7]
	s_and_saveexec_b64 s[6:7], s[4:5]
	s_cbranch_execnz .LBB6_27
	s_branch .LBB6_28
.LBB6_2077:
	s_movk_i32 s4, 0x80
	v_cmp_eq_u16_sdwa s[12:13], v2, s4 src0_sel:BYTE_3 src1_sel:DWORD
	s_mov_b64 s[4:5], -1
                                        ; implicit-def: $sgpr10
	s_and_saveexec_b64 s[8:9], s[12:13]
; %bb.2078:
	s_mov_b32 s10, 0x7f800001
	s_xor_b64 s[4:5], exec, -1
; %bb.2079:
	s_or_b64 exec, exec, s[8:9]
	s_and_b64 s[4:5], s[4:5], exec
	s_or_saveexec_b64 s[6:7], s[6:7]
	v_mov_b32_e32 v6, s10
	s_xor_b64 exec, exec, s[6:7]
	s_cbranch_execz .LBB6_30
.LBB6_2080:
	v_mov_b32_e32 v6, 0
	v_cmp_ne_u16_sdwa s[8:9], v2, v6 src0_sel:BYTE_3 src1_sel:DWORD
	s_andn2_b64 s[4:5], s[4:5], exec
	s_and_b64 s[8:9], s[8:9], exec
	s_or_b64 s[4:5], s[4:5], s[8:9]
	s_or_b64 exec, exec, s[6:7]
	s_and_saveexec_b64 s[6:7], s[4:5]
	s_cbranch_execnz .LBB6_31
	s_branch .LBB6_32
.LBB6_2081:
	s_movk_i32 s4, 0x80
	v_cmp_eq_u16_sdwa s[12:13], v7, s4 src0_sel:BYTE_0 src1_sel:DWORD
	s_mov_b64 s[4:5], -1
                                        ; implicit-def: $sgpr10
	s_and_saveexec_b64 s[8:9], s[12:13]
; %bb.2082:
	s_mov_b32 s10, 0x7f800001
	s_xor_b64 s[4:5], exec, -1
; %bb.2083:
	s_or_b64 exec, exec, s[8:9]
	s_and_b64 s[4:5], s[4:5], exec
	s_or_saveexec_b64 s[6:7], s[6:7]
	v_mov_b32_e32 v2, s10
	s_xor_b64 exec, exec, s[6:7]
	s_cbranch_execz .LBB6_34
.LBB6_2084:
	v_mov_b32_e32 v2, 0
	v_cmp_ne_u16_sdwa s[8:9], v7, v2 src0_sel:BYTE_0 src1_sel:DWORD
	s_andn2_b64 s[4:5], s[4:5], exec
	s_and_b64 s[8:9], s[8:9], exec
	s_or_b64 s[4:5], s[4:5], s[8:9]
	s_or_b64 exec, exec, s[6:7]
	s_and_saveexec_b64 s[6:7], s[4:5]
	s_cbranch_execnz .LBB6_35
	s_branch .LBB6_36
.LBB6_2085:
	s_movk_i32 s4, 0x80
	v_cmp_eq_u16_sdwa s[12:13], v3, s4 src0_sel:BYTE_0 src1_sel:DWORD
	s_mov_b64 s[4:5], -1
                                        ; implicit-def: $sgpr10
	s_and_saveexec_b64 s[8:9], s[12:13]
; %bb.2086:
	s_mov_b32 s10, 0x7f800001
	s_xor_b64 s[4:5], exec, -1
; %bb.2087:
	s_or_b64 exec, exec, s[8:9]
	s_and_b64 s[4:5], s[4:5], exec
	s_or_saveexec_b64 s[6:7], s[6:7]
	v_mov_b32_e32 v6, s10
	s_xor_b64 exec, exec, s[6:7]
	s_cbranch_execz .LBB6_38
.LBB6_2088:
	v_mov_b32_e32 v6, 0
	v_cmp_ne_u16_sdwa s[8:9], v3, v6 src0_sel:BYTE_0 src1_sel:DWORD
	s_andn2_b64 s[4:5], s[4:5], exec
	s_and_b64 s[8:9], s[8:9], exec
	s_or_b64 s[4:5], s[4:5], s[8:9]
	s_or_b64 exec, exec, s[6:7]
	s_and_saveexec_b64 s[6:7], s[4:5]
	s_cbranch_execnz .LBB6_39
	s_branch .LBB6_40
.LBB6_2089:
	s_movk_i32 s4, 0x80
	v_cmp_eq_u16_sdwa s[12:13], v6, s4 src0_sel:BYTE_0 src1_sel:DWORD
	s_mov_b64 s[4:5], -1
                                        ; implicit-def: $sgpr10
	s_and_saveexec_b64 s[8:9], s[12:13]
; %bb.2090:
	s_mov_b32 s10, 0x7f800001
	s_xor_b64 s[4:5], exec, -1
; %bb.2091:
	s_or_b64 exec, exec, s[8:9]
	s_and_b64 s[4:5], s[4:5], exec
	s_or_saveexec_b64 s[6:7], s[6:7]
	v_mov_b32_e32 v2, s10
	s_xor_b64 exec, exec, s[6:7]
	s_cbranch_execz .LBB6_42
.LBB6_2092:
	v_mov_b32_e32 v2, 0
	v_cmp_ne_u16_sdwa s[8:9], v6, v2 src0_sel:BYTE_0 src1_sel:DWORD
	s_andn2_b64 s[4:5], s[4:5], exec
	s_and_b64 s[8:9], s[8:9], exec
	s_or_b64 s[4:5], s[4:5], s[8:9]
	s_or_b64 exec, exec, s[6:7]
	s_and_saveexec_b64 s[6:7], s[4:5]
	s_cbranch_execnz .LBB6_43
	s_branch .LBB6_44
.LBB6_2093:
	s_movk_i32 s4, 0x80
	v_cmp_eq_u16_sdwa s[12:13], v6, s4 src0_sel:BYTE_0 src1_sel:DWORD
	s_mov_b64 s[4:5], -1
                                        ; implicit-def: $sgpr10
	s_and_saveexec_b64 s[8:9], s[12:13]
; %bb.2094:
	s_mov_b32 s10, 0x7f800001
	s_xor_b64 s[4:5], exec, -1
; %bb.2095:
	s_or_b64 exec, exec, s[8:9]
	s_and_b64 s[4:5], s[4:5], exec
	s_or_saveexec_b64 s[6:7], s[6:7]
	v_mov_b32_e32 v12, s10
	s_xor_b64 exec, exec, s[6:7]
	s_cbranch_execz .LBB6_46
.LBB6_2096:
	v_mov_b32_e32 v12, 0
	v_cmp_ne_u16_sdwa s[8:9], v6, v12 src0_sel:BYTE_0 src1_sel:DWORD
	s_andn2_b64 s[4:5], s[4:5], exec
	s_and_b64 s[8:9], s[8:9], exec
	s_or_b64 s[4:5], s[4:5], s[8:9]
	s_or_b64 exec, exec, s[6:7]
	s_and_saveexec_b64 s[6:7], s[4:5]
	s_cbranch_execnz .LBB6_47
	s_branch .LBB6_48
.LBB6_2097:
	s_movk_i32 s4, 0x80
	v_cmp_eq_u16_e32 vcc, s4, v6
	s_mov_b64 s[4:5], -1
                                        ; implicit-def: $sgpr10
	s_and_saveexec_b64 s[8:9], vcc
; %bb.2098:
	s_mov_b32 s10, 0x7f800001
	s_xor_b64 s[4:5], exec, -1
; %bb.2099:
	s_or_b64 exec, exec, s[8:9]
	s_and_b64 s[4:5], s[4:5], exec
                                        ; implicit-def: $vgpr6
	s_or_saveexec_b64 s[6:7], s[6:7]
	v_mov_b32_e32 v2, s10
	s_xor_b64 exec, exec, s[6:7]
	s_cbranch_execz .LBB6_50
.LBB6_2100:
	v_cmp_ne_u16_e32 vcc, 0, v6
	s_andn2_b64 s[4:5], s[4:5], exec
	s_and_b64 s[8:9], vcc, exec
	v_mov_b32_e32 v2, 0
	s_or_b64 s[4:5], s[4:5], s[8:9]
	s_or_b64 exec, exec, s[6:7]
	s_and_saveexec_b64 s[6:7], s[4:5]
	s_cbranch_execnz .LBB6_51
	s_branch .LBB6_52
.LBB6_2101:
	s_movk_i32 s4, 0x80
	v_cmp_eq_u16_e32 vcc, s4, v6
	s_mov_b64 s[4:5], -1
                                        ; implicit-def: $sgpr10
	s_and_saveexec_b64 s[8:9], vcc
; %bb.2102:
	s_mov_b32 s10, 0x7f800001
	s_xor_b64 s[4:5], exec, -1
; %bb.2103:
	s_or_b64 exec, exec, s[8:9]
	s_and_b64 s[4:5], s[4:5], exec
                                        ; implicit-def: $vgpr6
	s_or_saveexec_b64 s[6:7], s[6:7]
	v_mov_b32_e32 v12, s10
	s_xor_b64 exec, exec, s[6:7]
	s_cbranch_execz .LBB6_54
.LBB6_2104:
	v_cmp_ne_u16_e32 vcc, 0, v6
	s_andn2_b64 s[4:5], s[4:5], exec
	s_and_b64 s[8:9], vcc, exec
	v_mov_b32_e32 v12, 0
	s_or_b64 s[4:5], s[4:5], s[8:9]
	s_or_b64 exec, exec, s[6:7]
	s_and_saveexec_b64 s[6:7], s[4:5]
	s_cbranch_execnz .LBB6_55
	s_branch .LBB6_56
.LBB6_2105:
	s_movk_i32 s4, 0x80
	v_cmp_eq_u16_sdwa s[12:13], v7, s4 src0_sel:BYTE_3 src1_sel:DWORD
	s_mov_b64 s[4:5], -1
                                        ; implicit-def: $sgpr10
	s_and_saveexec_b64 s[8:9], s[12:13]
; %bb.2106:
	s_mov_b32 s10, 0x7f800001
	s_xor_b64 s[4:5], exec, -1
; %bb.2107:
	s_or_b64 exec, exec, s[8:9]
	s_and_b64 s[4:5], s[4:5], exec
	s_or_saveexec_b64 s[6:7], s[6:7]
	v_mov_b32_e32 v2, s10
	s_xor_b64 exec, exec, s[6:7]
	s_cbranch_execz .LBB6_58
.LBB6_2108:
	v_mov_b32_e32 v2, 0
	v_cmp_ne_u16_sdwa s[8:9], v7, v2 src0_sel:BYTE_3 src1_sel:DWORD
	s_andn2_b64 s[4:5], s[4:5], exec
	s_and_b64 s[8:9], s[8:9], exec
	s_or_b64 s[4:5], s[4:5], s[8:9]
	s_or_b64 exec, exec, s[6:7]
	s_and_saveexec_b64 s[6:7], s[4:5]
	s_cbranch_execnz .LBB6_59
	s_branch .LBB6_60
.LBB6_2109:
	s_movk_i32 s4, 0x80
	v_cmp_eq_u16_sdwa s[12:13], v3, s4 src0_sel:BYTE_3 src1_sel:DWORD
	s_mov_b64 s[4:5], -1
                                        ; implicit-def: $sgpr10
	s_and_saveexec_b64 s[8:9], s[12:13]
; %bb.2110:
	s_mov_b32 s10, 0x7f800001
	s_xor_b64 s[4:5], exec, -1
; %bb.2111:
	s_or_b64 exec, exec, s[8:9]
	s_and_b64 s[4:5], s[4:5], exec
	s_or_saveexec_b64 s[6:7], s[6:7]
	v_mov_b32_e32 v6, s10
	s_xor_b64 exec, exec, s[6:7]
	s_cbranch_execz .LBB6_62
.LBB6_2112:
	v_mov_b32_e32 v6, 0
	v_cmp_ne_u16_sdwa s[8:9], v3, v6 src0_sel:BYTE_3 src1_sel:DWORD
	s_andn2_b64 s[4:5], s[4:5], exec
	s_and_b64 s[8:9], s[8:9], exec
	s_or_b64 s[4:5], s[4:5], s[8:9]
	s_or_b64 exec, exec, s[6:7]
	s_and_saveexec_b64 s[6:7], s[4:5]
	s_cbranch_execnz .LBB6_63
	s_branch .LBB6_64
.LBB6_2113:
	s_movk_i32 s4, 0x80
	v_cmp_eq_u16_sdwa s[12:13], v8, s4 src0_sel:BYTE_0 src1_sel:DWORD
	s_mov_b64 s[4:5], -1
                                        ; implicit-def: $sgpr10
	s_and_saveexec_b64 s[8:9], s[12:13]
; %bb.2114:
	s_mov_b32 s10, 0x7f800001
	s_xor_b64 s[4:5], exec, -1
; %bb.2115:
	s_or_b64 exec, exec, s[8:9]
	s_and_b64 s[4:5], s[4:5], exec
	s_or_saveexec_b64 s[6:7], s[6:7]
	v_mov_b32_e32 v2, s10
	s_xor_b64 exec, exec, s[6:7]
	s_cbranch_execz .LBB6_66
.LBB6_2116:
	v_mov_b32_e32 v2, 0
	v_cmp_ne_u16_sdwa s[8:9], v8, v2 src0_sel:BYTE_0 src1_sel:DWORD
	s_andn2_b64 s[4:5], s[4:5], exec
	s_and_b64 s[8:9], s[8:9], exec
	s_or_b64 s[4:5], s[4:5], s[8:9]
	s_or_b64 exec, exec, s[6:7]
	s_and_saveexec_b64 s[6:7], s[4:5]
	s_cbranch_execnz .LBB6_67
	s_branch .LBB6_68
.LBB6_2117:
	s_movk_i32 s4, 0x80
	v_cmp_eq_u16_sdwa s[12:13], v4, s4 src0_sel:BYTE_0 src1_sel:DWORD
	s_mov_b64 s[4:5], -1
                                        ; implicit-def: $sgpr10
	s_and_saveexec_b64 s[8:9], s[12:13]
; %bb.2118:
	s_mov_b32 s10, 0x7f800001
	s_xor_b64 s[4:5], exec, -1
; %bb.2119:
	s_or_b64 exec, exec, s[8:9]
	s_and_b64 s[4:5], s[4:5], exec
	s_or_saveexec_b64 s[6:7], s[6:7]
	v_mov_b32_e32 v3, s10
	s_xor_b64 exec, exec, s[6:7]
	s_cbranch_execz .LBB6_70
.LBB6_2120:
	v_mov_b32_e32 v3, 0
	v_cmp_ne_u16_sdwa s[8:9], v4, v3 src0_sel:BYTE_0 src1_sel:DWORD
	s_andn2_b64 s[4:5], s[4:5], exec
	s_and_b64 s[8:9], s[8:9], exec
	s_or_b64 s[4:5], s[4:5], s[8:9]
	s_or_b64 exec, exec, s[6:7]
	s_and_saveexec_b64 s[6:7], s[4:5]
	s_cbranch_execnz .LBB6_71
	s_branch .LBB6_72
.LBB6_2121:
	s_movk_i32 s4, 0x80
	v_cmp_eq_u16_sdwa s[12:13], v3, s4 src0_sel:BYTE_0 src1_sel:DWORD
	s_mov_b64 s[4:5], -1
                                        ; implicit-def: $sgpr10
	s_and_saveexec_b64 s[8:9], s[12:13]
; %bb.2122:
	s_mov_b32 s10, 0x7f800001
	s_xor_b64 s[4:5], exec, -1
; %bb.2123:
	s_or_b64 exec, exec, s[8:9]
	s_and_b64 s[4:5], s[4:5], exec
	s_or_saveexec_b64 s[6:7], s[6:7]
	v_mov_b32_e32 v2, s10
	s_xor_b64 exec, exec, s[6:7]
	s_cbranch_execz .LBB6_74
.LBB6_2124:
	v_mov_b32_e32 v2, 0
	v_cmp_ne_u16_sdwa s[8:9], v3, v2 src0_sel:BYTE_0 src1_sel:DWORD
	s_andn2_b64 s[4:5], s[4:5], exec
	s_and_b64 s[8:9], s[8:9], exec
	s_or_b64 s[4:5], s[4:5], s[8:9]
	s_or_b64 exec, exec, s[6:7]
	s_and_saveexec_b64 s[6:7], s[4:5]
	s_cbranch_execnz .LBB6_75
	s_branch .LBB6_76
.LBB6_2125:
	s_movk_i32 s4, 0x80
	v_cmp_eq_u16_sdwa s[12:13], v3, s4 src0_sel:BYTE_0 src1_sel:DWORD
	s_mov_b64 s[4:5], -1
                                        ; implicit-def: $sgpr10
	s_and_saveexec_b64 s[8:9], s[12:13]
; %bb.2126:
	s_mov_b32 s10, 0x7f800001
	s_xor_b64 s[4:5], exec, -1
; %bb.2127:
	s_or_b64 exec, exec, s[8:9]
	s_and_b64 s[4:5], s[4:5], exec
	s_or_saveexec_b64 s[6:7], s[6:7]
	v_mov_b32_e32 v6, s10
	s_xor_b64 exec, exec, s[6:7]
	s_cbranch_execz .LBB6_78
.LBB6_2128:
	v_mov_b32_e32 v6, 0
	v_cmp_ne_u16_sdwa s[8:9], v3, v6 src0_sel:BYTE_0 src1_sel:DWORD
	s_andn2_b64 s[4:5], s[4:5], exec
	s_and_b64 s[8:9], s[8:9], exec
	s_or_b64 s[4:5], s[4:5], s[8:9]
	s_or_b64 exec, exec, s[6:7]
	s_and_saveexec_b64 s[6:7], s[4:5]
	s_cbranch_execnz .LBB6_79
	s_branch .LBB6_80
.LBB6_2129:
	s_movk_i32 s4, 0x80
	v_cmp_eq_u16_e32 vcc, s4, v3
	s_mov_b64 s[4:5], -1
                                        ; implicit-def: $sgpr10
	s_and_saveexec_b64 s[8:9], vcc
; %bb.2130:
	s_mov_b32 s10, 0x7f800001
	s_xor_b64 s[4:5], exec, -1
; %bb.2131:
	s_or_b64 exec, exec, s[8:9]
	s_and_b64 s[4:5], s[4:5], exec
                                        ; implicit-def: $vgpr3
	s_or_saveexec_b64 s[6:7], s[6:7]
	v_mov_b32_e32 v2, s10
	s_xor_b64 exec, exec, s[6:7]
	s_cbranch_execz .LBB6_82
.LBB6_2132:
	v_cmp_ne_u16_e32 vcc, 0, v3
	s_andn2_b64 s[4:5], s[4:5], exec
	s_and_b64 s[8:9], vcc, exec
	v_mov_b32_e32 v2, 0
	s_or_b64 s[4:5], s[4:5], s[8:9]
	s_or_b64 exec, exec, s[6:7]
	s_and_saveexec_b64 s[6:7], s[4:5]
	s_cbranch_execnz .LBB6_83
	s_branch .LBB6_84
.LBB6_2133:
	s_movk_i32 s4, 0x80
	v_cmp_eq_u16_e32 vcc, s4, v3
	s_mov_b64 s[4:5], -1
                                        ; implicit-def: $sgpr10
	s_and_saveexec_b64 s[8:9], vcc
; %bb.2134:
	s_mov_b32 s10, 0x7f800001
	s_xor_b64 s[4:5], exec, -1
; %bb.2135:
	s_or_b64 exec, exec, s[8:9]
	s_and_b64 s[4:5], s[4:5], exec
                                        ; implicit-def: $vgpr3
	s_or_saveexec_b64 s[6:7], s[6:7]
	v_mov_b32_e32 v6, s10
	s_xor_b64 exec, exec, s[6:7]
	s_cbranch_execz .LBB6_86
.LBB6_2136:
	v_cmp_ne_u16_e32 vcc, 0, v3
	s_andn2_b64 s[4:5], s[4:5], exec
	s_and_b64 s[8:9], vcc, exec
	v_mov_b32_e32 v6, 0
	s_or_b64 s[4:5], s[4:5], s[8:9]
	s_or_b64 exec, exec, s[6:7]
	s_and_saveexec_b64 s[6:7], s[4:5]
	s_cbranch_execnz .LBB6_87
	s_branch .LBB6_88
.LBB6_2137:
	s_movk_i32 s4, 0x80
	v_cmp_eq_u16_sdwa s[12:13], v8, s4 src0_sel:BYTE_3 src1_sel:DWORD
	s_mov_b64 s[4:5], -1
                                        ; implicit-def: $sgpr10
	s_and_saveexec_b64 s[8:9], s[12:13]
; %bb.2138:
	s_mov_b32 s10, 0x7f800001
	s_xor_b64 s[4:5], exec, -1
; %bb.2139:
	s_or_b64 exec, exec, s[8:9]
	s_and_b64 s[4:5], s[4:5], exec
	s_or_saveexec_b64 s[6:7], s[6:7]
	v_mov_b32_e32 v2, s10
	s_xor_b64 exec, exec, s[6:7]
	s_cbranch_execz .LBB6_90
.LBB6_2140:
	v_mov_b32_e32 v2, 0
	v_cmp_ne_u16_sdwa s[8:9], v8, v2 src0_sel:BYTE_3 src1_sel:DWORD
	s_andn2_b64 s[4:5], s[4:5], exec
	s_and_b64 s[8:9], s[8:9], exec
	s_or_b64 s[4:5], s[4:5], s[8:9]
	s_or_b64 exec, exec, s[6:7]
	s_and_saveexec_b64 s[6:7], s[4:5]
	s_cbranch_execnz .LBB6_91
	s_branch .LBB6_92
.LBB6_2141:
	s_movk_i32 s4, 0x80
	v_cmp_eq_u16_sdwa s[12:13], v4, s4 src0_sel:BYTE_3 src1_sel:DWORD
	s_mov_b64 s[4:5], -1
                                        ; implicit-def: $sgpr10
	s_and_saveexec_b64 s[8:9], s[12:13]
; %bb.2142:
	s_mov_b32 s10, 0x7f800001
	s_xor_b64 s[4:5], exec, -1
; %bb.2143:
	s_or_b64 exec, exec, s[8:9]
	s_and_b64 s[4:5], s[4:5], exec
	s_or_saveexec_b64 s[6:7], s[6:7]
	v_mov_b32_e32 v3, s10
	s_xor_b64 exec, exec, s[6:7]
	s_cbranch_execz .LBB6_94
.LBB6_2144:
	v_mov_b32_e32 v3, 0
	v_cmp_ne_u16_sdwa s[8:9], v4, v3 src0_sel:BYTE_3 src1_sel:DWORD
	s_andn2_b64 s[4:5], s[4:5], exec
	s_and_b64 s[8:9], s[8:9], exec
	s_or_b64 s[4:5], s[4:5], s[8:9]
	s_or_b64 exec, exec, s[6:7]
	s_and_saveexec_b64 s[6:7], s[4:5]
	s_cbranch_execnz .LBB6_95
	s_branch .LBB6_96
.LBB6_2145:
	s_movk_i32 s4, 0x80
	v_cmp_eq_u16_sdwa s[12:13], v9, s4 src0_sel:BYTE_0 src1_sel:DWORD
	s_mov_b64 s[4:5], -1
                                        ; implicit-def: $sgpr10
	s_and_saveexec_b64 s[8:9], s[12:13]
; %bb.2146:
	s_mov_b32 s10, 0x7f800001
	s_xor_b64 s[4:5], exec, -1
; %bb.2147:
	s_or_b64 exec, exec, s[8:9]
	s_and_b64 s[4:5], s[4:5], exec
	s_or_saveexec_b64 s[6:7], s[6:7]
	v_mov_b32_e32 v2, s10
	s_xor_b64 exec, exec, s[6:7]
	s_cbranch_execz .LBB6_98
.LBB6_2148:
	v_mov_b32_e32 v2, 0
	v_cmp_ne_u16_sdwa s[8:9], v9, v2 src0_sel:BYTE_0 src1_sel:DWORD
	s_andn2_b64 s[4:5], s[4:5], exec
	s_and_b64 s[8:9], s[8:9], exec
	s_or_b64 s[4:5], s[4:5], s[8:9]
	s_or_b64 exec, exec, s[6:7]
	s_and_saveexec_b64 s[6:7], s[4:5]
	s_cbranch_execnz .LBB6_99
	s_branch .LBB6_100
.LBB6_2149:
	s_movk_i32 s4, 0x80
	v_cmp_eq_u16_sdwa s[12:13], v5, s4 src0_sel:BYTE_0 src1_sel:DWORD
	s_mov_b64 s[4:5], -1
                                        ; implicit-def: $sgpr10
	s_and_saveexec_b64 s[8:9], s[12:13]
; %bb.2150:
	s_mov_b32 s10, 0x7f800001
	s_xor_b64 s[4:5], exec, -1
; %bb.2151:
	s_or_b64 exec, exec, s[8:9]
	s_and_b64 s[4:5], s[4:5], exec
	s_or_saveexec_b64 s[6:7], s[6:7]
	v_mov_b32_e32 v3, s10
	s_xor_b64 exec, exec, s[6:7]
	s_cbranch_execz .LBB6_102
.LBB6_2152:
	v_mov_b32_e32 v3, 0
	v_cmp_ne_u16_sdwa s[8:9], v5, v3 src0_sel:BYTE_0 src1_sel:DWORD
	s_andn2_b64 s[4:5], s[4:5], exec
	s_and_b64 s[8:9], s[8:9], exec
	s_or_b64 s[4:5], s[4:5], s[8:9]
	s_or_b64 exec, exec, s[6:7]
	s_and_saveexec_b64 s[6:7], s[4:5]
	s_cbranch_execnz .LBB6_103
	s_branch .LBB6_104
.LBB6_2153:
	s_movk_i32 s4, 0x80
	v_cmp_eq_u16_sdwa s[12:13], v3, s4 src0_sel:BYTE_0 src1_sel:DWORD
	s_mov_b64 s[4:5], -1
                                        ; implicit-def: $sgpr10
	s_and_saveexec_b64 s[8:9], s[12:13]
; %bb.2154:
	s_mov_b32 s10, 0x7f800001
	s_xor_b64 s[4:5], exec, -1
; %bb.2155:
	s_or_b64 exec, exec, s[8:9]
	s_and_b64 s[4:5], s[4:5], exec
	s_or_saveexec_b64 s[6:7], s[6:7]
	v_mov_b32_e32 v2, s10
	s_xor_b64 exec, exec, s[6:7]
	s_cbranch_execz .LBB6_106
.LBB6_2156:
	v_mov_b32_e32 v2, 0
	v_cmp_ne_u16_sdwa s[8:9], v3, v2 src0_sel:BYTE_0 src1_sel:DWORD
	s_andn2_b64 s[4:5], s[4:5], exec
	s_and_b64 s[8:9], s[8:9], exec
	s_or_b64 s[4:5], s[4:5], s[8:9]
	s_or_b64 exec, exec, s[6:7]
	s_and_saveexec_b64 s[6:7], s[4:5]
	s_cbranch_execnz .LBB6_107
	s_branch .LBB6_108
.LBB6_2157:
	s_movk_i32 s4, 0x80
	v_cmp_eq_u16_sdwa s[12:13], v3, s4 src0_sel:BYTE_0 src1_sel:DWORD
	s_mov_b64 s[4:5], -1
                                        ; implicit-def: $sgpr10
	s_and_saveexec_b64 s[8:9], s[12:13]
; %bb.2158:
	s_mov_b32 s10, 0x7f800001
	s_xor_b64 s[4:5], exec, -1
; %bb.2159:
	s_or_b64 exec, exec, s[8:9]
	s_and_b64 s[4:5], s[4:5], exec
	s_or_saveexec_b64 s[6:7], s[6:7]
	v_mov_b32_e32 v4, s10
	s_xor_b64 exec, exec, s[6:7]
	s_cbranch_execz .LBB6_110
.LBB6_2160:
	v_mov_b32_e32 v4, 0
	v_cmp_ne_u16_sdwa s[8:9], v3, v4 src0_sel:BYTE_0 src1_sel:DWORD
	s_andn2_b64 s[4:5], s[4:5], exec
	s_and_b64 s[8:9], s[8:9], exec
	s_or_b64 s[4:5], s[4:5], s[8:9]
	s_or_b64 exec, exec, s[6:7]
	s_and_saveexec_b64 s[6:7], s[4:5]
	s_cbranch_execnz .LBB6_111
	s_branch .LBB6_112
.LBB6_2161:
	s_movk_i32 s4, 0x80
	v_cmp_eq_u16_e32 vcc, s4, v3
	s_mov_b64 s[4:5], -1
                                        ; implicit-def: $sgpr10
	s_and_saveexec_b64 s[8:9], vcc
; %bb.2162:
	s_mov_b32 s10, 0x7f800001
	s_xor_b64 s[4:5], exec, -1
; %bb.2163:
	s_or_b64 exec, exec, s[8:9]
	s_and_b64 s[4:5], s[4:5], exec
                                        ; implicit-def: $vgpr3
	s_or_saveexec_b64 s[6:7], s[6:7]
	v_mov_b32_e32 v2, s10
	s_xor_b64 exec, exec, s[6:7]
	s_cbranch_execz .LBB6_114
.LBB6_2164:
	v_cmp_ne_u16_e32 vcc, 0, v3
	s_andn2_b64 s[4:5], s[4:5], exec
	s_and_b64 s[8:9], vcc, exec
	v_mov_b32_e32 v2, 0
	s_or_b64 s[4:5], s[4:5], s[8:9]
	s_or_b64 exec, exec, s[6:7]
	s_and_saveexec_b64 s[6:7], s[4:5]
	s_cbranch_execnz .LBB6_115
	s_branch .LBB6_116
.LBB6_2165:
	s_movk_i32 s4, 0x80
	v_cmp_eq_u16_e32 vcc, s4, v3
	s_mov_b64 s[4:5], -1
                                        ; implicit-def: $sgpr10
	s_and_saveexec_b64 s[8:9], vcc
; %bb.2166:
	s_mov_b32 s10, 0x7f800001
	s_xor_b64 s[4:5], exec, -1
; %bb.2167:
	s_or_b64 exec, exec, s[8:9]
	s_and_b64 s[4:5], s[4:5], exec
                                        ; implicit-def: $vgpr3
	s_or_saveexec_b64 s[6:7], s[6:7]
	v_mov_b32_e32 v4, s10
	s_xor_b64 exec, exec, s[6:7]
	s_cbranch_execz .LBB6_118
.LBB6_2168:
	v_cmp_ne_u16_e32 vcc, 0, v3
	s_andn2_b64 s[4:5], s[4:5], exec
	s_and_b64 s[8:9], vcc, exec
	v_mov_b32_e32 v4, 0
	s_or_b64 s[4:5], s[4:5], s[8:9]
	s_or_b64 exec, exec, s[6:7]
	s_and_saveexec_b64 s[6:7], s[4:5]
	s_cbranch_execnz .LBB6_119
	s_branch .LBB6_120
.LBB6_2169:
	s_movk_i32 s4, 0x80
	v_cmp_eq_u16_sdwa s[12:13], v9, s4 src0_sel:BYTE_3 src1_sel:DWORD
	s_mov_b64 s[4:5], -1
                                        ; implicit-def: $sgpr10
	s_and_saveexec_b64 s[8:9], s[12:13]
; %bb.2170:
	s_mov_b32 s10, 0x7f800001
	s_xor_b64 s[4:5], exec, -1
; %bb.2171:
	s_or_b64 exec, exec, s[8:9]
	s_and_b64 s[4:5], s[4:5], exec
	s_or_saveexec_b64 s[6:7], s[6:7]
	v_mov_b32_e32 v2, s10
	s_xor_b64 exec, exec, s[6:7]
	s_cbranch_execz .LBB6_122
.LBB6_2172:
	v_mov_b32_e32 v2, 0
	v_cmp_ne_u16_sdwa s[8:9], v9, v2 src0_sel:BYTE_3 src1_sel:DWORD
	s_andn2_b64 s[4:5], s[4:5], exec
	s_and_b64 s[8:9], s[8:9], exec
	s_or_b64 s[4:5], s[4:5], s[8:9]
	s_or_b64 exec, exec, s[6:7]
	s_and_saveexec_b64 s[6:7], s[4:5]
	s_cbranch_execnz .LBB6_123
	s_branch .LBB6_124
.LBB6_2173:
	s_movk_i32 s4, 0x80
	v_cmp_eq_u16_sdwa s[12:13], v5, s4 src0_sel:BYTE_3 src1_sel:DWORD
	s_mov_b64 s[4:5], -1
                                        ; implicit-def: $sgpr10
	s_and_saveexec_b64 s[8:9], s[12:13]
; %bb.2174:
	s_mov_b32 s10, 0x7f800001
	s_xor_b64 s[4:5], exec, -1
; %bb.2175:
	s_or_b64 exec, exec, s[8:9]
	s_and_b64 s[4:5], s[4:5], exec
	s_or_saveexec_b64 s[6:7], s[6:7]
	v_mov_b32_e32 v3, s10
	s_xor_b64 exec, exec, s[6:7]
	s_cbranch_execz .LBB6_126
.LBB6_2176:
	v_mov_b32_e32 v3, 0
	v_cmp_ne_u16_sdwa s[8:9], v5, v3 src0_sel:BYTE_3 src1_sel:DWORD
	s_andn2_b64 s[4:5], s[4:5], exec
	s_and_b64 s[8:9], s[8:9], exec
	s_or_b64 s[4:5], s[4:5], s[8:9]
	s_or_b64 exec, exec, s[6:7]
	s_and_saveexec_b64 s[6:7], s[4:5]
	s_cbranch_execnz .LBB6_127
	s_branch .LBB6_128
.LBB6_2177:
	s_movk_i32 s4, 0x80
	v_cmp_eq_u16_sdwa s[12:13], v6, s4 src0_sel:BYTE_0 src1_sel:DWORD
	s_mov_b64 s[4:5], -1
                                        ; implicit-def: $sgpr10
	s_and_saveexec_b64 s[8:9], s[12:13]
; %bb.2178:
	s_mov_b32 s10, 0x7f800001
	s_xor_b64 s[4:5], exec, -1
; %bb.2179:
	s_or_b64 exec, exec, s[8:9]
	s_and_b64 s[4:5], s[4:5], exec
	s_or_saveexec_b64 s[6:7], s[6:7]
	v_mov_b32_e32 v12, s10
	s_xor_b64 exec, exec, s[6:7]
	s_cbranch_execz .LBB6_130
.LBB6_2180:
	v_mov_b32_e32 v12, 0
	v_cmp_ne_u16_sdwa s[8:9], v6, v12 src0_sel:BYTE_0 src1_sel:DWORD
	s_andn2_b64 s[4:5], s[4:5], exec
	s_and_b64 s[8:9], s[8:9], exec
	s_or_b64 s[4:5], s[4:5], s[8:9]
	s_or_b64 exec, exec, s[6:7]
	s_and_saveexec_b64 s[6:7], s[4:5]
	s_cbranch_execnz .LBB6_131
	s_branch .LBB6_132
.LBB6_2181:
	s_movk_i32 s4, 0x80
	v_cmp_eq_u16_sdwa s[12:13], v2, s4 src0_sel:BYTE_0 src1_sel:DWORD
	s_mov_b64 s[4:5], -1
                                        ; implicit-def: $sgpr10
	s_and_saveexec_b64 s[8:9], s[12:13]
; %bb.2182:
	s_mov_b32 s10, 0x7f800001
	s_xor_b64 s[4:5], exec, -1
; %bb.2183:
	s_or_b64 exec, exec, s[8:9]
	s_and_b64 s[4:5], s[4:5], exec
	s_or_saveexec_b64 s[6:7], s[6:7]
	v_mov_b32_e32 v13, s10
	s_xor_b64 exec, exec, s[6:7]
	s_cbranch_execz .LBB6_134
.LBB6_2184:
	v_mov_b32_e32 v13, 0
	v_cmp_ne_u16_sdwa s[8:9], v2, v13 src0_sel:BYTE_0 src1_sel:DWORD
	s_andn2_b64 s[4:5], s[4:5], exec
	s_and_b64 s[8:9], s[8:9], exec
	s_or_b64 s[4:5], s[4:5], s[8:9]
	s_or_b64 exec, exec, s[6:7]
	s_and_saveexec_b64 s[6:7], s[4:5]
	s_cbranch_execnz .LBB6_135
	s_branch .LBB6_136
.LBB6_2185:
	s_movk_i32 s4, 0x80
	v_cmp_eq_u16_sdwa s[12:13], v13, s4 src0_sel:BYTE_0 src1_sel:DWORD
	s_mov_b64 s[4:5], -1
                                        ; implicit-def: $sgpr10
	s_and_saveexec_b64 s[8:9], s[12:13]
; %bb.2186:
	s_mov_b32 s10, 0x7f800001
	s_xor_b64 s[4:5], exec, -1
; %bb.2187:
	s_or_b64 exec, exec, s[8:9]
	s_and_b64 s[4:5], s[4:5], exec
	s_or_saveexec_b64 s[6:7], s[6:7]
	v_mov_b32_e32 v12, s10
	s_xor_b64 exec, exec, s[6:7]
	s_cbranch_execz .LBB6_138
.LBB6_2188:
	v_mov_b32_e32 v12, 0
	v_cmp_ne_u16_sdwa s[8:9], v13, v12 src0_sel:BYTE_0 src1_sel:DWORD
	s_andn2_b64 s[4:5], s[4:5], exec
	s_and_b64 s[8:9], s[8:9], exec
	s_or_b64 s[4:5], s[4:5], s[8:9]
	s_or_b64 exec, exec, s[6:7]
	s_and_saveexec_b64 s[6:7], s[4:5]
	s_cbranch_execnz .LBB6_139
	s_branch .LBB6_140
.LBB6_2189:
	s_movk_i32 s4, 0x80
	v_cmp_eq_u16_sdwa s[12:13], v13, s4 src0_sel:BYTE_0 src1_sel:DWORD
	s_mov_b64 s[4:5], -1
                                        ; implicit-def: $sgpr10
	s_and_saveexec_b64 s[8:9], s[12:13]
; %bb.2190:
	s_mov_b32 s10, 0x7f800001
	s_xor_b64 s[4:5], exec, -1
; %bb.2191:
	s_or_b64 exec, exec, s[8:9]
	s_and_b64 s[4:5], s[4:5], exec
	s_or_saveexec_b64 s[6:7], s[6:7]
	v_mov_b32_e32 v14, s10
	s_xor_b64 exec, exec, s[6:7]
	s_cbranch_execz .LBB6_142
.LBB6_2192:
	v_mov_b32_e32 v14, 0
	v_cmp_ne_u16_sdwa s[8:9], v13, v14 src0_sel:BYTE_0 src1_sel:DWORD
	s_andn2_b64 s[4:5], s[4:5], exec
	s_and_b64 s[8:9], s[8:9], exec
	s_or_b64 s[4:5], s[4:5], s[8:9]
	s_or_b64 exec, exec, s[6:7]
	s_and_saveexec_b64 s[6:7], s[4:5]
	s_cbranch_execnz .LBB6_143
	s_branch .LBB6_144
.LBB6_2193:
	s_movk_i32 s4, 0x80
	v_cmp_eq_u16_e32 vcc, s4, v13
	s_mov_b64 s[4:5], -1
                                        ; implicit-def: $sgpr10
	s_and_saveexec_b64 s[8:9], vcc
; %bb.2194:
	s_mov_b32 s10, 0x7f800001
	s_xor_b64 s[4:5], exec, -1
; %bb.2195:
	s_or_b64 exec, exec, s[8:9]
	s_and_b64 s[4:5], s[4:5], exec
                                        ; implicit-def: $vgpr13
	s_or_saveexec_b64 s[6:7], s[6:7]
	v_mov_b32_e32 v12, s10
	s_xor_b64 exec, exec, s[6:7]
	s_cbranch_execz .LBB6_146
.LBB6_2196:
	v_cmp_ne_u16_e32 vcc, 0, v13
	s_andn2_b64 s[4:5], s[4:5], exec
	s_and_b64 s[8:9], vcc, exec
	v_mov_b32_e32 v12, 0
	s_or_b64 s[4:5], s[4:5], s[8:9]
	s_or_b64 exec, exec, s[6:7]
	s_and_saveexec_b64 s[6:7], s[4:5]
	s_cbranch_execnz .LBB6_147
	s_branch .LBB6_148
.LBB6_2197:
	s_movk_i32 s4, 0x80
	v_cmp_eq_u16_e32 vcc, s4, v13
	s_mov_b64 s[4:5], -1
                                        ; implicit-def: $sgpr10
	s_and_saveexec_b64 s[8:9], vcc
; %bb.2198:
	s_mov_b32 s10, 0x7f800001
	s_xor_b64 s[4:5], exec, -1
; %bb.2199:
	s_or_b64 exec, exec, s[8:9]
	s_and_b64 s[4:5], s[4:5], exec
                                        ; implicit-def: $vgpr13
	s_or_saveexec_b64 s[6:7], s[6:7]
	v_mov_b32_e32 v14, s10
	s_xor_b64 exec, exec, s[6:7]
	s_cbranch_execz .LBB6_150
.LBB6_2200:
	v_cmp_ne_u16_e32 vcc, 0, v13
	s_andn2_b64 s[4:5], s[4:5], exec
	s_and_b64 s[8:9], vcc, exec
	v_mov_b32_e32 v14, 0
	s_or_b64 s[4:5], s[4:5], s[8:9]
	s_or_b64 exec, exec, s[6:7]
	s_and_saveexec_b64 s[6:7], s[4:5]
	s_cbranch_execnz .LBB6_151
	s_branch .LBB6_152
.LBB6_2201:
	s_movk_i32 s4, 0x80
	v_cmp_eq_u16_sdwa s[12:13], v6, s4 src0_sel:BYTE_3 src1_sel:DWORD
	s_mov_b64 s[4:5], -1
                                        ; implicit-def: $sgpr10
	s_and_saveexec_b64 s[8:9], s[12:13]
; %bb.2202:
	s_mov_b32 s10, 0x7f800001
	s_xor_b64 s[4:5], exec, -1
; %bb.2203:
	s_or_b64 exec, exec, s[8:9]
	s_and_b64 s[4:5], s[4:5], exec
	s_or_saveexec_b64 s[6:7], s[6:7]
	v_mov_b32_e32 v12, s10
	s_xor_b64 exec, exec, s[6:7]
	s_cbranch_execz .LBB6_154
.LBB6_2204:
	v_mov_b32_e32 v12, 0
	v_cmp_ne_u16_sdwa s[8:9], v6, v12 src0_sel:BYTE_3 src1_sel:DWORD
	s_andn2_b64 s[4:5], s[4:5], exec
	s_and_b64 s[8:9], s[8:9], exec
	s_or_b64 s[4:5], s[4:5], s[8:9]
	s_or_b64 exec, exec, s[6:7]
	s_and_saveexec_b64 s[6:7], s[4:5]
	s_cbranch_execnz .LBB6_155
	s_branch .LBB6_156
.LBB6_2205:
	s_movk_i32 s4, 0x80
	v_cmp_eq_u16_sdwa s[12:13], v2, s4 src0_sel:BYTE_3 src1_sel:DWORD
	s_mov_b64 s[4:5], -1
                                        ; implicit-def: $sgpr10
	s_and_saveexec_b64 s[8:9], s[12:13]
; %bb.2206:
	s_mov_b32 s10, 0x7f800001
	s_xor_b64 s[4:5], exec, -1
; %bb.2207:
	s_or_b64 exec, exec, s[8:9]
	s_and_b64 s[4:5], s[4:5], exec
	s_or_saveexec_b64 s[6:7], s[6:7]
	v_mov_b32_e32 v6, s10
	s_xor_b64 exec, exec, s[6:7]
	s_cbranch_execz .LBB6_158
.LBB6_2208:
	v_mov_b32_e32 v6, 0
	v_cmp_ne_u16_sdwa s[8:9], v2, v6 src0_sel:BYTE_3 src1_sel:DWORD
	s_andn2_b64 s[4:5], s[4:5], exec
	s_and_b64 s[8:9], s[8:9], exec
	s_or_b64 s[4:5], s[4:5], s[8:9]
	s_or_b64 exec, exec, s[6:7]
	s_and_saveexec_b64 s[6:7], s[4:5]
	s_cbranch_execnz .LBB6_159
	s_branch .LBB6_160
.LBB6_2209:
	s_movk_i32 s4, 0x80
	v_cmp_eq_u16_sdwa s[12:13], v7, s4 src0_sel:BYTE_0 src1_sel:DWORD
	s_mov_b64 s[4:5], -1
                                        ; implicit-def: $sgpr10
	s_and_saveexec_b64 s[8:9], s[12:13]
; %bb.2210:
	s_mov_b32 s10, 0x7f800001
	s_xor_b64 s[4:5], exec, -1
; %bb.2211:
	s_or_b64 exec, exec, s[8:9]
	s_and_b64 s[4:5], s[4:5], exec
	s_or_saveexec_b64 s[6:7], s[6:7]
	v_mov_b32_e32 v2, s10
	s_xor_b64 exec, exec, s[6:7]
	s_cbranch_execz .LBB6_162
.LBB6_2212:
	v_mov_b32_e32 v2, 0
	v_cmp_ne_u16_sdwa s[8:9], v7, v2 src0_sel:BYTE_0 src1_sel:DWORD
	s_andn2_b64 s[4:5], s[4:5], exec
	s_and_b64 s[8:9], s[8:9], exec
	s_or_b64 s[4:5], s[4:5], s[8:9]
	s_or_b64 exec, exec, s[6:7]
	s_and_saveexec_b64 s[6:7], s[4:5]
	s_cbranch_execnz .LBB6_163
	s_branch .LBB6_164
.LBB6_2213:
	s_movk_i32 s4, 0x80
	v_cmp_eq_u16_sdwa s[12:13], v3, s4 src0_sel:BYTE_0 src1_sel:DWORD
	s_mov_b64 s[4:5], -1
                                        ; implicit-def: $sgpr10
	s_and_saveexec_b64 s[8:9], s[12:13]
; %bb.2214:
	s_mov_b32 s10, 0x7f800001
	s_xor_b64 s[4:5], exec, -1
; %bb.2215:
	s_or_b64 exec, exec, s[8:9]
	s_and_b64 s[4:5], s[4:5], exec
	s_or_saveexec_b64 s[6:7], s[6:7]
	v_mov_b32_e32 v6, s10
	s_xor_b64 exec, exec, s[6:7]
	s_cbranch_execz .LBB6_166
.LBB6_2216:
	v_mov_b32_e32 v6, 0
	v_cmp_ne_u16_sdwa s[8:9], v3, v6 src0_sel:BYTE_0 src1_sel:DWORD
	s_andn2_b64 s[4:5], s[4:5], exec
	s_and_b64 s[8:9], s[8:9], exec
	s_or_b64 s[4:5], s[4:5], s[8:9]
	s_or_b64 exec, exec, s[6:7]
	s_and_saveexec_b64 s[6:7], s[4:5]
	s_cbranch_execnz .LBB6_167
	s_branch .LBB6_168
.LBB6_2217:
	s_movk_i32 s4, 0x80
	v_cmp_eq_u16_sdwa s[12:13], v6, s4 src0_sel:BYTE_0 src1_sel:DWORD
	s_mov_b64 s[4:5], -1
                                        ; implicit-def: $sgpr10
	s_and_saveexec_b64 s[8:9], s[12:13]
; %bb.2218:
	s_mov_b32 s10, 0x7f800001
	s_xor_b64 s[4:5], exec, -1
; %bb.2219:
	s_or_b64 exec, exec, s[8:9]
	s_and_b64 s[4:5], s[4:5], exec
	s_or_saveexec_b64 s[6:7], s[6:7]
	v_mov_b32_e32 v2, s10
	s_xor_b64 exec, exec, s[6:7]
	s_cbranch_execz .LBB6_170
.LBB6_2220:
	v_mov_b32_e32 v2, 0
	v_cmp_ne_u16_sdwa s[8:9], v6, v2 src0_sel:BYTE_0 src1_sel:DWORD
	s_andn2_b64 s[4:5], s[4:5], exec
	s_and_b64 s[8:9], s[8:9], exec
	s_or_b64 s[4:5], s[4:5], s[8:9]
	s_or_b64 exec, exec, s[6:7]
	s_and_saveexec_b64 s[6:7], s[4:5]
	s_cbranch_execnz .LBB6_171
	s_branch .LBB6_172
.LBB6_2221:
	s_movk_i32 s4, 0x80
	v_cmp_eq_u16_sdwa s[12:13], v6, s4 src0_sel:BYTE_0 src1_sel:DWORD
	s_mov_b64 s[4:5], -1
                                        ; implicit-def: $sgpr10
	s_and_saveexec_b64 s[8:9], s[12:13]
; %bb.2222:
	s_mov_b32 s10, 0x7f800001
	s_xor_b64 s[4:5], exec, -1
; %bb.2223:
	s_or_b64 exec, exec, s[8:9]
	s_and_b64 s[4:5], s[4:5], exec
	s_or_saveexec_b64 s[6:7], s[6:7]
	v_mov_b32_e32 v12, s10
	s_xor_b64 exec, exec, s[6:7]
	s_cbranch_execz .LBB6_174
.LBB6_2224:
	v_mov_b32_e32 v12, 0
	v_cmp_ne_u16_sdwa s[8:9], v6, v12 src0_sel:BYTE_0 src1_sel:DWORD
	s_andn2_b64 s[4:5], s[4:5], exec
	s_and_b64 s[8:9], s[8:9], exec
	s_or_b64 s[4:5], s[4:5], s[8:9]
	s_or_b64 exec, exec, s[6:7]
	s_and_saveexec_b64 s[6:7], s[4:5]
	s_cbranch_execnz .LBB6_175
	s_branch .LBB6_176
.LBB6_2225:
	s_movk_i32 s4, 0x80
	v_cmp_eq_u16_e32 vcc, s4, v6
	s_mov_b64 s[4:5], -1
                                        ; implicit-def: $sgpr10
	s_and_saveexec_b64 s[8:9], vcc
; %bb.2226:
	s_mov_b32 s10, 0x7f800001
	s_xor_b64 s[4:5], exec, -1
; %bb.2227:
	s_or_b64 exec, exec, s[8:9]
	s_and_b64 s[4:5], s[4:5], exec
                                        ; implicit-def: $vgpr6
	s_or_saveexec_b64 s[6:7], s[6:7]
	v_mov_b32_e32 v2, s10
	s_xor_b64 exec, exec, s[6:7]
	s_cbranch_execz .LBB6_178
.LBB6_2228:
	v_cmp_ne_u16_e32 vcc, 0, v6
	s_andn2_b64 s[4:5], s[4:5], exec
	s_and_b64 s[8:9], vcc, exec
	v_mov_b32_e32 v2, 0
	s_or_b64 s[4:5], s[4:5], s[8:9]
	s_or_b64 exec, exec, s[6:7]
	s_and_saveexec_b64 s[6:7], s[4:5]
	s_cbranch_execnz .LBB6_179
	s_branch .LBB6_180
.LBB6_2229:
	s_movk_i32 s4, 0x80
	v_cmp_eq_u16_e32 vcc, s4, v6
	s_mov_b64 s[4:5], -1
                                        ; implicit-def: $sgpr10
	s_and_saveexec_b64 s[8:9], vcc
; %bb.2230:
	s_mov_b32 s10, 0x7f800001
	s_xor_b64 s[4:5], exec, -1
; %bb.2231:
	s_or_b64 exec, exec, s[8:9]
	s_and_b64 s[4:5], s[4:5], exec
                                        ; implicit-def: $vgpr6
	s_or_saveexec_b64 s[6:7], s[6:7]
	v_mov_b32_e32 v12, s10
	s_xor_b64 exec, exec, s[6:7]
	s_cbranch_execz .LBB6_182
.LBB6_2232:
	v_cmp_ne_u16_e32 vcc, 0, v6
	s_andn2_b64 s[4:5], s[4:5], exec
	s_and_b64 s[8:9], vcc, exec
	v_mov_b32_e32 v12, 0
	s_or_b64 s[4:5], s[4:5], s[8:9]
	s_or_b64 exec, exec, s[6:7]
	s_and_saveexec_b64 s[6:7], s[4:5]
	s_cbranch_execnz .LBB6_183
	s_branch .LBB6_184
.LBB6_2233:
	s_movk_i32 s4, 0x80
	v_cmp_eq_u16_sdwa s[12:13], v7, s4 src0_sel:BYTE_3 src1_sel:DWORD
	s_mov_b64 s[4:5], -1
                                        ; implicit-def: $sgpr10
	s_and_saveexec_b64 s[8:9], s[12:13]
; %bb.2234:
	s_mov_b32 s10, 0x7f800001
	s_xor_b64 s[4:5], exec, -1
; %bb.2235:
	s_or_b64 exec, exec, s[8:9]
	s_and_b64 s[4:5], s[4:5], exec
	s_or_saveexec_b64 s[6:7], s[6:7]
	v_mov_b32_e32 v2, s10
	s_xor_b64 exec, exec, s[6:7]
	s_cbranch_execz .LBB6_186
.LBB6_2236:
	v_mov_b32_e32 v2, 0
	v_cmp_ne_u16_sdwa s[8:9], v7, v2 src0_sel:BYTE_3 src1_sel:DWORD
	s_andn2_b64 s[4:5], s[4:5], exec
	s_and_b64 s[8:9], s[8:9], exec
	s_or_b64 s[4:5], s[4:5], s[8:9]
	s_or_b64 exec, exec, s[6:7]
	s_and_saveexec_b64 s[6:7], s[4:5]
	s_cbranch_execnz .LBB6_187
	s_branch .LBB6_188
.LBB6_2237:
	s_movk_i32 s4, 0x80
	v_cmp_eq_u16_sdwa s[12:13], v3, s4 src0_sel:BYTE_3 src1_sel:DWORD
	s_mov_b64 s[4:5], -1
                                        ; implicit-def: $sgpr10
	s_and_saveexec_b64 s[8:9], s[12:13]
; %bb.2238:
	s_mov_b32 s10, 0x7f800001
	s_xor_b64 s[4:5], exec, -1
; %bb.2239:
	s_or_b64 exec, exec, s[8:9]
	s_and_b64 s[4:5], s[4:5], exec
	s_or_saveexec_b64 s[6:7], s[6:7]
	v_mov_b32_e32 v6, s10
	s_xor_b64 exec, exec, s[6:7]
	s_cbranch_execz .LBB6_190
.LBB6_2240:
	v_mov_b32_e32 v6, 0
	v_cmp_ne_u16_sdwa s[8:9], v3, v6 src0_sel:BYTE_3 src1_sel:DWORD
	s_andn2_b64 s[4:5], s[4:5], exec
	s_and_b64 s[8:9], s[8:9], exec
	s_or_b64 s[4:5], s[4:5], s[8:9]
	s_or_b64 exec, exec, s[6:7]
	s_and_saveexec_b64 s[6:7], s[4:5]
	s_cbranch_execnz .LBB6_191
	s_branch .LBB6_192
.LBB6_2241:
	s_movk_i32 s4, 0x80
	v_cmp_eq_u16_sdwa s[12:13], v8, s4 src0_sel:BYTE_0 src1_sel:DWORD
	s_mov_b64 s[4:5], -1
                                        ; implicit-def: $sgpr10
	s_and_saveexec_b64 s[8:9], s[12:13]
; %bb.2242:
	s_mov_b32 s10, 0x7f800001
	s_xor_b64 s[4:5], exec, -1
; %bb.2243:
	s_or_b64 exec, exec, s[8:9]
	s_and_b64 s[4:5], s[4:5], exec
	s_or_saveexec_b64 s[6:7], s[6:7]
	v_mov_b32_e32 v2, s10
	s_xor_b64 exec, exec, s[6:7]
	s_cbranch_execz .LBB6_194
.LBB6_2244:
	v_mov_b32_e32 v2, 0
	v_cmp_ne_u16_sdwa s[8:9], v8, v2 src0_sel:BYTE_0 src1_sel:DWORD
	s_andn2_b64 s[4:5], s[4:5], exec
	s_and_b64 s[8:9], s[8:9], exec
	s_or_b64 s[4:5], s[4:5], s[8:9]
	s_or_b64 exec, exec, s[6:7]
	s_and_saveexec_b64 s[6:7], s[4:5]
	s_cbranch_execnz .LBB6_195
	s_branch .LBB6_196
.LBB6_2245:
	s_movk_i32 s4, 0x80
	v_cmp_eq_u16_sdwa s[12:13], v4, s4 src0_sel:BYTE_0 src1_sel:DWORD
	s_mov_b64 s[4:5], -1
                                        ; implicit-def: $sgpr10
	s_and_saveexec_b64 s[8:9], s[12:13]
; %bb.2246:
	s_mov_b32 s10, 0x7f800001
	s_xor_b64 s[4:5], exec, -1
; %bb.2247:
	s_or_b64 exec, exec, s[8:9]
	s_and_b64 s[4:5], s[4:5], exec
	s_or_saveexec_b64 s[6:7], s[6:7]
	v_mov_b32_e32 v3, s10
	s_xor_b64 exec, exec, s[6:7]
	s_cbranch_execz .LBB6_198
.LBB6_2248:
	v_mov_b32_e32 v3, 0
	v_cmp_ne_u16_sdwa s[8:9], v4, v3 src0_sel:BYTE_0 src1_sel:DWORD
	s_andn2_b64 s[4:5], s[4:5], exec
	s_and_b64 s[8:9], s[8:9], exec
	s_or_b64 s[4:5], s[4:5], s[8:9]
	s_or_b64 exec, exec, s[6:7]
	s_and_saveexec_b64 s[6:7], s[4:5]
	s_cbranch_execnz .LBB6_199
	s_branch .LBB6_200
.LBB6_2249:
	s_movk_i32 s4, 0x80
	v_cmp_eq_u16_sdwa s[12:13], v3, s4 src0_sel:BYTE_0 src1_sel:DWORD
	s_mov_b64 s[4:5], -1
                                        ; implicit-def: $sgpr10
	s_and_saveexec_b64 s[8:9], s[12:13]
; %bb.2250:
	s_mov_b32 s10, 0x7f800001
	s_xor_b64 s[4:5], exec, -1
; %bb.2251:
	s_or_b64 exec, exec, s[8:9]
	s_and_b64 s[4:5], s[4:5], exec
	s_or_saveexec_b64 s[6:7], s[6:7]
	v_mov_b32_e32 v2, s10
	s_xor_b64 exec, exec, s[6:7]
	s_cbranch_execz .LBB6_202
.LBB6_2252:
	v_mov_b32_e32 v2, 0
	v_cmp_ne_u16_sdwa s[8:9], v3, v2 src0_sel:BYTE_0 src1_sel:DWORD
	s_andn2_b64 s[4:5], s[4:5], exec
	s_and_b64 s[8:9], s[8:9], exec
	s_or_b64 s[4:5], s[4:5], s[8:9]
	s_or_b64 exec, exec, s[6:7]
	s_and_saveexec_b64 s[6:7], s[4:5]
	s_cbranch_execnz .LBB6_203
	s_branch .LBB6_204
.LBB6_2253:
	s_movk_i32 s4, 0x80
	v_cmp_eq_u16_sdwa s[12:13], v3, s4 src0_sel:BYTE_0 src1_sel:DWORD
	s_mov_b64 s[4:5], -1
                                        ; implicit-def: $sgpr10
	s_and_saveexec_b64 s[8:9], s[12:13]
; %bb.2254:
	s_mov_b32 s10, 0x7f800001
	s_xor_b64 s[4:5], exec, -1
; %bb.2255:
	s_or_b64 exec, exec, s[8:9]
	s_and_b64 s[4:5], s[4:5], exec
	s_or_saveexec_b64 s[6:7], s[6:7]
	v_mov_b32_e32 v6, s10
	s_xor_b64 exec, exec, s[6:7]
	s_cbranch_execz .LBB6_206
.LBB6_2256:
	v_mov_b32_e32 v6, 0
	v_cmp_ne_u16_sdwa s[8:9], v3, v6 src0_sel:BYTE_0 src1_sel:DWORD
	s_andn2_b64 s[4:5], s[4:5], exec
	s_and_b64 s[8:9], s[8:9], exec
	s_or_b64 s[4:5], s[4:5], s[8:9]
	s_or_b64 exec, exec, s[6:7]
	s_and_saveexec_b64 s[6:7], s[4:5]
	s_cbranch_execnz .LBB6_207
	s_branch .LBB6_208
.LBB6_2257:
	s_movk_i32 s4, 0x80
	v_cmp_eq_u16_e32 vcc, s4, v3
	s_mov_b64 s[4:5], -1
                                        ; implicit-def: $sgpr10
	s_and_saveexec_b64 s[8:9], vcc
; %bb.2258:
	s_mov_b32 s10, 0x7f800001
	s_xor_b64 s[4:5], exec, -1
; %bb.2259:
	s_or_b64 exec, exec, s[8:9]
	s_and_b64 s[4:5], s[4:5], exec
                                        ; implicit-def: $vgpr3
	s_or_saveexec_b64 s[6:7], s[6:7]
	v_mov_b32_e32 v2, s10
	s_xor_b64 exec, exec, s[6:7]
	s_cbranch_execz .LBB6_210
.LBB6_2260:
	v_cmp_ne_u16_e32 vcc, 0, v3
	s_andn2_b64 s[4:5], s[4:5], exec
	s_and_b64 s[8:9], vcc, exec
	v_mov_b32_e32 v2, 0
	s_or_b64 s[4:5], s[4:5], s[8:9]
	s_or_b64 exec, exec, s[6:7]
	s_and_saveexec_b64 s[6:7], s[4:5]
	s_cbranch_execnz .LBB6_211
	s_branch .LBB6_212
.LBB6_2261:
	s_movk_i32 s4, 0x80
	v_cmp_eq_u16_e32 vcc, s4, v3
	s_mov_b64 s[4:5], -1
                                        ; implicit-def: $sgpr10
	s_and_saveexec_b64 s[8:9], vcc
; %bb.2262:
	s_mov_b32 s10, 0x7f800001
	s_xor_b64 s[4:5], exec, -1
; %bb.2263:
	s_or_b64 exec, exec, s[8:9]
	s_and_b64 s[4:5], s[4:5], exec
                                        ; implicit-def: $vgpr3
	s_or_saveexec_b64 s[6:7], s[6:7]
	v_mov_b32_e32 v6, s10
	s_xor_b64 exec, exec, s[6:7]
	s_cbranch_execz .LBB6_214
.LBB6_2264:
	v_cmp_ne_u16_e32 vcc, 0, v3
	s_andn2_b64 s[4:5], s[4:5], exec
	s_and_b64 s[8:9], vcc, exec
	v_mov_b32_e32 v6, 0
	s_or_b64 s[4:5], s[4:5], s[8:9]
	s_or_b64 exec, exec, s[6:7]
	s_and_saveexec_b64 s[6:7], s[4:5]
	s_cbranch_execnz .LBB6_215
	s_branch .LBB6_216
.LBB6_2265:
	s_movk_i32 s4, 0x80
	v_cmp_eq_u16_sdwa s[12:13], v8, s4 src0_sel:BYTE_3 src1_sel:DWORD
	s_mov_b64 s[4:5], -1
                                        ; implicit-def: $sgpr10
	s_and_saveexec_b64 s[8:9], s[12:13]
; %bb.2266:
	s_mov_b32 s10, 0x7f800001
	s_xor_b64 s[4:5], exec, -1
; %bb.2267:
	s_or_b64 exec, exec, s[8:9]
	s_and_b64 s[4:5], s[4:5], exec
	s_or_saveexec_b64 s[6:7], s[6:7]
	v_mov_b32_e32 v2, s10
	s_xor_b64 exec, exec, s[6:7]
	s_cbranch_execz .LBB6_218
.LBB6_2268:
	v_mov_b32_e32 v2, 0
	v_cmp_ne_u16_sdwa s[8:9], v8, v2 src0_sel:BYTE_3 src1_sel:DWORD
	s_andn2_b64 s[4:5], s[4:5], exec
	s_and_b64 s[8:9], s[8:9], exec
	s_or_b64 s[4:5], s[4:5], s[8:9]
	s_or_b64 exec, exec, s[6:7]
	s_and_saveexec_b64 s[6:7], s[4:5]
	s_cbranch_execnz .LBB6_219
	s_branch .LBB6_220
.LBB6_2269:
	s_movk_i32 s4, 0x80
	v_cmp_eq_u16_sdwa s[12:13], v4, s4 src0_sel:BYTE_3 src1_sel:DWORD
	s_mov_b64 s[4:5], -1
                                        ; implicit-def: $sgpr10
	s_and_saveexec_b64 s[8:9], s[12:13]
; %bb.2270:
	s_mov_b32 s10, 0x7f800001
	s_xor_b64 s[4:5], exec, -1
; %bb.2271:
	s_or_b64 exec, exec, s[8:9]
	s_and_b64 s[4:5], s[4:5], exec
	s_or_saveexec_b64 s[6:7], s[6:7]
	v_mov_b32_e32 v3, s10
	s_xor_b64 exec, exec, s[6:7]
	s_cbranch_execz .LBB6_222
.LBB6_2272:
	v_mov_b32_e32 v3, 0
	v_cmp_ne_u16_sdwa s[8:9], v4, v3 src0_sel:BYTE_3 src1_sel:DWORD
	s_andn2_b64 s[4:5], s[4:5], exec
	s_and_b64 s[8:9], s[8:9], exec
	s_or_b64 s[4:5], s[4:5], s[8:9]
	s_or_b64 exec, exec, s[6:7]
	s_and_saveexec_b64 s[6:7], s[4:5]
	s_cbranch_execnz .LBB6_223
	s_branch .LBB6_224
.LBB6_2273:
	s_movk_i32 s4, 0x80
	v_cmp_eq_u16_sdwa s[12:13], v9, s4 src0_sel:BYTE_0 src1_sel:DWORD
	s_mov_b64 s[4:5], -1
                                        ; implicit-def: $sgpr10
	s_and_saveexec_b64 s[8:9], s[12:13]
; %bb.2274:
	s_mov_b32 s10, 0x7f800001
	s_xor_b64 s[4:5], exec, -1
; %bb.2275:
	s_or_b64 exec, exec, s[8:9]
	s_and_b64 s[4:5], s[4:5], exec
	s_or_saveexec_b64 s[6:7], s[6:7]
	v_mov_b32_e32 v2, s10
	s_xor_b64 exec, exec, s[6:7]
	s_cbranch_execz .LBB6_226
.LBB6_2276:
	v_mov_b32_e32 v2, 0
	v_cmp_ne_u16_sdwa s[8:9], v9, v2 src0_sel:BYTE_0 src1_sel:DWORD
	s_andn2_b64 s[4:5], s[4:5], exec
	s_and_b64 s[8:9], s[8:9], exec
	s_or_b64 s[4:5], s[4:5], s[8:9]
	s_or_b64 exec, exec, s[6:7]
	s_and_saveexec_b64 s[6:7], s[4:5]
	s_cbranch_execnz .LBB6_227
	s_branch .LBB6_228
.LBB6_2277:
	s_movk_i32 s4, 0x80
	v_cmp_eq_u16_sdwa s[12:13], v5, s4 src0_sel:BYTE_0 src1_sel:DWORD
	s_mov_b64 s[4:5], -1
                                        ; implicit-def: $sgpr10
	s_and_saveexec_b64 s[8:9], s[12:13]
; %bb.2278:
	s_mov_b32 s10, 0x7f800001
	s_xor_b64 s[4:5], exec, -1
; %bb.2279:
	s_or_b64 exec, exec, s[8:9]
	s_and_b64 s[4:5], s[4:5], exec
	s_or_saveexec_b64 s[6:7], s[6:7]
	v_mov_b32_e32 v3, s10
	s_xor_b64 exec, exec, s[6:7]
	s_cbranch_execz .LBB6_230
.LBB6_2280:
	v_mov_b32_e32 v3, 0
	v_cmp_ne_u16_sdwa s[8:9], v5, v3 src0_sel:BYTE_0 src1_sel:DWORD
	s_andn2_b64 s[4:5], s[4:5], exec
	s_and_b64 s[8:9], s[8:9], exec
	s_or_b64 s[4:5], s[4:5], s[8:9]
	s_or_b64 exec, exec, s[6:7]
	s_and_saveexec_b64 s[6:7], s[4:5]
	s_cbranch_execnz .LBB6_231
	s_branch .LBB6_232
.LBB6_2281:
	s_movk_i32 s4, 0x80
	v_cmp_eq_u16_sdwa s[12:13], v3, s4 src0_sel:BYTE_0 src1_sel:DWORD
	s_mov_b64 s[4:5], -1
                                        ; implicit-def: $sgpr10
	s_and_saveexec_b64 s[8:9], s[12:13]
; %bb.2282:
	s_mov_b32 s10, 0x7f800001
	s_xor_b64 s[4:5], exec, -1
; %bb.2283:
	s_or_b64 exec, exec, s[8:9]
	s_and_b64 s[4:5], s[4:5], exec
	s_or_saveexec_b64 s[6:7], s[6:7]
	v_mov_b32_e32 v2, s10
	s_xor_b64 exec, exec, s[6:7]
	s_cbranch_execz .LBB6_234
.LBB6_2284:
	v_mov_b32_e32 v2, 0
	v_cmp_ne_u16_sdwa s[8:9], v3, v2 src0_sel:BYTE_0 src1_sel:DWORD
	s_andn2_b64 s[4:5], s[4:5], exec
	s_and_b64 s[8:9], s[8:9], exec
	s_or_b64 s[4:5], s[4:5], s[8:9]
	s_or_b64 exec, exec, s[6:7]
	s_and_saveexec_b64 s[6:7], s[4:5]
	s_cbranch_execnz .LBB6_235
	s_branch .LBB6_236
.LBB6_2285:
	s_movk_i32 s4, 0x80
	v_cmp_eq_u16_sdwa s[12:13], v3, s4 src0_sel:BYTE_0 src1_sel:DWORD
	s_mov_b64 s[4:5], -1
                                        ; implicit-def: $sgpr10
	s_and_saveexec_b64 s[8:9], s[12:13]
; %bb.2286:
	s_mov_b32 s10, 0x7f800001
	s_xor_b64 s[4:5], exec, -1
; %bb.2287:
	s_or_b64 exec, exec, s[8:9]
	s_and_b64 s[4:5], s[4:5], exec
	s_or_saveexec_b64 s[6:7], s[6:7]
	v_mov_b32_e32 v4, s10
	s_xor_b64 exec, exec, s[6:7]
	s_cbranch_execz .LBB6_238
.LBB6_2288:
	v_mov_b32_e32 v4, 0
	v_cmp_ne_u16_sdwa s[8:9], v3, v4 src0_sel:BYTE_0 src1_sel:DWORD
	s_andn2_b64 s[4:5], s[4:5], exec
	s_and_b64 s[8:9], s[8:9], exec
	s_or_b64 s[4:5], s[4:5], s[8:9]
	s_or_b64 exec, exec, s[6:7]
	s_and_saveexec_b64 s[6:7], s[4:5]
	s_cbranch_execnz .LBB6_239
	s_branch .LBB6_240
.LBB6_2289:
	s_movk_i32 s4, 0x80
	v_cmp_eq_u16_e32 vcc, s4, v3
	s_mov_b64 s[4:5], -1
                                        ; implicit-def: $sgpr10
	s_and_saveexec_b64 s[8:9], vcc
; %bb.2290:
	s_mov_b32 s10, 0x7f800001
	s_xor_b64 s[4:5], exec, -1
; %bb.2291:
	s_or_b64 exec, exec, s[8:9]
	s_and_b64 s[4:5], s[4:5], exec
                                        ; implicit-def: $vgpr3
	s_or_saveexec_b64 s[6:7], s[6:7]
	v_mov_b32_e32 v2, s10
	s_xor_b64 exec, exec, s[6:7]
	s_cbranch_execz .LBB6_242
.LBB6_2292:
	v_cmp_ne_u16_e32 vcc, 0, v3
	s_andn2_b64 s[4:5], s[4:5], exec
	s_and_b64 s[8:9], vcc, exec
	v_mov_b32_e32 v2, 0
	s_or_b64 s[4:5], s[4:5], s[8:9]
	s_or_b64 exec, exec, s[6:7]
	s_and_saveexec_b64 s[6:7], s[4:5]
	s_cbranch_execnz .LBB6_243
	s_branch .LBB6_244
.LBB6_2293:
	s_movk_i32 s4, 0x80
	v_cmp_eq_u16_e32 vcc, s4, v3
	s_mov_b64 s[4:5], -1
                                        ; implicit-def: $sgpr10
	s_and_saveexec_b64 s[8:9], vcc
; %bb.2294:
	s_mov_b32 s10, 0x7f800001
	s_xor_b64 s[4:5], exec, -1
; %bb.2295:
	s_or_b64 exec, exec, s[8:9]
	s_and_b64 s[4:5], s[4:5], exec
                                        ; implicit-def: $vgpr3
	s_or_saveexec_b64 s[6:7], s[6:7]
	v_mov_b32_e32 v4, s10
	s_xor_b64 exec, exec, s[6:7]
	s_cbranch_execz .LBB6_246
.LBB6_2296:
	v_cmp_ne_u16_e32 vcc, 0, v3
	s_andn2_b64 s[4:5], s[4:5], exec
	s_and_b64 s[8:9], vcc, exec
	v_mov_b32_e32 v4, 0
	s_or_b64 s[4:5], s[4:5], s[8:9]
	s_or_b64 exec, exec, s[6:7]
	s_and_saveexec_b64 s[6:7], s[4:5]
	s_cbranch_execnz .LBB6_247
	s_branch .LBB6_248
.LBB6_2297:
	s_movk_i32 s4, 0x80
	v_cmp_eq_u16_sdwa s[12:13], v9, s4 src0_sel:BYTE_3 src1_sel:DWORD
	s_mov_b64 s[4:5], -1
                                        ; implicit-def: $sgpr10
	s_and_saveexec_b64 s[8:9], s[12:13]
; %bb.2298:
	s_mov_b32 s10, 0x7f800001
	s_xor_b64 s[4:5], exec, -1
; %bb.2299:
	s_or_b64 exec, exec, s[8:9]
	s_and_b64 s[4:5], s[4:5], exec
	s_or_saveexec_b64 s[6:7], s[6:7]
	v_mov_b32_e32 v2, s10
	s_xor_b64 exec, exec, s[6:7]
	s_cbranch_execz .LBB6_250
.LBB6_2300:
	v_mov_b32_e32 v2, 0
	v_cmp_ne_u16_sdwa s[8:9], v9, v2 src0_sel:BYTE_3 src1_sel:DWORD
	s_andn2_b64 s[4:5], s[4:5], exec
	s_and_b64 s[8:9], s[8:9], exec
	s_or_b64 s[4:5], s[4:5], s[8:9]
	s_or_b64 exec, exec, s[6:7]
	s_and_saveexec_b64 s[6:7], s[4:5]
	s_cbranch_execnz .LBB6_251
	s_branch .LBB6_252
.LBB6_2301:
	s_movk_i32 s4, 0x80
	v_cmp_eq_u16_sdwa s[12:13], v5, s4 src0_sel:BYTE_3 src1_sel:DWORD
	s_mov_b64 s[4:5], -1
                                        ; implicit-def: $sgpr10
	s_and_saveexec_b64 s[8:9], s[12:13]
; %bb.2302:
	s_mov_b32 s10, 0x7f800001
	s_xor_b64 s[4:5], exec, -1
; %bb.2303:
	s_or_b64 exec, exec, s[8:9]
	s_and_b64 s[4:5], s[4:5], exec
	s_or_saveexec_b64 s[6:7], s[6:7]
	v_mov_b32_e32 v3, s10
	s_xor_b64 exec, exec, s[6:7]
	s_cbranch_execz .LBB6_254
.LBB6_2304:
	v_mov_b32_e32 v3, 0
	v_cmp_ne_u16_sdwa s[8:9], v5, v3 src0_sel:BYTE_3 src1_sel:DWORD
	s_andn2_b64 s[4:5], s[4:5], exec
	s_and_b64 s[8:9], s[8:9], exec
	s_or_b64 s[4:5], s[4:5], s[8:9]
	s_or_b64 exec, exec, s[6:7]
	s_and_saveexec_b64 s[6:7], s[4:5]
	s_cbranch_execnz .LBB6_255
	s_branch .LBB6_256
.LBB6_2305:
	s_movk_i32 s4, 0x80
	v_cmp_eq_u16_sdwa s[12:13], v6, s4 src0_sel:BYTE_0 src1_sel:DWORD
	s_mov_b64 s[4:5], -1
                                        ; implicit-def: $sgpr10
	s_and_saveexec_b64 s[8:9], s[12:13]
; %bb.2306:
	s_mov_b32 s10, 0x7f800001
	s_xor_b64 s[4:5], exec, -1
; %bb.2307:
	s_or_b64 exec, exec, s[8:9]
	s_and_b64 s[4:5], s[4:5], exec
	s_or_saveexec_b64 s[6:7], s[6:7]
	v_mov_b32_e32 v12, s10
	s_xor_b64 exec, exec, s[6:7]
	s_cbranch_execz .LBB6_258
.LBB6_2308:
	v_mov_b32_e32 v12, 0
	v_cmp_ne_u16_sdwa s[8:9], v6, v12 src0_sel:BYTE_0 src1_sel:DWORD
	s_andn2_b64 s[4:5], s[4:5], exec
	s_and_b64 s[8:9], s[8:9], exec
	s_or_b64 s[4:5], s[4:5], s[8:9]
	s_or_b64 exec, exec, s[6:7]
	s_and_saveexec_b64 s[6:7], s[4:5]
	s_cbranch_execnz .LBB6_259
	s_branch .LBB6_260
.LBB6_2309:
	s_movk_i32 s4, 0x80
	v_cmp_eq_u16_sdwa s[12:13], v2, s4 src0_sel:BYTE_0 src1_sel:DWORD
	s_mov_b64 s[4:5], -1
                                        ; implicit-def: $sgpr10
	s_and_saveexec_b64 s[8:9], s[12:13]
; %bb.2310:
	s_mov_b32 s10, 0x7f800001
	s_xor_b64 s[4:5], exec, -1
; %bb.2311:
	s_or_b64 exec, exec, s[8:9]
	s_and_b64 s[4:5], s[4:5], exec
	s_or_saveexec_b64 s[6:7], s[6:7]
	v_mov_b32_e32 v13, s10
	s_xor_b64 exec, exec, s[6:7]
	s_cbranch_execz .LBB6_262
.LBB6_2312:
	v_mov_b32_e32 v13, 0
	v_cmp_ne_u16_sdwa s[8:9], v2, v13 src0_sel:BYTE_0 src1_sel:DWORD
	s_andn2_b64 s[4:5], s[4:5], exec
	s_and_b64 s[8:9], s[8:9], exec
	s_or_b64 s[4:5], s[4:5], s[8:9]
	s_or_b64 exec, exec, s[6:7]
	s_and_saveexec_b64 s[6:7], s[4:5]
	s_cbranch_execnz .LBB6_263
	s_branch .LBB6_264
.LBB6_2313:
	s_movk_i32 s4, 0x80
	v_cmp_eq_u16_sdwa s[12:13], v13, s4 src0_sel:BYTE_0 src1_sel:DWORD
	s_mov_b64 s[4:5], -1
                                        ; implicit-def: $sgpr10
	s_and_saveexec_b64 s[8:9], s[12:13]
; %bb.2314:
	s_mov_b32 s10, 0x7f800001
	s_xor_b64 s[4:5], exec, -1
; %bb.2315:
	s_or_b64 exec, exec, s[8:9]
	s_and_b64 s[4:5], s[4:5], exec
	s_or_saveexec_b64 s[6:7], s[6:7]
	v_mov_b32_e32 v12, s10
	s_xor_b64 exec, exec, s[6:7]
	s_cbranch_execz .LBB6_266
.LBB6_2316:
	v_mov_b32_e32 v12, 0
	v_cmp_ne_u16_sdwa s[8:9], v13, v12 src0_sel:BYTE_0 src1_sel:DWORD
	s_andn2_b64 s[4:5], s[4:5], exec
	s_and_b64 s[8:9], s[8:9], exec
	s_or_b64 s[4:5], s[4:5], s[8:9]
	s_or_b64 exec, exec, s[6:7]
	s_and_saveexec_b64 s[6:7], s[4:5]
	s_cbranch_execnz .LBB6_267
	s_branch .LBB6_268
.LBB6_2317:
	s_movk_i32 s4, 0x80
	v_cmp_eq_u16_sdwa s[12:13], v13, s4 src0_sel:BYTE_0 src1_sel:DWORD
	s_mov_b64 s[4:5], -1
                                        ; implicit-def: $sgpr10
	s_and_saveexec_b64 s[8:9], s[12:13]
; %bb.2318:
	s_mov_b32 s10, 0x7f800001
	s_xor_b64 s[4:5], exec, -1
; %bb.2319:
	s_or_b64 exec, exec, s[8:9]
	s_and_b64 s[4:5], s[4:5], exec
	s_or_saveexec_b64 s[6:7], s[6:7]
	v_mov_b32_e32 v14, s10
	s_xor_b64 exec, exec, s[6:7]
	s_cbranch_execz .LBB6_270
.LBB6_2320:
	v_mov_b32_e32 v14, 0
	v_cmp_ne_u16_sdwa s[8:9], v13, v14 src0_sel:BYTE_0 src1_sel:DWORD
	s_andn2_b64 s[4:5], s[4:5], exec
	s_and_b64 s[8:9], s[8:9], exec
	s_or_b64 s[4:5], s[4:5], s[8:9]
	s_or_b64 exec, exec, s[6:7]
	s_and_saveexec_b64 s[6:7], s[4:5]
	s_cbranch_execnz .LBB6_271
	s_branch .LBB6_272
.LBB6_2321:
	s_movk_i32 s4, 0x80
	v_cmp_eq_u16_e32 vcc, s4, v13
	s_mov_b64 s[4:5], -1
                                        ; implicit-def: $sgpr10
	s_and_saveexec_b64 s[8:9], vcc
; %bb.2322:
	s_mov_b32 s10, 0x7f800001
	s_xor_b64 s[4:5], exec, -1
; %bb.2323:
	s_or_b64 exec, exec, s[8:9]
	s_and_b64 s[4:5], s[4:5], exec
                                        ; implicit-def: $vgpr13
	s_or_saveexec_b64 s[6:7], s[6:7]
	v_mov_b32_e32 v12, s10
	s_xor_b64 exec, exec, s[6:7]
	s_cbranch_execz .LBB6_274
.LBB6_2324:
	v_cmp_ne_u16_e32 vcc, 0, v13
	s_andn2_b64 s[4:5], s[4:5], exec
	s_and_b64 s[8:9], vcc, exec
	v_mov_b32_e32 v12, 0
	s_or_b64 s[4:5], s[4:5], s[8:9]
	s_or_b64 exec, exec, s[6:7]
	s_and_saveexec_b64 s[6:7], s[4:5]
	s_cbranch_execnz .LBB6_275
	s_branch .LBB6_276
.LBB6_2325:
	s_movk_i32 s4, 0x80
	v_cmp_eq_u16_e32 vcc, s4, v13
	s_mov_b64 s[4:5], -1
                                        ; implicit-def: $sgpr10
	s_and_saveexec_b64 s[8:9], vcc
; %bb.2326:
	s_mov_b32 s10, 0x7f800001
	s_xor_b64 s[4:5], exec, -1
; %bb.2327:
	s_or_b64 exec, exec, s[8:9]
	s_and_b64 s[4:5], s[4:5], exec
                                        ; implicit-def: $vgpr13
	s_or_saveexec_b64 s[6:7], s[6:7]
	v_mov_b32_e32 v14, s10
	s_xor_b64 exec, exec, s[6:7]
	s_cbranch_execz .LBB6_278
.LBB6_2328:
	v_cmp_ne_u16_e32 vcc, 0, v13
	s_andn2_b64 s[4:5], s[4:5], exec
	s_and_b64 s[8:9], vcc, exec
	v_mov_b32_e32 v14, 0
	s_or_b64 s[4:5], s[4:5], s[8:9]
	s_or_b64 exec, exec, s[6:7]
	s_and_saveexec_b64 s[6:7], s[4:5]
	s_cbranch_execnz .LBB6_279
	s_branch .LBB6_280
.LBB6_2329:
	s_movk_i32 s4, 0x80
	v_cmp_eq_u16_sdwa s[12:13], v6, s4 src0_sel:BYTE_3 src1_sel:DWORD
	s_mov_b64 s[4:5], -1
                                        ; implicit-def: $sgpr10
	s_and_saveexec_b64 s[8:9], s[12:13]
; %bb.2330:
	s_mov_b32 s10, 0x7f800001
	s_xor_b64 s[4:5], exec, -1
; %bb.2331:
	s_or_b64 exec, exec, s[8:9]
	s_and_b64 s[4:5], s[4:5], exec
	s_or_saveexec_b64 s[6:7], s[6:7]
	v_mov_b32_e32 v12, s10
	s_xor_b64 exec, exec, s[6:7]
	s_cbranch_execz .LBB6_282
.LBB6_2332:
	v_mov_b32_e32 v12, 0
	v_cmp_ne_u16_sdwa s[8:9], v6, v12 src0_sel:BYTE_3 src1_sel:DWORD
	s_andn2_b64 s[4:5], s[4:5], exec
	s_and_b64 s[8:9], s[8:9], exec
	s_or_b64 s[4:5], s[4:5], s[8:9]
	s_or_b64 exec, exec, s[6:7]
	s_and_saveexec_b64 s[6:7], s[4:5]
	s_cbranch_execnz .LBB6_283
	s_branch .LBB6_284
.LBB6_2333:
	s_movk_i32 s4, 0x80
	v_cmp_eq_u16_sdwa s[12:13], v2, s4 src0_sel:BYTE_3 src1_sel:DWORD
	s_mov_b64 s[4:5], -1
                                        ; implicit-def: $sgpr10
	s_and_saveexec_b64 s[8:9], s[12:13]
; %bb.2334:
	s_mov_b32 s10, 0x7f800001
	s_xor_b64 s[4:5], exec, -1
; %bb.2335:
	s_or_b64 exec, exec, s[8:9]
	s_and_b64 s[4:5], s[4:5], exec
	s_or_saveexec_b64 s[6:7], s[6:7]
	v_mov_b32_e32 v6, s10
	s_xor_b64 exec, exec, s[6:7]
	s_cbranch_execz .LBB6_286
.LBB6_2336:
	v_mov_b32_e32 v6, 0
	v_cmp_ne_u16_sdwa s[8:9], v2, v6 src0_sel:BYTE_3 src1_sel:DWORD
	s_andn2_b64 s[4:5], s[4:5], exec
	s_and_b64 s[8:9], s[8:9], exec
	s_or_b64 s[4:5], s[4:5], s[8:9]
	s_or_b64 exec, exec, s[6:7]
	s_and_saveexec_b64 s[6:7], s[4:5]
	s_cbranch_execnz .LBB6_287
	s_branch .LBB6_288
.LBB6_2337:
	s_movk_i32 s4, 0x80
	v_cmp_eq_u16_sdwa s[12:13], v7, s4 src0_sel:BYTE_0 src1_sel:DWORD
	s_mov_b64 s[4:5], -1
                                        ; implicit-def: $sgpr10
	s_and_saveexec_b64 s[8:9], s[12:13]
; %bb.2338:
	s_mov_b32 s10, 0x7f800001
	s_xor_b64 s[4:5], exec, -1
; %bb.2339:
	s_or_b64 exec, exec, s[8:9]
	s_and_b64 s[4:5], s[4:5], exec
	s_or_saveexec_b64 s[6:7], s[6:7]
	v_mov_b32_e32 v2, s10
	s_xor_b64 exec, exec, s[6:7]
	s_cbranch_execz .LBB6_290
.LBB6_2340:
	v_mov_b32_e32 v2, 0
	v_cmp_ne_u16_sdwa s[8:9], v7, v2 src0_sel:BYTE_0 src1_sel:DWORD
	s_andn2_b64 s[4:5], s[4:5], exec
	s_and_b64 s[8:9], s[8:9], exec
	s_or_b64 s[4:5], s[4:5], s[8:9]
	s_or_b64 exec, exec, s[6:7]
	s_and_saveexec_b64 s[6:7], s[4:5]
	s_cbranch_execnz .LBB6_291
	s_branch .LBB6_292
.LBB6_2341:
	s_movk_i32 s4, 0x80
	v_cmp_eq_u16_sdwa s[12:13], v3, s4 src0_sel:BYTE_0 src1_sel:DWORD
	s_mov_b64 s[4:5], -1
                                        ; implicit-def: $sgpr10
	s_and_saveexec_b64 s[8:9], s[12:13]
; %bb.2342:
	s_mov_b32 s10, 0x7f800001
	s_xor_b64 s[4:5], exec, -1
; %bb.2343:
	s_or_b64 exec, exec, s[8:9]
	s_and_b64 s[4:5], s[4:5], exec
	s_or_saveexec_b64 s[6:7], s[6:7]
	v_mov_b32_e32 v6, s10
	s_xor_b64 exec, exec, s[6:7]
	s_cbranch_execz .LBB6_294
.LBB6_2344:
	v_mov_b32_e32 v6, 0
	v_cmp_ne_u16_sdwa s[8:9], v3, v6 src0_sel:BYTE_0 src1_sel:DWORD
	s_andn2_b64 s[4:5], s[4:5], exec
	s_and_b64 s[8:9], s[8:9], exec
	s_or_b64 s[4:5], s[4:5], s[8:9]
	s_or_b64 exec, exec, s[6:7]
	s_and_saveexec_b64 s[6:7], s[4:5]
	s_cbranch_execnz .LBB6_295
	s_branch .LBB6_296
.LBB6_2345:
	s_movk_i32 s4, 0x80
	v_cmp_eq_u16_sdwa s[12:13], v6, s4 src0_sel:BYTE_0 src1_sel:DWORD
	s_mov_b64 s[4:5], -1
                                        ; implicit-def: $sgpr10
	s_and_saveexec_b64 s[8:9], s[12:13]
; %bb.2346:
	s_mov_b32 s10, 0x7f800001
	s_xor_b64 s[4:5], exec, -1
; %bb.2347:
	s_or_b64 exec, exec, s[8:9]
	s_and_b64 s[4:5], s[4:5], exec
	s_or_saveexec_b64 s[6:7], s[6:7]
	v_mov_b32_e32 v2, s10
	s_xor_b64 exec, exec, s[6:7]
	s_cbranch_execz .LBB6_298
.LBB6_2348:
	v_mov_b32_e32 v2, 0
	v_cmp_ne_u16_sdwa s[8:9], v6, v2 src0_sel:BYTE_0 src1_sel:DWORD
	s_andn2_b64 s[4:5], s[4:5], exec
	s_and_b64 s[8:9], s[8:9], exec
	s_or_b64 s[4:5], s[4:5], s[8:9]
	s_or_b64 exec, exec, s[6:7]
	s_and_saveexec_b64 s[6:7], s[4:5]
	s_cbranch_execnz .LBB6_299
	s_branch .LBB6_300
.LBB6_2349:
	s_movk_i32 s4, 0x80
	v_cmp_eq_u16_sdwa s[12:13], v6, s4 src0_sel:BYTE_0 src1_sel:DWORD
	s_mov_b64 s[4:5], -1
                                        ; implicit-def: $sgpr10
	s_and_saveexec_b64 s[8:9], s[12:13]
; %bb.2350:
	s_mov_b32 s10, 0x7f800001
	s_xor_b64 s[4:5], exec, -1
; %bb.2351:
	s_or_b64 exec, exec, s[8:9]
	s_and_b64 s[4:5], s[4:5], exec
	s_or_saveexec_b64 s[6:7], s[6:7]
	v_mov_b32_e32 v12, s10
	s_xor_b64 exec, exec, s[6:7]
	s_cbranch_execz .LBB6_302
.LBB6_2352:
	v_mov_b32_e32 v12, 0
	v_cmp_ne_u16_sdwa s[8:9], v6, v12 src0_sel:BYTE_0 src1_sel:DWORD
	s_andn2_b64 s[4:5], s[4:5], exec
	s_and_b64 s[8:9], s[8:9], exec
	s_or_b64 s[4:5], s[4:5], s[8:9]
	s_or_b64 exec, exec, s[6:7]
	s_and_saveexec_b64 s[6:7], s[4:5]
	s_cbranch_execnz .LBB6_303
	s_branch .LBB6_304
.LBB6_2353:
	s_movk_i32 s4, 0x80
	v_cmp_eq_u16_e32 vcc, s4, v6
	s_mov_b64 s[4:5], -1
                                        ; implicit-def: $sgpr10
	s_and_saveexec_b64 s[8:9], vcc
; %bb.2354:
	s_mov_b32 s10, 0x7f800001
	s_xor_b64 s[4:5], exec, -1
; %bb.2355:
	s_or_b64 exec, exec, s[8:9]
	s_and_b64 s[4:5], s[4:5], exec
                                        ; implicit-def: $vgpr6
	s_or_saveexec_b64 s[6:7], s[6:7]
	v_mov_b32_e32 v2, s10
	s_xor_b64 exec, exec, s[6:7]
	s_cbranch_execz .LBB6_306
.LBB6_2356:
	v_cmp_ne_u16_e32 vcc, 0, v6
	s_andn2_b64 s[4:5], s[4:5], exec
	s_and_b64 s[8:9], vcc, exec
	v_mov_b32_e32 v2, 0
	s_or_b64 s[4:5], s[4:5], s[8:9]
	s_or_b64 exec, exec, s[6:7]
	s_and_saveexec_b64 s[6:7], s[4:5]
	s_cbranch_execnz .LBB6_307
	s_branch .LBB6_308
.LBB6_2357:
	s_movk_i32 s4, 0x80
	v_cmp_eq_u16_e32 vcc, s4, v6
	s_mov_b64 s[4:5], -1
                                        ; implicit-def: $sgpr10
	s_and_saveexec_b64 s[8:9], vcc
; %bb.2358:
	s_mov_b32 s10, 0x7f800001
	s_xor_b64 s[4:5], exec, -1
; %bb.2359:
	s_or_b64 exec, exec, s[8:9]
	s_and_b64 s[4:5], s[4:5], exec
                                        ; implicit-def: $vgpr6
	s_or_saveexec_b64 s[6:7], s[6:7]
	v_mov_b32_e32 v12, s10
	s_xor_b64 exec, exec, s[6:7]
	s_cbranch_execz .LBB6_310
.LBB6_2360:
	v_cmp_ne_u16_e32 vcc, 0, v6
	s_andn2_b64 s[4:5], s[4:5], exec
	s_and_b64 s[8:9], vcc, exec
	v_mov_b32_e32 v12, 0
	s_or_b64 s[4:5], s[4:5], s[8:9]
	s_or_b64 exec, exec, s[6:7]
	s_and_saveexec_b64 s[6:7], s[4:5]
	s_cbranch_execnz .LBB6_311
	s_branch .LBB6_312
.LBB6_2361:
	s_movk_i32 s4, 0x80
	v_cmp_eq_u16_sdwa s[12:13], v7, s4 src0_sel:BYTE_3 src1_sel:DWORD
	s_mov_b64 s[4:5], -1
                                        ; implicit-def: $sgpr10
	s_and_saveexec_b64 s[8:9], s[12:13]
; %bb.2362:
	s_mov_b32 s10, 0x7f800001
	s_xor_b64 s[4:5], exec, -1
; %bb.2363:
	s_or_b64 exec, exec, s[8:9]
	s_and_b64 s[4:5], s[4:5], exec
	s_or_saveexec_b64 s[6:7], s[6:7]
	v_mov_b32_e32 v2, s10
	s_xor_b64 exec, exec, s[6:7]
	s_cbranch_execz .LBB6_314
.LBB6_2364:
	v_mov_b32_e32 v2, 0
	v_cmp_ne_u16_sdwa s[8:9], v7, v2 src0_sel:BYTE_3 src1_sel:DWORD
	s_andn2_b64 s[4:5], s[4:5], exec
	s_and_b64 s[8:9], s[8:9], exec
	s_or_b64 s[4:5], s[4:5], s[8:9]
	s_or_b64 exec, exec, s[6:7]
	s_and_saveexec_b64 s[6:7], s[4:5]
	s_cbranch_execnz .LBB6_315
	s_branch .LBB6_316
.LBB6_2365:
	s_movk_i32 s4, 0x80
	v_cmp_eq_u16_sdwa s[12:13], v3, s4 src0_sel:BYTE_3 src1_sel:DWORD
	s_mov_b64 s[4:5], -1
                                        ; implicit-def: $sgpr10
	s_and_saveexec_b64 s[8:9], s[12:13]
; %bb.2366:
	s_mov_b32 s10, 0x7f800001
	s_xor_b64 s[4:5], exec, -1
; %bb.2367:
	s_or_b64 exec, exec, s[8:9]
	s_and_b64 s[4:5], s[4:5], exec
	s_or_saveexec_b64 s[6:7], s[6:7]
	v_mov_b32_e32 v6, s10
	s_xor_b64 exec, exec, s[6:7]
	s_cbranch_execz .LBB6_318
.LBB6_2368:
	v_mov_b32_e32 v6, 0
	v_cmp_ne_u16_sdwa s[8:9], v3, v6 src0_sel:BYTE_3 src1_sel:DWORD
	s_andn2_b64 s[4:5], s[4:5], exec
	s_and_b64 s[8:9], s[8:9], exec
	s_or_b64 s[4:5], s[4:5], s[8:9]
	s_or_b64 exec, exec, s[6:7]
	s_and_saveexec_b64 s[6:7], s[4:5]
	s_cbranch_execnz .LBB6_319
	s_branch .LBB6_320
.LBB6_2369:
	s_movk_i32 s4, 0x80
	v_cmp_eq_u16_sdwa s[12:13], v8, s4 src0_sel:BYTE_0 src1_sel:DWORD
	s_mov_b64 s[4:5], -1
                                        ; implicit-def: $sgpr10
	s_and_saveexec_b64 s[8:9], s[12:13]
; %bb.2370:
	s_mov_b32 s10, 0x7f800001
	s_xor_b64 s[4:5], exec, -1
; %bb.2371:
	s_or_b64 exec, exec, s[8:9]
	s_and_b64 s[4:5], s[4:5], exec
	s_or_saveexec_b64 s[6:7], s[6:7]
	v_mov_b32_e32 v2, s10
	s_xor_b64 exec, exec, s[6:7]
	s_cbranch_execz .LBB6_322
.LBB6_2372:
	v_mov_b32_e32 v2, 0
	v_cmp_ne_u16_sdwa s[8:9], v8, v2 src0_sel:BYTE_0 src1_sel:DWORD
	s_andn2_b64 s[4:5], s[4:5], exec
	s_and_b64 s[8:9], s[8:9], exec
	s_or_b64 s[4:5], s[4:5], s[8:9]
	s_or_b64 exec, exec, s[6:7]
	s_and_saveexec_b64 s[6:7], s[4:5]
	s_cbranch_execnz .LBB6_323
	s_branch .LBB6_324
.LBB6_2373:
	s_movk_i32 s4, 0x80
	v_cmp_eq_u16_sdwa s[12:13], v4, s4 src0_sel:BYTE_0 src1_sel:DWORD
	s_mov_b64 s[4:5], -1
                                        ; implicit-def: $sgpr10
	s_and_saveexec_b64 s[8:9], s[12:13]
; %bb.2374:
	s_mov_b32 s10, 0x7f800001
	s_xor_b64 s[4:5], exec, -1
; %bb.2375:
	s_or_b64 exec, exec, s[8:9]
	s_and_b64 s[4:5], s[4:5], exec
	s_or_saveexec_b64 s[6:7], s[6:7]
	v_mov_b32_e32 v3, s10
	s_xor_b64 exec, exec, s[6:7]
	s_cbranch_execz .LBB6_326
.LBB6_2376:
	v_mov_b32_e32 v3, 0
	v_cmp_ne_u16_sdwa s[8:9], v4, v3 src0_sel:BYTE_0 src1_sel:DWORD
	s_andn2_b64 s[4:5], s[4:5], exec
	s_and_b64 s[8:9], s[8:9], exec
	s_or_b64 s[4:5], s[4:5], s[8:9]
	s_or_b64 exec, exec, s[6:7]
	s_and_saveexec_b64 s[6:7], s[4:5]
	s_cbranch_execnz .LBB6_327
	s_branch .LBB6_328
.LBB6_2377:
	s_movk_i32 s4, 0x80
	v_cmp_eq_u16_sdwa s[12:13], v3, s4 src0_sel:BYTE_0 src1_sel:DWORD
	s_mov_b64 s[4:5], -1
                                        ; implicit-def: $sgpr10
	s_and_saveexec_b64 s[8:9], s[12:13]
; %bb.2378:
	s_mov_b32 s10, 0x7f800001
	s_xor_b64 s[4:5], exec, -1
; %bb.2379:
	s_or_b64 exec, exec, s[8:9]
	s_and_b64 s[4:5], s[4:5], exec
	s_or_saveexec_b64 s[6:7], s[6:7]
	v_mov_b32_e32 v2, s10
	s_xor_b64 exec, exec, s[6:7]
	s_cbranch_execz .LBB6_330
.LBB6_2380:
	v_mov_b32_e32 v2, 0
	v_cmp_ne_u16_sdwa s[8:9], v3, v2 src0_sel:BYTE_0 src1_sel:DWORD
	s_andn2_b64 s[4:5], s[4:5], exec
	s_and_b64 s[8:9], s[8:9], exec
	s_or_b64 s[4:5], s[4:5], s[8:9]
	s_or_b64 exec, exec, s[6:7]
	s_and_saveexec_b64 s[6:7], s[4:5]
	s_cbranch_execnz .LBB6_331
	s_branch .LBB6_332
.LBB6_2381:
	s_movk_i32 s4, 0x80
	v_cmp_eq_u16_sdwa s[12:13], v3, s4 src0_sel:BYTE_0 src1_sel:DWORD
	s_mov_b64 s[4:5], -1
                                        ; implicit-def: $sgpr10
	s_and_saveexec_b64 s[8:9], s[12:13]
; %bb.2382:
	s_mov_b32 s10, 0x7f800001
	s_xor_b64 s[4:5], exec, -1
; %bb.2383:
	s_or_b64 exec, exec, s[8:9]
	s_and_b64 s[4:5], s[4:5], exec
	s_or_saveexec_b64 s[6:7], s[6:7]
	v_mov_b32_e32 v6, s10
	s_xor_b64 exec, exec, s[6:7]
	s_cbranch_execz .LBB6_334
.LBB6_2384:
	v_mov_b32_e32 v6, 0
	v_cmp_ne_u16_sdwa s[8:9], v3, v6 src0_sel:BYTE_0 src1_sel:DWORD
	s_andn2_b64 s[4:5], s[4:5], exec
	s_and_b64 s[8:9], s[8:9], exec
	s_or_b64 s[4:5], s[4:5], s[8:9]
	s_or_b64 exec, exec, s[6:7]
	s_and_saveexec_b64 s[6:7], s[4:5]
	s_cbranch_execnz .LBB6_335
	s_branch .LBB6_336
.LBB6_2385:
	s_movk_i32 s4, 0x80
	v_cmp_eq_u16_e32 vcc, s4, v3
	s_mov_b64 s[4:5], -1
                                        ; implicit-def: $sgpr10
	s_and_saveexec_b64 s[8:9], vcc
; %bb.2386:
	s_mov_b32 s10, 0x7f800001
	s_xor_b64 s[4:5], exec, -1
; %bb.2387:
	s_or_b64 exec, exec, s[8:9]
	s_and_b64 s[4:5], s[4:5], exec
                                        ; implicit-def: $vgpr3
	s_or_saveexec_b64 s[6:7], s[6:7]
	v_mov_b32_e32 v2, s10
	s_xor_b64 exec, exec, s[6:7]
	s_cbranch_execz .LBB6_338
.LBB6_2388:
	v_cmp_ne_u16_e32 vcc, 0, v3
	s_andn2_b64 s[4:5], s[4:5], exec
	s_and_b64 s[8:9], vcc, exec
	v_mov_b32_e32 v2, 0
	s_or_b64 s[4:5], s[4:5], s[8:9]
	s_or_b64 exec, exec, s[6:7]
	s_and_saveexec_b64 s[6:7], s[4:5]
	s_cbranch_execnz .LBB6_339
	s_branch .LBB6_340
.LBB6_2389:
	s_movk_i32 s4, 0x80
	v_cmp_eq_u16_e32 vcc, s4, v3
	s_mov_b64 s[4:5], -1
                                        ; implicit-def: $sgpr10
	s_and_saveexec_b64 s[8:9], vcc
; %bb.2390:
	s_mov_b32 s10, 0x7f800001
	s_xor_b64 s[4:5], exec, -1
; %bb.2391:
	s_or_b64 exec, exec, s[8:9]
	s_and_b64 s[4:5], s[4:5], exec
                                        ; implicit-def: $vgpr3
	s_or_saveexec_b64 s[6:7], s[6:7]
	v_mov_b32_e32 v6, s10
	s_xor_b64 exec, exec, s[6:7]
	s_cbranch_execz .LBB6_342
.LBB6_2392:
	v_cmp_ne_u16_e32 vcc, 0, v3
	s_andn2_b64 s[4:5], s[4:5], exec
	s_and_b64 s[8:9], vcc, exec
	v_mov_b32_e32 v6, 0
	s_or_b64 s[4:5], s[4:5], s[8:9]
	s_or_b64 exec, exec, s[6:7]
	s_and_saveexec_b64 s[6:7], s[4:5]
	s_cbranch_execnz .LBB6_343
	s_branch .LBB6_344
.LBB6_2393:
	s_movk_i32 s4, 0x80
	v_cmp_eq_u16_sdwa s[12:13], v8, s4 src0_sel:BYTE_3 src1_sel:DWORD
	s_mov_b64 s[4:5], -1
                                        ; implicit-def: $sgpr10
	s_and_saveexec_b64 s[8:9], s[12:13]
; %bb.2394:
	s_mov_b32 s10, 0x7f800001
	s_xor_b64 s[4:5], exec, -1
; %bb.2395:
	s_or_b64 exec, exec, s[8:9]
	s_and_b64 s[4:5], s[4:5], exec
	s_or_saveexec_b64 s[6:7], s[6:7]
	v_mov_b32_e32 v2, s10
	s_xor_b64 exec, exec, s[6:7]
	s_cbranch_execz .LBB6_346
.LBB6_2396:
	v_mov_b32_e32 v2, 0
	v_cmp_ne_u16_sdwa s[8:9], v8, v2 src0_sel:BYTE_3 src1_sel:DWORD
	s_andn2_b64 s[4:5], s[4:5], exec
	s_and_b64 s[8:9], s[8:9], exec
	s_or_b64 s[4:5], s[4:5], s[8:9]
	s_or_b64 exec, exec, s[6:7]
	s_and_saveexec_b64 s[6:7], s[4:5]
	s_cbranch_execnz .LBB6_347
	s_branch .LBB6_348
.LBB6_2397:
	s_movk_i32 s4, 0x80
	v_cmp_eq_u16_sdwa s[12:13], v4, s4 src0_sel:BYTE_3 src1_sel:DWORD
	s_mov_b64 s[4:5], -1
                                        ; implicit-def: $sgpr10
	s_and_saveexec_b64 s[8:9], s[12:13]
; %bb.2398:
	s_mov_b32 s10, 0x7f800001
	s_xor_b64 s[4:5], exec, -1
; %bb.2399:
	s_or_b64 exec, exec, s[8:9]
	s_and_b64 s[4:5], s[4:5], exec
	s_or_saveexec_b64 s[6:7], s[6:7]
	v_mov_b32_e32 v3, s10
	s_xor_b64 exec, exec, s[6:7]
	s_cbranch_execz .LBB6_350
.LBB6_2400:
	v_mov_b32_e32 v3, 0
	v_cmp_ne_u16_sdwa s[8:9], v4, v3 src0_sel:BYTE_3 src1_sel:DWORD
	s_andn2_b64 s[4:5], s[4:5], exec
	s_and_b64 s[8:9], s[8:9], exec
	s_or_b64 s[4:5], s[4:5], s[8:9]
	s_or_b64 exec, exec, s[6:7]
	s_and_saveexec_b64 s[6:7], s[4:5]
	s_cbranch_execnz .LBB6_351
	s_branch .LBB6_352
.LBB6_2401:
	s_movk_i32 s4, 0x80
	v_cmp_eq_u16_sdwa s[12:13], v9, s4 src0_sel:BYTE_0 src1_sel:DWORD
	s_mov_b64 s[4:5], -1
                                        ; implicit-def: $sgpr10
	s_and_saveexec_b64 s[8:9], s[12:13]
; %bb.2402:
	s_mov_b32 s10, 0x7f800001
	s_xor_b64 s[4:5], exec, -1
; %bb.2403:
	s_or_b64 exec, exec, s[8:9]
	s_and_b64 s[4:5], s[4:5], exec
	s_or_saveexec_b64 s[6:7], s[6:7]
	v_mov_b32_e32 v2, s10
	s_xor_b64 exec, exec, s[6:7]
	s_cbranch_execz .LBB6_354
.LBB6_2404:
	v_mov_b32_e32 v2, 0
	v_cmp_ne_u16_sdwa s[8:9], v9, v2 src0_sel:BYTE_0 src1_sel:DWORD
	s_andn2_b64 s[4:5], s[4:5], exec
	s_and_b64 s[8:9], s[8:9], exec
	s_or_b64 s[4:5], s[4:5], s[8:9]
	s_or_b64 exec, exec, s[6:7]
	s_and_saveexec_b64 s[6:7], s[4:5]
	s_cbranch_execnz .LBB6_355
	s_branch .LBB6_356
.LBB6_2405:
	s_movk_i32 s4, 0x80
	v_cmp_eq_u16_sdwa s[12:13], v5, s4 src0_sel:BYTE_0 src1_sel:DWORD
	s_mov_b64 s[4:5], -1
                                        ; implicit-def: $sgpr10
	s_and_saveexec_b64 s[8:9], s[12:13]
; %bb.2406:
	s_mov_b32 s10, 0x7f800001
	s_xor_b64 s[4:5], exec, -1
; %bb.2407:
	s_or_b64 exec, exec, s[8:9]
	s_and_b64 s[4:5], s[4:5], exec
	s_or_saveexec_b64 s[6:7], s[6:7]
	v_mov_b32_e32 v3, s10
	s_xor_b64 exec, exec, s[6:7]
	s_cbranch_execz .LBB6_358
.LBB6_2408:
	v_mov_b32_e32 v3, 0
	v_cmp_ne_u16_sdwa s[8:9], v5, v3 src0_sel:BYTE_0 src1_sel:DWORD
	s_andn2_b64 s[4:5], s[4:5], exec
	s_and_b64 s[8:9], s[8:9], exec
	s_or_b64 s[4:5], s[4:5], s[8:9]
	s_or_b64 exec, exec, s[6:7]
	s_and_saveexec_b64 s[6:7], s[4:5]
	s_cbranch_execnz .LBB6_359
	s_branch .LBB6_360
.LBB6_2409:
	s_movk_i32 s4, 0x80
	v_cmp_eq_u16_sdwa s[12:13], v3, s4 src0_sel:BYTE_0 src1_sel:DWORD
	s_mov_b64 s[4:5], -1
                                        ; implicit-def: $sgpr10
	s_and_saveexec_b64 s[8:9], s[12:13]
; %bb.2410:
	s_mov_b32 s10, 0x7f800001
	s_xor_b64 s[4:5], exec, -1
; %bb.2411:
	s_or_b64 exec, exec, s[8:9]
	s_and_b64 s[4:5], s[4:5], exec
	s_or_saveexec_b64 s[6:7], s[6:7]
	v_mov_b32_e32 v2, s10
	s_xor_b64 exec, exec, s[6:7]
	s_cbranch_execz .LBB6_362
.LBB6_2412:
	v_mov_b32_e32 v2, 0
	v_cmp_ne_u16_sdwa s[8:9], v3, v2 src0_sel:BYTE_0 src1_sel:DWORD
	s_andn2_b64 s[4:5], s[4:5], exec
	s_and_b64 s[8:9], s[8:9], exec
	s_or_b64 s[4:5], s[4:5], s[8:9]
	s_or_b64 exec, exec, s[6:7]
	s_and_saveexec_b64 s[6:7], s[4:5]
	s_cbranch_execnz .LBB6_363
	s_branch .LBB6_364
.LBB6_2413:
	s_movk_i32 s4, 0x80
	v_cmp_eq_u16_sdwa s[12:13], v3, s4 src0_sel:BYTE_0 src1_sel:DWORD
	s_mov_b64 s[4:5], -1
                                        ; implicit-def: $sgpr10
	s_and_saveexec_b64 s[8:9], s[12:13]
; %bb.2414:
	s_mov_b32 s10, 0x7f800001
	s_xor_b64 s[4:5], exec, -1
; %bb.2415:
	s_or_b64 exec, exec, s[8:9]
	s_and_b64 s[4:5], s[4:5], exec
	s_or_saveexec_b64 s[6:7], s[6:7]
	v_mov_b32_e32 v4, s10
	s_xor_b64 exec, exec, s[6:7]
	s_cbranch_execz .LBB6_366
.LBB6_2416:
	v_mov_b32_e32 v4, 0
	v_cmp_ne_u16_sdwa s[8:9], v3, v4 src0_sel:BYTE_0 src1_sel:DWORD
	s_andn2_b64 s[4:5], s[4:5], exec
	s_and_b64 s[8:9], s[8:9], exec
	s_or_b64 s[4:5], s[4:5], s[8:9]
	s_or_b64 exec, exec, s[6:7]
	s_and_saveexec_b64 s[6:7], s[4:5]
	s_cbranch_execnz .LBB6_367
	s_branch .LBB6_368
.LBB6_2417:
	s_movk_i32 s4, 0x80
	v_cmp_eq_u16_e32 vcc, s4, v3
	s_mov_b64 s[4:5], -1
                                        ; implicit-def: $sgpr10
	s_and_saveexec_b64 s[8:9], vcc
; %bb.2418:
	s_mov_b32 s10, 0x7f800001
	s_xor_b64 s[4:5], exec, -1
; %bb.2419:
	s_or_b64 exec, exec, s[8:9]
	s_and_b64 s[4:5], s[4:5], exec
                                        ; implicit-def: $vgpr3
	s_or_saveexec_b64 s[6:7], s[6:7]
	v_mov_b32_e32 v2, s10
	s_xor_b64 exec, exec, s[6:7]
	s_cbranch_execz .LBB6_370
.LBB6_2420:
	v_cmp_ne_u16_e32 vcc, 0, v3
	s_andn2_b64 s[4:5], s[4:5], exec
	s_and_b64 s[8:9], vcc, exec
	v_mov_b32_e32 v2, 0
	s_or_b64 s[4:5], s[4:5], s[8:9]
	s_or_b64 exec, exec, s[6:7]
	s_and_saveexec_b64 s[6:7], s[4:5]
	s_cbranch_execnz .LBB6_371
	s_branch .LBB6_372
.LBB6_2421:
	s_movk_i32 s4, 0x80
	v_cmp_eq_u16_e32 vcc, s4, v3
	s_mov_b64 s[4:5], -1
                                        ; implicit-def: $sgpr10
	s_and_saveexec_b64 s[8:9], vcc
; %bb.2422:
	s_mov_b32 s10, 0x7f800001
	s_xor_b64 s[4:5], exec, -1
; %bb.2423:
	s_or_b64 exec, exec, s[8:9]
	s_and_b64 s[4:5], s[4:5], exec
                                        ; implicit-def: $vgpr3
	s_or_saveexec_b64 s[6:7], s[6:7]
	v_mov_b32_e32 v4, s10
	s_xor_b64 exec, exec, s[6:7]
	s_cbranch_execz .LBB6_374
.LBB6_2424:
	v_cmp_ne_u16_e32 vcc, 0, v3
	s_andn2_b64 s[4:5], s[4:5], exec
	s_and_b64 s[8:9], vcc, exec
	v_mov_b32_e32 v4, 0
	s_or_b64 s[4:5], s[4:5], s[8:9]
	s_or_b64 exec, exec, s[6:7]
	s_and_saveexec_b64 s[6:7], s[4:5]
	s_cbranch_execnz .LBB6_375
	s_branch .LBB6_376
.LBB6_2425:
	s_movk_i32 s4, 0x80
	v_cmp_eq_u16_sdwa s[12:13], v9, s4 src0_sel:BYTE_3 src1_sel:DWORD
	s_mov_b64 s[4:5], -1
                                        ; implicit-def: $sgpr10
	s_and_saveexec_b64 s[8:9], s[12:13]
; %bb.2426:
	s_mov_b32 s10, 0x7f800001
	s_xor_b64 s[4:5], exec, -1
; %bb.2427:
	s_or_b64 exec, exec, s[8:9]
	s_and_b64 s[4:5], s[4:5], exec
	s_or_saveexec_b64 s[6:7], s[6:7]
	v_mov_b32_e32 v2, s10
	s_xor_b64 exec, exec, s[6:7]
	s_cbranch_execz .LBB6_378
.LBB6_2428:
	v_mov_b32_e32 v2, 0
	v_cmp_ne_u16_sdwa s[8:9], v9, v2 src0_sel:BYTE_3 src1_sel:DWORD
	s_andn2_b64 s[4:5], s[4:5], exec
	s_and_b64 s[8:9], s[8:9], exec
	s_or_b64 s[4:5], s[4:5], s[8:9]
	s_or_b64 exec, exec, s[6:7]
	s_and_saveexec_b64 s[6:7], s[4:5]
	s_cbranch_execnz .LBB6_379
	s_branch .LBB6_380
.LBB6_2429:
	s_movk_i32 s4, 0x80
	v_cmp_eq_u16_sdwa s[12:13], v5, s4 src0_sel:BYTE_3 src1_sel:DWORD
	s_mov_b64 s[4:5], -1
                                        ; implicit-def: $sgpr10
	s_and_saveexec_b64 s[8:9], s[12:13]
; %bb.2430:
	s_mov_b32 s10, 0x7f800001
	s_xor_b64 s[4:5], exec, -1
; %bb.2431:
	s_or_b64 exec, exec, s[8:9]
	s_and_b64 s[4:5], s[4:5], exec
	s_or_saveexec_b64 s[6:7], s[6:7]
	v_mov_b32_e32 v3, s10
	s_xor_b64 exec, exec, s[6:7]
	s_cbranch_execz .LBB6_382
.LBB6_2432:
	v_mov_b32_e32 v3, 0
	v_cmp_ne_u16_sdwa s[8:9], v5, v3 src0_sel:BYTE_3 src1_sel:DWORD
	s_andn2_b64 s[4:5], s[4:5], exec
	s_and_b64 s[8:9], s[8:9], exec
	s_or_b64 s[4:5], s[4:5], s[8:9]
	s_or_b64 exec, exec, s[6:7]
	s_and_saveexec_b64 s[6:7], s[4:5]
	s_cbranch_execnz .LBB6_383
	s_branch .LBB6_384
.LBB6_2433:
	s_movk_i32 s4, 0x80
	v_cmp_eq_u16_sdwa s[12:13], v6, s4 src0_sel:BYTE_0 src1_sel:DWORD
	s_mov_b64 s[4:5], -1
                                        ; implicit-def: $sgpr10
	s_and_saveexec_b64 s[8:9], s[12:13]
; %bb.2434:
	s_mov_b32 s10, 0x7f800001
	s_xor_b64 s[4:5], exec, -1
; %bb.2435:
	s_or_b64 exec, exec, s[8:9]
	s_and_b64 s[4:5], s[4:5], exec
	s_or_saveexec_b64 s[6:7], s[6:7]
	v_mov_b32_e32 v12, s10
	s_xor_b64 exec, exec, s[6:7]
	s_cbranch_execz .LBB6_386
.LBB6_2436:
	v_mov_b32_e32 v12, 0
	v_cmp_ne_u16_sdwa s[8:9], v6, v12 src0_sel:BYTE_0 src1_sel:DWORD
	s_andn2_b64 s[4:5], s[4:5], exec
	s_and_b64 s[8:9], s[8:9], exec
	s_or_b64 s[4:5], s[4:5], s[8:9]
	s_or_b64 exec, exec, s[6:7]
	s_and_saveexec_b64 s[6:7], s[4:5]
	s_cbranch_execnz .LBB6_387
	s_branch .LBB6_388
.LBB6_2437:
	s_movk_i32 s4, 0x80
	v_cmp_eq_u16_sdwa s[12:13], v2, s4 src0_sel:BYTE_0 src1_sel:DWORD
	s_mov_b64 s[4:5], -1
                                        ; implicit-def: $sgpr10
	s_and_saveexec_b64 s[8:9], s[12:13]
; %bb.2438:
	s_mov_b32 s10, 0x7f800001
	s_xor_b64 s[4:5], exec, -1
; %bb.2439:
	s_or_b64 exec, exec, s[8:9]
	s_and_b64 s[4:5], s[4:5], exec
	s_or_saveexec_b64 s[6:7], s[6:7]
	v_mov_b32_e32 v13, s10
	s_xor_b64 exec, exec, s[6:7]
	s_cbranch_execz .LBB6_390
.LBB6_2440:
	v_mov_b32_e32 v13, 0
	v_cmp_ne_u16_sdwa s[8:9], v2, v13 src0_sel:BYTE_0 src1_sel:DWORD
	s_andn2_b64 s[4:5], s[4:5], exec
	s_and_b64 s[8:9], s[8:9], exec
	s_or_b64 s[4:5], s[4:5], s[8:9]
	s_or_b64 exec, exec, s[6:7]
	s_and_saveexec_b64 s[6:7], s[4:5]
	s_cbranch_execnz .LBB6_391
	s_branch .LBB6_392
.LBB6_2441:
	s_movk_i32 s4, 0x80
	v_cmp_eq_u16_sdwa s[12:13], v13, s4 src0_sel:BYTE_0 src1_sel:DWORD
	s_mov_b64 s[4:5], -1
                                        ; implicit-def: $sgpr10
	s_and_saveexec_b64 s[8:9], s[12:13]
; %bb.2442:
	s_mov_b32 s10, 0x7f800001
	s_xor_b64 s[4:5], exec, -1
; %bb.2443:
	s_or_b64 exec, exec, s[8:9]
	s_and_b64 s[4:5], s[4:5], exec
	s_or_saveexec_b64 s[6:7], s[6:7]
	v_mov_b32_e32 v12, s10
	s_xor_b64 exec, exec, s[6:7]
	s_cbranch_execz .LBB6_394
.LBB6_2444:
	v_mov_b32_e32 v12, 0
	v_cmp_ne_u16_sdwa s[8:9], v13, v12 src0_sel:BYTE_0 src1_sel:DWORD
	s_andn2_b64 s[4:5], s[4:5], exec
	s_and_b64 s[8:9], s[8:9], exec
	s_or_b64 s[4:5], s[4:5], s[8:9]
	s_or_b64 exec, exec, s[6:7]
	s_and_saveexec_b64 s[6:7], s[4:5]
	s_cbranch_execnz .LBB6_395
	s_branch .LBB6_396
.LBB6_2445:
	s_movk_i32 s4, 0x80
	v_cmp_eq_u16_sdwa s[12:13], v13, s4 src0_sel:BYTE_0 src1_sel:DWORD
	s_mov_b64 s[4:5], -1
                                        ; implicit-def: $sgpr10
	s_and_saveexec_b64 s[8:9], s[12:13]
; %bb.2446:
	s_mov_b32 s10, 0x7f800001
	s_xor_b64 s[4:5], exec, -1
; %bb.2447:
	s_or_b64 exec, exec, s[8:9]
	s_and_b64 s[4:5], s[4:5], exec
	s_or_saveexec_b64 s[6:7], s[6:7]
	v_mov_b32_e32 v14, s10
	s_xor_b64 exec, exec, s[6:7]
	s_cbranch_execz .LBB6_398
.LBB6_2448:
	v_mov_b32_e32 v14, 0
	v_cmp_ne_u16_sdwa s[8:9], v13, v14 src0_sel:BYTE_0 src1_sel:DWORD
	s_andn2_b64 s[4:5], s[4:5], exec
	s_and_b64 s[8:9], s[8:9], exec
	s_or_b64 s[4:5], s[4:5], s[8:9]
	s_or_b64 exec, exec, s[6:7]
	s_and_saveexec_b64 s[6:7], s[4:5]
	s_cbranch_execnz .LBB6_399
	s_branch .LBB6_400
.LBB6_2449:
	s_movk_i32 s4, 0x80
	v_cmp_eq_u16_e32 vcc, s4, v13
	s_mov_b64 s[4:5], -1
                                        ; implicit-def: $sgpr10
	s_and_saveexec_b64 s[8:9], vcc
; %bb.2450:
	s_mov_b32 s10, 0x7f800001
	s_xor_b64 s[4:5], exec, -1
; %bb.2451:
	s_or_b64 exec, exec, s[8:9]
	s_and_b64 s[4:5], s[4:5], exec
                                        ; implicit-def: $vgpr13
	s_or_saveexec_b64 s[6:7], s[6:7]
	v_mov_b32_e32 v12, s10
	s_xor_b64 exec, exec, s[6:7]
	s_cbranch_execz .LBB6_402
.LBB6_2452:
	v_cmp_ne_u16_e32 vcc, 0, v13
	s_andn2_b64 s[4:5], s[4:5], exec
	s_and_b64 s[8:9], vcc, exec
	v_mov_b32_e32 v12, 0
	s_or_b64 s[4:5], s[4:5], s[8:9]
	s_or_b64 exec, exec, s[6:7]
	s_and_saveexec_b64 s[6:7], s[4:5]
	s_cbranch_execnz .LBB6_403
	s_branch .LBB6_404
.LBB6_2453:
	s_movk_i32 s4, 0x80
	v_cmp_eq_u16_e32 vcc, s4, v13
	s_mov_b64 s[4:5], -1
                                        ; implicit-def: $sgpr10
	s_and_saveexec_b64 s[8:9], vcc
; %bb.2454:
	s_mov_b32 s10, 0x7f800001
	s_xor_b64 s[4:5], exec, -1
; %bb.2455:
	s_or_b64 exec, exec, s[8:9]
	s_and_b64 s[4:5], s[4:5], exec
                                        ; implicit-def: $vgpr13
	s_or_saveexec_b64 s[6:7], s[6:7]
	v_mov_b32_e32 v14, s10
	s_xor_b64 exec, exec, s[6:7]
	s_cbranch_execz .LBB6_406
.LBB6_2456:
	v_cmp_ne_u16_e32 vcc, 0, v13
	s_andn2_b64 s[4:5], s[4:5], exec
	s_and_b64 s[8:9], vcc, exec
	v_mov_b32_e32 v14, 0
	s_or_b64 s[4:5], s[4:5], s[8:9]
	s_or_b64 exec, exec, s[6:7]
	s_and_saveexec_b64 s[6:7], s[4:5]
	s_cbranch_execnz .LBB6_407
	s_branch .LBB6_408
.LBB6_2457:
	s_movk_i32 s4, 0x80
	v_cmp_eq_u16_sdwa s[12:13], v6, s4 src0_sel:BYTE_3 src1_sel:DWORD
	s_mov_b64 s[4:5], -1
                                        ; implicit-def: $sgpr10
	s_and_saveexec_b64 s[8:9], s[12:13]
; %bb.2458:
	s_mov_b32 s10, 0x7f800001
	s_xor_b64 s[4:5], exec, -1
; %bb.2459:
	s_or_b64 exec, exec, s[8:9]
	s_and_b64 s[4:5], s[4:5], exec
	s_or_saveexec_b64 s[6:7], s[6:7]
	v_mov_b32_e32 v12, s10
	s_xor_b64 exec, exec, s[6:7]
	s_cbranch_execz .LBB6_410
.LBB6_2460:
	v_mov_b32_e32 v12, 0
	v_cmp_ne_u16_sdwa s[8:9], v6, v12 src0_sel:BYTE_3 src1_sel:DWORD
	s_andn2_b64 s[4:5], s[4:5], exec
	s_and_b64 s[8:9], s[8:9], exec
	s_or_b64 s[4:5], s[4:5], s[8:9]
	s_or_b64 exec, exec, s[6:7]
	s_and_saveexec_b64 s[6:7], s[4:5]
	s_cbranch_execnz .LBB6_411
	s_branch .LBB6_412
.LBB6_2461:
	s_movk_i32 s4, 0x80
	v_cmp_eq_u16_sdwa s[12:13], v2, s4 src0_sel:BYTE_3 src1_sel:DWORD
	s_mov_b64 s[4:5], -1
                                        ; implicit-def: $sgpr10
	s_and_saveexec_b64 s[8:9], s[12:13]
; %bb.2462:
	s_mov_b32 s10, 0x7f800001
	s_xor_b64 s[4:5], exec, -1
; %bb.2463:
	s_or_b64 exec, exec, s[8:9]
	s_and_b64 s[4:5], s[4:5], exec
	s_or_saveexec_b64 s[6:7], s[6:7]
	v_mov_b32_e32 v6, s10
	s_xor_b64 exec, exec, s[6:7]
	s_cbranch_execz .LBB6_414
.LBB6_2464:
	v_mov_b32_e32 v6, 0
	v_cmp_ne_u16_sdwa s[8:9], v2, v6 src0_sel:BYTE_3 src1_sel:DWORD
	s_andn2_b64 s[4:5], s[4:5], exec
	s_and_b64 s[8:9], s[8:9], exec
	s_or_b64 s[4:5], s[4:5], s[8:9]
	s_or_b64 exec, exec, s[6:7]
	s_and_saveexec_b64 s[6:7], s[4:5]
	s_cbranch_execnz .LBB6_415
	s_branch .LBB6_416
.LBB6_2465:
	s_movk_i32 s4, 0x80
	v_cmp_eq_u16_sdwa s[12:13], v7, s4 src0_sel:BYTE_0 src1_sel:DWORD
	s_mov_b64 s[4:5], -1
                                        ; implicit-def: $sgpr10
	s_and_saveexec_b64 s[8:9], s[12:13]
; %bb.2466:
	s_mov_b32 s10, 0x7f800001
	s_xor_b64 s[4:5], exec, -1
; %bb.2467:
	s_or_b64 exec, exec, s[8:9]
	s_and_b64 s[4:5], s[4:5], exec
	s_or_saveexec_b64 s[6:7], s[6:7]
	v_mov_b32_e32 v2, s10
	s_xor_b64 exec, exec, s[6:7]
	s_cbranch_execz .LBB6_418
.LBB6_2468:
	v_mov_b32_e32 v2, 0
	v_cmp_ne_u16_sdwa s[8:9], v7, v2 src0_sel:BYTE_0 src1_sel:DWORD
	s_andn2_b64 s[4:5], s[4:5], exec
	s_and_b64 s[8:9], s[8:9], exec
	s_or_b64 s[4:5], s[4:5], s[8:9]
	s_or_b64 exec, exec, s[6:7]
	s_and_saveexec_b64 s[6:7], s[4:5]
	s_cbranch_execnz .LBB6_419
	s_branch .LBB6_420
.LBB6_2469:
	s_movk_i32 s4, 0x80
	v_cmp_eq_u16_sdwa s[12:13], v3, s4 src0_sel:BYTE_0 src1_sel:DWORD
	s_mov_b64 s[4:5], -1
                                        ; implicit-def: $sgpr10
	s_and_saveexec_b64 s[8:9], s[12:13]
; %bb.2470:
	s_mov_b32 s10, 0x7f800001
	s_xor_b64 s[4:5], exec, -1
; %bb.2471:
	s_or_b64 exec, exec, s[8:9]
	s_and_b64 s[4:5], s[4:5], exec
	s_or_saveexec_b64 s[6:7], s[6:7]
	v_mov_b32_e32 v6, s10
	s_xor_b64 exec, exec, s[6:7]
	s_cbranch_execz .LBB6_422
.LBB6_2472:
	v_mov_b32_e32 v6, 0
	v_cmp_ne_u16_sdwa s[8:9], v3, v6 src0_sel:BYTE_0 src1_sel:DWORD
	s_andn2_b64 s[4:5], s[4:5], exec
	s_and_b64 s[8:9], s[8:9], exec
	s_or_b64 s[4:5], s[4:5], s[8:9]
	s_or_b64 exec, exec, s[6:7]
	s_and_saveexec_b64 s[6:7], s[4:5]
	s_cbranch_execnz .LBB6_423
	s_branch .LBB6_424
.LBB6_2473:
	s_movk_i32 s4, 0x80
	v_cmp_eq_u16_sdwa s[12:13], v6, s4 src0_sel:BYTE_0 src1_sel:DWORD
	s_mov_b64 s[4:5], -1
                                        ; implicit-def: $sgpr10
	s_and_saveexec_b64 s[8:9], s[12:13]
; %bb.2474:
	s_mov_b32 s10, 0x7f800001
	s_xor_b64 s[4:5], exec, -1
; %bb.2475:
	s_or_b64 exec, exec, s[8:9]
	s_and_b64 s[4:5], s[4:5], exec
	s_or_saveexec_b64 s[6:7], s[6:7]
	v_mov_b32_e32 v2, s10
	s_xor_b64 exec, exec, s[6:7]
	s_cbranch_execz .LBB6_426
.LBB6_2476:
	v_mov_b32_e32 v2, 0
	v_cmp_ne_u16_sdwa s[8:9], v6, v2 src0_sel:BYTE_0 src1_sel:DWORD
	s_andn2_b64 s[4:5], s[4:5], exec
	s_and_b64 s[8:9], s[8:9], exec
	s_or_b64 s[4:5], s[4:5], s[8:9]
	s_or_b64 exec, exec, s[6:7]
	s_and_saveexec_b64 s[6:7], s[4:5]
	s_cbranch_execnz .LBB6_427
	s_branch .LBB6_428
.LBB6_2477:
	s_movk_i32 s4, 0x80
	v_cmp_eq_u16_sdwa s[12:13], v6, s4 src0_sel:BYTE_0 src1_sel:DWORD
	s_mov_b64 s[4:5], -1
                                        ; implicit-def: $sgpr10
	s_and_saveexec_b64 s[8:9], s[12:13]
; %bb.2478:
	s_mov_b32 s10, 0x7f800001
	s_xor_b64 s[4:5], exec, -1
; %bb.2479:
	s_or_b64 exec, exec, s[8:9]
	s_and_b64 s[4:5], s[4:5], exec
	s_or_saveexec_b64 s[6:7], s[6:7]
	v_mov_b32_e32 v12, s10
	s_xor_b64 exec, exec, s[6:7]
	s_cbranch_execz .LBB6_430
.LBB6_2480:
	v_mov_b32_e32 v12, 0
	v_cmp_ne_u16_sdwa s[8:9], v6, v12 src0_sel:BYTE_0 src1_sel:DWORD
	s_andn2_b64 s[4:5], s[4:5], exec
	s_and_b64 s[8:9], s[8:9], exec
	s_or_b64 s[4:5], s[4:5], s[8:9]
	s_or_b64 exec, exec, s[6:7]
	s_and_saveexec_b64 s[6:7], s[4:5]
	s_cbranch_execnz .LBB6_431
	s_branch .LBB6_432
.LBB6_2481:
	s_movk_i32 s4, 0x80
	v_cmp_eq_u16_e32 vcc, s4, v6
	s_mov_b64 s[4:5], -1
                                        ; implicit-def: $sgpr10
	s_and_saveexec_b64 s[8:9], vcc
; %bb.2482:
	s_mov_b32 s10, 0x7f800001
	s_xor_b64 s[4:5], exec, -1
; %bb.2483:
	s_or_b64 exec, exec, s[8:9]
	s_and_b64 s[4:5], s[4:5], exec
                                        ; implicit-def: $vgpr6
	s_or_saveexec_b64 s[6:7], s[6:7]
	v_mov_b32_e32 v2, s10
	s_xor_b64 exec, exec, s[6:7]
	s_cbranch_execz .LBB6_434
.LBB6_2484:
	v_cmp_ne_u16_e32 vcc, 0, v6
	s_andn2_b64 s[4:5], s[4:5], exec
	s_and_b64 s[8:9], vcc, exec
	v_mov_b32_e32 v2, 0
	s_or_b64 s[4:5], s[4:5], s[8:9]
	s_or_b64 exec, exec, s[6:7]
	s_and_saveexec_b64 s[6:7], s[4:5]
	s_cbranch_execnz .LBB6_435
	s_branch .LBB6_436
.LBB6_2485:
	s_movk_i32 s4, 0x80
	v_cmp_eq_u16_e32 vcc, s4, v6
	s_mov_b64 s[4:5], -1
                                        ; implicit-def: $sgpr10
	s_and_saveexec_b64 s[8:9], vcc
; %bb.2486:
	s_mov_b32 s10, 0x7f800001
	s_xor_b64 s[4:5], exec, -1
; %bb.2487:
	s_or_b64 exec, exec, s[8:9]
	s_and_b64 s[4:5], s[4:5], exec
                                        ; implicit-def: $vgpr6
	s_or_saveexec_b64 s[6:7], s[6:7]
	v_mov_b32_e32 v12, s10
	s_xor_b64 exec, exec, s[6:7]
	s_cbranch_execz .LBB6_438
.LBB6_2488:
	v_cmp_ne_u16_e32 vcc, 0, v6
	s_andn2_b64 s[4:5], s[4:5], exec
	s_and_b64 s[8:9], vcc, exec
	v_mov_b32_e32 v12, 0
	s_or_b64 s[4:5], s[4:5], s[8:9]
	s_or_b64 exec, exec, s[6:7]
	s_and_saveexec_b64 s[6:7], s[4:5]
	s_cbranch_execnz .LBB6_439
	s_branch .LBB6_440
.LBB6_2489:
	s_movk_i32 s4, 0x80
	v_cmp_eq_u16_sdwa s[12:13], v7, s4 src0_sel:BYTE_3 src1_sel:DWORD
	s_mov_b64 s[4:5], -1
                                        ; implicit-def: $sgpr10
	s_and_saveexec_b64 s[8:9], s[12:13]
; %bb.2490:
	s_mov_b32 s10, 0x7f800001
	s_xor_b64 s[4:5], exec, -1
; %bb.2491:
	s_or_b64 exec, exec, s[8:9]
	s_and_b64 s[4:5], s[4:5], exec
	s_or_saveexec_b64 s[6:7], s[6:7]
	v_mov_b32_e32 v2, s10
	s_xor_b64 exec, exec, s[6:7]
	s_cbranch_execz .LBB6_442
.LBB6_2492:
	v_mov_b32_e32 v2, 0
	v_cmp_ne_u16_sdwa s[8:9], v7, v2 src0_sel:BYTE_3 src1_sel:DWORD
	s_andn2_b64 s[4:5], s[4:5], exec
	s_and_b64 s[8:9], s[8:9], exec
	s_or_b64 s[4:5], s[4:5], s[8:9]
	s_or_b64 exec, exec, s[6:7]
	s_and_saveexec_b64 s[6:7], s[4:5]
	s_cbranch_execnz .LBB6_443
	s_branch .LBB6_444
.LBB6_2493:
	s_movk_i32 s4, 0x80
	v_cmp_eq_u16_sdwa s[12:13], v3, s4 src0_sel:BYTE_3 src1_sel:DWORD
	s_mov_b64 s[4:5], -1
                                        ; implicit-def: $sgpr10
	s_and_saveexec_b64 s[8:9], s[12:13]
; %bb.2494:
	s_mov_b32 s10, 0x7f800001
	s_xor_b64 s[4:5], exec, -1
; %bb.2495:
	s_or_b64 exec, exec, s[8:9]
	s_and_b64 s[4:5], s[4:5], exec
	s_or_saveexec_b64 s[6:7], s[6:7]
	v_mov_b32_e32 v6, s10
	s_xor_b64 exec, exec, s[6:7]
	s_cbranch_execz .LBB6_446
.LBB6_2496:
	v_mov_b32_e32 v6, 0
	v_cmp_ne_u16_sdwa s[8:9], v3, v6 src0_sel:BYTE_3 src1_sel:DWORD
	s_andn2_b64 s[4:5], s[4:5], exec
	s_and_b64 s[8:9], s[8:9], exec
	s_or_b64 s[4:5], s[4:5], s[8:9]
	s_or_b64 exec, exec, s[6:7]
	s_and_saveexec_b64 s[6:7], s[4:5]
	s_cbranch_execnz .LBB6_447
	s_branch .LBB6_448
.LBB6_2497:
	s_movk_i32 s4, 0x80
	v_cmp_eq_u16_sdwa s[12:13], v8, s4 src0_sel:BYTE_0 src1_sel:DWORD
	s_mov_b64 s[4:5], -1
                                        ; implicit-def: $sgpr10
	s_and_saveexec_b64 s[8:9], s[12:13]
; %bb.2498:
	s_mov_b32 s10, 0x7f800001
	s_xor_b64 s[4:5], exec, -1
; %bb.2499:
	s_or_b64 exec, exec, s[8:9]
	s_and_b64 s[4:5], s[4:5], exec
	s_or_saveexec_b64 s[6:7], s[6:7]
	v_mov_b32_e32 v2, s10
	s_xor_b64 exec, exec, s[6:7]
	s_cbranch_execz .LBB6_450
.LBB6_2500:
	v_mov_b32_e32 v2, 0
	v_cmp_ne_u16_sdwa s[8:9], v8, v2 src0_sel:BYTE_0 src1_sel:DWORD
	s_andn2_b64 s[4:5], s[4:5], exec
	s_and_b64 s[8:9], s[8:9], exec
	s_or_b64 s[4:5], s[4:5], s[8:9]
	s_or_b64 exec, exec, s[6:7]
	s_and_saveexec_b64 s[6:7], s[4:5]
	s_cbranch_execnz .LBB6_451
	s_branch .LBB6_452
.LBB6_2501:
	s_movk_i32 s4, 0x80
	v_cmp_eq_u16_sdwa s[12:13], v4, s4 src0_sel:BYTE_0 src1_sel:DWORD
	s_mov_b64 s[4:5], -1
                                        ; implicit-def: $sgpr10
	s_and_saveexec_b64 s[8:9], s[12:13]
; %bb.2502:
	s_mov_b32 s10, 0x7f800001
	s_xor_b64 s[4:5], exec, -1
; %bb.2503:
	s_or_b64 exec, exec, s[8:9]
	s_and_b64 s[4:5], s[4:5], exec
	s_or_saveexec_b64 s[6:7], s[6:7]
	v_mov_b32_e32 v3, s10
	s_xor_b64 exec, exec, s[6:7]
	s_cbranch_execz .LBB6_454
.LBB6_2504:
	v_mov_b32_e32 v3, 0
	v_cmp_ne_u16_sdwa s[8:9], v4, v3 src0_sel:BYTE_0 src1_sel:DWORD
	s_andn2_b64 s[4:5], s[4:5], exec
	s_and_b64 s[8:9], s[8:9], exec
	s_or_b64 s[4:5], s[4:5], s[8:9]
	s_or_b64 exec, exec, s[6:7]
	s_and_saveexec_b64 s[6:7], s[4:5]
	s_cbranch_execnz .LBB6_455
	s_branch .LBB6_456
.LBB6_2505:
	s_movk_i32 s4, 0x80
	v_cmp_eq_u16_sdwa s[12:13], v3, s4 src0_sel:BYTE_0 src1_sel:DWORD
	s_mov_b64 s[4:5], -1
                                        ; implicit-def: $sgpr10
	s_and_saveexec_b64 s[8:9], s[12:13]
; %bb.2506:
	s_mov_b32 s10, 0x7f800001
	s_xor_b64 s[4:5], exec, -1
; %bb.2507:
	s_or_b64 exec, exec, s[8:9]
	s_and_b64 s[4:5], s[4:5], exec
	s_or_saveexec_b64 s[6:7], s[6:7]
	v_mov_b32_e32 v2, s10
	s_xor_b64 exec, exec, s[6:7]
	s_cbranch_execz .LBB6_458
.LBB6_2508:
	v_mov_b32_e32 v2, 0
	v_cmp_ne_u16_sdwa s[8:9], v3, v2 src0_sel:BYTE_0 src1_sel:DWORD
	s_andn2_b64 s[4:5], s[4:5], exec
	s_and_b64 s[8:9], s[8:9], exec
	s_or_b64 s[4:5], s[4:5], s[8:9]
	s_or_b64 exec, exec, s[6:7]
	s_and_saveexec_b64 s[6:7], s[4:5]
	s_cbranch_execnz .LBB6_459
	s_branch .LBB6_460
.LBB6_2509:
	s_movk_i32 s4, 0x80
	v_cmp_eq_u16_sdwa s[12:13], v3, s4 src0_sel:BYTE_0 src1_sel:DWORD
	s_mov_b64 s[4:5], -1
                                        ; implicit-def: $sgpr10
	s_and_saveexec_b64 s[8:9], s[12:13]
; %bb.2510:
	s_mov_b32 s10, 0x7f800001
	s_xor_b64 s[4:5], exec, -1
; %bb.2511:
	s_or_b64 exec, exec, s[8:9]
	s_and_b64 s[4:5], s[4:5], exec
	s_or_saveexec_b64 s[6:7], s[6:7]
	v_mov_b32_e32 v6, s10
	s_xor_b64 exec, exec, s[6:7]
	s_cbranch_execz .LBB6_462
.LBB6_2512:
	v_mov_b32_e32 v6, 0
	v_cmp_ne_u16_sdwa s[8:9], v3, v6 src0_sel:BYTE_0 src1_sel:DWORD
	s_andn2_b64 s[4:5], s[4:5], exec
	s_and_b64 s[8:9], s[8:9], exec
	s_or_b64 s[4:5], s[4:5], s[8:9]
	s_or_b64 exec, exec, s[6:7]
	s_and_saveexec_b64 s[6:7], s[4:5]
	s_cbranch_execnz .LBB6_463
	s_branch .LBB6_464
.LBB6_2513:
	s_movk_i32 s4, 0x80
	v_cmp_eq_u16_e32 vcc, s4, v3
	s_mov_b64 s[4:5], -1
                                        ; implicit-def: $sgpr10
	s_and_saveexec_b64 s[8:9], vcc
; %bb.2514:
	s_mov_b32 s10, 0x7f800001
	s_xor_b64 s[4:5], exec, -1
; %bb.2515:
	s_or_b64 exec, exec, s[8:9]
	s_and_b64 s[4:5], s[4:5], exec
                                        ; implicit-def: $vgpr3
	s_or_saveexec_b64 s[6:7], s[6:7]
	v_mov_b32_e32 v2, s10
	s_xor_b64 exec, exec, s[6:7]
	s_cbranch_execz .LBB6_466
.LBB6_2516:
	v_cmp_ne_u16_e32 vcc, 0, v3
	s_andn2_b64 s[4:5], s[4:5], exec
	s_and_b64 s[8:9], vcc, exec
	v_mov_b32_e32 v2, 0
	s_or_b64 s[4:5], s[4:5], s[8:9]
	s_or_b64 exec, exec, s[6:7]
	s_and_saveexec_b64 s[6:7], s[4:5]
	s_cbranch_execnz .LBB6_467
	s_branch .LBB6_468
.LBB6_2517:
	s_movk_i32 s4, 0x80
	v_cmp_eq_u16_e32 vcc, s4, v3
	s_mov_b64 s[4:5], -1
                                        ; implicit-def: $sgpr10
	s_and_saveexec_b64 s[8:9], vcc
; %bb.2518:
	s_mov_b32 s10, 0x7f800001
	s_xor_b64 s[4:5], exec, -1
; %bb.2519:
	s_or_b64 exec, exec, s[8:9]
	s_and_b64 s[4:5], s[4:5], exec
                                        ; implicit-def: $vgpr3
	s_or_saveexec_b64 s[6:7], s[6:7]
	v_mov_b32_e32 v6, s10
	s_xor_b64 exec, exec, s[6:7]
	s_cbranch_execz .LBB6_470
.LBB6_2520:
	v_cmp_ne_u16_e32 vcc, 0, v3
	s_andn2_b64 s[4:5], s[4:5], exec
	s_and_b64 s[8:9], vcc, exec
	v_mov_b32_e32 v6, 0
	s_or_b64 s[4:5], s[4:5], s[8:9]
	s_or_b64 exec, exec, s[6:7]
	s_and_saveexec_b64 s[6:7], s[4:5]
	s_cbranch_execnz .LBB6_471
	s_branch .LBB6_472
.LBB6_2521:
	s_movk_i32 s4, 0x80
	v_cmp_eq_u16_sdwa s[12:13], v8, s4 src0_sel:BYTE_3 src1_sel:DWORD
	s_mov_b64 s[4:5], -1
                                        ; implicit-def: $sgpr10
	s_and_saveexec_b64 s[8:9], s[12:13]
; %bb.2522:
	s_mov_b32 s10, 0x7f800001
	s_xor_b64 s[4:5], exec, -1
; %bb.2523:
	s_or_b64 exec, exec, s[8:9]
	s_and_b64 s[4:5], s[4:5], exec
	s_or_saveexec_b64 s[6:7], s[6:7]
	v_mov_b32_e32 v2, s10
	s_xor_b64 exec, exec, s[6:7]
	s_cbranch_execz .LBB6_474
.LBB6_2524:
	v_mov_b32_e32 v2, 0
	v_cmp_ne_u16_sdwa s[8:9], v8, v2 src0_sel:BYTE_3 src1_sel:DWORD
	s_andn2_b64 s[4:5], s[4:5], exec
	s_and_b64 s[8:9], s[8:9], exec
	s_or_b64 s[4:5], s[4:5], s[8:9]
	s_or_b64 exec, exec, s[6:7]
	s_and_saveexec_b64 s[6:7], s[4:5]
	s_cbranch_execnz .LBB6_475
	s_branch .LBB6_476
.LBB6_2525:
	s_movk_i32 s4, 0x80
	v_cmp_eq_u16_sdwa s[12:13], v4, s4 src0_sel:BYTE_3 src1_sel:DWORD
	s_mov_b64 s[4:5], -1
                                        ; implicit-def: $sgpr10
	s_and_saveexec_b64 s[8:9], s[12:13]
; %bb.2526:
	s_mov_b32 s10, 0x7f800001
	s_xor_b64 s[4:5], exec, -1
; %bb.2527:
	s_or_b64 exec, exec, s[8:9]
	s_and_b64 s[4:5], s[4:5], exec
	s_or_saveexec_b64 s[6:7], s[6:7]
	v_mov_b32_e32 v3, s10
	s_xor_b64 exec, exec, s[6:7]
	s_cbranch_execz .LBB6_478
.LBB6_2528:
	v_mov_b32_e32 v3, 0
	v_cmp_ne_u16_sdwa s[8:9], v4, v3 src0_sel:BYTE_3 src1_sel:DWORD
	s_andn2_b64 s[4:5], s[4:5], exec
	s_and_b64 s[8:9], s[8:9], exec
	s_or_b64 s[4:5], s[4:5], s[8:9]
	s_or_b64 exec, exec, s[6:7]
	s_and_saveexec_b64 s[6:7], s[4:5]
	s_cbranch_execnz .LBB6_479
	s_branch .LBB6_480
.LBB6_2529:
	s_movk_i32 s4, 0x80
	v_cmp_eq_u16_sdwa s[12:13], v9, s4 src0_sel:BYTE_0 src1_sel:DWORD
	s_mov_b64 s[4:5], -1
                                        ; implicit-def: $sgpr10
	s_and_saveexec_b64 s[8:9], s[12:13]
; %bb.2530:
	s_mov_b32 s10, 0x7f800001
	s_xor_b64 s[4:5], exec, -1
; %bb.2531:
	s_or_b64 exec, exec, s[8:9]
	s_and_b64 s[4:5], s[4:5], exec
	s_or_saveexec_b64 s[6:7], s[6:7]
	v_mov_b32_e32 v2, s10
	s_xor_b64 exec, exec, s[6:7]
	s_cbranch_execz .LBB6_482
.LBB6_2532:
	v_mov_b32_e32 v2, 0
	v_cmp_ne_u16_sdwa s[8:9], v9, v2 src0_sel:BYTE_0 src1_sel:DWORD
	s_andn2_b64 s[4:5], s[4:5], exec
	s_and_b64 s[8:9], s[8:9], exec
	s_or_b64 s[4:5], s[4:5], s[8:9]
	s_or_b64 exec, exec, s[6:7]
	s_and_saveexec_b64 s[6:7], s[4:5]
	s_cbranch_execnz .LBB6_483
	s_branch .LBB6_484
.LBB6_2533:
	s_movk_i32 s4, 0x80
	v_cmp_eq_u16_sdwa s[12:13], v5, s4 src0_sel:BYTE_0 src1_sel:DWORD
	s_mov_b64 s[4:5], -1
                                        ; implicit-def: $sgpr10
	s_and_saveexec_b64 s[8:9], s[12:13]
; %bb.2534:
	s_mov_b32 s10, 0x7f800001
	s_xor_b64 s[4:5], exec, -1
; %bb.2535:
	s_or_b64 exec, exec, s[8:9]
	s_and_b64 s[4:5], s[4:5], exec
	s_or_saveexec_b64 s[6:7], s[6:7]
	v_mov_b32_e32 v3, s10
	s_xor_b64 exec, exec, s[6:7]
	s_cbranch_execz .LBB6_486
.LBB6_2536:
	v_mov_b32_e32 v3, 0
	v_cmp_ne_u16_sdwa s[8:9], v5, v3 src0_sel:BYTE_0 src1_sel:DWORD
	s_andn2_b64 s[4:5], s[4:5], exec
	s_and_b64 s[8:9], s[8:9], exec
	s_or_b64 s[4:5], s[4:5], s[8:9]
	s_or_b64 exec, exec, s[6:7]
	s_and_saveexec_b64 s[6:7], s[4:5]
	s_cbranch_execnz .LBB6_487
	s_branch .LBB6_488
.LBB6_2537:
	s_movk_i32 s4, 0x80
	v_cmp_eq_u16_sdwa s[12:13], v3, s4 src0_sel:BYTE_0 src1_sel:DWORD
	s_mov_b64 s[4:5], -1
                                        ; implicit-def: $sgpr10
	s_and_saveexec_b64 s[8:9], s[12:13]
; %bb.2538:
	s_mov_b32 s10, 0x7f800001
	s_xor_b64 s[4:5], exec, -1
; %bb.2539:
	s_or_b64 exec, exec, s[8:9]
	s_and_b64 s[4:5], s[4:5], exec
	s_or_saveexec_b64 s[6:7], s[6:7]
	v_mov_b32_e32 v2, s10
	s_xor_b64 exec, exec, s[6:7]
	s_cbranch_execz .LBB6_490
.LBB6_2540:
	v_mov_b32_e32 v2, 0
	v_cmp_ne_u16_sdwa s[8:9], v3, v2 src0_sel:BYTE_0 src1_sel:DWORD
	s_andn2_b64 s[4:5], s[4:5], exec
	s_and_b64 s[8:9], s[8:9], exec
	s_or_b64 s[4:5], s[4:5], s[8:9]
	s_or_b64 exec, exec, s[6:7]
	s_and_saveexec_b64 s[6:7], s[4:5]
	s_cbranch_execnz .LBB6_491
	s_branch .LBB6_492
.LBB6_2541:
	s_movk_i32 s4, 0x80
	v_cmp_eq_u16_sdwa s[12:13], v3, s4 src0_sel:BYTE_0 src1_sel:DWORD
	s_mov_b64 s[4:5], -1
                                        ; implicit-def: $sgpr10
	s_and_saveexec_b64 s[8:9], s[12:13]
; %bb.2542:
	s_mov_b32 s10, 0x7f800001
	s_xor_b64 s[4:5], exec, -1
; %bb.2543:
	s_or_b64 exec, exec, s[8:9]
	s_and_b64 s[4:5], s[4:5], exec
	s_or_saveexec_b64 s[6:7], s[6:7]
	v_mov_b32_e32 v4, s10
	s_xor_b64 exec, exec, s[6:7]
	s_cbranch_execz .LBB6_494
.LBB6_2544:
	v_mov_b32_e32 v4, 0
	v_cmp_ne_u16_sdwa s[8:9], v3, v4 src0_sel:BYTE_0 src1_sel:DWORD
	s_andn2_b64 s[4:5], s[4:5], exec
	s_and_b64 s[8:9], s[8:9], exec
	s_or_b64 s[4:5], s[4:5], s[8:9]
	s_or_b64 exec, exec, s[6:7]
	s_and_saveexec_b64 s[6:7], s[4:5]
	s_cbranch_execnz .LBB6_495
	s_branch .LBB6_496
.LBB6_2545:
	s_movk_i32 s4, 0x80
	v_cmp_eq_u16_e32 vcc, s4, v3
	s_mov_b64 s[4:5], -1
                                        ; implicit-def: $sgpr10
	s_and_saveexec_b64 s[8:9], vcc
; %bb.2546:
	s_mov_b32 s10, 0x7f800001
	s_xor_b64 s[4:5], exec, -1
; %bb.2547:
	s_or_b64 exec, exec, s[8:9]
	s_and_b64 s[4:5], s[4:5], exec
                                        ; implicit-def: $vgpr3
	s_or_saveexec_b64 s[6:7], s[6:7]
	v_mov_b32_e32 v2, s10
	s_xor_b64 exec, exec, s[6:7]
	s_cbranch_execz .LBB6_498
.LBB6_2548:
	v_cmp_ne_u16_e32 vcc, 0, v3
	s_andn2_b64 s[4:5], s[4:5], exec
	s_and_b64 s[8:9], vcc, exec
	v_mov_b32_e32 v2, 0
	s_or_b64 s[4:5], s[4:5], s[8:9]
	s_or_b64 exec, exec, s[6:7]
	s_and_saveexec_b64 s[6:7], s[4:5]
	s_cbranch_execnz .LBB6_499
	s_branch .LBB6_500
.LBB6_2549:
	s_movk_i32 s4, 0x80
	v_cmp_eq_u16_e32 vcc, s4, v3
	s_mov_b64 s[4:5], -1
                                        ; implicit-def: $sgpr10
	s_and_saveexec_b64 s[8:9], vcc
; %bb.2550:
	s_mov_b32 s10, 0x7f800001
	s_xor_b64 s[4:5], exec, -1
; %bb.2551:
	s_or_b64 exec, exec, s[8:9]
	s_and_b64 s[4:5], s[4:5], exec
                                        ; implicit-def: $vgpr3
	s_or_saveexec_b64 s[6:7], s[6:7]
	v_mov_b32_e32 v4, s10
	s_xor_b64 exec, exec, s[6:7]
	s_cbranch_execz .LBB6_502
.LBB6_2552:
	v_cmp_ne_u16_e32 vcc, 0, v3
	s_andn2_b64 s[4:5], s[4:5], exec
	s_and_b64 s[8:9], vcc, exec
	v_mov_b32_e32 v4, 0
	s_or_b64 s[4:5], s[4:5], s[8:9]
	s_or_b64 exec, exec, s[6:7]
	s_and_saveexec_b64 s[6:7], s[4:5]
	s_cbranch_execnz .LBB6_503
	s_branch .LBB6_504
.LBB6_2553:
	s_movk_i32 s4, 0x80
	v_cmp_eq_u16_sdwa s[12:13], v9, s4 src0_sel:BYTE_3 src1_sel:DWORD
	s_mov_b64 s[4:5], -1
                                        ; implicit-def: $sgpr10
	s_and_saveexec_b64 s[8:9], s[12:13]
; %bb.2554:
	s_mov_b32 s10, 0x7f800001
	s_xor_b64 s[4:5], exec, -1
; %bb.2555:
	s_or_b64 exec, exec, s[8:9]
	s_and_b64 s[4:5], s[4:5], exec
	s_or_saveexec_b64 s[6:7], s[6:7]
	v_mov_b32_e32 v2, s10
	s_xor_b64 exec, exec, s[6:7]
	s_cbranch_execz .LBB6_506
.LBB6_2556:
	v_mov_b32_e32 v2, 0
	v_cmp_ne_u16_sdwa s[8:9], v9, v2 src0_sel:BYTE_3 src1_sel:DWORD
	s_andn2_b64 s[4:5], s[4:5], exec
	s_and_b64 s[8:9], s[8:9], exec
	s_or_b64 s[4:5], s[4:5], s[8:9]
	s_or_b64 exec, exec, s[6:7]
	s_and_saveexec_b64 s[6:7], s[4:5]
	s_cbranch_execnz .LBB6_507
	s_branch .LBB6_508
.LBB6_2557:
	s_movk_i32 s4, 0x80
	v_cmp_eq_u16_sdwa s[12:13], v5, s4 src0_sel:BYTE_3 src1_sel:DWORD
	s_mov_b64 s[4:5], -1
                                        ; implicit-def: $sgpr10
	s_and_saveexec_b64 s[8:9], s[12:13]
; %bb.2558:
	s_mov_b32 s10, 0x7f800001
	s_xor_b64 s[4:5], exec, -1
; %bb.2559:
	s_or_b64 exec, exec, s[8:9]
	s_and_b64 s[4:5], s[4:5], exec
	s_or_saveexec_b64 s[6:7], s[6:7]
	v_mov_b32_e32 v3, s10
	s_xor_b64 exec, exec, s[6:7]
	s_cbranch_execz .LBB6_510
.LBB6_2560:
	v_mov_b32_e32 v3, 0
	v_cmp_ne_u16_sdwa s[8:9], v5, v3 src0_sel:BYTE_3 src1_sel:DWORD
	s_andn2_b64 s[4:5], s[4:5], exec
	s_and_b64 s[8:9], s[8:9], exec
	s_or_b64 s[4:5], s[4:5], s[8:9]
	s_or_b64 exec, exec, s[6:7]
	s_and_saveexec_b64 s[6:7], s[4:5]
	s_cbranch_execnz .LBB6_511
	s_branch .LBB6_512
.LBB6_2561:
	s_movk_i32 s4, 0x80
	v_cmp_eq_u16_sdwa s[12:13], v6, s4 src0_sel:BYTE_0 src1_sel:DWORD
	s_mov_b64 s[4:5], -1
                                        ; implicit-def: $sgpr10
	s_and_saveexec_b64 s[8:9], s[12:13]
; %bb.2562:
	s_mov_b32 s10, 0x7f800001
	s_xor_b64 s[4:5], exec, -1
; %bb.2563:
	s_or_b64 exec, exec, s[8:9]
	s_and_b64 s[4:5], s[4:5], exec
	s_or_saveexec_b64 s[6:7], s[6:7]
	v_mov_b32_e32 v12, s10
	s_xor_b64 exec, exec, s[6:7]
	s_cbranch_execz .LBB6_514
.LBB6_2564:
	v_mov_b32_e32 v12, 0
	v_cmp_ne_u16_sdwa s[8:9], v6, v12 src0_sel:BYTE_0 src1_sel:DWORD
	s_andn2_b64 s[4:5], s[4:5], exec
	s_and_b64 s[8:9], s[8:9], exec
	s_or_b64 s[4:5], s[4:5], s[8:9]
	s_or_b64 exec, exec, s[6:7]
	s_and_saveexec_b64 s[6:7], s[4:5]
	s_cbranch_execnz .LBB6_515
	s_branch .LBB6_516
.LBB6_2565:
	s_movk_i32 s4, 0x80
	v_cmp_eq_u16_sdwa s[12:13], v2, s4 src0_sel:BYTE_0 src1_sel:DWORD
	s_mov_b64 s[4:5], -1
                                        ; implicit-def: $sgpr10
	s_and_saveexec_b64 s[8:9], s[12:13]
; %bb.2566:
	s_mov_b32 s10, 0x7f800001
	s_xor_b64 s[4:5], exec, -1
; %bb.2567:
	s_or_b64 exec, exec, s[8:9]
	s_and_b64 s[4:5], s[4:5], exec
	s_or_saveexec_b64 s[6:7], s[6:7]
	v_mov_b32_e32 v13, s10
	s_xor_b64 exec, exec, s[6:7]
	s_cbranch_execz .LBB6_518
.LBB6_2568:
	v_mov_b32_e32 v13, 0
	v_cmp_ne_u16_sdwa s[8:9], v2, v13 src0_sel:BYTE_0 src1_sel:DWORD
	s_andn2_b64 s[4:5], s[4:5], exec
	s_and_b64 s[8:9], s[8:9], exec
	s_or_b64 s[4:5], s[4:5], s[8:9]
	s_or_b64 exec, exec, s[6:7]
	s_and_saveexec_b64 s[6:7], s[4:5]
	s_cbranch_execnz .LBB6_519
	s_branch .LBB6_520
.LBB6_2569:
	s_movk_i32 s4, 0x80
	v_cmp_eq_u16_sdwa s[12:13], v13, s4 src0_sel:BYTE_0 src1_sel:DWORD
	s_mov_b64 s[4:5], -1
                                        ; implicit-def: $sgpr10
	s_and_saveexec_b64 s[8:9], s[12:13]
; %bb.2570:
	s_mov_b32 s10, 0x7f800001
	s_xor_b64 s[4:5], exec, -1
; %bb.2571:
	s_or_b64 exec, exec, s[8:9]
	s_and_b64 s[4:5], s[4:5], exec
	s_or_saveexec_b64 s[6:7], s[6:7]
	v_mov_b32_e32 v12, s10
	s_xor_b64 exec, exec, s[6:7]
	s_cbranch_execz .LBB6_522
.LBB6_2572:
	v_mov_b32_e32 v12, 0
	v_cmp_ne_u16_sdwa s[8:9], v13, v12 src0_sel:BYTE_0 src1_sel:DWORD
	s_andn2_b64 s[4:5], s[4:5], exec
	s_and_b64 s[8:9], s[8:9], exec
	s_or_b64 s[4:5], s[4:5], s[8:9]
	s_or_b64 exec, exec, s[6:7]
	s_and_saveexec_b64 s[6:7], s[4:5]
	s_cbranch_execnz .LBB6_523
	s_branch .LBB6_524
.LBB6_2573:
	s_movk_i32 s4, 0x80
	v_cmp_eq_u16_sdwa s[12:13], v13, s4 src0_sel:BYTE_0 src1_sel:DWORD
	s_mov_b64 s[4:5], -1
                                        ; implicit-def: $sgpr10
	s_and_saveexec_b64 s[8:9], s[12:13]
; %bb.2574:
	s_mov_b32 s10, 0x7f800001
	s_xor_b64 s[4:5], exec, -1
; %bb.2575:
	s_or_b64 exec, exec, s[8:9]
	s_and_b64 s[4:5], s[4:5], exec
	s_or_saveexec_b64 s[6:7], s[6:7]
	v_mov_b32_e32 v14, s10
	s_xor_b64 exec, exec, s[6:7]
	s_cbranch_execz .LBB6_526
.LBB6_2576:
	v_mov_b32_e32 v14, 0
	v_cmp_ne_u16_sdwa s[8:9], v13, v14 src0_sel:BYTE_0 src1_sel:DWORD
	s_andn2_b64 s[4:5], s[4:5], exec
	s_and_b64 s[8:9], s[8:9], exec
	s_or_b64 s[4:5], s[4:5], s[8:9]
	s_or_b64 exec, exec, s[6:7]
	s_and_saveexec_b64 s[6:7], s[4:5]
	s_cbranch_execnz .LBB6_527
	s_branch .LBB6_528
.LBB6_2577:
	s_movk_i32 s4, 0x80
	v_cmp_eq_u16_e32 vcc, s4, v13
	s_mov_b64 s[4:5], -1
                                        ; implicit-def: $sgpr10
	s_and_saveexec_b64 s[8:9], vcc
; %bb.2578:
	s_mov_b32 s10, 0x7f800001
	s_xor_b64 s[4:5], exec, -1
; %bb.2579:
	s_or_b64 exec, exec, s[8:9]
	s_and_b64 s[4:5], s[4:5], exec
                                        ; implicit-def: $vgpr13
	s_or_saveexec_b64 s[6:7], s[6:7]
	v_mov_b32_e32 v12, s10
	s_xor_b64 exec, exec, s[6:7]
	s_cbranch_execz .LBB6_530
.LBB6_2580:
	v_cmp_ne_u16_e32 vcc, 0, v13
	s_andn2_b64 s[4:5], s[4:5], exec
	s_and_b64 s[8:9], vcc, exec
	v_mov_b32_e32 v12, 0
	s_or_b64 s[4:5], s[4:5], s[8:9]
	s_or_b64 exec, exec, s[6:7]
	s_and_saveexec_b64 s[6:7], s[4:5]
	s_cbranch_execnz .LBB6_531
	s_branch .LBB6_532
.LBB6_2581:
	s_movk_i32 s4, 0x80
	v_cmp_eq_u16_e32 vcc, s4, v13
	s_mov_b64 s[4:5], -1
                                        ; implicit-def: $sgpr10
	s_and_saveexec_b64 s[8:9], vcc
; %bb.2582:
	s_mov_b32 s10, 0x7f800001
	s_xor_b64 s[4:5], exec, -1
; %bb.2583:
	s_or_b64 exec, exec, s[8:9]
	s_and_b64 s[4:5], s[4:5], exec
                                        ; implicit-def: $vgpr13
	s_or_saveexec_b64 s[6:7], s[6:7]
	v_mov_b32_e32 v14, s10
	s_xor_b64 exec, exec, s[6:7]
	s_cbranch_execz .LBB6_534
.LBB6_2584:
	v_cmp_ne_u16_e32 vcc, 0, v13
	s_andn2_b64 s[4:5], s[4:5], exec
	s_and_b64 s[8:9], vcc, exec
	v_mov_b32_e32 v14, 0
	s_or_b64 s[4:5], s[4:5], s[8:9]
	s_or_b64 exec, exec, s[6:7]
	s_and_saveexec_b64 s[6:7], s[4:5]
	s_cbranch_execnz .LBB6_535
	s_branch .LBB6_536
.LBB6_2585:
	s_movk_i32 s4, 0x80
	v_cmp_eq_u16_sdwa s[12:13], v6, s4 src0_sel:BYTE_3 src1_sel:DWORD
	s_mov_b64 s[4:5], -1
                                        ; implicit-def: $sgpr10
	s_and_saveexec_b64 s[8:9], s[12:13]
; %bb.2586:
	s_mov_b32 s10, 0x7f800001
	s_xor_b64 s[4:5], exec, -1
; %bb.2587:
	s_or_b64 exec, exec, s[8:9]
	s_and_b64 s[4:5], s[4:5], exec
	s_or_saveexec_b64 s[6:7], s[6:7]
	v_mov_b32_e32 v12, s10
	s_xor_b64 exec, exec, s[6:7]
	s_cbranch_execz .LBB6_538
.LBB6_2588:
	v_mov_b32_e32 v12, 0
	v_cmp_ne_u16_sdwa s[8:9], v6, v12 src0_sel:BYTE_3 src1_sel:DWORD
	s_andn2_b64 s[4:5], s[4:5], exec
	s_and_b64 s[8:9], s[8:9], exec
	s_or_b64 s[4:5], s[4:5], s[8:9]
	s_or_b64 exec, exec, s[6:7]
	s_and_saveexec_b64 s[6:7], s[4:5]
	s_cbranch_execnz .LBB6_539
	s_branch .LBB6_540
.LBB6_2589:
	s_movk_i32 s4, 0x80
	v_cmp_eq_u16_sdwa s[12:13], v2, s4 src0_sel:BYTE_3 src1_sel:DWORD
	s_mov_b64 s[4:5], -1
                                        ; implicit-def: $sgpr10
	s_and_saveexec_b64 s[8:9], s[12:13]
; %bb.2590:
	s_mov_b32 s10, 0x7f800001
	s_xor_b64 s[4:5], exec, -1
; %bb.2591:
	s_or_b64 exec, exec, s[8:9]
	s_and_b64 s[4:5], s[4:5], exec
	s_or_saveexec_b64 s[6:7], s[6:7]
	v_mov_b32_e32 v6, s10
	s_xor_b64 exec, exec, s[6:7]
	s_cbranch_execz .LBB6_542
.LBB6_2592:
	v_mov_b32_e32 v6, 0
	v_cmp_ne_u16_sdwa s[8:9], v2, v6 src0_sel:BYTE_3 src1_sel:DWORD
	s_andn2_b64 s[4:5], s[4:5], exec
	s_and_b64 s[8:9], s[8:9], exec
	s_or_b64 s[4:5], s[4:5], s[8:9]
	s_or_b64 exec, exec, s[6:7]
	s_and_saveexec_b64 s[6:7], s[4:5]
	s_cbranch_execnz .LBB6_543
	s_branch .LBB6_544
.LBB6_2593:
	s_movk_i32 s4, 0x80
	v_cmp_eq_u16_sdwa s[12:13], v7, s4 src0_sel:BYTE_0 src1_sel:DWORD
	s_mov_b64 s[4:5], -1
                                        ; implicit-def: $sgpr10
	s_and_saveexec_b64 s[8:9], s[12:13]
; %bb.2594:
	s_mov_b32 s10, 0x7f800001
	s_xor_b64 s[4:5], exec, -1
; %bb.2595:
	s_or_b64 exec, exec, s[8:9]
	s_and_b64 s[4:5], s[4:5], exec
	s_or_saveexec_b64 s[6:7], s[6:7]
	v_mov_b32_e32 v2, s10
	s_xor_b64 exec, exec, s[6:7]
	s_cbranch_execz .LBB6_546
.LBB6_2596:
	v_mov_b32_e32 v2, 0
	v_cmp_ne_u16_sdwa s[8:9], v7, v2 src0_sel:BYTE_0 src1_sel:DWORD
	s_andn2_b64 s[4:5], s[4:5], exec
	s_and_b64 s[8:9], s[8:9], exec
	s_or_b64 s[4:5], s[4:5], s[8:9]
	s_or_b64 exec, exec, s[6:7]
	s_and_saveexec_b64 s[6:7], s[4:5]
	s_cbranch_execnz .LBB6_547
	s_branch .LBB6_548
.LBB6_2597:
	s_movk_i32 s4, 0x80
	v_cmp_eq_u16_sdwa s[12:13], v3, s4 src0_sel:BYTE_0 src1_sel:DWORD
	s_mov_b64 s[4:5], -1
                                        ; implicit-def: $sgpr10
	s_and_saveexec_b64 s[8:9], s[12:13]
; %bb.2598:
	s_mov_b32 s10, 0x7f800001
	s_xor_b64 s[4:5], exec, -1
; %bb.2599:
	s_or_b64 exec, exec, s[8:9]
	s_and_b64 s[4:5], s[4:5], exec
	s_or_saveexec_b64 s[6:7], s[6:7]
	v_mov_b32_e32 v6, s10
	s_xor_b64 exec, exec, s[6:7]
	s_cbranch_execz .LBB6_550
.LBB6_2600:
	v_mov_b32_e32 v6, 0
	v_cmp_ne_u16_sdwa s[8:9], v3, v6 src0_sel:BYTE_0 src1_sel:DWORD
	s_andn2_b64 s[4:5], s[4:5], exec
	s_and_b64 s[8:9], s[8:9], exec
	s_or_b64 s[4:5], s[4:5], s[8:9]
	s_or_b64 exec, exec, s[6:7]
	s_and_saveexec_b64 s[6:7], s[4:5]
	s_cbranch_execnz .LBB6_551
	s_branch .LBB6_552
.LBB6_2601:
	s_movk_i32 s4, 0x80
	v_cmp_eq_u16_sdwa s[12:13], v6, s4 src0_sel:BYTE_0 src1_sel:DWORD
	s_mov_b64 s[4:5], -1
                                        ; implicit-def: $sgpr10
	s_and_saveexec_b64 s[8:9], s[12:13]
; %bb.2602:
	s_mov_b32 s10, 0x7f800001
	s_xor_b64 s[4:5], exec, -1
; %bb.2603:
	s_or_b64 exec, exec, s[8:9]
	s_and_b64 s[4:5], s[4:5], exec
	s_or_saveexec_b64 s[6:7], s[6:7]
	v_mov_b32_e32 v2, s10
	s_xor_b64 exec, exec, s[6:7]
	s_cbranch_execz .LBB6_554
.LBB6_2604:
	v_mov_b32_e32 v2, 0
	v_cmp_ne_u16_sdwa s[8:9], v6, v2 src0_sel:BYTE_0 src1_sel:DWORD
	s_andn2_b64 s[4:5], s[4:5], exec
	s_and_b64 s[8:9], s[8:9], exec
	s_or_b64 s[4:5], s[4:5], s[8:9]
	s_or_b64 exec, exec, s[6:7]
	s_and_saveexec_b64 s[6:7], s[4:5]
	s_cbranch_execnz .LBB6_555
	s_branch .LBB6_556
.LBB6_2605:
	s_movk_i32 s4, 0x80
	v_cmp_eq_u16_sdwa s[12:13], v6, s4 src0_sel:BYTE_0 src1_sel:DWORD
	s_mov_b64 s[4:5], -1
                                        ; implicit-def: $sgpr10
	s_and_saveexec_b64 s[8:9], s[12:13]
; %bb.2606:
	s_mov_b32 s10, 0x7f800001
	s_xor_b64 s[4:5], exec, -1
; %bb.2607:
	s_or_b64 exec, exec, s[8:9]
	s_and_b64 s[4:5], s[4:5], exec
	s_or_saveexec_b64 s[6:7], s[6:7]
	v_mov_b32_e32 v12, s10
	s_xor_b64 exec, exec, s[6:7]
	s_cbranch_execz .LBB6_558
.LBB6_2608:
	v_mov_b32_e32 v12, 0
	v_cmp_ne_u16_sdwa s[8:9], v6, v12 src0_sel:BYTE_0 src1_sel:DWORD
	s_andn2_b64 s[4:5], s[4:5], exec
	s_and_b64 s[8:9], s[8:9], exec
	s_or_b64 s[4:5], s[4:5], s[8:9]
	s_or_b64 exec, exec, s[6:7]
	s_and_saveexec_b64 s[6:7], s[4:5]
	s_cbranch_execnz .LBB6_559
	s_branch .LBB6_560
.LBB6_2609:
	s_movk_i32 s4, 0x80
	v_cmp_eq_u16_e32 vcc, s4, v6
	s_mov_b64 s[4:5], -1
                                        ; implicit-def: $sgpr10
	s_and_saveexec_b64 s[8:9], vcc
; %bb.2610:
	s_mov_b32 s10, 0x7f800001
	s_xor_b64 s[4:5], exec, -1
; %bb.2611:
	s_or_b64 exec, exec, s[8:9]
	s_and_b64 s[4:5], s[4:5], exec
                                        ; implicit-def: $vgpr6
	s_or_saveexec_b64 s[6:7], s[6:7]
	v_mov_b32_e32 v2, s10
	s_xor_b64 exec, exec, s[6:7]
	s_cbranch_execz .LBB6_562
.LBB6_2612:
	v_cmp_ne_u16_e32 vcc, 0, v6
	s_andn2_b64 s[4:5], s[4:5], exec
	s_and_b64 s[8:9], vcc, exec
	v_mov_b32_e32 v2, 0
	s_or_b64 s[4:5], s[4:5], s[8:9]
	s_or_b64 exec, exec, s[6:7]
	s_and_saveexec_b64 s[6:7], s[4:5]
	s_cbranch_execnz .LBB6_563
	s_branch .LBB6_564
.LBB6_2613:
	s_movk_i32 s4, 0x80
	v_cmp_eq_u16_e32 vcc, s4, v6
	s_mov_b64 s[4:5], -1
                                        ; implicit-def: $sgpr10
	s_and_saveexec_b64 s[8:9], vcc
; %bb.2614:
	s_mov_b32 s10, 0x7f800001
	s_xor_b64 s[4:5], exec, -1
; %bb.2615:
	s_or_b64 exec, exec, s[8:9]
	s_and_b64 s[4:5], s[4:5], exec
                                        ; implicit-def: $vgpr6
	s_or_saveexec_b64 s[6:7], s[6:7]
	v_mov_b32_e32 v12, s10
	s_xor_b64 exec, exec, s[6:7]
	s_cbranch_execz .LBB6_566
.LBB6_2616:
	v_cmp_ne_u16_e32 vcc, 0, v6
	s_andn2_b64 s[4:5], s[4:5], exec
	s_and_b64 s[8:9], vcc, exec
	v_mov_b32_e32 v12, 0
	s_or_b64 s[4:5], s[4:5], s[8:9]
	s_or_b64 exec, exec, s[6:7]
	s_and_saveexec_b64 s[6:7], s[4:5]
	s_cbranch_execnz .LBB6_567
	s_branch .LBB6_568
.LBB6_2617:
	s_movk_i32 s4, 0x80
	v_cmp_eq_u16_sdwa s[12:13], v7, s4 src0_sel:BYTE_3 src1_sel:DWORD
	s_mov_b64 s[4:5], -1
                                        ; implicit-def: $sgpr10
	s_and_saveexec_b64 s[8:9], s[12:13]
; %bb.2618:
	s_mov_b32 s10, 0x7f800001
	s_xor_b64 s[4:5], exec, -1
; %bb.2619:
	s_or_b64 exec, exec, s[8:9]
	s_and_b64 s[4:5], s[4:5], exec
	s_or_saveexec_b64 s[6:7], s[6:7]
	v_mov_b32_e32 v2, s10
	s_xor_b64 exec, exec, s[6:7]
	s_cbranch_execz .LBB6_570
.LBB6_2620:
	v_mov_b32_e32 v2, 0
	v_cmp_ne_u16_sdwa s[8:9], v7, v2 src0_sel:BYTE_3 src1_sel:DWORD
	s_andn2_b64 s[4:5], s[4:5], exec
	s_and_b64 s[8:9], s[8:9], exec
	s_or_b64 s[4:5], s[4:5], s[8:9]
	s_or_b64 exec, exec, s[6:7]
	s_and_saveexec_b64 s[6:7], s[4:5]
	s_cbranch_execnz .LBB6_571
	s_branch .LBB6_572
.LBB6_2621:
	s_movk_i32 s4, 0x80
	v_cmp_eq_u16_sdwa s[12:13], v3, s4 src0_sel:BYTE_3 src1_sel:DWORD
	s_mov_b64 s[4:5], -1
                                        ; implicit-def: $sgpr10
	s_and_saveexec_b64 s[8:9], s[12:13]
; %bb.2622:
	s_mov_b32 s10, 0x7f800001
	s_xor_b64 s[4:5], exec, -1
; %bb.2623:
	s_or_b64 exec, exec, s[8:9]
	s_and_b64 s[4:5], s[4:5], exec
	s_or_saveexec_b64 s[6:7], s[6:7]
	v_mov_b32_e32 v6, s10
	s_xor_b64 exec, exec, s[6:7]
	s_cbranch_execz .LBB6_574
.LBB6_2624:
	v_mov_b32_e32 v6, 0
	v_cmp_ne_u16_sdwa s[8:9], v3, v6 src0_sel:BYTE_3 src1_sel:DWORD
	s_andn2_b64 s[4:5], s[4:5], exec
	s_and_b64 s[8:9], s[8:9], exec
	s_or_b64 s[4:5], s[4:5], s[8:9]
	s_or_b64 exec, exec, s[6:7]
	s_and_saveexec_b64 s[6:7], s[4:5]
	s_cbranch_execnz .LBB6_575
	s_branch .LBB6_576
.LBB6_2625:
	s_movk_i32 s4, 0x80
	v_cmp_eq_u16_sdwa s[12:13], v8, s4 src0_sel:BYTE_0 src1_sel:DWORD
	s_mov_b64 s[4:5], -1
                                        ; implicit-def: $sgpr10
	s_and_saveexec_b64 s[8:9], s[12:13]
; %bb.2626:
	s_mov_b32 s10, 0x7f800001
	s_xor_b64 s[4:5], exec, -1
; %bb.2627:
	s_or_b64 exec, exec, s[8:9]
	s_and_b64 s[4:5], s[4:5], exec
	s_or_saveexec_b64 s[6:7], s[6:7]
	v_mov_b32_e32 v2, s10
	s_xor_b64 exec, exec, s[6:7]
	s_cbranch_execz .LBB6_578
.LBB6_2628:
	v_mov_b32_e32 v2, 0
	v_cmp_ne_u16_sdwa s[8:9], v8, v2 src0_sel:BYTE_0 src1_sel:DWORD
	s_andn2_b64 s[4:5], s[4:5], exec
	s_and_b64 s[8:9], s[8:9], exec
	s_or_b64 s[4:5], s[4:5], s[8:9]
	s_or_b64 exec, exec, s[6:7]
	s_and_saveexec_b64 s[6:7], s[4:5]
	s_cbranch_execnz .LBB6_579
	s_branch .LBB6_580
.LBB6_2629:
	s_movk_i32 s4, 0x80
	v_cmp_eq_u16_sdwa s[12:13], v4, s4 src0_sel:BYTE_0 src1_sel:DWORD
	s_mov_b64 s[4:5], -1
                                        ; implicit-def: $sgpr10
	s_and_saveexec_b64 s[8:9], s[12:13]
; %bb.2630:
	s_mov_b32 s10, 0x7f800001
	s_xor_b64 s[4:5], exec, -1
; %bb.2631:
	s_or_b64 exec, exec, s[8:9]
	s_and_b64 s[4:5], s[4:5], exec
	s_or_saveexec_b64 s[6:7], s[6:7]
	v_mov_b32_e32 v3, s10
	s_xor_b64 exec, exec, s[6:7]
	s_cbranch_execz .LBB6_582
.LBB6_2632:
	v_mov_b32_e32 v3, 0
	v_cmp_ne_u16_sdwa s[8:9], v4, v3 src0_sel:BYTE_0 src1_sel:DWORD
	s_andn2_b64 s[4:5], s[4:5], exec
	s_and_b64 s[8:9], s[8:9], exec
	s_or_b64 s[4:5], s[4:5], s[8:9]
	s_or_b64 exec, exec, s[6:7]
	s_and_saveexec_b64 s[6:7], s[4:5]
	s_cbranch_execnz .LBB6_583
	s_branch .LBB6_584
.LBB6_2633:
	s_movk_i32 s4, 0x80
	v_cmp_eq_u16_sdwa s[12:13], v3, s4 src0_sel:BYTE_0 src1_sel:DWORD
	s_mov_b64 s[4:5], -1
                                        ; implicit-def: $sgpr10
	s_and_saveexec_b64 s[8:9], s[12:13]
; %bb.2634:
	s_mov_b32 s10, 0x7f800001
	s_xor_b64 s[4:5], exec, -1
; %bb.2635:
	s_or_b64 exec, exec, s[8:9]
	s_and_b64 s[4:5], s[4:5], exec
	s_or_saveexec_b64 s[6:7], s[6:7]
	v_mov_b32_e32 v2, s10
	s_xor_b64 exec, exec, s[6:7]
	s_cbranch_execz .LBB6_586
.LBB6_2636:
	v_mov_b32_e32 v2, 0
	v_cmp_ne_u16_sdwa s[8:9], v3, v2 src0_sel:BYTE_0 src1_sel:DWORD
	s_andn2_b64 s[4:5], s[4:5], exec
	s_and_b64 s[8:9], s[8:9], exec
	s_or_b64 s[4:5], s[4:5], s[8:9]
	s_or_b64 exec, exec, s[6:7]
	s_and_saveexec_b64 s[6:7], s[4:5]
	s_cbranch_execnz .LBB6_587
	s_branch .LBB6_588
.LBB6_2637:
	s_movk_i32 s4, 0x80
	v_cmp_eq_u16_sdwa s[12:13], v3, s4 src0_sel:BYTE_0 src1_sel:DWORD
	s_mov_b64 s[4:5], -1
                                        ; implicit-def: $sgpr10
	s_and_saveexec_b64 s[8:9], s[12:13]
; %bb.2638:
	s_mov_b32 s10, 0x7f800001
	s_xor_b64 s[4:5], exec, -1
; %bb.2639:
	s_or_b64 exec, exec, s[8:9]
	s_and_b64 s[4:5], s[4:5], exec
	s_or_saveexec_b64 s[6:7], s[6:7]
	v_mov_b32_e32 v6, s10
	s_xor_b64 exec, exec, s[6:7]
	s_cbranch_execz .LBB6_590
.LBB6_2640:
	v_mov_b32_e32 v6, 0
	v_cmp_ne_u16_sdwa s[8:9], v3, v6 src0_sel:BYTE_0 src1_sel:DWORD
	s_andn2_b64 s[4:5], s[4:5], exec
	s_and_b64 s[8:9], s[8:9], exec
	s_or_b64 s[4:5], s[4:5], s[8:9]
	s_or_b64 exec, exec, s[6:7]
	s_and_saveexec_b64 s[6:7], s[4:5]
	s_cbranch_execnz .LBB6_591
	s_branch .LBB6_592
.LBB6_2641:
	s_movk_i32 s4, 0x80
	v_cmp_eq_u16_e32 vcc, s4, v3
	s_mov_b64 s[4:5], -1
                                        ; implicit-def: $sgpr10
	s_and_saveexec_b64 s[8:9], vcc
; %bb.2642:
	s_mov_b32 s10, 0x7f800001
	s_xor_b64 s[4:5], exec, -1
; %bb.2643:
	s_or_b64 exec, exec, s[8:9]
	s_and_b64 s[4:5], s[4:5], exec
                                        ; implicit-def: $vgpr3
	s_or_saveexec_b64 s[6:7], s[6:7]
	v_mov_b32_e32 v2, s10
	s_xor_b64 exec, exec, s[6:7]
	s_cbranch_execz .LBB6_594
.LBB6_2644:
	v_cmp_ne_u16_e32 vcc, 0, v3
	s_andn2_b64 s[4:5], s[4:5], exec
	s_and_b64 s[8:9], vcc, exec
	v_mov_b32_e32 v2, 0
	s_or_b64 s[4:5], s[4:5], s[8:9]
	s_or_b64 exec, exec, s[6:7]
	s_and_saveexec_b64 s[6:7], s[4:5]
	s_cbranch_execnz .LBB6_595
	s_branch .LBB6_596
.LBB6_2645:
	s_movk_i32 s4, 0x80
	v_cmp_eq_u16_e32 vcc, s4, v3
	s_mov_b64 s[4:5], -1
                                        ; implicit-def: $sgpr10
	s_and_saveexec_b64 s[8:9], vcc
; %bb.2646:
	s_mov_b32 s10, 0x7f800001
	s_xor_b64 s[4:5], exec, -1
; %bb.2647:
	s_or_b64 exec, exec, s[8:9]
	s_and_b64 s[4:5], s[4:5], exec
                                        ; implicit-def: $vgpr3
	s_or_saveexec_b64 s[6:7], s[6:7]
	v_mov_b32_e32 v6, s10
	s_xor_b64 exec, exec, s[6:7]
	s_cbranch_execz .LBB6_598
.LBB6_2648:
	v_cmp_ne_u16_e32 vcc, 0, v3
	s_andn2_b64 s[4:5], s[4:5], exec
	s_and_b64 s[8:9], vcc, exec
	v_mov_b32_e32 v6, 0
	s_or_b64 s[4:5], s[4:5], s[8:9]
	s_or_b64 exec, exec, s[6:7]
	s_and_saveexec_b64 s[6:7], s[4:5]
	s_cbranch_execnz .LBB6_599
	s_branch .LBB6_600
.LBB6_2649:
	s_movk_i32 s4, 0x80
	v_cmp_eq_u16_sdwa s[12:13], v8, s4 src0_sel:BYTE_3 src1_sel:DWORD
	s_mov_b64 s[4:5], -1
                                        ; implicit-def: $sgpr10
	s_and_saveexec_b64 s[8:9], s[12:13]
; %bb.2650:
	s_mov_b32 s10, 0x7f800001
	s_xor_b64 s[4:5], exec, -1
; %bb.2651:
	s_or_b64 exec, exec, s[8:9]
	s_and_b64 s[4:5], s[4:5], exec
	s_or_saveexec_b64 s[6:7], s[6:7]
	v_mov_b32_e32 v2, s10
	s_xor_b64 exec, exec, s[6:7]
	s_cbranch_execz .LBB6_602
.LBB6_2652:
	v_mov_b32_e32 v2, 0
	v_cmp_ne_u16_sdwa s[8:9], v8, v2 src0_sel:BYTE_3 src1_sel:DWORD
	s_andn2_b64 s[4:5], s[4:5], exec
	s_and_b64 s[8:9], s[8:9], exec
	s_or_b64 s[4:5], s[4:5], s[8:9]
	s_or_b64 exec, exec, s[6:7]
	s_and_saveexec_b64 s[6:7], s[4:5]
	s_cbranch_execnz .LBB6_603
	s_branch .LBB6_604
.LBB6_2653:
	s_movk_i32 s4, 0x80
	v_cmp_eq_u16_sdwa s[12:13], v4, s4 src0_sel:BYTE_3 src1_sel:DWORD
	s_mov_b64 s[4:5], -1
                                        ; implicit-def: $sgpr10
	s_and_saveexec_b64 s[8:9], s[12:13]
; %bb.2654:
	s_mov_b32 s10, 0x7f800001
	s_xor_b64 s[4:5], exec, -1
; %bb.2655:
	s_or_b64 exec, exec, s[8:9]
	s_and_b64 s[4:5], s[4:5], exec
	s_or_saveexec_b64 s[6:7], s[6:7]
	v_mov_b32_e32 v3, s10
	s_xor_b64 exec, exec, s[6:7]
	s_cbranch_execz .LBB6_606
.LBB6_2656:
	v_mov_b32_e32 v3, 0
	v_cmp_ne_u16_sdwa s[8:9], v4, v3 src0_sel:BYTE_3 src1_sel:DWORD
	s_andn2_b64 s[4:5], s[4:5], exec
	s_and_b64 s[8:9], s[8:9], exec
	s_or_b64 s[4:5], s[4:5], s[8:9]
	s_or_b64 exec, exec, s[6:7]
	s_and_saveexec_b64 s[6:7], s[4:5]
	s_cbranch_execnz .LBB6_607
	s_branch .LBB6_608
.LBB6_2657:
	s_movk_i32 s4, 0x80
	v_cmp_eq_u16_sdwa s[12:13], v9, s4 src0_sel:BYTE_0 src1_sel:DWORD
	s_mov_b64 s[4:5], -1
                                        ; implicit-def: $sgpr10
	s_and_saveexec_b64 s[8:9], s[12:13]
; %bb.2658:
	s_mov_b32 s10, 0x7f800001
	s_xor_b64 s[4:5], exec, -1
; %bb.2659:
	s_or_b64 exec, exec, s[8:9]
	s_and_b64 s[4:5], s[4:5], exec
	s_or_saveexec_b64 s[6:7], s[6:7]
	v_mov_b32_e32 v2, s10
	s_xor_b64 exec, exec, s[6:7]
	s_cbranch_execz .LBB6_610
.LBB6_2660:
	v_mov_b32_e32 v2, 0
	v_cmp_ne_u16_sdwa s[8:9], v9, v2 src0_sel:BYTE_0 src1_sel:DWORD
	s_andn2_b64 s[4:5], s[4:5], exec
	s_and_b64 s[8:9], s[8:9], exec
	s_or_b64 s[4:5], s[4:5], s[8:9]
	s_or_b64 exec, exec, s[6:7]
	s_and_saveexec_b64 s[6:7], s[4:5]
	s_cbranch_execnz .LBB6_611
	s_branch .LBB6_612
.LBB6_2661:
	s_movk_i32 s4, 0x80
	v_cmp_eq_u16_sdwa s[12:13], v5, s4 src0_sel:BYTE_0 src1_sel:DWORD
	s_mov_b64 s[4:5], -1
                                        ; implicit-def: $sgpr10
	s_and_saveexec_b64 s[8:9], s[12:13]
; %bb.2662:
	s_mov_b32 s10, 0x7f800001
	s_xor_b64 s[4:5], exec, -1
; %bb.2663:
	s_or_b64 exec, exec, s[8:9]
	s_and_b64 s[4:5], s[4:5], exec
	s_or_saveexec_b64 s[6:7], s[6:7]
	v_mov_b32_e32 v3, s10
	s_xor_b64 exec, exec, s[6:7]
	s_cbranch_execz .LBB6_614
.LBB6_2664:
	v_mov_b32_e32 v3, 0
	v_cmp_ne_u16_sdwa s[8:9], v5, v3 src0_sel:BYTE_0 src1_sel:DWORD
	s_andn2_b64 s[4:5], s[4:5], exec
	s_and_b64 s[8:9], s[8:9], exec
	s_or_b64 s[4:5], s[4:5], s[8:9]
	s_or_b64 exec, exec, s[6:7]
	s_and_saveexec_b64 s[6:7], s[4:5]
	s_cbranch_execnz .LBB6_615
	s_branch .LBB6_616
.LBB6_2665:
	s_movk_i32 s4, 0x80
	v_cmp_eq_u16_sdwa s[12:13], v3, s4 src0_sel:BYTE_0 src1_sel:DWORD
	s_mov_b64 s[4:5], -1
                                        ; implicit-def: $sgpr10
	s_and_saveexec_b64 s[8:9], s[12:13]
; %bb.2666:
	s_mov_b32 s10, 0x7f800001
	s_xor_b64 s[4:5], exec, -1
; %bb.2667:
	s_or_b64 exec, exec, s[8:9]
	s_and_b64 s[4:5], s[4:5], exec
	s_or_saveexec_b64 s[6:7], s[6:7]
	v_mov_b32_e32 v2, s10
	s_xor_b64 exec, exec, s[6:7]
	s_cbranch_execz .LBB6_618
.LBB6_2668:
	v_mov_b32_e32 v2, 0
	v_cmp_ne_u16_sdwa s[8:9], v3, v2 src0_sel:BYTE_0 src1_sel:DWORD
	s_andn2_b64 s[4:5], s[4:5], exec
	s_and_b64 s[8:9], s[8:9], exec
	s_or_b64 s[4:5], s[4:5], s[8:9]
	s_or_b64 exec, exec, s[6:7]
	s_and_saveexec_b64 s[6:7], s[4:5]
	s_cbranch_execnz .LBB6_619
	s_branch .LBB6_620
.LBB6_2669:
	s_movk_i32 s4, 0x80
	v_cmp_eq_u16_sdwa s[12:13], v3, s4 src0_sel:BYTE_0 src1_sel:DWORD
	s_mov_b64 s[4:5], -1
                                        ; implicit-def: $sgpr10
	s_and_saveexec_b64 s[8:9], s[12:13]
; %bb.2670:
	s_mov_b32 s10, 0x7f800001
	s_xor_b64 s[4:5], exec, -1
; %bb.2671:
	s_or_b64 exec, exec, s[8:9]
	s_and_b64 s[4:5], s[4:5], exec
	s_or_saveexec_b64 s[6:7], s[6:7]
	v_mov_b32_e32 v4, s10
	s_xor_b64 exec, exec, s[6:7]
	s_cbranch_execz .LBB6_622
.LBB6_2672:
	v_mov_b32_e32 v4, 0
	v_cmp_ne_u16_sdwa s[8:9], v3, v4 src0_sel:BYTE_0 src1_sel:DWORD
	s_andn2_b64 s[4:5], s[4:5], exec
	s_and_b64 s[8:9], s[8:9], exec
	s_or_b64 s[4:5], s[4:5], s[8:9]
	s_or_b64 exec, exec, s[6:7]
	s_and_saveexec_b64 s[6:7], s[4:5]
	s_cbranch_execnz .LBB6_623
	s_branch .LBB6_624
.LBB6_2673:
	s_movk_i32 s4, 0x80
	v_cmp_eq_u16_e32 vcc, s4, v3
	s_mov_b64 s[4:5], -1
                                        ; implicit-def: $sgpr10
	s_and_saveexec_b64 s[8:9], vcc
; %bb.2674:
	s_mov_b32 s10, 0x7f800001
	s_xor_b64 s[4:5], exec, -1
; %bb.2675:
	s_or_b64 exec, exec, s[8:9]
	s_and_b64 s[4:5], s[4:5], exec
                                        ; implicit-def: $vgpr3
	s_or_saveexec_b64 s[6:7], s[6:7]
	v_mov_b32_e32 v2, s10
	s_xor_b64 exec, exec, s[6:7]
	s_cbranch_execz .LBB6_626
.LBB6_2676:
	v_cmp_ne_u16_e32 vcc, 0, v3
	s_andn2_b64 s[4:5], s[4:5], exec
	s_and_b64 s[8:9], vcc, exec
	v_mov_b32_e32 v2, 0
	s_or_b64 s[4:5], s[4:5], s[8:9]
	s_or_b64 exec, exec, s[6:7]
	s_and_saveexec_b64 s[6:7], s[4:5]
	s_cbranch_execnz .LBB6_627
	s_branch .LBB6_628
.LBB6_2677:
	s_movk_i32 s4, 0x80
	v_cmp_eq_u16_e32 vcc, s4, v3
	s_mov_b64 s[4:5], -1
                                        ; implicit-def: $sgpr10
	s_and_saveexec_b64 s[8:9], vcc
; %bb.2678:
	s_mov_b32 s10, 0x7f800001
	s_xor_b64 s[4:5], exec, -1
; %bb.2679:
	s_or_b64 exec, exec, s[8:9]
	s_and_b64 s[4:5], s[4:5], exec
                                        ; implicit-def: $vgpr3
	s_or_saveexec_b64 s[6:7], s[6:7]
	v_mov_b32_e32 v4, s10
	s_xor_b64 exec, exec, s[6:7]
	s_cbranch_execz .LBB6_630
.LBB6_2680:
	v_cmp_ne_u16_e32 vcc, 0, v3
	s_andn2_b64 s[4:5], s[4:5], exec
	s_and_b64 s[8:9], vcc, exec
	v_mov_b32_e32 v4, 0
	s_or_b64 s[4:5], s[4:5], s[8:9]
	s_or_b64 exec, exec, s[6:7]
	s_and_saveexec_b64 s[6:7], s[4:5]
	s_cbranch_execnz .LBB6_631
	s_branch .LBB6_632
.LBB6_2681:
	s_movk_i32 s4, 0x80
	v_cmp_eq_u16_sdwa s[12:13], v9, s4 src0_sel:BYTE_3 src1_sel:DWORD
	s_mov_b64 s[4:5], -1
                                        ; implicit-def: $sgpr10
	s_and_saveexec_b64 s[8:9], s[12:13]
; %bb.2682:
	s_mov_b32 s10, 0x7f800001
	s_xor_b64 s[4:5], exec, -1
; %bb.2683:
	s_or_b64 exec, exec, s[8:9]
	s_and_b64 s[4:5], s[4:5], exec
	s_or_saveexec_b64 s[6:7], s[6:7]
	v_mov_b32_e32 v2, s10
	s_xor_b64 exec, exec, s[6:7]
	s_cbranch_execz .LBB6_634
.LBB6_2684:
	v_mov_b32_e32 v2, 0
	v_cmp_ne_u16_sdwa s[8:9], v9, v2 src0_sel:BYTE_3 src1_sel:DWORD
	s_andn2_b64 s[4:5], s[4:5], exec
	s_and_b64 s[8:9], s[8:9], exec
	s_or_b64 s[4:5], s[4:5], s[8:9]
	s_or_b64 exec, exec, s[6:7]
	s_and_saveexec_b64 s[6:7], s[4:5]
	s_cbranch_execnz .LBB6_635
	s_branch .LBB6_636
.LBB6_2685:
	s_movk_i32 s4, 0x80
	v_cmp_eq_u16_sdwa s[12:13], v5, s4 src0_sel:BYTE_3 src1_sel:DWORD
	s_mov_b64 s[4:5], -1
                                        ; implicit-def: $sgpr10
	s_and_saveexec_b64 s[8:9], s[12:13]
; %bb.2686:
	s_mov_b32 s10, 0x7f800001
	s_xor_b64 s[4:5], exec, -1
; %bb.2687:
	s_or_b64 exec, exec, s[8:9]
	s_and_b64 s[4:5], s[4:5], exec
	s_or_saveexec_b64 s[6:7], s[6:7]
	v_mov_b32_e32 v3, s10
	s_xor_b64 exec, exec, s[6:7]
	s_cbranch_execz .LBB6_638
.LBB6_2688:
	v_mov_b32_e32 v3, 0
	v_cmp_ne_u16_sdwa s[8:9], v5, v3 src0_sel:BYTE_3 src1_sel:DWORD
	s_andn2_b64 s[4:5], s[4:5], exec
	s_and_b64 s[8:9], s[8:9], exec
	s_or_b64 s[4:5], s[4:5], s[8:9]
	s_or_b64 exec, exec, s[6:7]
	s_and_saveexec_b64 s[6:7], s[4:5]
	s_cbranch_execnz .LBB6_639
	s_branch .LBB6_640
.LBB6_2689:
	s_movk_i32 s4, 0x80
	v_cmp_eq_u16_sdwa s[12:13], v6, s4 src0_sel:BYTE_0 src1_sel:DWORD
	s_mov_b64 s[4:5], -1
                                        ; implicit-def: $sgpr10
	s_and_saveexec_b64 s[8:9], s[12:13]
; %bb.2690:
	s_mov_b32 s10, 0x7f800001
	s_xor_b64 s[4:5], exec, -1
; %bb.2691:
	s_or_b64 exec, exec, s[8:9]
	s_and_b64 s[4:5], s[4:5], exec
	s_or_saveexec_b64 s[6:7], s[6:7]
	v_mov_b32_e32 v12, s10
	s_xor_b64 exec, exec, s[6:7]
	s_cbranch_execz .LBB6_642
.LBB6_2692:
	v_mov_b32_e32 v12, 0
	v_cmp_ne_u16_sdwa s[8:9], v6, v12 src0_sel:BYTE_0 src1_sel:DWORD
	s_andn2_b64 s[4:5], s[4:5], exec
	s_and_b64 s[8:9], s[8:9], exec
	s_or_b64 s[4:5], s[4:5], s[8:9]
	s_or_b64 exec, exec, s[6:7]
	s_and_saveexec_b64 s[6:7], s[4:5]
	s_cbranch_execnz .LBB6_643
	s_branch .LBB6_644
.LBB6_2693:
	s_movk_i32 s4, 0x80
	v_cmp_eq_u16_sdwa s[12:13], v2, s4 src0_sel:BYTE_0 src1_sel:DWORD
	s_mov_b64 s[4:5], -1
                                        ; implicit-def: $sgpr10
	s_and_saveexec_b64 s[8:9], s[12:13]
; %bb.2694:
	s_mov_b32 s10, 0x7f800001
	s_xor_b64 s[4:5], exec, -1
; %bb.2695:
	s_or_b64 exec, exec, s[8:9]
	s_and_b64 s[4:5], s[4:5], exec
	s_or_saveexec_b64 s[6:7], s[6:7]
	v_mov_b32_e32 v13, s10
	s_xor_b64 exec, exec, s[6:7]
	s_cbranch_execz .LBB6_646
.LBB6_2696:
	v_mov_b32_e32 v13, 0
	v_cmp_ne_u16_sdwa s[8:9], v2, v13 src0_sel:BYTE_0 src1_sel:DWORD
	s_andn2_b64 s[4:5], s[4:5], exec
	s_and_b64 s[8:9], s[8:9], exec
	s_or_b64 s[4:5], s[4:5], s[8:9]
	s_or_b64 exec, exec, s[6:7]
	s_and_saveexec_b64 s[6:7], s[4:5]
	s_cbranch_execnz .LBB6_647
	s_branch .LBB6_648
.LBB6_2697:
	s_movk_i32 s4, 0x80
	v_cmp_eq_u16_sdwa s[12:13], v13, s4 src0_sel:BYTE_0 src1_sel:DWORD
	s_mov_b64 s[4:5], -1
                                        ; implicit-def: $sgpr10
	s_and_saveexec_b64 s[8:9], s[12:13]
; %bb.2698:
	s_mov_b32 s10, 0x7f800001
	s_xor_b64 s[4:5], exec, -1
; %bb.2699:
	s_or_b64 exec, exec, s[8:9]
	s_and_b64 s[4:5], s[4:5], exec
	s_or_saveexec_b64 s[6:7], s[6:7]
	v_mov_b32_e32 v12, s10
	s_xor_b64 exec, exec, s[6:7]
	s_cbranch_execz .LBB6_650
.LBB6_2700:
	v_mov_b32_e32 v12, 0
	v_cmp_ne_u16_sdwa s[8:9], v13, v12 src0_sel:BYTE_0 src1_sel:DWORD
	s_andn2_b64 s[4:5], s[4:5], exec
	s_and_b64 s[8:9], s[8:9], exec
	s_or_b64 s[4:5], s[4:5], s[8:9]
	s_or_b64 exec, exec, s[6:7]
	s_and_saveexec_b64 s[6:7], s[4:5]
	s_cbranch_execnz .LBB6_651
	s_branch .LBB6_652
.LBB6_2701:
	s_movk_i32 s4, 0x80
	v_cmp_eq_u16_sdwa s[12:13], v13, s4 src0_sel:BYTE_0 src1_sel:DWORD
	s_mov_b64 s[4:5], -1
                                        ; implicit-def: $sgpr10
	s_and_saveexec_b64 s[8:9], s[12:13]
; %bb.2702:
	s_mov_b32 s10, 0x7f800001
	s_xor_b64 s[4:5], exec, -1
; %bb.2703:
	s_or_b64 exec, exec, s[8:9]
	s_and_b64 s[4:5], s[4:5], exec
	s_or_saveexec_b64 s[6:7], s[6:7]
	v_mov_b32_e32 v14, s10
	s_xor_b64 exec, exec, s[6:7]
	s_cbranch_execz .LBB6_654
.LBB6_2704:
	v_mov_b32_e32 v14, 0
	v_cmp_ne_u16_sdwa s[8:9], v13, v14 src0_sel:BYTE_0 src1_sel:DWORD
	s_andn2_b64 s[4:5], s[4:5], exec
	s_and_b64 s[8:9], s[8:9], exec
	s_or_b64 s[4:5], s[4:5], s[8:9]
	s_or_b64 exec, exec, s[6:7]
	s_and_saveexec_b64 s[6:7], s[4:5]
	s_cbranch_execnz .LBB6_655
	s_branch .LBB6_656
.LBB6_2705:
	s_movk_i32 s4, 0x80
	v_cmp_eq_u16_e32 vcc, s4, v13
	s_mov_b64 s[4:5], -1
                                        ; implicit-def: $sgpr10
	s_and_saveexec_b64 s[8:9], vcc
; %bb.2706:
	s_mov_b32 s10, 0x7f800001
	s_xor_b64 s[4:5], exec, -1
; %bb.2707:
	s_or_b64 exec, exec, s[8:9]
	s_and_b64 s[4:5], s[4:5], exec
                                        ; implicit-def: $vgpr13
	s_or_saveexec_b64 s[6:7], s[6:7]
	v_mov_b32_e32 v12, s10
	s_xor_b64 exec, exec, s[6:7]
	s_cbranch_execz .LBB6_658
.LBB6_2708:
	v_cmp_ne_u16_e32 vcc, 0, v13
	s_andn2_b64 s[4:5], s[4:5], exec
	s_and_b64 s[8:9], vcc, exec
	v_mov_b32_e32 v12, 0
	s_or_b64 s[4:5], s[4:5], s[8:9]
	s_or_b64 exec, exec, s[6:7]
	s_and_saveexec_b64 s[6:7], s[4:5]
	s_cbranch_execnz .LBB6_659
	s_branch .LBB6_660
.LBB6_2709:
	s_movk_i32 s4, 0x80
	v_cmp_eq_u16_e32 vcc, s4, v13
	s_mov_b64 s[4:5], -1
                                        ; implicit-def: $sgpr10
	s_and_saveexec_b64 s[8:9], vcc
; %bb.2710:
	s_mov_b32 s10, 0x7f800001
	s_xor_b64 s[4:5], exec, -1
; %bb.2711:
	s_or_b64 exec, exec, s[8:9]
	s_and_b64 s[4:5], s[4:5], exec
                                        ; implicit-def: $vgpr13
	s_or_saveexec_b64 s[6:7], s[6:7]
	v_mov_b32_e32 v14, s10
	s_xor_b64 exec, exec, s[6:7]
	s_cbranch_execz .LBB6_662
.LBB6_2712:
	v_cmp_ne_u16_e32 vcc, 0, v13
	s_andn2_b64 s[4:5], s[4:5], exec
	s_and_b64 s[8:9], vcc, exec
	v_mov_b32_e32 v14, 0
	s_or_b64 s[4:5], s[4:5], s[8:9]
	s_or_b64 exec, exec, s[6:7]
	s_and_saveexec_b64 s[6:7], s[4:5]
	s_cbranch_execnz .LBB6_663
	s_branch .LBB6_664
.LBB6_2713:
	s_movk_i32 s4, 0x80
	v_cmp_eq_u16_sdwa s[12:13], v6, s4 src0_sel:BYTE_3 src1_sel:DWORD
	s_mov_b64 s[4:5], -1
                                        ; implicit-def: $sgpr10
	s_and_saveexec_b64 s[8:9], s[12:13]
; %bb.2714:
	s_mov_b32 s10, 0x7f800001
	s_xor_b64 s[4:5], exec, -1
; %bb.2715:
	s_or_b64 exec, exec, s[8:9]
	s_and_b64 s[4:5], s[4:5], exec
	s_or_saveexec_b64 s[6:7], s[6:7]
	v_mov_b32_e32 v12, s10
	s_xor_b64 exec, exec, s[6:7]
	s_cbranch_execz .LBB6_666
.LBB6_2716:
	v_mov_b32_e32 v12, 0
	v_cmp_ne_u16_sdwa s[8:9], v6, v12 src0_sel:BYTE_3 src1_sel:DWORD
	s_andn2_b64 s[4:5], s[4:5], exec
	s_and_b64 s[8:9], s[8:9], exec
	s_or_b64 s[4:5], s[4:5], s[8:9]
	s_or_b64 exec, exec, s[6:7]
	s_and_saveexec_b64 s[6:7], s[4:5]
	s_cbranch_execnz .LBB6_667
	s_branch .LBB6_668
.LBB6_2717:
	s_movk_i32 s4, 0x80
	v_cmp_eq_u16_sdwa s[12:13], v2, s4 src0_sel:BYTE_3 src1_sel:DWORD
	s_mov_b64 s[4:5], -1
                                        ; implicit-def: $sgpr10
	s_and_saveexec_b64 s[8:9], s[12:13]
; %bb.2718:
	s_mov_b32 s10, 0x7f800001
	s_xor_b64 s[4:5], exec, -1
; %bb.2719:
	s_or_b64 exec, exec, s[8:9]
	s_and_b64 s[4:5], s[4:5], exec
	s_or_saveexec_b64 s[6:7], s[6:7]
	v_mov_b32_e32 v6, s10
	s_xor_b64 exec, exec, s[6:7]
	s_cbranch_execz .LBB6_670
.LBB6_2720:
	v_mov_b32_e32 v6, 0
	v_cmp_ne_u16_sdwa s[8:9], v2, v6 src0_sel:BYTE_3 src1_sel:DWORD
	s_andn2_b64 s[4:5], s[4:5], exec
	s_and_b64 s[8:9], s[8:9], exec
	s_or_b64 s[4:5], s[4:5], s[8:9]
	s_or_b64 exec, exec, s[6:7]
	s_and_saveexec_b64 s[6:7], s[4:5]
	s_cbranch_execnz .LBB6_671
	s_branch .LBB6_672
.LBB6_2721:
	s_movk_i32 s4, 0x80
	v_cmp_eq_u16_sdwa s[12:13], v7, s4 src0_sel:BYTE_0 src1_sel:DWORD
	s_mov_b64 s[4:5], -1
                                        ; implicit-def: $sgpr10
	s_and_saveexec_b64 s[8:9], s[12:13]
; %bb.2722:
	s_mov_b32 s10, 0x7f800001
	s_xor_b64 s[4:5], exec, -1
; %bb.2723:
	s_or_b64 exec, exec, s[8:9]
	s_and_b64 s[4:5], s[4:5], exec
	s_or_saveexec_b64 s[6:7], s[6:7]
	v_mov_b32_e32 v2, s10
	s_xor_b64 exec, exec, s[6:7]
	s_cbranch_execz .LBB6_674
.LBB6_2724:
	v_mov_b32_e32 v2, 0
	v_cmp_ne_u16_sdwa s[8:9], v7, v2 src0_sel:BYTE_0 src1_sel:DWORD
	s_andn2_b64 s[4:5], s[4:5], exec
	s_and_b64 s[8:9], s[8:9], exec
	s_or_b64 s[4:5], s[4:5], s[8:9]
	s_or_b64 exec, exec, s[6:7]
	s_and_saveexec_b64 s[6:7], s[4:5]
	s_cbranch_execnz .LBB6_675
	s_branch .LBB6_676
.LBB6_2725:
	s_movk_i32 s4, 0x80
	v_cmp_eq_u16_sdwa s[12:13], v3, s4 src0_sel:BYTE_0 src1_sel:DWORD
	s_mov_b64 s[4:5], -1
                                        ; implicit-def: $sgpr10
	s_and_saveexec_b64 s[8:9], s[12:13]
; %bb.2726:
	s_mov_b32 s10, 0x7f800001
	s_xor_b64 s[4:5], exec, -1
; %bb.2727:
	s_or_b64 exec, exec, s[8:9]
	s_and_b64 s[4:5], s[4:5], exec
	s_or_saveexec_b64 s[6:7], s[6:7]
	v_mov_b32_e32 v6, s10
	s_xor_b64 exec, exec, s[6:7]
	s_cbranch_execz .LBB6_678
.LBB6_2728:
	v_mov_b32_e32 v6, 0
	v_cmp_ne_u16_sdwa s[8:9], v3, v6 src0_sel:BYTE_0 src1_sel:DWORD
	s_andn2_b64 s[4:5], s[4:5], exec
	s_and_b64 s[8:9], s[8:9], exec
	s_or_b64 s[4:5], s[4:5], s[8:9]
	s_or_b64 exec, exec, s[6:7]
	s_and_saveexec_b64 s[6:7], s[4:5]
	s_cbranch_execnz .LBB6_679
	s_branch .LBB6_680
.LBB6_2729:
	s_movk_i32 s4, 0x80
	v_cmp_eq_u16_sdwa s[12:13], v6, s4 src0_sel:BYTE_0 src1_sel:DWORD
	s_mov_b64 s[4:5], -1
                                        ; implicit-def: $sgpr10
	s_and_saveexec_b64 s[8:9], s[12:13]
; %bb.2730:
	s_mov_b32 s10, 0x7f800001
	s_xor_b64 s[4:5], exec, -1
; %bb.2731:
	s_or_b64 exec, exec, s[8:9]
	s_and_b64 s[4:5], s[4:5], exec
	s_or_saveexec_b64 s[6:7], s[6:7]
	v_mov_b32_e32 v2, s10
	s_xor_b64 exec, exec, s[6:7]
	s_cbranch_execz .LBB6_682
.LBB6_2732:
	v_mov_b32_e32 v2, 0
	v_cmp_ne_u16_sdwa s[8:9], v6, v2 src0_sel:BYTE_0 src1_sel:DWORD
	s_andn2_b64 s[4:5], s[4:5], exec
	s_and_b64 s[8:9], s[8:9], exec
	s_or_b64 s[4:5], s[4:5], s[8:9]
	s_or_b64 exec, exec, s[6:7]
	s_and_saveexec_b64 s[6:7], s[4:5]
	s_cbranch_execnz .LBB6_683
	s_branch .LBB6_684
.LBB6_2733:
	s_movk_i32 s4, 0x80
	v_cmp_eq_u16_sdwa s[12:13], v6, s4 src0_sel:BYTE_0 src1_sel:DWORD
	s_mov_b64 s[4:5], -1
                                        ; implicit-def: $sgpr10
	s_and_saveexec_b64 s[8:9], s[12:13]
; %bb.2734:
	s_mov_b32 s10, 0x7f800001
	s_xor_b64 s[4:5], exec, -1
; %bb.2735:
	s_or_b64 exec, exec, s[8:9]
	s_and_b64 s[4:5], s[4:5], exec
	s_or_saveexec_b64 s[6:7], s[6:7]
	v_mov_b32_e32 v12, s10
	s_xor_b64 exec, exec, s[6:7]
	s_cbranch_execz .LBB6_686
.LBB6_2736:
	v_mov_b32_e32 v12, 0
	v_cmp_ne_u16_sdwa s[8:9], v6, v12 src0_sel:BYTE_0 src1_sel:DWORD
	s_andn2_b64 s[4:5], s[4:5], exec
	s_and_b64 s[8:9], s[8:9], exec
	s_or_b64 s[4:5], s[4:5], s[8:9]
	s_or_b64 exec, exec, s[6:7]
	s_and_saveexec_b64 s[6:7], s[4:5]
	s_cbranch_execnz .LBB6_687
	s_branch .LBB6_688
.LBB6_2737:
	s_movk_i32 s4, 0x80
	v_cmp_eq_u16_e32 vcc, s4, v6
	s_mov_b64 s[4:5], -1
                                        ; implicit-def: $sgpr10
	s_and_saveexec_b64 s[8:9], vcc
; %bb.2738:
	s_mov_b32 s10, 0x7f800001
	s_xor_b64 s[4:5], exec, -1
; %bb.2739:
	s_or_b64 exec, exec, s[8:9]
	s_and_b64 s[4:5], s[4:5], exec
                                        ; implicit-def: $vgpr6
	s_or_saveexec_b64 s[6:7], s[6:7]
	v_mov_b32_e32 v2, s10
	s_xor_b64 exec, exec, s[6:7]
	s_cbranch_execz .LBB6_690
.LBB6_2740:
	v_cmp_ne_u16_e32 vcc, 0, v6
	s_andn2_b64 s[4:5], s[4:5], exec
	s_and_b64 s[8:9], vcc, exec
	v_mov_b32_e32 v2, 0
	s_or_b64 s[4:5], s[4:5], s[8:9]
	s_or_b64 exec, exec, s[6:7]
	s_and_saveexec_b64 s[6:7], s[4:5]
	s_cbranch_execnz .LBB6_691
	s_branch .LBB6_692
.LBB6_2741:
	s_movk_i32 s4, 0x80
	v_cmp_eq_u16_e32 vcc, s4, v6
	s_mov_b64 s[4:5], -1
                                        ; implicit-def: $sgpr10
	s_and_saveexec_b64 s[8:9], vcc
; %bb.2742:
	s_mov_b32 s10, 0x7f800001
	s_xor_b64 s[4:5], exec, -1
; %bb.2743:
	s_or_b64 exec, exec, s[8:9]
	s_and_b64 s[4:5], s[4:5], exec
                                        ; implicit-def: $vgpr6
	s_or_saveexec_b64 s[6:7], s[6:7]
	v_mov_b32_e32 v12, s10
	s_xor_b64 exec, exec, s[6:7]
	s_cbranch_execz .LBB6_694
.LBB6_2744:
	v_cmp_ne_u16_e32 vcc, 0, v6
	s_andn2_b64 s[4:5], s[4:5], exec
	s_and_b64 s[8:9], vcc, exec
	v_mov_b32_e32 v12, 0
	s_or_b64 s[4:5], s[4:5], s[8:9]
	s_or_b64 exec, exec, s[6:7]
	s_and_saveexec_b64 s[6:7], s[4:5]
	s_cbranch_execnz .LBB6_695
	s_branch .LBB6_696
.LBB6_2745:
	s_movk_i32 s4, 0x80
	v_cmp_eq_u16_sdwa s[12:13], v7, s4 src0_sel:BYTE_3 src1_sel:DWORD
	s_mov_b64 s[4:5], -1
                                        ; implicit-def: $sgpr10
	s_and_saveexec_b64 s[8:9], s[12:13]
; %bb.2746:
	s_mov_b32 s10, 0x7f800001
	s_xor_b64 s[4:5], exec, -1
; %bb.2747:
	s_or_b64 exec, exec, s[8:9]
	s_and_b64 s[4:5], s[4:5], exec
	s_or_saveexec_b64 s[6:7], s[6:7]
	v_mov_b32_e32 v2, s10
	s_xor_b64 exec, exec, s[6:7]
	s_cbranch_execz .LBB6_698
.LBB6_2748:
	v_mov_b32_e32 v2, 0
	v_cmp_ne_u16_sdwa s[8:9], v7, v2 src0_sel:BYTE_3 src1_sel:DWORD
	s_andn2_b64 s[4:5], s[4:5], exec
	s_and_b64 s[8:9], s[8:9], exec
	s_or_b64 s[4:5], s[4:5], s[8:9]
	s_or_b64 exec, exec, s[6:7]
	s_and_saveexec_b64 s[6:7], s[4:5]
	s_cbranch_execnz .LBB6_699
	s_branch .LBB6_700
.LBB6_2749:
	s_movk_i32 s4, 0x80
	v_cmp_eq_u16_sdwa s[12:13], v3, s4 src0_sel:BYTE_3 src1_sel:DWORD
	s_mov_b64 s[4:5], -1
                                        ; implicit-def: $sgpr10
	s_and_saveexec_b64 s[8:9], s[12:13]
; %bb.2750:
	s_mov_b32 s10, 0x7f800001
	s_xor_b64 s[4:5], exec, -1
; %bb.2751:
	s_or_b64 exec, exec, s[8:9]
	s_and_b64 s[4:5], s[4:5], exec
	s_or_saveexec_b64 s[6:7], s[6:7]
	v_mov_b32_e32 v6, s10
	s_xor_b64 exec, exec, s[6:7]
	s_cbranch_execz .LBB6_702
.LBB6_2752:
	v_mov_b32_e32 v6, 0
	v_cmp_ne_u16_sdwa s[8:9], v3, v6 src0_sel:BYTE_3 src1_sel:DWORD
	s_andn2_b64 s[4:5], s[4:5], exec
	s_and_b64 s[8:9], s[8:9], exec
	s_or_b64 s[4:5], s[4:5], s[8:9]
	s_or_b64 exec, exec, s[6:7]
	s_and_saveexec_b64 s[6:7], s[4:5]
	s_cbranch_execnz .LBB6_703
	s_branch .LBB6_704
.LBB6_2753:
	s_movk_i32 s4, 0x80
	v_cmp_eq_u16_sdwa s[12:13], v8, s4 src0_sel:BYTE_0 src1_sel:DWORD
	s_mov_b64 s[4:5], -1
                                        ; implicit-def: $sgpr10
	s_and_saveexec_b64 s[8:9], s[12:13]
; %bb.2754:
	s_mov_b32 s10, 0x7f800001
	s_xor_b64 s[4:5], exec, -1
; %bb.2755:
	s_or_b64 exec, exec, s[8:9]
	s_and_b64 s[4:5], s[4:5], exec
	s_or_saveexec_b64 s[6:7], s[6:7]
	v_mov_b32_e32 v2, s10
	s_xor_b64 exec, exec, s[6:7]
	s_cbranch_execz .LBB6_706
.LBB6_2756:
	v_mov_b32_e32 v2, 0
	v_cmp_ne_u16_sdwa s[8:9], v8, v2 src0_sel:BYTE_0 src1_sel:DWORD
	s_andn2_b64 s[4:5], s[4:5], exec
	s_and_b64 s[8:9], s[8:9], exec
	s_or_b64 s[4:5], s[4:5], s[8:9]
	s_or_b64 exec, exec, s[6:7]
	s_and_saveexec_b64 s[6:7], s[4:5]
	s_cbranch_execnz .LBB6_707
	s_branch .LBB6_708
.LBB6_2757:
	s_movk_i32 s4, 0x80
	v_cmp_eq_u16_sdwa s[12:13], v4, s4 src0_sel:BYTE_0 src1_sel:DWORD
	s_mov_b64 s[4:5], -1
                                        ; implicit-def: $sgpr10
	s_and_saveexec_b64 s[8:9], s[12:13]
; %bb.2758:
	s_mov_b32 s10, 0x7f800001
	s_xor_b64 s[4:5], exec, -1
; %bb.2759:
	s_or_b64 exec, exec, s[8:9]
	s_and_b64 s[4:5], s[4:5], exec
	s_or_saveexec_b64 s[6:7], s[6:7]
	v_mov_b32_e32 v3, s10
	s_xor_b64 exec, exec, s[6:7]
	s_cbranch_execz .LBB6_710
.LBB6_2760:
	v_mov_b32_e32 v3, 0
	v_cmp_ne_u16_sdwa s[8:9], v4, v3 src0_sel:BYTE_0 src1_sel:DWORD
	s_andn2_b64 s[4:5], s[4:5], exec
	s_and_b64 s[8:9], s[8:9], exec
	s_or_b64 s[4:5], s[4:5], s[8:9]
	s_or_b64 exec, exec, s[6:7]
	s_and_saveexec_b64 s[6:7], s[4:5]
	s_cbranch_execnz .LBB6_711
	s_branch .LBB6_712
.LBB6_2761:
	s_movk_i32 s4, 0x80
	v_cmp_eq_u16_sdwa s[12:13], v3, s4 src0_sel:BYTE_0 src1_sel:DWORD
	s_mov_b64 s[4:5], -1
                                        ; implicit-def: $sgpr10
	s_and_saveexec_b64 s[8:9], s[12:13]
; %bb.2762:
	s_mov_b32 s10, 0x7f800001
	s_xor_b64 s[4:5], exec, -1
; %bb.2763:
	s_or_b64 exec, exec, s[8:9]
	s_and_b64 s[4:5], s[4:5], exec
	s_or_saveexec_b64 s[6:7], s[6:7]
	v_mov_b32_e32 v2, s10
	s_xor_b64 exec, exec, s[6:7]
	s_cbranch_execz .LBB6_714
.LBB6_2764:
	v_mov_b32_e32 v2, 0
	v_cmp_ne_u16_sdwa s[8:9], v3, v2 src0_sel:BYTE_0 src1_sel:DWORD
	s_andn2_b64 s[4:5], s[4:5], exec
	s_and_b64 s[8:9], s[8:9], exec
	s_or_b64 s[4:5], s[4:5], s[8:9]
	s_or_b64 exec, exec, s[6:7]
	s_and_saveexec_b64 s[6:7], s[4:5]
	s_cbranch_execnz .LBB6_715
	s_branch .LBB6_716
.LBB6_2765:
	s_movk_i32 s4, 0x80
	v_cmp_eq_u16_sdwa s[12:13], v3, s4 src0_sel:BYTE_0 src1_sel:DWORD
	s_mov_b64 s[4:5], -1
                                        ; implicit-def: $sgpr10
	s_and_saveexec_b64 s[8:9], s[12:13]
; %bb.2766:
	s_mov_b32 s10, 0x7f800001
	s_xor_b64 s[4:5], exec, -1
; %bb.2767:
	s_or_b64 exec, exec, s[8:9]
	s_and_b64 s[4:5], s[4:5], exec
	s_or_saveexec_b64 s[6:7], s[6:7]
	v_mov_b32_e32 v6, s10
	s_xor_b64 exec, exec, s[6:7]
	s_cbranch_execz .LBB6_718
.LBB6_2768:
	v_mov_b32_e32 v6, 0
	v_cmp_ne_u16_sdwa s[8:9], v3, v6 src0_sel:BYTE_0 src1_sel:DWORD
	s_andn2_b64 s[4:5], s[4:5], exec
	s_and_b64 s[8:9], s[8:9], exec
	s_or_b64 s[4:5], s[4:5], s[8:9]
	s_or_b64 exec, exec, s[6:7]
	s_and_saveexec_b64 s[6:7], s[4:5]
	s_cbranch_execnz .LBB6_719
	s_branch .LBB6_720
.LBB6_2769:
	s_movk_i32 s4, 0x80
	v_cmp_eq_u16_e32 vcc, s4, v3
	s_mov_b64 s[4:5], -1
                                        ; implicit-def: $sgpr10
	s_and_saveexec_b64 s[8:9], vcc
; %bb.2770:
	s_mov_b32 s10, 0x7f800001
	s_xor_b64 s[4:5], exec, -1
; %bb.2771:
	s_or_b64 exec, exec, s[8:9]
	s_and_b64 s[4:5], s[4:5], exec
                                        ; implicit-def: $vgpr3
	s_or_saveexec_b64 s[6:7], s[6:7]
	v_mov_b32_e32 v2, s10
	s_xor_b64 exec, exec, s[6:7]
	s_cbranch_execz .LBB6_722
.LBB6_2772:
	v_cmp_ne_u16_e32 vcc, 0, v3
	s_andn2_b64 s[4:5], s[4:5], exec
	s_and_b64 s[8:9], vcc, exec
	v_mov_b32_e32 v2, 0
	s_or_b64 s[4:5], s[4:5], s[8:9]
	s_or_b64 exec, exec, s[6:7]
	s_and_saveexec_b64 s[6:7], s[4:5]
	s_cbranch_execnz .LBB6_723
	s_branch .LBB6_724
.LBB6_2773:
	s_movk_i32 s4, 0x80
	v_cmp_eq_u16_e32 vcc, s4, v3
	s_mov_b64 s[4:5], -1
                                        ; implicit-def: $sgpr10
	s_and_saveexec_b64 s[8:9], vcc
; %bb.2774:
	s_mov_b32 s10, 0x7f800001
	s_xor_b64 s[4:5], exec, -1
; %bb.2775:
	s_or_b64 exec, exec, s[8:9]
	s_and_b64 s[4:5], s[4:5], exec
                                        ; implicit-def: $vgpr3
	s_or_saveexec_b64 s[6:7], s[6:7]
	v_mov_b32_e32 v6, s10
	s_xor_b64 exec, exec, s[6:7]
	s_cbranch_execz .LBB6_726
.LBB6_2776:
	v_cmp_ne_u16_e32 vcc, 0, v3
	s_andn2_b64 s[4:5], s[4:5], exec
	s_and_b64 s[8:9], vcc, exec
	v_mov_b32_e32 v6, 0
	s_or_b64 s[4:5], s[4:5], s[8:9]
	s_or_b64 exec, exec, s[6:7]
	s_and_saveexec_b64 s[6:7], s[4:5]
	s_cbranch_execnz .LBB6_727
	s_branch .LBB6_728
.LBB6_2777:
	s_movk_i32 s4, 0x80
	v_cmp_eq_u16_sdwa s[12:13], v8, s4 src0_sel:BYTE_3 src1_sel:DWORD
	s_mov_b64 s[4:5], -1
                                        ; implicit-def: $sgpr10
	s_and_saveexec_b64 s[8:9], s[12:13]
; %bb.2778:
	s_mov_b32 s10, 0x7f800001
	s_xor_b64 s[4:5], exec, -1
; %bb.2779:
	s_or_b64 exec, exec, s[8:9]
	s_and_b64 s[4:5], s[4:5], exec
	s_or_saveexec_b64 s[6:7], s[6:7]
	v_mov_b32_e32 v2, s10
	s_xor_b64 exec, exec, s[6:7]
	s_cbranch_execz .LBB6_730
.LBB6_2780:
	v_mov_b32_e32 v2, 0
	v_cmp_ne_u16_sdwa s[8:9], v8, v2 src0_sel:BYTE_3 src1_sel:DWORD
	s_andn2_b64 s[4:5], s[4:5], exec
	s_and_b64 s[8:9], s[8:9], exec
	s_or_b64 s[4:5], s[4:5], s[8:9]
	s_or_b64 exec, exec, s[6:7]
	s_and_saveexec_b64 s[6:7], s[4:5]
	s_cbranch_execnz .LBB6_731
	s_branch .LBB6_732
.LBB6_2781:
	s_movk_i32 s4, 0x80
	v_cmp_eq_u16_sdwa s[12:13], v4, s4 src0_sel:BYTE_3 src1_sel:DWORD
	s_mov_b64 s[4:5], -1
                                        ; implicit-def: $sgpr10
	s_and_saveexec_b64 s[8:9], s[12:13]
; %bb.2782:
	s_mov_b32 s10, 0x7f800001
	s_xor_b64 s[4:5], exec, -1
; %bb.2783:
	s_or_b64 exec, exec, s[8:9]
	s_and_b64 s[4:5], s[4:5], exec
	s_or_saveexec_b64 s[6:7], s[6:7]
	v_mov_b32_e32 v3, s10
	s_xor_b64 exec, exec, s[6:7]
	s_cbranch_execz .LBB6_734
.LBB6_2784:
	v_mov_b32_e32 v3, 0
	v_cmp_ne_u16_sdwa s[8:9], v4, v3 src0_sel:BYTE_3 src1_sel:DWORD
	s_andn2_b64 s[4:5], s[4:5], exec
	s_and_b64 s[8:9], s[8:9], exec
	s_or_b64 s[4:5], s[4:5], s[8:9]
	s_or_b64 exec, exec, s[6:7]
	s_and_saveexec_b64 s[6:7], s[4:5]
	s_cbranch_execnz .LBB6_735
	s_branch .LBB6_736
.LBB6_2785:
	s_movk_i32 s4, 0x80
	v_cmp_eq_u16_sdwa s[12:13], v9, s4 src0_sel:BYTE_0 src1_sel:DWORD
	s_mov_b64 s[4:5], -1
                                        ; implicit-def: $sgpr10
	s_and_saveexec_b64 s[8:9], s[12:13]
; %bb.2786:
	s_mov_b32 s10, 0x7f800001
	s_xor_b64 s[4:5], exec, -1
; %bb.2787:
	s_or_b64 exec, exec, s[8:9]
	s_and_b64 s[4:5], s[4:5], exec
	s_or_saveexec_b64 s[6:7], s[6:7]
	v_mov_b32_e32 v2, s10
	s_xor_b64 exec, exec, s[6:7]
	s_cbranch_execz .LBB6_738
.LBB6_2788:
	v_mov_b32_e32 v2, 0
	v_cmp_ne_u16_sdwa s[8:9], v9, v2 src0_sel:BYTE_0 src1_sel:DWORD
	s_andn2_b64 s[4:5], s[4:5], exec
	s_and_b64 s[8:9], s[8:9], exec
	s_or_b64 s[4:5], s[4:5], s[8:9]
	s_or_b64 exec, exec, s[6:7]
	s_and_saveexec_b64 s[6:7], s[4:5]
	s_cbranch_execnz .LBB6_739
	s_branch .LBB6_740
.LBB6_2789:
	s_movk_i32 s4, 0x80
	v_cmp_eq_u16_sdwa s[12:13], v5, s4 src0_sel:BYTE_0 src1_sel:DWORD
	s_mov_b64 s[4:5], -1
                                        ; implicit-def: $sgpr10
	s_and_saveexec_b64 s[8:9], s[12:13]
; %bb.2790:
	s_mov_b32 s10, 0x7f800001
	s_xor_b64 s[4:5], exec, -1
; %bb.2791:
	s_or_b64 exec, exec, s[8:9]
	s_and_b64 s[4:5], s[4:5], exec
	s_or_saveexec_b64 s[6:7], s[6:7]
	v_mov_b32_e32 v3, s10
	s_xor_b64 exec, exec, s[6:7]
	s_cbranch_execz .LBB6_742
.LBB6_2792:
	v_mov_b32_e32 v3, 0
	v_cmp_ne_u16_sdwa s[8:9], v5, v3 src0_sel:BYTE_0 src1_sel:DWORD
	s_andn2_b64 s[4:5], s[4:5], exec
	s_and_b64 s[8:9], s[8:9], exec
	s_or_b64 s[4:5], s[4:5], s[8:9]
	s_or_b64 exec, exec, s[6:7]
	s_and_saveexec_b64 s[6:7], s[4:5]
	s_cbranch_execnz .LBB6_743
	s_branch .LBB6_744
.LBB6_2793:
	s_movk_i32 s4, 0x80
	v_cmp_eq_u16_sdwa s[12:13], v3, s4 src0_sel:BYTE_0 src1_sel:DWORD
	s_mov_b64 s[4:5], -1
                                        ; implicit-def: $sgpr10
	s_and_saveexec_b64 s[8:9], s[12:13]
; %bb.2794:
	s_mov_b32 s10, 0x7f800001
	s_xor_b64 s[4:5], exec, -1
; %bb.2795:
	s_or_b64 exec, exec, s[8:9]
	s_and_b64 s[4:5], s[4:5], exec
	s_or_saveexec_b64 s[6:7], s[6:7]
	v_mov_b32_e32 v2, s10
	s_xor_b64 exec, exec, s[6:7]
	s_cbranch_execz .LBB6_746
.LBB6_2796:
	v_mov_b32_e32 v2, 0
	v_cmp_ne_u16_sdwa s[8:9], v3, v2 src0_sel:BYTE_0 src1_sel:DWORD
	s_andn2_b64 s[4:5], s[4:5], exec
	s_and_b64 s[8:9], s[8:9], exec
	s_or_b64 s[4:5], s[4:5], s[8:9]
	s_or_b64 exec, exec, s[6:7]
	s_and_saveexec_b64 s[6:7], s[4:5]
	s_cbranch_execnz .LBB6_747
	s_branch .LBB6_748
.LBB6_2797:
	s_movk_i32 s4, 0x80
	v_cmp_eq_u16_sdwa s[12:13], v3, s4 src0_sel:BYTE_0 src1_sel:DWORD
	s_mov_b64 s[4:5], -1
                                        ; implicit-def: $sgpr10
	s_and_saveexec_b64 s[8:9], s[12:13]
; %bb.2798:
	s_mov_b32 s10, 0x7f800001
	s_xor_b64 s[4:5], exec, -1
; %bb.2799:
	s_or_b64 exec, exec, s[8:9]
	s_and_b64 s[4:5], s[4:5], exec
	s_or_saveexec_b64 s[6:7], s[6:7]
	v_mov_b32_e32 v4, s10
	s_xor_b64 exec, exec, s[6:7]
	s_cbranch_execz .LBB6_750
.LBB6_2800:
	v_mov_b32_e32 v4, 0
	v_cmp_ne_u16_sdwa s[8:9], v3, v4 src0_sel:BYTE_0 src1_sel:DWORD
	s_andn2_b64 s[4:5], s[4:5], exec
	s_and_b64 s[8:9], s[8:9], exec
	s_or_b64 s[4:5], s[4:5], s[8:9]
	s_or_b64 exec, exec, s[6:7]
	s_and_saveexec_b64 s[6:7], s[4:5]
	s_cbranch_execnz .LBB6_751
	s_branch .LBB6_752
.LBB6_2801:
	s_movk_i32 s4, 0x80
	v_cmp_eq_u16_e32 vcc, s4, v3
	s_mov_b64 s[4:5], -1
                                        ; implicit-def: $sgpr10
	s_and_saveexec_b64 s[8:9], vcc
; %bb.2802:
	s_mov_b32 s10, 0x7f800001
	s_xor_b64 s[4:5], exec, -1
; %bb.2803:
	s_or_b64 exec, exec, s[8:9]
	s_and_b64 s[4:5], s[4:5], exec
                                        ; implicit-def: $vgpr3
	s_or_saveexec_b64 s[6:7], s[6:7]
	v_mov_b32_e32 v2, s10
	s_xor_b64 exec, exec, s[6:7]
	s_cbranch_execz .LBB6_754
.LBB6_2804:
	v_cmp_ne_u16_e32 vcc, 0, v3
	s_andn2_b64 s[4:5], s[4:5], exec
	s_and_b64 s[8:9], vcc, exec
	v_mov_b32_e32 v2, 0
	s_or_b64 s[4:5], s[4:5], s[8:9]
	s_or_b64 exec, exec, s[6:7]
	s_and_saveexec_b64 s[6:7], s[4:5]
	s_cbranch_execnz .LBB6_755
	s_branch .LBB6_756
.LBB6_2805:
	s_movk_i32 s4, 0x80
	v_cmp_eq_u16_e32 vcc, s4, v3
	s_mov_b64 s[4:5], -1
                                        ; implicit-def: $sgpr10
	s_and_saveexec_b64 s[8:9], vcc
; %bb.2806:
	s_mov_b32 s10, 0x7f800001
	s_xor_b64 s[4:5], exec, -1
; %bb.2807:
	s_or_b64 exec, exec, s[8:9]
	s_and_b64 s[4:5], s[4:5], exec
                                        ; implicit-def: $vgpr3
	s_or_saveexec_b64 s[6:7], s[6:7]
	v_mov_b32_e32 v4, s10
	s_xor_b64 exec, exec, s[6:7]
	s_cbranch_execz .LBB6_758
.LBB6_2808:
	v_cmp_ne_u16_e32 vcc, 0, v3
	s_andn2_b64 s[4:5], s[4:5], exec
	s_and_b64 s[8:9], vcc, exec
	v_mov_b32_e32 v4, 0
	s_or_b64 s[4:5], s[4:5], s[8:9]
	s_or_b64 exec, exec, s[6:7]
	s_and_saveexec_b64 s[6:7], s[4:5]
	s_cbranch_execnz .LBB6_759
	s_branch .LBB6_760
.LBB6_2809:
	s_movk_i32 s4, 0x80
	v_cmp_eq_u16_sdwa s[12:13], v9, s4 src0_sel:BYTE_3 src1_sel:DWORD
	s_mov_b64 s[4:5], -1
                                        ; implicit-def: $sgpr10
	s_and_saveexec_b64 s[8:9], s[12:13]
; %bb.2810:
	s_mov_b32 s10, 0x7f800001
	s_xor_b64 s[4:5], exec, -1
; %bb.2811:
	s_or_b64 exec, exec, s[8:9]
	s_and_b64 s[4:5], s[4:5], exec
	s_or_saveexec_b64 s[6:7], s[6:7]
	v_mov_b32_e32 v2, s10
	s_xor_b64 exec, exec, s[6:7]
	s_cbranch_execz .LBB6_762
.LBB6_2812:
	v_mov_b32_e32 v2, 0
	v_cmp_ne_u16_sdwa s[8:9], v9, v2 src0_sel:BYTE_3 src1_sel:DWORD
	s_andn2_b64 s[4:5], s[4:5], exec
	s_and_b64 s[8:9], s[8:9], exec
	s_or_b64 s[4:5], s[4:5], s[8:9]
	s_or_b64 exec, exec, s[6:7]
	s_and_saveexec_b64 s[6:7], s[4:5]
	s_cbranch_execnz .LBB6_763
	s_branch .LBB6_764
.LBB6_2813:
	s_movk_i32 s4, 0x80
	v_cmp_eq_u16_sdwa s[12:13], v5, s4 src0_sel:BYTE_3 src1_sel:DWORD
	s_mov_b64 s[4:5], -1
                                        ; implicit-def: $sgpr10
	s_and_saveexec_b64 s[8:9], s[12:13]
; %bb.2814:
	s_mov_b32 s10, 0x7f800001
	s_xor_b64 s[4:5], exec, -1
; %bb.2815:
	s_or_b64 exec, exec, s[8:9]
	s_and_b64 s[4:5], s[4:5], exec
	s_or_saveexec_b64 s[6:7], s[6:7]
	v_mov_b32_e32 v3, s10
	s_xor_b64 exec, exec, s[6:7]
	s_cbranch_execz .LBB6_766
.LBB6_2816:
	v_mov_b32_e32 v3, 0
	v_cmp_ne_u16_sdwa s[8:9], v5, v3 src0_sel:BYTE_3 src1_sel:DWORD
	s_andn2_b64 s[4:5], s[4:5], exec
	s_and_b64 s[8:9], s[8:9], exec
	s_or_b64 s[4:5], s[4:5], s[8:9]
	s_or_b64 exec, exec, s[6:7]
	s_and_saveexec_b64 s[6:7], s[4:5]
	s_cbranch_execnz .LBB6_767
	s_branch .LBB6_768
.LBB6_2817:
	s_movk_i32 s4, 0x80
	v_cmp_eq_u16_sdwa s[12:13], v6, s4 src0_sel:BYTE_0 src1_sel:DWORD
	s_mov_b64 s[4:5], -1
                                        ; implicit-def: $sgpr10
	s_and_saveexec_b64 s[8:9], s[12:13]
; %bb.2818:
	s_mov_b32 s10, 0x7f800001
	s_xor_b64 s[4:5], exec, -1
; %bb.2819:
	s_or_b64 exec, exec, s[8:9]
	s_and_b64 s[4:5], s[4:5], exec
	s_or_saveexec_b64 s[6:7], s[6:7]
	v_mov_b32_e32 v12, s10
	s_xor_b64 exec, exec, s[6:7]
	s_cbranch_execz .LBB6_770
.LBB6_2820:
	v_mov_b32_e32 v12, 0
	v_cmp_ne_u16_sdwa s[8:9], v6, v12 src0_sel:BYTE_0 src1_sel:DWORD
	s_andn2_b64 s[4:5], s[4:5], exec
	s_and_b64 s[8:9], s[8:9], exec
	s_or_b64 s[4:5], s[4:5], s[8:9]
	s_or_b64 exec, exec, s[6:7]
	s_and_saveexec_b64 s[6:7], s[4:5]
	s_cbranch_execnz .LBB6_771
	s_branch .LBB6_772
.LBB6_2821:
	s_movk_i32 s4, 0x80
	v_cmp_eq_u16_sdwa s[12:13], v2, s4 src0_sel:BYTE_0 src1_sel:DWORD
	s_mov_b64 s[4:5], -1
                                        ; implicit-def: $sgpr10
	s_and_saveexec_b64 s[8:9], s[12:13]
; %bb.2822:
	s_mov_b32 s10, 0x7f800001
	s_xor_b64 s[4:5], exec, -1
; %bb.2823:
	s_or_b64 exec, exec, s[8:9]
	s_and_b64 s[4:5], s[4:5], exec
	s_or_saveexec_b64 s[6:7], s[6:7]
	v_mov_b32_e32 v13, s10
	s_xor_b64 exec, exec, s[6:7]
	s_cbranch_execz .LBB6_774
.LBB6_2824:
	v_mov_b32_e32 v13, 0
	v_cmp_ne_u16_sdwa s[8:9], v2, v13 src0_sel:BYTE_0 src1_sel:DWORD
	s_andn2_b64 s[4:5], s[4:5], exec
	s_and_b64 s[8:9], s[8:9], exec
	s_or_b64 s[4:5], s[4:5], s[8:9]
	s_or_b64 exec, exec, s[6:7]
	s_and_saveexec_b64 s[6:7], s[4:5]
	s_cbranch_execnz .LBB6_775
	s_branch .LBB6_776
.LBB6_2825:
	s_movk_i32 s4, 0x80
	v_cmp_eq_u16_sdwa s[12:13], v13, s4 src0_sel:BYTE_0 src1_sel:DWORD
	s_mov_b64 s[4:5], -1
                                        ; implicit-def: $sgpr10
	s_and_saveexec_b64 s[8:9], s[12:13]
; %bb.2826:
	s_mov_b32 s10, 0x7f800001
	s_xor_b64 s[4:5], exec, -1
; %bb.2827:
	s_or_b64 exec, exec, s[8:9]
	s_and_b64 s[4:5], s[4:5], exec
	s_or_saveexec_b64 s[6:7], s[6:7]
	v_mov_b32_e32 v12, s10
	s_xor_b64 exec, exec, s[6:7]
	s_cbranch_execz .LBB6_778
.LBB6_2828:
	v_mov_b32_e32 v12, 0
	v_cmp_ne_u16_sdwa s[8:9], v13, v12 src0_sel:BYTE_0 src1_sel:DWORD
	s_andn2_b64 s[4:5], s[4:5], exec
	s_and_b64 s[8:9], s[8:9], exec
	s_or_b64 s[4:5], s[4:5], s[8:9]
	s_or_b64 exec, exec, s[6:7]
	s_and_saveexec_b64 s[6:7], s[4:5]
	s_cbranch_execnz .LBB6_779
	s_branch .LBB6_780
.LBB6_2829:
	s_movk_i32 s4, 0x80
	v_cmp_eq_u16_sdwa s[12:13], v13, s4 src0_sel:BYTE_0 src1_sel:DWORD
	s_mov_b64 s[4:5], -1
                                        ; implicit-def: $sgpr10
	s_and_saveexec_b64 s[8:9], s[12:13]
; %bb.2830:
	s_mov_b32 s10, 0x7f800001
	s_xor_b64 s[4:5], exec, -1
; %bb.2831:
	s_or_b64 exec, exec, s[8:9]
	s_and_b64 s[4:5], s[4:5], exec
	s_or_saveexec_b64 s[6:7], s[6:7]
	v_mov_b32_e32 v14, s10
	s_xor_b64 exec, exec, s[6:7]
	s_cbranch_execz .LBB6_782
.LBB6_2832:
	v_mov_b32_e32 v14, 0
	v_cmp_ne_u16_sdwa s[8:9], v13, v14 src0_sel:BYTE_0 src1_sel:DWORD
	s_andn2_b64 s[4:5], s[4:5], exec
	s_and_b64 s[8:9], s[8:9], exec
	s_or_b64 s[4:5], s[4:5], s[8:9]
	s_or_b64 exec, exec, s[6:7]
	s_and_saveexec_b64 s[6:7], s[4:5]
	s_cbranch_execnz .LBB6_783
	s_branch .LBB6_784
.LBB6_2833:
	s_movk_i32 s4, 0x80
	v_cmp_eq_u16_e32 vcc, s4, v13
	s_mov_b64 s[4:5], -1
                                        ; implicit-def: $sgpr10
	s_and_saveexec_b64 s[8:9], vcc
; %bb.2834:
	s_mov_b32 s10, 0x7f800001
	s_xor_b64 s[4:5], exec, -1
; %bb.2835:
	s_or_b64 exec, exec, s[8:9]
	s_and_b64 s[4:5], s[4:5], exec
                                        ; implicit-def: $vgpr13
	s_or_saveexec_b64 s[6:7], s[6:7]
	v_mov_b32_e32 v12, s10
	s_xor_b64 exec, exec, s[6:7]
	s_cbranch_execz .LBB6_786
.LBB6_2836:
	v_cmp_ne_u16_e32 vcc, 0, v13
	s_andn2_b64 s[4:5], s[4:5], exec
	s_and_b64 s[8:9], vcc, exec
	v_mov_b32_e32 v12, 0
	s_or_b64 s[4:5], s[4:5], s[8:9]
	s_or_b64 exec, exec, s[6:7]
	s_and_saveexec_b64 s[6:7], s[4:5]
	s_cbranch_execnz .LBB6_787
	s_branch .LBB6_788
.LBB6_2837:
	s_movk_i32 s4, 0x80
	v_cmp_eq_u16_e32 vcc, s4, v13
	s_mov_b64 s[4:5], -1
                                        ; implicit-def: $sgpr10
	s_and_saveexec_b64 s[8:9], vcc
; %bb.2838:
	s_mov_b32 s10, 0x7f800001
	s_xor_b64 s[4:5], exec, -1
; %bb.2839:
	s_or_b64 exec, exec, s[8:9]
	s_and_b64 s[4:5], s[4:5], exec
                                        ; implicit-def: $vgpr13
	s_or_saveexec_b64 s[6:7], s[6:7]
	v_mov_b32_e32 v14, s10
	s_xor_b64 exec, exec, s[6:7]
	s_cbranch_execz .LBB6_790
.LBB6_2840:
	v_cmp_ne_u16_e32 vcc, 0, v13
	s_andn2_b64 s[4:5], s[4:5], exec
	s_and_b64 s[8:9], vcc, exec
	v_mov_b32_e32 v14, 0
	s_or_b64 s[4:5], s[4:5], s[8:9]
	s_or_b64 exec, exec, s[6:7]
	s_and_saveexec_b64 s[6:7], s[4:5]
	s_cbranch_execnz .LBB6_791
	s_branch .LBB6_792
.LBB6_2841:
	s_movk_i32 s4, 0x80
	v_cmp_eq_u16_sdwa s[12:13], v6, s4 src0_sel:BYTE_3 src1_sel:DWORD
	s_mov_b64 s[4:5], -1
                                        ; implicit-def: $sgpr10
	s_and_saveexec_b64 s[8:9], s[12:13]
; %bb.2842:
	s_mov_b32 s10, 0x7f800001
	s_xor_b64 s[4:5], exec, -1
; %bb.2843:
	s_or_b64 exec, exec, s[8:9]
	s_and_b64 s[4:5], s[4:5], exec
	s_or_saveexec_b64 s[6:7], s[6:7]
	v_mov_b32_e32 v12, s10
	s_xor_b64 exec, exec, s[6:7]
	s_cbranch_execz .LBB6_794
.LBB6_2844:
	v_mov_b32_e32 v12, 0
	v_cmp_ne_u16_sdwa s[8:9], v6, v12 src0_sel:BYTE_3 src1_sel:DWORD
	s_andn2_b64 s[4:5], s[4:5], exec
	s_and_b64 s[8:9], s[8:9], exec
	s_or_b64 s[4:5], s[4:5], s[8:9]
	s_or_b64 exec, exec, s[6:7]
	s_and_saveexec_b64 s[6:7], s[4:5]
	s_cbranch_execnz .LBB6_795
	s_branch .LBB6_796
.LBB6_2845:
	s_movk_i32 s4, 0x80
	v_cmp_eq_u16_sdwa s[12:13], v2, s4 src0_sel:BYTE_3 src1_sel:DWORD
	s_mov_b64 s[4:5], -1
                                        ; implicit-def: $sgpr10
	s_and_saveexec_b64 s[8:9], s[12:13]
; %bb.2846:
	s_mov_b32 s10, 0x7f800001
	s_xor_b64 s[4:5], exec, -1
; %bb.2847:
	s_or_b64 exec, exec, s[8:9]
	s_and_b64 s[4:5], s[4:5], exec
	s_or_saveexec_b64 s[6:7], s[6:7]
	v_mov_b32_e32 v6, s10
	s_xor_b64 exec, exec, s[6:7]
	s_cbranch_execz .LBB6_798
.LBB6_2848:
	v_mov_b32_e32 v6, 0
	v_cmp_ne_u16_sdwa s[8:9], v2, v6 src0_sel:BYTE_3 src1_sel:DWORD
	s_andn2_b64 s[4:5], s[4:5], exec
	s_and_b64 s[8:9], s[8:9], exec
	s_or_b64 s[4:5], s[4:5], s[8:9]
	s_or_b64 exec, exec, s[6:7]
	s_and_saveexec_b64 s[6:7], s[4:5]
	s_cbranch_execnz .LBB6_799
	s_branch .LBB6_800
.LBB6_2849:
	s_movk_i32 s4, 0x80
	v_cmp_eq_u16_sdwa s[12:13], v7, s4 src0_sel:BYTE_0 src1_sel:DWORD
	s_mov_b64 s[4:5], -1
                                        ; implicit-def: $sgpr10
	s_and_saveexec_b64 s[8:9], s[12:13]
; %bb.2850:
	s_mov_b32 s10, 0x7f800001
	s_xor_b64 s[4:5], exec, -1
; %bb.2851:
	s_or_b64 exec, exec, s[8:9]
	s_and_b64 s[4:5], s[4:5], exec
	s_or_saveexec_b64 s[6:7], s[6:7]
	v_mov_b32_e32 v2, s10
	s_xor_b64 exec, exec, s[6:7]
	s_cbranch_execz .LBB6_802
.LBB6_2852:
	v_mov_b32_e32 v2, 0
	v_cmp_ne_u16_sdwa s[8:9], v7, v2 src0_sel:BYTE_0 src1_sel:DWORD
	s_andn2_b64 s[4:5], s[4:5], exec
	s_and_b64 s[8:9], s[8:9], exec
	s_or_b64 s[4:5], s[4:5], s[8:9]
	s_or_b64 exec, exec, s[6:7]
	s_and_saveexec_b64 s[6:7], s[4:5]
	s_cbranch_execnz .LBB6_803
	s_branch .LBB6_804
.LBB6_2853:
	s_movk_i32 s4, 0x80
	v_cmp_eq_u16_sdwa s[12:13], v3, s4 src0_sel:BYTE_0 src1_sel:DWORD
	s_mov_b64 s[4:5], -1
                                        ; implicit-def: $sgpr10
	s_and_saveexec_b64 s[8:9], s[12:13]
; %bb.2854:
	s_mov_b32 s10, 0x7f800001
	s_xor_b64 s[4:5], exec, -1
; %bb.2855:
	s_or_b64 exec, exec, s[8:9]
	s_and_b64 s[4:5], s[4:5], exec
	s_or_saveexec_b64 s[6:7], s[6:7]
	v_mov_b32_e32 v6, s10
	s_xor_b64 exec, exec, s[6:7]
	s_cbranch_execz .LBB6_806
.LBB6_2856:
	v_mov_b32_e32 v6, 0
	v_cmp_ne_u16_sdwa s[8:9], v3, v6 src0_sel:BYTE_0 src1_sel:DWORD
	s_andn2_b64 s[4:5], s[4:5], exec
	s_and_b64 s[8:9], s[8:9], exec
	s_or_b64 s[4:5], s[4:5], s[8:9]
	s_or_b64 exec, exec, s[6:7]
	s_and_saveexec_b64 s[6:7], s[4:5]
	s_cbranch_execnz .LBB6_807
	s_branch .LBB6_808
.LBB6_2857:
	s_movk_i32 s4, 0x80
	v_cmp_eq_u16_sdwa s[12:13], v6, s4 src0_sel:BYTE_0 src1_sel:DWORD
	s_mov_b64 s[4:5], -1
                                        ; implicit-def: $sgpr10
	s_and_saveexec_b64 s[8:9], s[12:13]
; %bb.2858:
	s_mov_b32 s10, 0x7f800001
	s_xor_b64 s[4:5], exec, -1
; %bb.2859:
	s_or_b64 exec, exec, s[8:9]
	s_and_b64 s[4:5], s[4:5], exec
	s_or_saveexec_b64 s[6:7], s[6:7]
	v_mov_b32_e32 v2, s10
	s_xor_b64 exec, exec, s[6:7]
	s_cbranch_execz .LBB6_810
.LBB6_2860:
	v_mov_b32_e32 v2, 0
	v_cmp_ne_u16_sdwa s[8:9], v6, v2 src0_sel:BYTE_0 src1_sel:DWORD
	s_andn2_b64 s[4:5], s[4:5], exec
	s_and_b64 s[8:9], s[8:9], exec
	s_or_b64 s[4:5], s[4:5], s[8:9]
	s_or_b64 exec, exec, s[6:7]
	s_and_saveexec_b64 s[6:7], s[4:5]
	s_cbranch_execnz .LBB6_811
	s_branch .LBB6_812
.LBB6_2861:
	s_movk_i32 s4, 0x80
	v_cmp_eq_u16_sdwa s[12:13], v6, s4 src0_sel:BYTE_0 src1_sel:DWORD
	s_mov_b64 s[4:5], -1
                                        ; implicit-def: $sgpr10
	s_and_saveexec_b64 s[8:9], s[12:13]
; %bb.2862:
	s_mov_b32 s10, 0x7f800001
	s_xor_b64 s[4:5], exec, -1
; %bb.2863:
	s_or_b64 exec, exec, s[8:9]
	s_and_b64 s[4:5], s[4:5], exec
	s_or_saveexec_b64 s[6:7], s[6:7]
	v_mov_b32_e32 v12, s10
	s_xor_b64 exec, exec, s[6:7]
	s_cbranch_execz .LBB6_814
.LBB6_2864:
	v_mov_b32_e32 v12, 0
	v_cmp_ne_u16_sdwa s[8:9], v6, v12 src0_sel:BYTE_0 src1_sel:DWORD
	s_andn2_b64 s[4:5], s[4:5], exec
	s_and_b64 s[8:9], s[8:9], exec
	s_or_b64 s[4:5], s[4:5], s[8:9]
	s_or_b64 exec, exec, s[6:7]
	s_and_saveexec_b64 s[6:7], s[4:5]
	s_cbranch_execnz .LBB6_815
	s_branch .LBB6_816
.LBB6_2865:
	s_movk_i32 s4, 0x80
	v_cmp_eq_u16_e32 vcc, s4, v6
	s_mov_b64 s[4:5], -1
                                        ; implicit-def: $sgpr10
	s_and_saveexec_b64 s[8:9], vcc
; %bb.2866:
	s_mov_b32 s10, 0x7f800001
	s_xor_b64 s[4:5], exec, -1
; %bb.2867:
	s_or_b64 exec, exec, s[8:9]
	s_and_b64 s[4:5], s[4:5], exec
                                        ; implicit-def: $vgpr6
	s_or_saveexec_b64 s[6:7], s[6:7]
	v_mov_b32_e32 v2, s10
	s_xor_b64 exec, exec, s[6:7]
	s_cbranch_execz .LBB6_818
.LBB6_2868:
	v_cmp_ne_u16_e32 vcc, 0, v6
	s_andn2_b64 s[4:5], s[4:5], exec
	s_and_b64 s[8:9], vcc, exec
	v_mov_b32_e32 v2, 0
	s_or_b64 s[4:5], s[4:5], s[8:9]
	s_or_b64 exec, exec, s[6:7]
	s_and_saveexec_b64 s[6:7], s[4:5]
	s_cbranch_execnz .LBB6_819
	s_branch .LBB6_820
.LBB6_2869:
	s_movk_i32 s4, 0x80
	v_cmp_eq_u16_e32 vcc, s4, v6
	s_mov_b64 s[4:5], -1
                                        ; implicit-def: $sgpr10
	s_and_saveexec_b64 s[8:9], vcc
; %bb.2870:
	s_mov_b32 s10, 0x7f800001
	s_xor_b64 s[4:5], exec, -1
; %bb.2871:
	s_or_b64 exec, exec, s[8:9]
	s_and_b64 s[4:5], s[4:5], exec
                                        ; implicit-def: $vgpr6
	s_or_saveexec_b64 s[6:7], s[6:7]
	v_mov_b32_e32 v12, s10
	s_xor_b64 exec, exec, s[6:7]
	s_cbranch_execz .LBB6_822
.LBB6_2872:
	v_cmp_ne_u16_e32 vcc, 0, v6
	s_andn2_b64 s[4:5], s[4:5], exec
	s_and_b64 s[8:9], vcc, exec
	v_mov_b32_e32 v12, 0
	s_or_b64 s[4:5], s[4:5], s[8:9]
	s_or_b64 exec, exec, s[6:7]
	s_and_saveexec_b64 s[6:7], s[4:5]
	s_cbranch_execnz .LBB6_823
	s_branch .LBB6_824
.LBB6_2873:
	s_movk_i32 s4, 0x80
	v_cmp_eq_u16_sdwa s[12:13], v7, s4 src0_sel:BYTE_3 src1_sel:DWORD
	s_mov_b64 s[4:5], -1
                                        ; implicit-def: $sgpr10
	s_and_saveexec_b64 s[8:9], s[12:13]
; %bb.2874:
	s_mov_b32 s10, 0x7f800001
	s_xor_b64 s[4:5], exec, -1
; %bb.2875:
	s_or_b64 exec, exec, s[8:9]
	s_and_b64 s[4:5], s[4:5], exec
	s_or_saveexec_b64 s[6:7], s[6:7]
	v_mov_b32_e32 v2, s10
	s_xor_b64 exec, exec, s[6:7]
	s_cbranch_execz .LBB6_826
.LBB6_2876:
	v_mov_b32_e32 v2, 0
	v_cmp_ne_u16_sdwa s[8:9], v7, v2 src0_sel:BYTE_3 src1_sel:DWORD
	s_andn2_b64 s[4:5], s[4:5], exec
	s_and_b64 s[8:9], s[8:9], exec
	s_or_b64 s[4:5], s[4:5], s[8:9]
	s_or_b64 exec, exec, s[6:7]
	s_and_saveexec_b64 s[6:7], s[4:5]
	s_cbranch_execnz .LBB6_827
	s_branch .LBB6_828
.LBB6_2877:
	s_movk_i32 s4, 0x80
	v_cmp_eq_u16_sdwa s[12:13], v3, s4 src0_sel:BYTE_3 src1_sel:DWORD
	s_mov_b64 s[4:5], -1
                                        ; implicit-def: $sgpr10
	s_and_saveexec_b64 s[8:9], s[12:13]
; %bb.2878:
	s_mov_b32 s10, 0x7f800001
	s_xor_b64 s[4:5], exec, -1
; %bb.2879:
	s_or_b64 exec, exec, s[8:9]
	s_and_b64 s[4:5], s[4:5], exec
	s_or_saveexec_b64 s[6:7], s[6:7]
	v_mov_b32_e32 v6, s10
	s_xor_b64 exec, exec, s[6:7]
	s_cbranch_execz .LBB6_830
.LBB6_2880:
	v_mov_b32_e32 v6, 0
	v_cmp_ne_u16_sdwa s[8:9], v3, v6 src0_sel:BYTE_3 src1_sel:DWORD
	s_andn2_b64 s[4:5], s[4:5], exec
	s_and_b64 s[8:9], s[8:9], exec
	s_or_b64 s[4:5], s[4:5], s[8:9]
	s_or_b64 exec, exec, s[6:7]
	s_and_saveexec_b64 s[6:7], s[4:5]
	s_cbranch_execnz .LBB6_831
	s_branch .LBB6_832
.LBB6_2881:
	s_movk_i32 s4, 0x80
	v_cmp_eq_u16_sdwa s[12:13], v8, s4 src0_sel:BYTE_0 src1_sel:DWORD
	s_mov_b64 s[4:5], -1
                                        ; implicit-def: $sgpr10
	s_and_saveexec_b64 s[8:9], s[12:13]
; %bb.2882:
	s_mov_b32 s10, 0x7f800001
	s_xor_b64 s[4:5], exec, -1
; %bb.2883:
	s_or_b64 exec, exec, s[8:9]
	s_and_b64 s[4:5], s[4:5], exec
	s_or_saveexec_b64 s[6:7], s[6:7]
	v_mov_b32_e32 v2, s10
	s_xor_b64 exec, exec, s[6:7]
	s_cbranch_execz .LBB6_834
.LBB6_2884:
	v_mov_b32_e32 v2, 0
	v_cmp_ne_u16_sdwa s[8:9], v8, v2 src0_sel:BYTE_0 src1_sel:DWORD
	s_andn2_b64 s[4:5], s[4:5], exec
	s_and_b64 s[8:9], s[8:9], exec
	s_or_b64 s[4:5], s[4:5], s[8:9]
	s_or_b64 exec, exec, s[6:7]
	s_and_saveexec_b64 s[6:7], s[4:5]
	s_cbranch_execnz .LBB6_835
	s_branch .LBB6_836
.LBB6_2885:
	s_movk_i32 s4, 0x80
	v_cmp_eq_u16_sdwa s[12:13], v4, s4 src0_sel:BYTE_0 src1_sel:DWORD
	s_mov_b64 s[4:5], -1
                                        ; implicit-def: $sgpr10
	s_and_saveexec_b64 s[8:9], s[12:13]
; %bb.2886:
	s_mov_b32 s10, 0x7f800001
	s_xor_b64 s[4:5], exec, -1
; %bb.2887:
	s_or_b64 exec, exec, s[8:9]
	s_and_b64 s[4:5], s[4:5], exec
	s_or_saveexec_b64 s[6:7], s[6:7]
	v_mov_b32_e32 v3, s10
	s_xor_b64 exec, exec, s[6:7]
	s_cbranch_execz .LBB6_838
.LBB6_2888:
	v_mov_b32_e32 v3, 0
	v_cmp_ne_u16_sdwa s[8:9], v4, v3 src0_sel:BYTE_0 src1_sel:DWORD
	s_andn2_b64 s[4:5], s[4:5], exec
	s_and_b64 s[8:9], s[8:9], exec
	s_or_b64 s[4:5], s[4:5], s[8:9]
	s_or_b64 exec, exec, s[6:7]
	s_and_saveexec_b64 s[6:7], s[4:5]
	s_cbranch_execnz .LBB6_839
	s_branch .LBB6_840
.LBB6_2889:
	s_movk_i32 s4, 0x80
	v_cmp_eq_u16_sdwa s[12:13], v3, s4 src0_sel:BYTE_0 src1_sel:DWORD
	s_mov_b64 s[4:5], -1
                                        ; implicit-def: $sgpr10
	s_and_saveexec_b64 s[8:9], s[12:13]
; %bb.2890:
	s_mov_b32 s10, 0x7f800001
	s_xor_b64 s[4:5], exec, -1
; %bb.2891:
	s_or_b64 exec, exec, s[8:9]
	s_and_b64 s[4:5], s[4:5], exec
	s_or_saveexec_b64 s[6:7], s[6:7]
	v_mov_b32_e32 v2, s10
	s_xor_b64 exec, exec, s[6:7]
	s_cbranch_execz .LBB6_842
.LBB6_2892:
	v_mov_b32_e32 v2, 0
	v_cmp_ne_u16_sdwa s[8:9], v3, v2 src0_sel:BYTE_0 src1_sel:DWORD
	s_andn2_b64 s[4:5], s[4:5], exec
	s_and_b64 s[8:9], s[8:9], exec
	s_or_b64 s[4:5], s[4:5], s[8:9]
	s_or_b64 exec, exec, s[6:7]
	s_and_saveexec_b64 s[6:7], s[4:5]
	s_cbranch_execnz .LBB6_843
	s_branch .LBB6_844
.LBB6_2893:
	s_movk_i32 s4, 0x80
	v_cmp_eq_u16_sdwa s[12:13], v3, s4 src0_sel:BYTE_0 src1_sel:DWORD
	s_mov_b64 s[4:5], -1
                                        ; implicit-def: $sgpr10
	s_and_saveexec_b64 s[8:9], s[12:13]
; %bb.2894:
	s_mov_b32 s10, 0x7f800001
	s_xor_b64 s[4:5], exec, -1
; %bb.2895:
	s_or_b64 exec, exec, s[8:9]
	s_and_b64 s[4:5], s[4:5], exec
	s_or_saveexec_b64 s[6:7], s[6:7]
	v_mov_b32_e32 v6, s10
	s_xor_b64 exec, exec, s[6:7]
	s_cbranch_execz .LBB6_846
.LBB6_2896:
	v_mov_b32_e32 v6, 0
	v_cmp_ne_u16_sdwa s[8:9], v3, v6 src0_sel:BYTE_0 src1_sel:DWORD
	s_andn2_b64 s[4:5], s[4:5], exec
	s_and_b64 s[8:9], s[8:9], exec
	s_or_b64 s[4:5], s[4:5], s[8:9]
	s_or_b64 exec, exec, s[6:7]
	s_and_saveexec_b64 s[6:7], s[4:5]
	s_cbranch_execnz .LBB6_847
	s_branch .LBB6_848
.LBB6_2897:
	s_movk_i32 s4, 0x80
	v_cmp_eq_u16_e32 vcc, s4, v3
	s_mov_b64 s[4:5], -1
                                        ; implicit-def: $sgpr10
	s_and_saveexec_b64 s[8:9], vcc
; %bb.2898:
	s_mov_b32 s10, 0x7f800001
	s_xor_b64 s[4:5], exec, -1
; %bb.2899:
	s_or_b64 exec, exec, s[8:9]
	s_and_b64 s[4:5], s[4:5], exec
                                        ; implicit-def: $vgpr3
	s_or_saveexec_b64 s[6:7], s[6:7]
	v_mov_b32_e32 v2, s10
	s_xor_b64 exec, exec, s[6:7]
	s_cbranch_execz .LBB6_850
.LBB6_2900:
	v_cmp_ne_u16_e32 vcc, 0, v3
	s_andn2_b64 s[4:5], s[4:5], exec
	s_and_b64 s[8:9], vcc, exec
	v_mov_b32_e32 v2, 0
	s_or_b64 s[4:5], s[4:5], s[8:9]
	s_or_b64 exec, exec, s[6:7]
	s_and_saveexec_b64 s[6:7], s[4:5]
	s_cbranch_execnz .LBB6_851
	s_branch .LBB6_852
.LBB6_2901:
	s_movk_i32 s4, 0x80
	v_cmp_eq_u16_e32 vcc, s4, v3
	s_mov_b64 s[4:5], -1
                                        ; implicit-def: $sgpr10
	s_and_saveexec_b64 s[8:9], vcc
; %bb.2902:
	s_mov_b32 s10, 0x7f800001
	s_xor_b64 s[4:5], exec, -1
; %bb.2903:
	s_or_b64 exec, exec, s[8:9]
	s_and_b64 s[4:5], s[4:5], exec
                                        ; implicit-def: $vgpr3
	s_or_saveexec_b64 s[6:7], s[6:7]
	v_mov_b32_e32 v6, s10
	s_xor_b64 exec, exec, s[6:7]
	s_cbranch_execz .LBB6_854
.LBB6_2904:
	v_cmp_ne_u16_e32 vcc, 0, v3
	s_andn2_b64 s[4:5], s[4:5], exec
	s_and_b64 s[8:9], vcc, exec
	v_mov_b32_e32 v6, 0
	s_or_b64 s[4:5], s[4:5], s[8:9]
	s_or_b64 exec, exec, s[6:7]
	s_and_saveexec_b64 s[6:7], s[4:5]
	s_cbranch_execnz .LBB6_855
	s_branch .LBB6_856
.LBB6_2905:
	s_movk_i32 s4, 0x80
	v_cmp_eq_u16_sdwa s[12:13], v8, s4 src0_sel:BYTE_3 src1_sel:DWORD
	s_mov_b64 s[4:5], -1
                                        ; implicit-def: $sgpr10
	s_and_saveexec_b64 s[8:9], s[12:13]
; %bb.2906:
	s_mov_b32 s10, 0x7f800001
	s_xor_b64 s[4:5], exec, -1
; %bb.2907:
	s_or_b64 exec, exec, s[8:9]
	s_and_b64 s[4:5], s[4:5], exec
	s_or_saveexec_b64 s[6:7], s[6:7]
	v_mov_b32_e32 v2, s10
	s_xor_b64 exec, exec, s[6:7]
	s_cbranch_execz .LBB6_858
.LBB6_2908:
	v_mov_b32_e32 v2, 0
	v_cmp_ne_u16_sdwa s[8:9], v8, v2 src0_sel:BYTE_3 src1_sel:DWORD
	s_andn2_b64 s[4:5], s[4:5], exec
	s_and_b64 s[8:9], s[8:9], exec
	s_or_b64 s[4:5], s[4:5], s[8:9]
	s_or_b64 exec, exec, s[6:7]
	s_and_saveexec_b64 s[6:7], s[4:5]
	s_cbranch_execnz .LBB6_859
	s_branch .LBB6_860
.LBB6_2909:
	s_movk_i32 s4, 0x80
	v_cmp_eq_u16_sdwa s[12:13], v4, s4 src0_sel:BYTE_3 src1_sel:DWORD
	s_mov_b64 s[4:5], -1
                                        ; implicit-def: $sgpr10
	s_and_saveexec_b64 s[8:9], s[12:13]
; %bb.2910:
	s_mov_b32 s10, 0x7f800001
	s_xor_b64 s[4:5], exec, -1
; %bb.2911:
	s_or_b64 exec, exec, s[8:9]
	s_and_b64 s[4:5], s[4:5], exec
	s_or_saveexec_b64 s[6:7], s[6:7]
	v_mov_b32_e32 v3, s10
	s_xor_b64 exec, exec, s[6:7]
	s_cbranch_execz .LBB6_862
.LBB6_2912:
	v_mov_b32_e32 v3, 0
	v_cmp_ne_u16_sdwa s[8:9], v4, v3 src0_sel:BYTE_3 src1_sel:DWORD
	s_andn2_b64 s[4:5], s[4:5], exec
	s_and_b64 s[8:9], s[8:9], exec
	s_or_b64 s[4:5], s[4:5], s[8:9]
	s_or_b64 exec, exec, s[6:7]
	s_and_saveexec_b64 s[6:7], s[4:5]
	s_cbranch_execnz .LBB6_863
	s_branch .LBB6_864
.LBB6_2913:
	s_movk_i32 s4, 0x80
	v_cmp_eq_u16_sdwa s[12:13], v9, s4 src0_sel:BYTE_0 src1_sel:DWORD
	s_mov_b64 s[4:5], -1
                                        ; implicit-def: $sgpr10
	s_and_saveexec_b64 s[8:9], s[12:13]
; %bb.2914:
	s_mov_b32 s10, 0x7f800001
	s_xor_b64 s[4:5], exec, -1
; %bb.2915:
	s_or_b64 exec, exec, s[8:9]
	s_and_b64 s[4:5], s[4:5], exec
	s_or_saveexec_b64 s[6:7], s[6:7]
	v_mov_b32_e32 v2, s10
	s_xor_b64 exec, exec, s[6:7]
	s_cbranch_execz .LBB6_866
.LBB6_2916:
	v_mov_b32_e32 v2, 0
	v_cmp_ne_u16_sdwa s[8:9], v9, v2 src0_sel:BYTE_0 src1_sel:DWORD
	s_andn2_b64 s[4:5], s[4:5], exec
	s_and_b64 s[8:9], s[8:9], exec
	s_or_b64 s[4:5], s[4:5], s[8:9]
	s_or_b64 exec, exec, s[6:7]
	s_and_saveexec_b64 s[6:7], s[4:5]
	s_cbranch_execnz .LBB6_867
	s_branch .LBB6_868
.LBB6_2917:
	s_movk_i32 s4, 0x80
	v_cmp_eq_u16_sdwa s[12:13], v5, s4 src0_sel:BYTE_0 src1_sel:DWORD
	s_mov_b64 s[4:5], -1
                                        ; implicit-def: $sgpr10
	s_and_saveexec_b64 s[8:9], s[12:13]
; %bb.2918:
	s_mov_b32 s10, 0x7f800001
	s_xor_b64 s[4:5], exec, -1
; %bb.2919:
	s_or_b64 exec, exec, s[8:9]
	s_and_b64 s[4:5], s[4:5], exec
	s_or_saveexec_b64 s[6:7], s[6:7]
	v_mov_b32_e32 v3, s10
	s_xor_b64 exec, exec, s[6:7]
	s_cbranch_execz .LBB6_870
.LBB6_2920:
	v_mov_b32_e32 v3, 0
	v_cmp_ne_u16_sdwa s[8:9], v5, v3 src0_sel:BYTE_0 src1_sel:DWORD
	s_andn2_b64 s[4:5], s[4:5], exec
	s_and_b64 s[8:9], s[8:9], exec
	s_or_b64 s[4:5], s[4:5], s[8:9]
	s_or_b64 exec, exec, s[6:7]
	s_and_saveexec_b64 s[6:7], s[4:5]
	s_cbranch_execnz .LBB6_871
	s_branch .LBB6_872
.LBB6_2921:
	s_movk_i32 s4, 0x80
	v_cmp_eq_u16_sdwa s[12:13], v3, s4 src0_sel:BYTE_0 src1_sel:DWORD
	s_mov_b64 s[4:5], -1
                                        ; implicit-def: $sgpr10
	s_and_saveexec_b64 s[8:9], s[12:13]
; %bb.2922:
	s_mov_b32 s10, 0x7f800001
	s_xor_b64 s[4:5], exec, -1
; %bb.2923:
	s_or_b64 exec, exec, s[8:9]
	s_and_b64 s[4:5], s[4:5], exec
	s_or_saveexec_b64 s[6:7], s[6:7]
	v_mov_b32_e32 v2, s10
	s_xor_b64 exec, exec, s[6:7]
	s_cbranch_execz .LBB6_874
.LBB6_2924:
	v_mov_b32_e32 v2, 0
	v_cmp_ne_u16_sdwa s[8:9], v3, v2 src0_sel:BYTE_0 src1_sel:DWORD
	s_andn2_b64 s[4:5], s[4:5], exec
	s_and_b64 s[8:9], s[8:9], exec
	s_or_b64 s[4:5], s[4:5], s[8:9]
	s_or_b64 exec, exec, s[6:7]
	s_and_saveexec_b64 s[6:7], s[4:5]
	s_cbranch_execnz .LBB6_875
	s_branch .LBB6_876
.LBB6_2925:
	s_movk_i32 s4, 0x80
	v_cmp_eq_u16_sdwa s[12:13], v3, s4 src0_sel:BYTE_0 src1_sel:DWORD
	s_mov_b64 s[4:5], -1
                                        ; implicit-def: $sgpr10
	s_and_saveexec_b64 s[8:9], s[12:13]
; %bb.2926:
	s_mov_b32 s10, 0x7f800001
	s_xor_b64 s[4:5], exec, -1
; %bb.2927:
	s_or_b64 exec, exec, s[8:9]
	s_and_b64 s[4:5], s[4:5], exec
	s_or_saveexec_b64 s[6:7], s[6:7]
	v_mov_b32_e32 v4, s10
	s_xor_b64 exec, exec, s[6:7]
	s_cbranch_execz .LBB6_878
.LBB6_2928:
	v_mov_b32_e32 v4, 0
	v_cmp_ne_u16_sdwa s[8:9], v3, v4 src0_sel:BYTE_0 src1_sel:DWORD
	s_andn2_b64 s[4:5], s[4:5], exec
	s_and_b64 s[8:9], s[8:9], exec
	s_or_b64 s[4:5], s[4:5], s[8:9]
	s_or_b64 exec, exec, s[6:7]
	s_and_saveexec_b64 s[6:7], s[4:5]
	s_cbranch_execnz .LBB6_879
	s_branch .LBB6_880
.LBB6_2929:
	s_movk_i32 s4, 0x80
	v_cmp_eq_u16_e32 vcc, s4, v3
	s_mov_b64 s[4:5], -1
                                        ; implicit-def: $sgpr10
	s_and_saveexec_b64 s[8:9], vcc
; %bb.2930:
	s_mov_b32 s10, 0x7f800001
	s_xor_b64 s[4:5], exec, -1
; %bb.2931:
	s_or_b64 exec, exec, s[8:9]
	s_and_b64 s[4:5], s[4:5], exec
                                        ; implicit-def: $vgpr3
	s_or_saveexec_b64 s[6:7], s[6:7]
	v_mov_b32_e32 v2, s10
	s_xor_b64 exec, exec, s[6:7]
	s_cbranch_execz .LBB6_882
.LBB6_2932:
	v_cmp_ne_u16_e32 vcc, 0, v3
	s_andn2_b64 s[4:5], s[4:5], exec
	s_and_b64 s[8:9], vcc, exec
	v_mov_b32_e32 v2, 0
	s_or_b64 s[4:5], s[4:5], s[8:9]
	s_or_b64 exec, exec, s[6:7]
	s_and_saveexec_b64 s[6:7], s[4:5]
	s_cbranch_execnz .LBB6_883
	s_branch .LBB6_884
.LBB6_2933:
	s_movk_i32 s4, 0x80
	v_cmp_eq_u16_e32 vcc, s4, v3
	s_mov_b64 s[4:5], -1
                                        ; implicit-def: $sgpr10
	s_and_saveexec_b64 s[8:9], vcc
; %bb.2934:
	s_mov_b32 s10, 0x7f800001
	s_xor_b64 s[4:5], exec, -1
; %bb.2935:
	s_or_b64 exec, exec, s[8:9]
	s_and_b64 s[4:5], s[4:5], exec
                                        ; implicit-def: $vgpr3
	s_or_saveexec_b64 s[6:7], s[6:7]
	v_mov_b32_e32 v4, s10
	s_xor_b64 exec, exec, s[6:7]
	s_cbranch_execz .LBB6_886
.LBB6_2936:
	v_cmp_ne_u16_e32 vcc, 0, v3
	s_andn2_b64 s[4:5], s[4:5], exec
	s_and_b64 s[8:9], vcc, exec
	v_mov_b32_e32 v4, 0
	s_or_b64 s[4:5], s[4:5], s[8:9]
	s_or_b64 exec, exec, s[6:7]
	s_and_saveexec_b64 s[6:7], s[4:5]
	s_cbranch_execnz .LBB6_887
	s_branch .LBB6_888
.LBB6_2937:
	s_movk_i32 s4, 0x80
	v_cmp_eq_u16_sdwa s[12:13], v9, s4 src0_sel:BYTE_3 src1_sel:DWORD
	s_mov_b64 s[4:5], -1
                                        ; implicit-def: $sgpr10
	s_and_saveexec_b64 s[8:9], s[12:13]
; %bb.2938:
	s_mov_b32 s10, 0x7f800001
	s_xor_b64 s[4:5], exec, -1
; %bb.2939:
	s_or_b64 exec, exec, s[8:9]
	s_and_b64 s[4:5], s[4:5], exec
	s_or_saveexec_b64 s[6:7], s[6:7]
	v_mov_b32_e32 v2, s10
	s_xor_b64 exec, exec, s[6:7]
	s_cbranch_execz .LBB6_890
.LBB6_2940:
	v_mov_b32_e32 v2, 0
	v_cmp_ne_u16_sdwa s[8:9], v9, v2 src0_sel:BYTE_3 src1_sel:DWORD
	s_andn2_b64 s[4:5], s[4:5], exec
	s_and_b64 s[8:9], s[8:9], exec
	s_or_b64 s[4:5], s[4:5], s[8:9]
	s_or_b64 exec, exec, s[6:7]
	s_and_saveexec_b64 s[6:7], s[4:5]
	s_cbranch_execnz .LBB6_891
	s_branch .LBB6_892
.LBB6_2941:
	s_movk_i32 s4, 0x80
	v_cmp_eq_u16_sdwa s[12:13], v5, s4 src0_sel:BYTE_3 src1_sel:DWORD
	s_mov_b64 s[4:5], -1
                                        ; implicit-def: $sgpr10
	s_and_saveexec_b64 s[8:9], s[12:13]
; %bb.2942:
	s_mov_b32 s10, 0x7f800001
	s_xor_b64 s[4:5], exec, -1
; %bb.2943:
	s_or_b64 exec, exec, s[8:9]
	s_and_b64 s[4:5], s[4:5], exec
	s_or_saveexec_b64 s[6:7], s[6:7]
	v_mov_b32_e32 v3, s10
	s_xor_b64 exec, exec, s[6:7]
	s_cbranch_execz .LBB6_894
.LBB6_2944:
	v_mov_b32_e32 v3, 0
	v_cmp_ne_u16_sdwa s[8:9], v5, v3 src0_sel:BYTE_3 src1_sel:DWORD
	s_andn2_b64 s[4:5], s[4:5], exec
	s_and_b64 s[8:9], s[8:9], exec
	s_or_b64 s[4:5], s[4:5], s[8:9]
	s_or_b64 exec, exec, s[6:7]
	s_and_saveexec_b64 s[6:7], s[4:5]
	s_cbranch_execnz .LBB6_895
	s_branch .LBB6_896
.LBB6_2945:
	s_movk_i32 s4, 0x80
	v_cmp_eq_u16_sdwa s[12:13], v6, s4 src0_sel:BYTE_0 src1_sel:DWORD
	s_mov_b64 s[4:5], -1
                                        ; implicit-def: $sgpr10
	s_and_saveexec_b64 s[8:9], s[12:13]
; %bb.2946:
	s_mov_b32 s10, 0x7f800001
	s_xor_b64 s[4:5], exec, -1
; %bb.2947:
	s_or_b64 exec, exec, s[8:9]
	s_and_b64 s[4:5], s[4:5], exec
	s_or_saveexec_b64 s[6:7], s[6:7]
	v_mov_b32_e32 v12, s10
	s_xor_b64 exec, exec, s[6:7]
	s_cbranch_execz .LBB6_898
.LBB6_2948:
	v_mov_b32_e32 v12, 0
	v_cmp_ne_u16_sdwa s[8:9], v6, v12 src0_sel:BYTE_0 src1_sel:DWORD
	s_andn2_b64 s[4:5], s[4:5], exec
	s_and_b64 s[8:9], s[8:9], exec
	s_or_b64 s[4:5], s[4:5], s[8:9]
	s_or_b64 exec, exec, s[6:7]
	s_and_saveexec_b64 s[6:7], s[4:5]
	s_cbranch_execnz .LBB6_899
	s_branch .LBB6_900
.LBB6_2949:
	s_movk_i32 s4, 0x80
	v_cmp_eq_u16_sdwa s[12:13], v2, s4 src0_sel:BYTE_0 src1_sel:DWORD
	s_mov_b64 s[4:5], -1
                                        ; implicit-def: $sgpr10
	s_and_saveexec_b64 s[8:9], s[12:13]
; %bb.2950:
	s_mov_b32 s10, 0x7f800001
	s_xor_b64 s[4:5], exec, -1
; %bb.2951:
	s_or_b64 exec, exec, s[8:9]
	s_and_b64 s[4:5], s[4:5], exec
	s_or_saveexec_b64 s[6:7], s[6:7]
	v_mov_b32_e32 v13, s10
	s_xor_b64 exec, exec, s[6:7]
	s_cbranch_execz .LBB6_902
.LBB6_2952:
	v_mov_b32_e32 v13, 0
	v_cmp_ne_u16_sdwa s[8:9], v2, v13 src0_sel:BYTE_0 src1_sel:DWORD
	s_andn2_b64 s[4:5], s[4:5], exec
	s_and_b64 s[8:9], s[8:9], exec
	s_or_b64 s[4:5], s[4:5], s[8:9]
	s_or_b64 exec, exec, s[6:7]
	s_and_saveexec_b64 s[6:7], s[4:5]
	s_cbranch_execnz .LBB6_903
	s_branch .LBB6_904
.LBB6_2953:
	s_movk_i32 s4, 0x80
	v_cmp_eq_u16_sdwa s[12:13], v13, s4 src0_sel:BYTE_0 src1_sel:DWORD
	s_mov_b64 s[4:5], -1
                                        ; implicit-def: $sgpr10
	s_and_saveexec_b64 s[8:9], s[12:13]
; %bb.2954:
	s_mov_b32 s10, 0x7f800001
	s_xor_b64 s[4:5], exec, -1
; %bb.2955:
	s_or_b64 exec, exec, s[8:9]
	s_and_b64 s[4:5], s[4:5], exec
	s_or_saveexec_b64 s[6:7], s[6:7]
	v_mov_b32_e32 v12, s10
	s_xor_b64 exec, exec, s[6:7]
	s_cbranch_execz .LBB6_906
.LBB6_2956:
	v_mov_b32_e32 v12, 0
	v_cmp_ne_u16_sdwa s[8:9], v13, v12 src0_sel:BYTE_0 src1_sel:DWORD
	s_andn2_b64 s[4:5], s[4:5], exec
	s_and_b64 s[8:9], s[8:9], exec
	s_or_b64 s[4:5], s[4:5], s[8:9]
	s_or_b64 exec, exec, s[6:7]
	s_and_saveexec_b64 s[6:7], s[4:5]
	s_cbranch_execnz .LBB6_907
	s_branch .LBB6_908
.LBB6_2957:
	s_movk_i32 s4, 0x80
	v_cmp_eq_u16_sdwa s[12:13], v13, s4 src0_sel:BYTE_0 src1_sel:DWORD
	s_mov_b64 s[4:5], -1
                                        ; implicit-def: $sgpr10
	s_and_saveexec_b64 s[8:9], s[12:13]
; %bb.2958:
	s_mov_b32 s10, 0x7f800001
	s_xor_b64 s[4:5], exec, -1
; %bb.2959:
	s_or_b64 exec, exec, s[8:9]
	s_and_b64 s[4:5], s[4:5], exec
	s_or_saveexec_b64 s[6:7], s[6:7]
	v_mov_b32_e32 v14, s10
	s_xor_b64 exec, exec, s[6:7]
	s_cbranch_execz .LBB6_910
.LBB6_2960:
	v_mov_b32_e32 v14, 0
	v_cmp_ne_u16_sdwa s[8:9], v13, v14 src0_sel:BYTE_0 src1_sel:DWORD
	s_andn2_b64 s[4:5], s[4:5], exec
	s_and_b64 s[8:9], s[8:9], exec
	s_or_b64 s[4:5], s[4:5], s[8:9]
	s_or_b64 exec, exec, s[6:7]
	s_and_saveexec_b64 s[6:7], s[4:5]
	s_cbranch_execnz .LBB6_911
	s_branch .LBB6_912
.LBB6_2961:
	s_movk_i32 s4, 0x80
	v_cmp_eq_u16_e32 vcc, s4, v13
	s_mov_b64 s[4:5], -1
                                        ; implicit-def: $sgpr10
	s_and_saveexec_b64 s[8:9], vcc
; %bb.2962:
	s_mov_b32 s10, 0x7f800001
	s_xor_b64 s[4:5], exec, -1
; %bb.2963:
	s_or_b64 exec, exec, s[8:9]
	s_and_b64 s[4:5], s[4:5], exec
                                        ; implicit-def: $vgpr13
	s_or_saveexec_b64 s[6:7], s[6:7]
	v_mov_b32_e32 v12, s10
	s_xor_b64 exec, exec, s[6:7]
	s_cbranch_execz .LBB6_914
.LBB6_2964:
	v_cmp_ne_u16_e32 vcc, 0, v13
	s_andn2_b64 s[4:5], s[4:5], exec
	s_and_b64 s[8:9], vcc, exec
	v_mov_b32_e32 v12, 0
	s_or_b64 s[4:5], s[4:5], s[8:9]
	s_or_b64 exec, exec, s[6:7]
	s_and_saveexec_b64 s[6:7], s[4:5]
	s_cbranch_execnz .LBB6_915
	s_branch .LBB6_916
.LBB6_2965:
	s_movk_i32 s4, 0x80
	v_cmp_eq_u16_e32 vcc, s4, v13
	s_mov_b64 s[4:5], -1
                                        ; implicit-def: $sgpr10
	s_and_saveexec_b64 s[8:9], vcc
; %bb.2966:
	s_mov_b32 s10, 0x7f800001
	s_xor_b64 s[4:5], exec, -1
; %bb.2967:
	s_or_b64 exec, exec, s[8:9]
	s_and_b64 s[4:5], s[4:5], exec
                                        ; implicit-def: $vgpr13
	s_or_saveexec_b64 s[6:7], s[6:7]
	v_mov_b32_e32 v14, s10
	s_xor_b64 exec, exec, s[6:7]
	s_cbranch_execz .LBB6_918
.LBB6_2968:
	v_cmp_ne_u16_e32 vcc, 0, v13
	s_andn2_b64 s[4:5], s[4:5], exec
	s_and_b64 s[8:9], vcc, exec
	v_mov_b32_e32 v14, 0
	s_or_b64 s[4:5], s[4:5], s[8:9]
	s_or_b64 exec, exec, s[6:7]
	s_and_saveexec_b64 s[6:7], s[4:5]
	s_cbranch_execnz .LBB6_919
	s_branch .LBB6_920
.LBB6_2969:
	s_movk_i32 s4, 0x80
	v_cmp_eq_u16_sdwa s[12:13], v6, s4 src0_sel:BYTE_3 src1_sel:DWORD
	s_mov_b64 s[4:5], -1
                                        ; implicit-def: $sgpr10
	s_and_saveexec_b64 s[8:9], s[12:13]
; %bb.2970:
	s_mov_b32 s10, 0x7f800001
	s_xor_b64 s[4:5], exec, -1
; %bb.2971:
	s_or_b64 exec, exec, s[8:9]
	s_and_b64 s[4:5], s[4:5], exec
	s_or_saveexec_b64 s[6:7], s[6:7]
	v_mov_b32_e32 v12, s10
	s_xor_b64 exec, exec, s[6:7]
	s_cbranch_execz .LBB6_922
.LBB6_2972:
	v_mov_b32_e32 v12, 0
	v_cmp_ne_u16_sdwa s[8:9], v6, v12 src0_sel:BYTE_3 src1_sel:DWORD
	s_andn2_b64 s[4:5], s[4:5], exec
	s_and_b64 s[8:9], s[8:9], exec
	s_or_b64 s[4:5], s[4:5], s[8:9]
	s_or_b64 exec, exec, s[6:7]
	s_and_saveexec_b64 s[6:7], s[4:5]
	s_cbranch_execnz .LBB6_923
	s_branch .LBB6_924
.LBB6_2973:
	s_movk_i32 s4, 0x80
	v_cmp_eq_u16_sdwa s[12:13], v2, s4 src0_sel:BYTE_3 src1_sel:DWORD
	s_mov_b64 s[4:5], -1
                                        ; implicit-def: $sgpr10
	s_and_saveexec_b64 s[8:9], s[12:13]
; %bb.2974:
	s_mov_b32 s10, 0x7f800001
	s_xor_b64 s[4:5], exec, -1
; %bb.2975:
	s_or_b64 exec, exec, s[8:9]
	s_and_b64 s[4:5], s[4:5], exec
	s_or_saveexec_b64 s[6:7], s[6:7]
	v_mov_b32_e32 v6, s10
	s_xor_b64 exec, exec, s[6:7]
	s_cbranch_execz .LBB6_926
.LBB6_2976:
	v_mov_b32_e32 v6, 0
	v_cmp_ne_u16_sdwa s[8:9], v2, v6 src0_sel:BYTE_3 src1_sel:DWORD
	s_andn2_b64 s[4:5], s[4:5], exec
	s_and_b64 s[8:9], s[8:9], exec
	s_or_b64 s[4:5], s[4:5], s[8:9]
	s_or_b64 exec, exec, s[6:7]
	s_and_saveexec_b64 s[6:7], s[4:5]
	s_cbranch_execnz .LBB6_927
	s_branch .LBB6_928
.LBB6_2977:
	s_movk_i32 s4, 0x80
	v_cmp_eq_u16_sdwa s[12:13], v7, s4 src0_sel:BYTE_0 src1_sel:DWORD
	s_mov_b64 s[4:5], -1
                                        ; implicit-def: $sgpr10
	s_and_saveexec_b64 s[8:9], s[12:13]
; %bb.2978:
	s_mov_b32 s10, 0x7f800001
	s_xor_b64 s[4:5], exec, -1
; %bb.2979:
	s_or_b64 exec, exec, s[8:9]
	s_and_b64 s[4:5], s[4:5], exec
	s_or_saveexec_b64 s[6:7], s[6:7]
	v_mov_b32_e32 v2, s10
	s_xor_b64 exec, exec, s[6:7]
	s_cbranch_execz .LBB6_930
.LBB6_2980:
	v_mov_b32_e32 v2, 0
	v_cmp_ne_u16_sdwa s[8:9], v7, v2 src0_sel:BYTE_0 src1_sel:DWORD
	s_andn2_b64 s[4:5], s[4:5], exec
	s_and_b64 s[8:9], s[8:9], exec
	s_or_b64 s[4:5], s[4:5], s[8:9]
	s_or_b64 exec, exec, s[6:7]
	s_and_saveexec_b64 s[6:7], s[4:5]
	s_cbranch_execnz .LBB6_931
	s_branch .LBB6_932
.LBB6_2981:
	s_movk_i32 s4, 0x80
	v_cmp_eq_u16_sdwa s[12:13], v3, s4 src0_sel:BYTE_0 src1_sel:DWORD
	s_mov_b64 s[4:5], -1
                                        ; implicit-def: $sgpr10
	s_and_saveexec_b64 s[8:9], s[12:13]
; %bb.2982:
	s_mov_b32 s10, 0x7f800001
	s_xor_b64 s[4:5], exec, -1
; %bb.2983:
	s_or_b64 exec, exec, s[8:9]
	s_and_b64 s[4:5], s[4:5], exec
	s_or_saveexec_b64 s[6:7], s[6:7]
	v_mov_b32_e32 v6, s10
	s_xor_b64 exec, exec, s[6:7]
	s_cbranch_execz .LBB6_934
.LBB6_2984:
	v_mov_b32_e32 v6, 0
	v_cmp_ne_u16_sdwa s[8:9], v3, v6 src0_sel:BYTE_0 src1_sel:DWORD
	s_andn2_b64 s[4:5], s[4:5], exec
	s_and_b64 s[8:9], s[8:9], exec
	s_or_b64 s[4:5], s[4:5], s[8:9]
	s_or_b64 exec, exec, s[6:7]
	s_and_saveexec_b64 s[6:7], s[4:5]
	s_cbranch_execnz .LBB6_935
	s_branch .LBB6_936
.LBB6_2985:
	s_movk_i32 s4, 0x80
	v_cmp_eq_u16_sdwa s[12:13], v6, s4 src0_sel:BYTE_0 src1_sel:DWORD
	s_mov_b64 s[4:5], -1
                                        ; implicit-def: $sgpr10
	s_and_saveexec_b64 s[8:9], s[12:13]
; %bb.2986:
	s_mov_b32 s10, 0x7f800001
	s_xor_b64 s[4:5], exec, -1
; %bb.2987:
	s_or_b64 exec, exec, s[8:9]
	s_and_b64 s[4:5], s[4:5], exec
	s_or_saveexec_b64 s[6:7], s[6:7]
	v_mov_b32_e32 v2, s10
	s_xor_b64 exec, exec, s[6:7]
	s_cbranch_execz .LBB6_938
.LBB6_2988:
	v_mov_b32_e32 v2, 0
	v_cmp_ne_u16_sdwa s[8:9], v6, v2 src0_sel:BYTE_0 src1_sel:DWORD
	s_andn2_b64 s[4:5], s[4:5], exec
	s_and_b64 s[8:9], s[8:9], exec
	s_or_b64 s[4:5], s[4:5], s[8:9]
	s_or_b64 exec, exec, s[6:7]
	s_and_saveexec_b64 s[6:7], s[4:5]
	s_cbranch_execnz .LBB6_939
	s_branch .LBB6_940
.LBB6_2989:
	s_movk_i32 s4, 0x80
	v_cmp_eq_u16_sdwa s[12:13], v6, s4 src0_sel:BYTE_0 src1_sel:DWORD
	s_mov_b64 s[4:5], -1
                                        ; implicit-def: $sgpr10
	s_and_saveexec_b64 s[8:9], s[12:13]
; %bb.2990:
	s_mov_b32 s10, 0x7f800001
	s_xor_b64 s[4:5], exec, -1
; %bb.2991:
	s_or_b64 exec, exec, s[8:9]
	s_and_b64 s[4:5], s[4:5], exec
	s_or_saveexec_b64 s[6:7], s[6:7]
	v_mov_b32_e32 v12, s10
	s_xor_b64 exec, exec, s[6:7]
	s_cbranch_execz .LBB6_942
.LBB6_2992:
	v_mov_b32_e32 v12, 0
	v_cmp_ne_u16_sdwa s[8:9], v6, v12 src0_sel:BYTE_0 src1_sel:DWORD
	s_andn2_b64 s[4:5], s[4:5], exec
	s_and_b64 s[8:9], s[8:9], exec
	s_or_b64 s[4:5], s[4:5], s[8:9]
	s_or_b64 exec, exec, s[6:7]
	s_and_saveexec_b64 s[6:7], s[4:5]
	s_cbranch_execnz .LBB6_943
	s_branch .LBB6_944
.LBB6_2993:
	s_movk_i32 s4, 0x80
	v_cmp_eq_u16_e32 vcc, s4, v6
	s_mov_b64 s[4:5], -1
                                        ; implicit-def: $sgpr10
	s_and_saveexec_b64 s[8:9], vcc
; %bb.2994:
	s_mov_b32 s10, 0x7f800001
	s_xor_b64 s[4:5], exec, -1
; %bb.2995:
	s_or_b64 exec, exec, s[8:9]
	s_and_b64 s[4:5], s[4:5], exec
                                        ; implicit-def: $vgpr6
	s_or_saveexec_b64 s[6:7], s[6:7]
	v_mov_b32_e32 v2, s10
	s_xor_b64 exec, exec, s[6:7]
	s_cbranch_execz .LBB6_946
.LBB6_2996:
	v_cmp_ne_u16_e32 vcc, 0, v6
	s_andn2_b64 s[4:5], s[4:5], exec
	s_and_b64 s[8:9], vcc, exec
	v_mov_b32_e32 v2, 0
	s_or_b64 s[4:5], s[4:5], s[8:9]
	s_or_b64 exec, exec, s[6:7]
	s_and_saveexec_b64 s[6:7], s[4:5]
	s_cbranch_execnz .LBB6_947
	s_branch .LBB6_948
.LBB6_2997:
	s_movk_i32 s4, 0x80
	v_cmp_eq_u16_e32 vcc, s4, v6
	s_mov_b64 s[4:5], -1
                                        ; implicit-def: $sgpr10
	s_and_saveexec_b64 s[8:9], vcc
; %bb.2998:
	s_mov_b32 s10, 0x7f800001
	s_xor_b64 s[4:5], exec, -1
; %bb.2999:
	s_or_b64 exec, exec, s[8:9]
	s_and_b64 s[4:5], s[4:5], exec
                                        ; implicit-def: $vgpr6
	s_or_saveexec_b64 s[6:7], s[6:7]
	v_mov_b32_e32 v12, s10
	s_xor_b64 exec, exec, s[6:7]
	s_cbranch_execz .LBB6_950
.LBB6_3000:
	v_cmp_ne_u16_e32 vcc, 0, v6
	s_andn2_b64 s[4:5], s[4:5], exec
	s_and_b64 s[8:9], vcc, exec
	v_mov_b32_e32 v12, 0
	s_or_b64 s[4:5], s[4:5], s[8:9]
	s_or_b64 exec, exec, s[6:7]
	s_and_saveexec_b64 s[6:7], s[4:5]
	s_cbranch_execnz .LBB6_951
	s_branch .LBB6_952
.LBB6_3001:
	s_movk_i32 s4, 0x80
	v_cmp_eq_u16_sdwa s[12:13], v7, s4 src0_sel:BYTE_3 src1_sel:DWORD
	s_mov_b64 s[4:5], -1
                                        ; implicit-def: $sgpr10
	s_and_saveexec_b64 s[8:9], s[12:13]
; %bb.3002:
	s_mov_b32 s10, 0x7f800001
	s_xor_b64 s[4:5], exec, -1
; %bb.3003:
	s_or_b64 exec, exec, s[8:9]
	s_and_b64 s[4:5], s[4:5], exec
	s_or_saveexec_b64 s[6:7], s[6:7]
	v_mov_b32_e32 v2, s10
	s_xor_b64 exec, exec, s[6:7]
	s_cbranch_execz .LBB6_954
.LBB6_3004:
	v_mov_b32_e32 v2, 0
	v_cmp_ne_u16_sdwa s[8:9], v7, v2 src0_sel:BYTE_3 src1_sel:DWORD
	s_andn2_b64 s[4:5], s[4:5], exec
	s_and_b64 s[8:9], s[8:9], exec
	s_or_b64 s[4:5], s[4:5], s[8:9]
	s_or_b64 exec, exec, s[6:7]
	s_and_saveexec_b64 s[6:7], s[4:5]
	s_cbranch_execnz .LBB6_955
	s_branch .LBB6_956
.LBB6_3005:
	s_movk_i32 s4, 0x80
	v_cmp_eq_u16_sdwa s[12:13], v3, s4 src0_sel:BYTE_3 src1_sel:DWORD
	s_mov_b64 s[4:5], -1
                                        ; implicit-def: $sgpr10
	s_and_saveexec_b64 s[8:9], s[12:13]
; %bb.3006:
	s_mov_b32 s10, 0x7f800001
	s_xor_b64 s[4:5], exec, -1
; %bb.3007:
	s_or_b64 exec, exec, s[8:9]
	s_and_b64 s[4:5], s[4:5], exec
	s_or_saveexec_b64 s[6:7], s[6:7]
	v_mov_b32_e32 v6, s10
	s_xor_b64 exec, exec, s[6:7]
	s_cbranch_execz .LBB6_958
.LBB6_3008:
	v_mov_b32_e32 v6, 0
	v_cmp_ne_u16_sdwa s[8:9], v3, v6 src0_sel:BYTE_3 src1_sel:DWORD
	s_andn2_b64 s[4:5], s[4:5], exec
	s_and_b64 s[8:9], s[8:9], exec
	s_or_b64 s[4:5], s[4:5], s[8:9]
	s_or_b64 exec, exec, s[6:7]
	s_and_saveexec_b64 s[6:7], s[4:5]
	s_cbranch_execnz .LBB6_959
	s_branch .LBB6_960
.LBB6_3009:
	s_movk_i32 s4, 0x80
	v_cmp_eq_u16_sdwa s[12:13], v8, s4 src0_sel:BYTE_0 src1_sel:DWORD
	s_mov_b64 s[4:5], -1
                                        ; implicit-def: $sgpr10
	s_and_saveexec_b64 s[8:9], s[12:13]
; %bb.3010:
	s_mov_b32 s10, 0x7f800001
	s_xor_b64 s[4:5], exec, -1
; %bb.3011:
	s_or_b64 exec, exec, s[8:9]
	s_and_b64 s[4:5], s[4:5], exec
	s_or_saveexec_b64 s[6:7], s[6:7]
	v_mov_b32_e32 v2, s10
	s_xor_b64 exec, exec, s[6:7]
	s_cbranch_execz .LBB6_962
.LBB6_3012:
	v_mov_b32_e32 v2, 0
	v_cmp_ne_u16_sdwa s[8:9], v8, v2 src0_sel:BYTE_0 src1_sel:DWORD
	s_andn2_b64 s[4:5], s[4:5], exec
	s_and_b64 s[8:9], s[8:9], exec
	s_or_b64 s[4:5], s[4:5], s[8:9]
	s_or_b64 exec, exec, s[6:7]
	s_and_saveexec_b64 s[6:7], s[4:5]
	s_cbranch_execnz .LBB6_963
	s_branch .LBB6_964
.LBB6_3013:
	s_movk_i32 s4, 0x80
	v_cmp_eq_u16_sdwa s[12:13], v4, s4 src0_sel:BYTE_0 src1_sel:DWORD
	s_mov_b64 s[4:5], -1
                                        ; implicit-def: $sgpr10
	s_and_saveexec_b64 s[8:9], s[12:13]
; %bb.3014:
	s_mov_b32 s10, 0x7f800001
	s_xor_b64 s[4:5], exec, -1
; %bb.3015:
	s_or_b64 exec, exec, s[8:9]
	s_and_b64 s[4:5], s[4:5], exec
	s_or_saveexec_b64 s[6:7], s[6:7]
	v_mov_b32_e32 v3, s10
	s_xor_b64 exec, exec, s[6:7]
	s_cbranch_execz .LBB6_966
.LBB6_3016:
	v_mov_b32_e32 v3, 0
	v_cmp_ne_u16_sdwa s[8:9], v4, v3 src0_sel:BYTE_0 src1_sel:DWORD
	s_andn2_b64 s[4:5], s[4:5], exec
	s_and_b64 s[8:9], s[8:9], exec
	s_or_b64 s[4:5], s[4:5], s[8:9]
	s_or_b64 exec, exec, s[6:7]
	s_and_saveexec_b64 s[6:7], s[4:5]
	s_cbranch_execnz .LBB6_967
	s_branch .LBB6_968
.LBB6_3017:
	s_movk_i32 s4, 0x80
	v_cmp_eq_u16_sdwa s[12:13], v3, s4 src0_sel:BYTE_0 src1_sel:DWORD
	s_mov_b64 s[4:5], -1
                                        ; implicit-def: $sgpr10
	s_and_saveexec_b64 s[8:9], s[12:13]
; %bb.3018:
	s_mov_b32 s10, 0x7f800001
	s_xor_b64 s[4:5], exec, -1
; %bb.3019:
	s_or_b64 exec, exec, s[8:9]
	s_and_b64 s[4:5], s[4:5], exec
	s_or_saveexec_b64 s[6:7], s[6:7]
	v_mov_b32_e32 v2, s10
	s_xor_b64 exec, exec, s[6:7]
	s_cbranch_execz .LBB6_970
.LBB6_3020:
	v_mov_b32_e32 v2, 0
	v_cmp_ne_u16_sdwa s[8:9], v3, v2 src0_sel:BYTE_0 src1_sel:DWORD
	s_andn2_b64 s[4:5], s[4:5], exec
	s_and_b64 s[8:9], s[8:9], exec
	s_or_b64 s[4:5], s[4:5], s[8:9]
	s_or_b64 exec, exec, s[6:7]
	s_and_saveexec_b64 s[6:7], s[4:5]
	s_cbranch_execnz .LBB6_971
	s_branch .LBB6_972
.LBB6_3021:
	s_movk_i32 s4, 0x80
	v_cmp_eq_u16_sdwa s[12:13], v3, s4 src0_sel:BYTE_0 src1_sel:DWORD
	s_mov_b64 s[4:5], -1
                                        ; implicit-def: $sgpr10
	s_and_saveexec_b64 s[8:9], s[12:13]
; %bb.3022:
	s_mov_b32 s10, 0x7f800001
	s_xor_b64 s[4:5], exec, -1
; %bb.3023:
	s_or_b64 exec, exec, s[8:9]
	s_and_b64 s[4:5], s[4:5], exec
	s_or_saveexec_b64 s[6:7], s[6:7]
	v_mov_b32_e32 v6, s10
	s_xor_b64 exec, exec, s[6:7]
	s_cbranch_execz .LBB6_974
.LBB6_3024:
	v_mov_b32_e32 v6, 0
	v_cmp_ne_u16_sdwa s[8:9], v3, v6 src0_sel:BYTE_0 src1_sel:DWORD
	s_andn2_b64 s[4:5], s[4:5], exec
	s_and_b64 s[8:9], s[8:9], exec
	s_or_b64 s[4:5], s[4:5], s[8:9]
	s_or_b64 exec, exec, s[6:7]
	s_and_saveexec_b64 s[6:7], s[4:5]
	s_cbranch_execnz .LBB6_975
	s_branch .LBB6_976
.LBB6_3025:
	s_movk_i32 s4, 0x80
	v_cmp_eq_u16_e32 vcc, s4, v3
	s_mov_b64 s[4:5], -1
                                        ; implicit-def: $sgpr10
	s_and_saveexec_b64 s[8:9], vcc
; %bb.3026:
	s_mov_b32 s10, 0x7f800001
	s_xor_b64 s[4:5], exec, -1
; %bb.3027:
	s_or_b64 exec, exec, s[8:9]
	s_and_b64 s[4:5], s[4:5], exec
                                        ; implicit-def: $vgpr3
	s_or_saveexec_b64 s[6:7], s[6:7]
	v_mov_b32_e32 v2, s10
	s_xor_b64 exec, exec, s[6:7]
	s_cbranch_execz .LBB6_978
.LBB6_3028:
	v_cmp_ne_u16_e32 vcc, 0, v3
	s_andn2_b64 s[4:5], s[4:5], exec
	s_and_b64 s[8:9], vcc, exec
	v_mov_b32_e32 v2, 0
	s_or_b64 s[4:5], s[4:5], s[8:9]
	s_or_b64 exec, exec, s[6:7]
	s_and_saveexec_b64 s[6:7], s[4:5]
	s_cbranch_execnz .LBB6_979
	s_branch .LBB6_980
.LBB6_3029:
	s_movk_i32 s4, 0x80
	v_cmp_eq_u16_e32 vcc, s4, v3
	s_mov_b64 s[4:5], -1
                                        ; implicit-def: $sgpr10
	s_and_saveexec_b64 s[8:9], vcc
; %bb.3030:
	s_mov_b32 s10, 0x7f800001
	s_xor_b64 s[4:5], exec, -1
; %bb.3031:
	s_or_b64 exec, exec, s[8:9]
	s_and_b64 s[4:5], s[4:5], exec
                                        ; implicit-def: $vgpr3
	s_or_saveexec_b64 s[6:7], s[6:7]
	v_mov_b32_e32 v6, s10
	s_xor_b64 exec, exec, s[6:7]
	s_cbranch_execz .LBB6_982
.LBB6_3032:
	v_cmp_ne_u16_e32 vcc, 0, v3
	s_andn2_b64 s[4:5], s[4:5], exec
	s_and_b64 s[8:9], vcc, exec
	v_mov_b32_e32 v6, 0
	s_or_b64 s[4:5], s[4:5], s[8:9]
	s_or_b64 exec, exec, s[6:7]
	s_and_saveexec_b64 s[6:7], s[4:5]
	s_cbranch_execnz .LBB6_983
	s_branch .LBB6_984
.LBB6_3033:
	s_movk_i32 s4, 0x80
	v_cmp_eq_u16_sdwa s[12:13], v8, s4 src0_sel:BYTE_3 src1_sel:DWORD
	s_mov_b64 s[4:5], -1
                                        ; implicit-def: $sgpr10
	s_and_saveexec_b64 s[8:9], s[12:13]
; %bb.3034:
	s_mov_b32 s10, 0x7f800001
	s_xor_b64 s[4:5], exec, -1
; %bb.3035:
	s_or_b64 exec, exec, s[8:9]
	s_and_b64 s[4:5], s[4:5], exec
	s_or_saveexec_b64 s[6:7], s[6:7]
	v_mov_b32_e32 v2, s10
	s_xor_b64 exec, exec, s[6:7]
	s_cbranch_execz .LBB6_986
.LBB6_3036:
	v_mov_b32_e32 v2, 0
	v_cmp_ne_u16_sdwa s[8:9], v8, v2 src0_sel:BYTE_3 src1_sel:DWORD
	s_andn2_b64 s[4:5], s[4:5], exec
	s_and_b64 s[8:9], s[8:9], exec
	s_or_b64 s[4:5], s[4:5], s[8:9]
	s_or_b64 exec, exec, s[6:7]
	s_and_saveexec_b64 s[6:7], s[4:5]
	s_cbranch_execnz .LBB6_987
	s_branch .LBB6_988
.LBB6_3037:
	s_movk_i32 s4, 0x80
	v_cmp_eq_u16_sdwa s[12:13], v4, s4 src0_sel:BYTE_3 src1_sel:DWORD
	s_mov_b64 s[4:5], -1
                                        ; implicit-def: $sgpr10
	s_and_saveexec_b64 s[8:9], s[12:13]
; %bb.3038:
	s_mov_b32 s10, 0x7f800001
	s_xor_b64 s[4:5], exec, -1
; %bb.3039:
	s_or_b64 exec, exec, s[8:9]
	s_and_b64 s[4:5], s[4:5], exec
	s_or_saveexec_b64 s[6:7], s[6:7]
	v_mov_b32_e32 v3, s10
	s_xor_b64 exec, exec, s[6:7]
	s_cbranch_execz .LBB6_990
.LBB6_3040:
	v_mov_b32_e32 v3, 0
	v_cmp_ne_u16_sdwa s[8:9], v4, v3 src0_sel:BYTE_3 src1_sel:DWORD
	s_andn2_b64 s[4:5], s[4:5], exec
	s_and_b64 s[8:9], s[8:9], exec
	s_or_b64 s[4:5], s[4:5], s[8:9]
	s_or_b64 exec, exec, s[6:7]
	s_and_saveexec_b64 s[6:7], s[4:5]
	s_cbranch_execnz .LBB6_991
	s_branch .LBB6_992
.LBB6_3041:
	s_movk_i32 s4, 0x80
	v_cmp_eq_u16_sdwa s[12:13], v9, s4 src0_sel:BYTE_0 src1_sel:DWORD
	s_mov_b64 s[4:5], -1
                                        ; implicit-def: $sgpr10
	s_and_saveexec_b64 s[8:9], s[12:13]
; %bb.3042:
	s_mov_b32 s10, 0x7f800001
	s_xor_b64 s[4:5], exec, -1
; %bb.3043:
	s_or_b64 exec, exec, s[8:9]
	s_and_b64 s[4:5], s[4:5], exec
	s_or_saveexec_b64 s[6:7], s[6:7]
	v_mov_b32_e32 v2, s10
	s_xor_b64 exec, exec, s[6:7]
	s_cbranch_execz .LBB6_994
.LBB6_3044:
	v_mov_b32_e32 v2, 0
	v_cmp_ne_u16_sdwa s[8:9], v9, v2 src0_sel:BYTE_0 src1_sel:DWORD
	s_andn2_b64 s[4:5], s[4:5], exec
	s_and_b64 s[8:9], s[8:9], exec
	s_or_b64 s[4:5], s[4:5], s[8:9]
	s_or_b64 exec, exec, s[6:7]
	s_and_saveexec_b64 s[6:7], s[4:5]
	s_cbranch_execnz .LBB6_995
	s_branch .LBB6_996
.LBB6_3045:
	s_movk_i32 s4, 0x80
	v_cmp_eq_u16_sdwa s[12:13], v5, s4 src0_sel:BYTE_0 src1_sel:DWORD
	s_mov_b64 s[4:5], -1
                                        ; implicit-def: $sgpr10
	s_and_saveexec_b64 s[8:9], s[12:13]
; %bb.3046:
	s_mov_b32 s10, 0x7f800001
	s_xor_b64 s[4:5], exec, -1
; %bb.3047:
	s_or_b64 exec, exec, s[8:9]
	s_and_b64 s[4:5], s[4:5], exec
	s_or_saveexec_b64 s[6:7], s[6:7]
	v_mov_b32_e32 v3, s10
	s_xor_b64 exec, exec, s[6:7]
	s_cbranch_execz .LBB6_998
.LBB6_3048:
	v_mov_b32_e32 v3, 0
	v_cmp_ne_u16_sdwa s[8:9], v5, v3 src0_sel:BYTE_0 src1_sel:DWORD
	s_andn2_b64 s[4:5], s[4:5], exec
	s_and_b64 s[8:9], s[8:9], exec
	s_or_b64 s[4:5], s[4:5], s[8:9]
	s_or_b64 exec, exec, s[6:7]
	s_and_saveexec_b64 s[6:7], s[4:5]
	s_cbranch_execnz .LBB6_999
	s_branch .LBB6_1000
.LBB6_3049:
	s_movk_i32 s4, 0x80
	v_cmp_eq_u16_sdwa s[12:13], v3, s4 src0_sel:BYTE_0 src1_sel:DWORD
	s_mov_b64 s[4:5], -1
                                        ; implicit-def: $sgpr10
	s_and_saveexec_b64 s[8:9], s[12:13]
; %bb.3050:
	s_mov_b32 s10, 0x7f800001
	s_xor_b64 s[4:5], exec, -1
; %bb.3051:
	s_or_b64 exec, exec, s[8:9]
	s_and_b64 s[4:5], s[4:5], exec
	s_or_saveexec_b64 s[6:7], s[6:7]
	v_mov_b32_e32 v2, s10
	s_xor_b64 exec, exec, s[6:7]
	s_cbranch_execz .LBB6_1002
.LBB6_3052:
	v_mov_b32_e32 v2, 0
	v_cmp_ne_u16_sdwa s[8:9], v3, v2 src0_sel:BYTE_0 src1_sel:DWORD
	s_andn2_b64 s[4:5], s[4:5], exec
	s_and_b64 s[8:9], s[8:9], exec
	s_or_b64 s[4:5], s[4:5], s[8:9]
	s_or_b64 exec, exec, s[6:7]
	s_and_saveexec_b64 s[6:7], s[4:5]
	s_cbranch_execnz .LBB6_1003
	s_branch .LBB6_1004
.LBB6_3053:
	s_movk_i32 s4, 0x80
	v_cmp_eq_u16_sdwa s[12:13], v3, s4 src0_sel:BYTE_0 src1_sel:DWORD
	s_mov_b64 s[4:5], -1
                                        ; implicit-def: $sgpr10
	s_and_saveexec_b64 s[8:9], s[12:13]
; %bb.3054:
	s_mov_b32 s10, 0x7f800001
	s_xor_b64 s[4:5], exec, -1
; %bb.3055:
	s_or_b64 exec, exec, s[8:9]
	s_and_b64 s[4:5], s[4:5], exec
	s_or_saveexec_b64 s[6:7], s[6:7]
	v_mov_b32_e32 v4, s10
	s_xor_b64 exec, exec, s[6:7]
	s_cbranch_execz .LBB6_1006
.LBB6_3056:
	v_mov_b32_e32 v4, 0
	v_cmp_ne_u16_sdwa s[8:9], v3, v4 src0_sel:BYTE_0 src1_sel:DWORD
	s_andn2_b64 s[4:5], s[4:5], exec
	s_and_b64 s[8:9], s[8:9], exec
	s_or_b64 s[4:5], s[4:5], s[8:9]
	s_or_b64 exec, exec, s[6:7]
	s_and_saveexec_b64 s[6:7], s[4:5]
	s_cbranch_execnz .LBB6_1007
	s_branch .LBB6_1008
.LBB6_3057:
	s_movk_i32 s4, 0x80
	v_cmp_eq_u16_e32 vcc, s4, v3
	s_mov_b64 s[4:5], -1
                                        ; implicit-def: $sgpr10
	s_and_saveexec_b64 s[8:9], vcc
; %bb.3058:
	s_mov_b32 s10, 0x7f800001
	s_xor_b64 s[4:5], exec, -1
; %bb.3059:
	s_or_b64 exec, exec, s[8:9]
	s_and_b64 s[4:5], s[4:5], exec
                                        ; implicit-def: $vgpr3
	s_or_saveexec_b64 s[6:7], s[6:7]
	v_mov_b32_e32 v2, s10
	s_xor_b64 exec, exec, s[6:7]
	s_cbranch_execz .LBB6_1010
.LBB6_3060:
	v_cmp_ne_u16_e32 vcc, 0, v3
	s_andn2_b64 s[4:5], s[4:5], exec
	s_and_b64 s[8:9], vcc, exec
	v_mov_b32_e32 v2, 0
	s_or_b64 s[4:5], s[4:5], s[8:9]
	s_or_b64 exec, exec, s[6:7]
	s_and_saveexec_b64 s[6:7], s[4:5]
	s_cbranch_execnz .LBB6_1011
	s_branch .LBB6_1012
.LBB6_3061:
	s_movk_i32 s4, 0x80
	v_cmp_eq_u16_e32 vcc, s4, v3
	s_mov_b64 s[4:5], -1
                                        ; implicit-def: $sgpr10
	s_and_saveexec_b64 s[8:9], vcc
; %bb.3062:
	s_mov_b32 s10, 0x7f800001
	s_xor_b64 s[4:5], exec, -1
; %bb.3063:
	s_or_b64 exec, exec, s[8:9]
	s_and_b64 s[4:5], s[4:5], exec
                                        ; implicit-def: $vgpr3
	s_or_saveexec_b64 s[6:7], s[6:7]
	v_mov_b32_e32 v4, s10
	s_xor_b64 exec, exec, s[6:7]
	s_cbranch_execz .LBB6_1014
.LBB6_3064:
	v_cmp_ne_u16_e32 vcc, 0, v3
	s_andn2_b64 s[4:5], s[4:5], exec
	s_and_b64 s[8:9], vcc, exec
	v_mov_b32_e32 v4, 0
	s_or_b64 s[4:5], s[4:5], s[8:9]
	s_or_b64 exec, exec, s[6:7]
	s_and_saveexec_b64 s[6:7], s[4:5]
	s_cbranch_execnz .LBB6_1015
	s_branch .LBB6_1016
.LBB6_3065:
	s_movk_i32 s4, 0x80
	v_cmp_eq_u16_sdwa s[12:13], v9, s4 src0_sel:BYTE_3 src1_sel:DWORD
	s_mov_b64 s[4:5], -1
                                        ; implicit-def: $sgpr10
	s_and_saveexec_b64 s[8:9], s[12:13]
; %bb.3066:
	s_mov_b32 s10, 0x7f800001
	s_xor_b64 s[4:5], exec, -1
; %bb.3067:
	s_or_b64 exec, exec, s[8:9]
	s_and_b64 s[4:5], s[4:5], exec
	s_or_saveexec_b64 s[6:7], s[6:7]
	v_mov_b32_e32 v2, s10
	s_xor_b64 exec, exec, s[6:7]
	s_cbranch_execz .LBB6_1018
.LBB6_3068:
	v_mov_b32_e32 v2, 0
	v_cmp_ne_u16_sdwa s[8:9], v9, v2 src0_sel:BYTE_3 src1_sel:DWORD
	s_andn2_b64 s[4:5], s[4:5], exec
	s_and_b64 s[8:9], s[8:9], exec
	s_or_b64 s[4:5], s[4:5], s[8:9]
	s_or_b64 exec, exec, s[6:7]
	s_and_saveexec_b64 s[6:7], s[4:5]
	s_cbranch_execnz .LBB6_1019
	s_branch .LBB6_1020
.LBB6_3069:
	s_movk_i32 s4, 0x80
	v_cmp_eq_u16_sdwa s[12:13], v5, s4 src0_sel:BYTE_3 src1_sel:DWORD
	s_mov_b64 s[4:5], -1
                                        ; implicit-def: $sgpr10
	s_and_saveexec_b64 s[8:9], s[12:13]
; %bb.3070:
	s_mov_b32 s10, 0x7f800001
	s_xor_b64 s[4:5], exec, -1
; %bb.3071:
	s_or_b64 exec, exec, s[8:9]
	s_and_b64 s[4:5], s[4:5], exec
	s_or_saveexec_b64 s[6:7], s[6:7]
	v_mov_b32_e32 v3, s10
	s_xor_b64 exec, exec, s[6:7]
	s_cbranch_execz .LBB6_1022
.LBB6_3072:
	v_mov_b32_e32 v3, 0
	v_cmp_ne_u16_sdwa s[8:9], v5, v3 src0_sel:BYTE_3 src1_sel:DWORD
	s_andn2_b64 s[4:5], s[4:5], exec
	s_and_b64 s[8:9], s[8:9], exec
	s_or_b64 s[4:5], s[4:5], s[8:9]
	s_or_b64 exec, exec, s[6:7]
	s_and_saveexec_b64 s[6:7], s[4:5]
	s_cbranch_execnz .LBB6_1023
	s_branch .LBB6_1024
.LBB6_3073:
	s_movk_i32 s4, 0x80
	v_cmp_eq_u16_sdwa s[12:13], v6, s4 src0_sel:BYTE_0 src1_sel:DWORD
	s_mov_b64 s[4:5], -1
                                        ; implicit-def: $sgpr10
	s_and_saveexec_b64 s[8:9], s[12:13]
; %bb.3074:
	s_mov_b32 s10, 0x7f800001
	s_xor_b64 s[4:5], exec, -1
; %bb.3075:
	s_or_b64 exec, exec, s[8:9]
	s_and_b64 s[4:5], s[4:5], exec
	s_or_saveexec_b64 s[6:7], s[6:7]
	v_mov_b32_e32 v12, s10
	s_xor_b64 exec, exec, s[6:7]
	s_cbranch_execz .LBB6_1026
.LBB6_3076:
	v_mov_b32_e32 v12, 0
	v_cmp_ne_u16_sdwa s[8:9], v6, v12 src0_sel:BYTE_0 src1_sel:DWORD
	s_andn2_b64 s[4:5], s[4:5], exec
	s_and_b64 s[8:9], s[8:9], exec
	s_or_b64 s[4:5], s[4:5], s[8:9]
	s_or_b64 exec, exec, s[6:7]
	s_and_saveexec_b64 s[6:7], s[4:5]
	s_cbranch_execnz .LBB6_1027
	s_branch .LBB6_1028
.LBB6_3077:
	s_movk_i32 s4, 0x80
	v_cmp_eq_u16_sdwa s[12:13], v2, s4 src0_sel:BYTE_0 src1_sel:DWORD
	s_mov_b64 s[4:5], -1
                                        ; implicit-def: $sgpr10
	s_and_saveexec_b64 s[8:9], s[12:13]
; %bb.3078:
	s_mov_b32 s10, 0x7f800001
	s_xor_b64 s[4:5], exec, -1
; %bb.3079:
	s_or_b64 exec, exec, s[8:9]
	s_and_b64 s[4:5], s[4:5], exec
	s_or_saveexec_b64 s[6:7], s[6:7]
	v_mov_b32_e32 v13, s10
	s_xor_b64 exec, exec, s[6:7]
	s_cbranch_execz .LBB6_1030
.LBB6_3080:
	v_mov_b32_e32 v13, 0
	v_cmp_ne_u16_sdwa s[8:9], v2, v13 src0_sel:BYTE_0 src1_sel:DWORD
	s_andn2_b64 s[4:5], s[4:5], exec
	s_and_b64 s[8:9], s[8:9], exec
	s_or_b64 s[4:5], s[4:5], s[8:9]
	s_or_b64 exec, exec, s[6:7]
	s_and_saveexec_b64 s[6:7], s[4:5]
	s_cbranch_execnz .LBB6_1031
	s_branch .LBB6_1032
.LBB6_3081:
	s_movk_i32 s4, 0x80
	v_cmp_eq_u16_sdwa s[12:13], v13, s4 src0_sel:BYTE_0 src1_sel:DWORD
	s_mov_b64 s[4:5], -1
                                        ; implicit-def: $sgpr10
	s_and_saveexec_b64 s[8:9], s[12:13]
; %bb.3082:
	s_mov_b32 s10, 0x7f800001
	s_xor_b64 s[4:5], exec, -1
; %bb.3083:
	s_or_b64 exec, exec, s[8:9]
	s_and_b64 s[4:5], s[4:5], exec
	s_or_saveexec_b64 s[6:7], s[6:7]
	v_mov_b32_e32 v12, s10
	s_xor_b64 exec, exec, s[6:7]
	s_cbranch_execz .LBB6_1034
.LBB6_3084:
	v_mov_b32_e32 v12, 0
	v_cmp_ne_u16_sdwa s[8:9], v13, v12 src0_sel:BYTE_0 src1_sel:DWORD
	s_andn2_b64 s[4:5], s[4:5], exec
	s_and_b64 s[8:9], s[8:9], exec
	s_or_b64 s[4:5], s[4:5], s[8:9]
	s_or_b64 exec, exec, s[6:7]
	s_and_saveexec_b64 s[6:7], s[4:5]
	s_cbranch_execnz .LBB6_1035
	s_branch .LBB6_1036
.LBB6_3085:
	s_movk_i32 s4, 0x80
	v_cmp_eq_u16_sdwa s[12:13], v13, s4 src0_sel:BYTE_0 src1_sel:DWORD
	s_mov_b64 s[4:5], -1
                                        ; implicit-def: $sgpr10
	s_and_saveexec_b64 s[8:9], s[12:13]
; %bb.3086:
	s_mov_b32 s10, 0x7f800001
	s_xor_b64 s[4:5], exec, -1
; %bb.3087:
	s_or_b64 exec, exec, s[8:9]
	s_and_b64 s[4:5], s[4:5], exec
	s_or_saveexec_b64 s[6:7], s[6:7]
	v_mov_b32_e32 v14, s10
	s_xor_b64 exec, exec, s[6:7]
	s_cbranch_execz .LBB6_1038
.LBB6_3088:
	v_mov_b32_e32 v14, 0
	v_cmp_ne_u16_sdwa s[8:9], v13, v14 src0_sel:BYTE_0 src1_sel:DWORD
	s_andn2_b64 s[4:5], s[4:5], exec
	s_and_b64 s[8:9], s[8:9], exec
	s_or_b64 s[4:5], s[4:5], s[8:9]
	s_or_b64 exec, exec, s[6:7]
	s_and_saveexec_b64 s[6:7], s[4:5]
	s_cbranch_execnz .LBB6_1039
	s_branch .LBB6_1040
.LBB6_3089:
	s_movk_i32 s4, 0x80
	v_cmp_eq_u16_e32 vcc, s4, v13
	s_mov_b64 s[4:5], -1
                                        ; implicit-def: $sgpr10
	s_and_saveexec_b64 s[8:9], vcc
; %bb.3090:
	s_mov_b32 s10, 0x7f800001
	s_xor_b64 s[4:5], exec, -1
; %bb.3091:
	s_or_b64 exec, exec, s[8:9]
	s_and_b64 s[4:5], s[4:5], exec
                                        ; implicit-def: $vgpr13
	s_or_saveexec_b64 s[6:7], s[6:7]
	v_mov_b32_e32 v12, s10
	s_xor_b64 exec, exec, s[6:7]
	s_cbranch_execz .LBB6_1042
.LBB6_3092:
	v_cmp_ne_u16_e32 vcc, 0, v13
	s_andn2_b64 s[4:5], s[4:5], exec
	s_and_b64 s[8:9], vcc, exec
	v_mov_b32_e32 v12, 0
	s_or_b64 s[4:5], s[4:5], s[8:9]
	s_or_b64 exec, exec, s[6:7]
	s_and_saveexec_b64 s[6:7], s[4:5]
	s_cbranch_execnz .LBB6_1043
	s_branch .LBB6_1044
.LBB6_3093:
	s_movk_i32 s4, 0x80
	v_cmp_eq_u16_e32 vcc, s4, v13
	s_mov_b64 s[4:5], -1
                                        ; implicit-def: $sgpr10
	s_and_saveexec_b64 s[8:9], vcc
; %bb.3094:
	s_mov_b32 s10, 0x7f800001
	s_xor_b64 s[4:5], exec, -1
; %bb.3095:
	s_or_b64 exec, exec, s[8:9]
	s_and_b64 s[4:5], s[4:5], exec
                                        ; implicit-def: $vgpr13
	s_or_saveexec_b64 s[6:7], s[6:7]
	v_mov_b32_e32 v14, s10
	s_xor_b64 exec, exec, s[6:7]
	s_cbranch_execz .LBB6_1046
.LBB6_3096:
	v_cmp_ne_u16_e32 vcc, 0, v13
	s_andn2_b64 s[4:5], s[4:5], exec
	s_and_b64 s[8:9], vcc, exec
	v_mov_b32_e32 v14, 0
	s_or_b64 s[4:5], s[4:5], s[8:9]
	s_or_b64 exec, exec, s[6:7]
	s_and_saveexec_b64 s[6:7], s[4:5]
	s_cbranch_execnz .LBB6_1047
	s_branch .LBB6_1048
.LBB6_3097:
	s_movk_i32 s4, 0x80
	v_cmp_eq_u16_sdwa s[12:13], v6, s4 src0_sel:BYTE_3 src1_sel:DWORD
	s_mov_b64 s[4:5], -1
                                        ; implicit-def: $sgpr10
	s_and_saveexec_b64 s[8:9], s[12:13]
; %bb.3098:
	s_mov_b32 s10, 0x7f800001
	s_xor_b64 s[4:5], exec, -1
; %bb.3099:
	s_or_b64 exec, exec, s[8:9]
	s_and_b64 s[4:5], s[4:5], exec
	s_or_saveexec_b64 s[6:7], s[6:7]
	v_mov_b32_e32 v12, s10
	s_xor_b64 exec, exec, s[6:7]
	s_cbranch_execz .LBB6_1050
.LBB6_3100:
	v_mov_b32_e32 v12, 0
	v_cmp_ne_u16_sdwa s[8:9], v6, v12 src0_sel:BYTE_3 src1_sel:DWORD
	s_andn2_b64 s[4:5], s[4:5], exec
	s_and_b64 s[8:9], s[8:9], exec
	s_or_b64 s[4:5], s[4:5], s[8:9]
	s_or_b64 exec, exec, s[6:7]
	s_and_saveexec_b64 s[6:7], s[4:5]
	s_cbranch_execnz .LBB6_1051
	s_branch .LBB6_1052
.LBB6_3101:
	s_movk_i32 s4, 0x80
	v_cmp_eq_u16_sdwa s[12:13], v2, s4 src0_sel:BYTE_3 src1_sel:DWORD
	s_mov_b64 s[4:5], -1
                                        ; implicit-def: $sgpr10
	s_and_saveexec_b64 s[8:9], s[12:13]
; %bb.3102:
	s_mov_b32 s10, 0x7f800001
	s_xor_b64 s[4:5], exec, -1
; %bb.3103:
	s_or_b64 exec, exec, s[8:9]
	s_and_b64 s[4:5], s[4:5], exec
	s_or_saveexec_b64 s[6:7], s[6:7]
	v_mov_b32_e32 v6, s10
	s_xor_b64 exec, exec, s[6:7]
	s_cbranch_execz .LBB6_1054
.LBB6_3104:
	v_mov_b32_e32 v6, 0
	v_cmp_ne_u16_sdwa s[8:9], v2, v6 src0_sel:BYTE_3 src1_sel:DWORD
	s_andn2_b64 s[4:5], s[4:5], exec
	s_and_b64 s[8:9], s[8:9], exec
	s_or_b64 s[4:5], s[4:5], s[8:9]
	s_or_b64 exec, exec, s[6:7]
	s_and_saveexec_b64 s[6:7], s[4:5]
	s_cbranch_execnz .LBB6_1055
	s_branch .LBB6_1056
.LBB6_3105:
	s_movk_i32 s4, 0x80
	v_cmp_eq_u16_sdwa s[12:13], v7, s4 src0_sel:BYTE_0 src1_sel:DWORD
	s_mov_b64 s[4:5], -1
                                        ; implicit-def: $sgpr10
	s_and_saveexec_b64 s[8:9], s[12:13]
; %bb.3106:
	s_mov_b32 s10, 0x7f800001
	s_xor_b64 s[4:5], exec, -1
; %bb.3107:
	s_or_b64 exec, exec, s[8:9]
	s_and_b64 s[4:5], s[4:5], exec
	s_or_saveexec_b64 s[6:7], s[6:7]
	v_mov_b32_e32 v2, s10
	s_xor_b64 exec, exec, s[6:7]
	s_cbranch_execz .LBB6_1058
.LBB6_3108:
	v_mov_b32_e32 v2, 0
	v_cmp_ne_u16_sdwa s[8:9], v7, v2 src0_sel:BYTE_0 src1_sel:DWORD
	s_andn2_b64 s[4:5], s[4:5], exec
	s_and_b64 s[8:9], s[8:9], exec
	s_or_b64 s[4:5], s[4:5], s[8:9]
	s_or_b64 exec, exec, s[6:7]
	s_and_saveexec_b64 s[6:7], s[4:5]
	s_cbranch_execnz .LBB6_1059
	s_branch .LBB6_1060
.LBB6_3109:
	s_movk_i32 s4, 0x80
	v_cmp_eq_u16_sdwa s[12:13], v3, s4 src0_sel:BYTE_0 src1_sel:DWORD
	s_mov_b64 s[4:5], -1
                                        ; implicit-def: $sgpr10
	s_and_saveexec_b64 s[8:9], s[12:13]
; %bb.3110:
	s_mov_b32 s10, 0x7f800001
	s_xor_b64 s[4:5], exec, -1
; %bb.3111:
	s_or_b64 exec, exec, s[8:9]
	s_and_b64 s[4:5], s[4:5], exec
	s_or_saveexec_b64 s[6:7], s[6:7]
	v_mov_b32_e32 v6, s10
	s_xor_b64 exec, exec, s[6:7]
	s_cbranch_execz .LBB6_1062
.LBB6_3112:
	v_mov_b32_e32 v6, 0
	v_cmp_ne_u16_sdwa s[8:9], v3, v6 src0_sel:BYTE_0 src1_sel:DWORD
	s_andn2_b64 s[4:5], s[4:5], exec
	s_and_b64 s[8:9], s[8:9], exec
	s_or_b64 s[4:5], s[4:5], s[8:9]
	s_or_b64 exec, exec, s[6:7]
	s_and_saveexec_b64 s[6:7], s[4:5]
	s_cbranch_execnz .LBB6_1063
	s_branch .LBB6_1064
.LBB6_3113:
	s_movk_i32 s4, 0x80
	v_cmp_eq_u16_sdwa s[12:13], v6, s4 src0_sel:BYTE_0 src1_sel:DWORD
	s_mov_b64 s[4:5], -1
                                        ; implicit-def: $sgpr10
	s_and_saveexec_b64 s[8:9], s[12:13]
; %bb.3114:
	s_mov_b32 s10, 0x7f800001
	s_xor_b64 s[4:5], exec, -1
; %bb.3115:
	s_or_b64 exec, exec, s[8:9]
	s_and_b64 s[4:5], s[4:5], exec
	s_or_saveexec_b64 s[6:7], s[6:7]
	v_mov_b32_e32 v2, s10
	s_xor_b64 exec, exec, s[6:7]
	s_cbranch_execz .LBB6_1066
.LBB6_3116:
	v_mov_b32_e32 v2, 0
	v_cmp_ne_u16_sdwa s[8:9], v6, v2 src0_sel:BYTE_0 src1_sel:DWORD
	s_andn2_b64 s[4:5], s[4:5], exec
	s_and_b64 s[8:9], s[8:9], exec
	s_or_b64 s[4:5], s[4:5], s[8:9]
	s_or_b64 exec, exec, s[6:7]
	s_and_saveexec_b64 s[6:7], s[4:5]
	s_cbranch_execnz .LBB6_1067
	s_branch .LBB6_1068
.LBB6_3117:
	s_movk_i32 s4, 0x80
	v_cmp_eq_u16_sdwa s[12:13], v6, s4 src0_sel:BYTE_0 src1_sel:DWORD
	s_mov_b64 s[4:5], -1
                                        ; implicit-def: $sgpr10
	s_and_saveexec_b64 s[8:9], s[12:13]
; %bb.3118:
	s_mov_b32 s10, 0x7f800001
	s_xor_b64 s[4:5], exec, -1
; %bb.3119:
	s_or_b64 exec, exec, s[8:9]
	s_and_b64 s[4:5], s[4:5], exec
	s_or_saveexec_b64 s[6:7], s[6:7]
	v_mov_b32_e32 v12, s10
	s_xor_b64 exec, exec, s[6:7]
	s_cbranch_execz .LBB6_1070
.LBB6_3120:
	v_mov_b32_e32 v12, 0
	v_cmp_ne_u16_sdwa s[8:9], v6, v12 src0_sel:BYTE_0 src1_sel:DWORD
	s_andn2_b64 s[4:5], s[4:5], exec
	s_and_b64 s[8:9], s[8:9], exec
	s_or_b64 s[4:5], s[4:5], s[8:9]
	s_or_b64 exec, exec, s[6:7]
	s_and_saveexec_b64 s[6:7], s[4:5]
	s_cbranch_execnz .LBB6_1071
	s_branch .LBB6_1072
.LBB6_3121:
	s_movk_i32 s4, 0x80
	v_cmp_eq_u16_e32 vcc, s4, v6
	s_mov_b64 s[4:5], -1
                                        ; implicit-def: $sgpr10
	s_and_saveexec_b64 s[8:9], vcc
; %bb.3122:
	s_mov_b32 s10, 0x7f800001
	s_xor_b64 s[4:5], exec, -1
; %bb.3123:
	s_or_b64 exec, exec, s[8:9]
	s_and_b64 s[4:5], s[4:5], exec
                                        ; implicit-def: $vgpr6
	s_or_saveexec_b64 s[6:7], s[6:7]
	v_mov_b32_e32 v2, s10
	s_xor_b64 exec, exec, s[6:7]
	s_cbranch_execz .LBB6_1074
.LBB6_3124:
	v_cmp_ne_u16_e32 vcc, 0, v6
	s_andn2_b64 s[4:5], s[4:5], exec
	s_and_b64 s[8:9], vcc, exec
	v_mov_b32_e32 v2, 0
	s_or_b64 s[4:5], s[4:5], s[8:9]
	s_or_b64 exec, exec, s[6:7]
	s_and_saveexec_b64 s[6:7], s[4:5]
	s_cbranch_execnz .LBB6_1075
	s_branch .LBB6_1076
.LBB6_3125:
	s_movk_i32 s4, 0x80
	v_cmp_eq_u16_e32 vcc, s4, v6
	s_mov_b64 s[4:5], -1
                                        ; implicit-def: $sgpr10
	s_and_saveexec_b64 s[8:9], vcc
; %bb.3126:
	s_mov_b32 s10, 0x7f800001
	s_xor_b64 s[4:5], exec, -1
; %bb.3127:
	s_or_b64 exec, exec, s[8:9]
	s_and_b64 s[4:5], s[4:5], exec
                                        ; implicit-def: $vgpr6
	s_or_saveexec_b64 s[6:7], s[6:7]
	v_mov_b32_e32 v12, s10
	s_xor_b64 exec, exec, s[6:7]
	s_cbranch_execz .LBB6_1078
.LBB6_3128:
	v_cmp_ne_u16_e32 vcc, 0, v6
	s_andn2_b64 s[4:5], s[4:5], exec
	s_and_b64 s[8:9], vcc, exec
	v_mov_b32_e32 v12, 0
	s_or_b64 s[4:5], s[4:5], s[8:9]
	s_or_b64 exec, exec, s[6:7]
	s_and_saveexec_b64 s[6:7], s[4:5]
	s_cbranch_execnz .LBB6_1079
	s_branch .LBB6_1080
.LBB6_3129:
	s_movk_i32 s4, 0x80
	v_cmp_eq_u16_sdwa s[12:13], v7, s4 src0_sel:BYTE_3 src1_sel:DWORD
	s_mov_b64 s[4:5], -1
                                        ; implicit-def: $sgpr10
	s_and_saveexec_b64 s[8:9], s[12:13]
; %bb.3130:
	s_mov_b32 s10, 0x7f800001
	s_xor_b64 s[4:5], exec, -1
; %bb.3131:
	s_or_b64 exec, exec, s[8:9]
	s_and_b64 s[4:5], s[4:5], exec
	s_or_saveexec_b64 s[6:7], s[6:7]
	v_mov_b32_e32 v2, s10
	s_xor_b64 exec, exec, s[6:7]
	s_cbranch_execz .LBB6_1082
.LBB6_3132:
	v_mov_b32_e32 v2, 0
	v_cmp_ne_u16_sdwa s[8:9], v7, v2 src0_sel:BYTE_3 src1_sel:DWORD
	s_andn2_b64 s[4:5], s[4:5], exec
	s_and_b64 s[8:9], s[8:9], exec
	s_or_b64 s[4:5], s[4:5], s[8:9]
	s_or_b64 exec, exec, s[6:7]
	s_and_saveexec_b64 s[6:7], s[4:5]
	s_cbranch_execnz .LBB6_1083
	s_branch .LBB6_1084
.LBB6_3133:
	s_movk_i32 s4, 0x80
	v_cmp_eq_u16_sdwa s[12:13], v3, s4 src0_sel:BYTE_3 src1_sel:DWORD
	s_mov_b64 s[4:5], -1
                                        ; implicit-def: $sgpr10
	s_and_saveexec_b64 s[8:9], s[12:13]
; %bb.3134:
	s_mov_b32 s10, 0x7f800001
	s_xor_b64 s[4:5], exec, -1
; %bb.3135:
	s_or_b64 exec, exec, s[8:9]
	s_and_b64 s[4:5], s[4:5], exec
	s_or_saveexec_b64 s[6:7], s[6:7]
	v_mov_b32_e32 v6, s10
	s_xor_b64 exec, exec, s[6:7]
	s_cbranch_execz .LBB6_1086
.LBB6_3136:
	v_mov_b32_e32 v6, 0
	v_cmp_ne_u16_sdwa s[8:9], v3, v6 src0_sel:BYTE_3 src1_sel:DWORD
	s_andn2_b64 s[4:5], s[4:5], exec
	s_and_b64 s[8:9], s[8:9], exec
	s_or_b64 s[4:5], s[4:5], s[8:9]
	s_or_b64 exec, exec, s[6:7]
	s_and_saveexec_b64 s[6:7], s[4:5]
	s_cbranch_execnz .LBB6_1087
	s_branch .LBB6_1088
.LBB6_3137:
	s_movk_i32 s4, 0x80
	v_cmp_eq_u16_sdwa s[12:13], v8, s4 src0_sel:BYTE_0 src1_sel:DWORD
	s_mov_b64 s[4:5], -1
                                        ; implicit-def: $sgpr10
	s_and_saveexec_b64 s[8:9], s[12:13]
; %bb.3138:
	s_mov_b32 s10, 0x7f800001
	s_xor_b64 s[4:5], exec, -1
; %bb.3139:
	s_or_b64 exec, exec, s[8:9]
	s_and_b64 s[4:5], s[4:5], exec
	s_or_saveexec_b64 s[6:7], s[6:7]
	v_mov_b32_e32 v2, s10
	s_xor_b64 exec, exec, s[6:7]
	s_cbranch_execz .LBB6_1090
.LBB6_3140:
	v_mov_b32_e32 v2, 0
	v_cmp_ne_u16_sdwa s[8:9], v8, v2 src0_sel:BYTE_0 src1_sel:DWORD
	s_andn2_b64 s[4:5], s[4:5], exec
	s_and_b64 s[8:9], s[8:9], exec
	s_or_b64 s[4:5], s[4:5], s[8:9]
	s_or_b64 exec, exec, s[6:7]
	s_and_saveexec_b64 s[6:7], s[4:5]
	s_cbranch_execnz .LBB6_1091
	s_branch .LBB6_1092
.LBB6_3141:
	s_movk_i32 s4, 0x80
	v_cmp_eq_u16_sdwa s[12:13], v4, s4 src0_sel:BYTE_0 src1_sel:DWORD
	s_mov_b64 s[4:5], -1
                                        ; implicit-def: $sgpr10
	s_and_saveexec_b64 s[8:9], s[12:13]
; %bb.3142:
	s_mov_b32 s10, 0x7f800001
	s_xor_b64 s[4:5], exec, -1
; %bb.3143:
	s_or_b64 exec, exec, s[8:9]
	s_and_b64 s[4:5], s[4:5], exec
	s_or_saveexec_b64 s[6:7], s[6:7]
	v_mov_b32_e32 v3, s10
	s_xor_b64 exec, exec, s[6:7]
	s_cbranch_execz .LBB6_1094
.LBB6_3144:
	v_mov_b32_e32 v3, 0
	v_cmp_ne_u16_sdwa s[8:9], v4, v3 src0_sel:BYTE_0 src1_sel:DWORD
	s_andn2_b64 s[4:5], s[4:5], exec
	s_and_b64 s[8:9], s[8:9], exec
	s_or_b64 s[4:5], s[4:5], s[8:9]
	s_or_b64 exec, exec, s[6:7]
	s_and_saveexec_b64 s[6:7], s[4:5]
	s_cbranch_execnz .LBB6_1095
	s_branch .LBB6_1096
.LBB6_3145:
	s_movk_i32 s4, 0x80
	v_cmp_eq_u16_sdwa s[12:13], v3, s4 src0_sel:BYTE_0 src1_sel:DWORD
	s_mov_b64 s[4:5], -1
                                        ; implicit-def: $sgpr10
	s_and_saveexec_b64 s[8:9], s[12:13]
; %bb.3146:
	s_mov_b32 s10, 0x7f800001
	s_xor_b64 s[4:5], exec, -1
; %bb.3147:
	s_or_b64 exec, exec, s[8:9]
	s_and_b64 s[4:5], s[4:5], exec
	s_or_saveexec_b64 s[6:7], s[6:7]
	v_mov_b32_e32 v2, s10
	s_xor_b64 exec, exec, s[6:7]
	s_cbranch_execz .LBB6_1098
.LBB6_3148:
	v_mov_b32_e32 v2, 0
	v_cmp_ne_u16_sdwa s[8:9], v3, v2 src0_sel:BYTE_0 src1_sel:DWORD
	s_andn2_b64 s[4:5], s[4:5], exec
	s_and_b64 s[8:9], s[8:9], exec
	s_or_b64 s[4:5], s[4:5], s[8:9]
	s_or_b64 exec, exec, s[6:7]
	s_and_saveexec_b64 s[6:7], s[4:5]
	s_cbranch_execnz .LBB6_1099
	s_branch .LBB6_1100
.LBB6_3149:
	s_movk_i32 s4, 0x80
	v_cmp_eq_u16_sdwa s[12:13], v3, s4 src0_sel:BYTE_0 src1_sel:DWORD
	s_mov_b64 s[4:5], -1
                                        ; implicit-def: $sgpr10
	s_and_saveexec_b64 s[8:9], s[12:13]
; %bb.3150:
	s_mov_b32 s10, 0x7f800001
	s_xor_b64 s[4:5], exec, -1
; %bb.3151:
	s_or_b64 exec, exec, s[8:9]
	s_and_b64 s[4:5], s[4:5], exec
	s_or_saveexec_b64 s[6:7], s[6:7]
	v_mov_b32_e32 v6, s10
	s_xor_b64 exec, exec, s[6:7]
	s_cbranch_execz .LBB6_1102
.LBB6_3152:
	v_mov_b32_e32 v6, 0
	v_cmp_ne_u16_sdwa s[8:9], v3, v6 src0_sel:BYTE_0 src1_sel:DWORD
	s_andn2_b64 s[4:5], s[4:5], exec
	s_and_b64 s[8:9], s[8:9], exec
	s_or_b64 s[4:5], s[4:5], s[8:9]
	s_or_b64 exec, exec, s[6:7]
	s_and_saveexec_b64 s[6:7], s[4:5]
	s_cbranch_execnz .LBB6_1103
	s_branch .LBB6_1104
.LBB6_3153:
	s_movk_i32 s4, 0x80
	v_cmp_eq_u16_e32 vcc, s4, v3
	s_mov_b64 s[4:5], -1
                                        ; implicit-def: $sgpr10
	s_and_saveexec_b64 s[8:9], vcc
; %bb.3154:
	s_mov_b32 s10, 0x7f800001
	s_xor_b64 s[4:5], exec, -1
; %bb.3155:
	s_or_b64 exec, exec, s[8:9]
	s_and_b64 s[4:5], s[4:5], exec
                                        ; implicit-def: $vgpr3
	s_or_saveexec_b64 s[6:7], s[6:7]
	v_mov_b32_e32 v2, s10
	s_xor_b64 exec, exec, s[6:7]
	s_cbranch_execz .LBB6_1106
.LBB6_3156:
	v_cmp_ne_u16_e32 vcc, 0, v3
	s_andn2_b64 s[4:5], s[4:5], exec
	s_and_b64 s[8:9], vcc, exec
	v_mov_b32_e32 v2, 0
	s_or_b64 s[4:5], s[4:5], s[8:9]
	s_or_b64 exec, exec, s[6:7]
	s_and_saveexec_b64 s[6:7], s[4:5]
	s_cbranch_execnz .LBB6_1107
	s_branch .LBB6_1108
.LBB6_3157:
	s_movk_i32 s4, 0x80
	v_cmp_eq_u16_e32 vcc, s4, v3
	s_mov_b64 s[4:5], -1
                                        ; implicit-def: $sgpr10
	s_and_saveexec_b64 s[8:9], vcc
; %bb.3158:
	s_mov_b32 s10, 0x7f800001
	s_xor_b64 s[4:5], exec, -1
; %bb.3159:
	s_or_b64 exec, exec, s[8:9]
	s_and_b64 s[4:5], s[4:5], exec
                                        ; implicit-def: $vgpr3
	s_or_saveexec_b64 s[6:7], s[6:7]
	v_mov_b32_e32 v6, s10
	s_xor_b64 exec, exec, s[6:7]
	s_cbranch_execz .LBB6_1110
.LBB6_3160:
	v_cmp_ne_u16_e32 vcc, 0, v3
	s_andn2_b64 s[4:5], s[4:5], exec
	s_and_b64 s[8:9], vcc, exec
	v_mov_b32_e32 v6, 0
	s_or_b64 s[4:5], s[4:5], s[8:9]
	s_or_b64 exec, exec, s[6:7]
	s_and_saveexec_b64 s[6:7], s[4:5]
	s_cbranch_execnz .LBB6_1111
	s_branch .LBB6_1112
.LBB6_3161:
	s_movk_i32 s4, 0x80
	v_cmp_eq_u16_sdwa s[12:13], v8, s4 src0_sel:BYTE_3 src1_sel:DWORD
	s_mov_b64 s[4:5], -1
                                        ; implicit-def: $sgpr10
	s_and_saveexec_b64 s[8:9], s[12:13]
; %bb.3162:
	s_mov_b32 s10, 0x7f800001
	s_xor_b64 s[4:5], exec, -1
; %bb.3163:
	s_or_b64 exec, exec, s[8:9]
	s_and_b64 s[4:5], s[4:5], exec
	s_or_saveexec_b64 s[6:7], s[6:7]
	v_mov_b32_e32 v2, s10
	s_xor_b64 exec, exec, s[6:7]
	s_cbranch_execz .LBB6_1114
.LBB6_3164:
	v_mov_b32_e32 v2, 0
	v_cmp_ne_u16_sdwa s[8:9], v8, v2 src0_sel:BYTE_3 src1_sel:DWORD
	s_andn2_b64 s[4:5], s[4:5], exec
	s_and_b64 s[8:9], s[8:9], exec
	s_or_b64 s[4:5], s[4:5], s[8:9]
	s_or_b64 exec, exec, s[6:7]
	s_and_saveexec_b64 s[6:7], s[4:5]
	s_cbranch_execnz .LBB6_1115
	s_branch .LBB6_1116
.LBB6_3165:
	s_movk_i32 s4, 0x80
	v_cmp_eq_u16_sdwa s[12:13], v4, s4 src0_sel:BYTE_3 src1_sel:DWORD
	s_mov_b64 s[4:5], -1
                                        ; implicit-def: $sgpr10
	s_and_saveexec_b64 s[8:9], s[12:13]
; %bb.3166:
	s_mov_b32 s10, 0x7f800001
	s_xor_b64 s[4:5], exec, -1
; %bb.3167:
	s_or_b64 exec, exec, s[8:9]
	s_and_b64 s[4:5], s[4:5], exec
	s_or_saveexec_b64 s[6:7], s[6:7]
	v_mov_b32_e32 v3, s10
	s_xor_b64 exec, exec, s[6:7]
	s_cbranch_execz .LBB6_1118
.LBB6_3168:
	v_mov_b32_e32 v3, 0
	v_cmp_ne_u16_sdwa s[8:9], v4, v3 src0_sel:BYTE_3 src1_sel:DWORD
	s_andn2_b64 s[4:5], s[4:5], exec
	s_and_b64 s[8:9], s[8:9], exec
	s_or_b64 s[4:5], s[4:5], s[8:9]
	s_or_b64 exec, exec, s[6:7]
	s_and_saveexec_b64 s[6:7], s[4:5]
	s_cbranch_execnz .LBB6_1119
	s_branch .LBB6_1120
.LBB6_3169:
	s_movk_i32 s4, 0x80
	v_cmp_eq_u16_sdwa s[12:13], v9, s4 src0_sel:BYTE_0 src1_sel:DWORD
	s_mov_b64 s[4:5], -1
                                        ; implicit-def: $sgpr10
	s_and_saveexec_b64 s[8:9], s[12:13]
; %bb.3170:
	s_mov_b32 s10, 0x7f800001
	s_xor_b64 s[4:5], exec, -1
; %bb.3171:
	s_or_b64 exec, exec, s[8:9]
	s_and_b64 s[4:5], s[4:5], exec
	s_or_saveexec_b64 s[6:7], s[6:7]
	v_mov_b32_e32 v2, s10
	s_xor_b64 exec, exec, s[6:7]
	s_cbranch_execz .LBB6_1122
.LBB6_3172:
	v_mov_b32_e32 v2, 0
	v_cmp_ne_u16_sdwa s[8:9], v9, v2 src0_sel:BYTE_0 src1_sel:DWORD
	s_andn2_b64 s[4:5], s[4:5], exec
	s_and_b64 s[8:9], s[8:9], exec
	s_or_b64 s[4:5], s[4:5], s[8:9]
	s_or_b64 exec, exec, s[6:7]
	s_and_saveexec_b64 s[6:7], s[4:5]
	s_cbranch_execnz .LBB6_1123
	s_branch .LBB6_1124
.LBB6_3173:
	s_movk_i32 s4, 0x80
	v_cmp_eq_u16_sdwa s[12:13], v5, s4 src0_sel:BYTE_0 src1_sel:DWORD
	s_mov_b64 s[4:5], -1
                                        ; implicit-def: $sgpr10
	s_and_saveexec_b64 s[8:9], s[12:13]
; %bb.3174:
	s_mov_b32 s10, 0x7f800001
	s_xor_b64 s[4:5], exec, -1
; %bb.3175:
	s_or_b64 exec, exec, s[8:9]
	s_and_b64 s[4:5], s[4:5], exec
	s_or_saveexec_b64 s[6:7], s[6:7]
	v_mov_b32_e32 v3, s10
	s_xor_b64 exec, exec, s[6:7]
	s_cbranch_execz .LBB6_1126
.LBB6_3176:
	v_mov_b32_e32 v3, 0
	v_cmp_ne_u16_sdwa s[8:9], v5, v3 src0_sel:BYTE_0 src1_sel:DWORD
	s_andn2_b64 s[4:5], s[4:5], exec
	s_and_b64 s[8:9], s[8:9], exec
	s_or_b64 s[4:5], s[4:5], s[8:9]
	s_or_b64 exec, exec, s[6:7]
	s_and_saveexec_b64 s[6:7], s[4:5]
	s_cbranch_execnz .LBB6_1127
	s_branch .LBB6_1128
.LBB6_3177:
	s_movk_i32 s4, 0x80
	v_cmp_eq_u16_sdwa s[12:13], v3, s4 src0_sel:BYTE_0 src1_sel:DWORD
	s_mov_b64 s[4:5], -1
                                        ; implicit-def: $sgpr10
	s_and_saveexec_b64 s[8:9], s[12:13]
; %bb.3178:
	s_mov_b32 s10, 0x7f800001
	s_xor_b64 s[4:5], exec, -1
; %bb.3179:
	s_or_b64 exec, exec, s[8:9]
	s_and_b64 s[4:5], s[4:5], exec
	s_or_saveexec_b64 s[6:7], s[6:7]
	v_mov_b32_e32 v2, s10
	s_xor_b64 exec, exec, s[6:7]
	s_cbranch_execz .LBB6_1130
.LBB6_3180:
	v_mov_b32_e32 v2, 0
	v_cmp_ne_u16_sdwa s[8:9], v3, v2 src0_sel:BYTE_0 src1_sel:DWORD
	s_andn2_b64 s[4:5], s[4:5], exec
	s_and_b64 s[8:9], s[8:9], exec
	s_or_b64 s[4:5], s[4:5], s[8:9]
	s_or_b64 exec, exec, s[6:7]
	s_and_saveexec_b64 s[6:7], s[4:5]
	s_cbranch_execnz .LBB6_1131
	s_branch .LBB6_1132
.LBB6_3181:
	s_movk_i32 s4, 0x80
	v_cmp_eq_u16_sdwa s[12:13], v3, s4 src0_sel:BYTE_0 src1_sel:DWORD
	s_mov_b64 s[4:5], -1
                                        ; implicit-def: $sgpr10
	s_and_saveexec_b64 s[8:9], s[12:13]
; %bb.3182:
	s_mov_b32 s10, 0x7f800001
	s_xor_b64 s[4:5], exec, -1
; %bb.3183:
	s_or_b64 exec, exec, s[8:9]
	s_and_b64 s[4:5], s[4:5], exec
	s_or_saveexec_b64 s[6:7], s[6:7]
	v_mov_b32_e32 v4, s10
	s_xor_b64 exec, exec, s[6:7]
	s_cbranch_execz .LBB6_1134
.LBB6_3184:
	v_mov_b32_e32 v4, 0
	v_cmp_ne_u16_sdwa s[8:9], v3, v4 src0_sel:BYTE_0 src1_sel:DWORD
	s_andn2_b64 s[4:5], s[4:5], exec
	s_and_b64 s[8:9], s[8:9], exec
	s_or_b64 s[4:5], s[4:5], s[8:9]
	s_or_b64 exec, exec, s[6:7]
	s_and_saveexec_b64 s[6:7], s[4:5]
	s_cbranch_execnz .LBB6_1135
	s_branch .LBB6_1136
.LBB6_3185:
	s_movk_i32 s4, 0x80
	v_cmp_eq_u16_e32 vcc, s4, v3
	s_mov_b64 s[4:5], -1
                                        ; implicit-def: $sgpr10
	s_and_saveexec_b64 s[8:9], vcc
; %bb.3186:
	s_mov_b32 s10, 0x7f800001
	s_xor_b64 s[4:5], exec, -1
; %bb.3187:
	s_or_b64 exec, exec, s[8:9]
	s_and_b64 s[4:5], s[4:5], exec
                                        ; implicit-def: $vgpr3
	s_or_saveexec_b64 s[6:7], s[6:7]
	v_mov_b32_e32 v2, s10
	s_xor_b64 exec, exec, s[6:7]
	s_cbranch_execz .LBB6_1138
.LBB6_3188:
	v_cmp_ne_u16_e32 vcc, 0, v3
	s_andn2_b64 s[4:5], s[4:5], exec
	s_and_b64 s[8:9], vcc, exec
	v_mov_b32_e32 v2, 0
	s_or_b64 s[4:5], s[4:5], s[8:9]
	s_or_b64 exec, exec, s[6:7]
	s_and_saveexec_b64 s[6:7], s[4:5]
	s_cbranch_execnz .LBB6_1139
	s_branch .LBB6_1140
.LBB6_3189:
	s_movk_i32 s4, 0x80
	v_cmp_eq_u16_e32 vcc, s4, v3
	s_mov_b64 s[4:5], -1
                                        ; implicit-def: $sgpr10
	s_and_saveexec_b64 s[8:9], vcc
; %bb.3190:
	s_mov_b32 s10, 0x7f800001
	s_xor_b64 s[4:5], exec, -1
; %bb.3191:
	s_or_b64 exec, exec, s[8:9]
	s_and_b64 s[4:5], s[4:5], exec
                                        ; implicit-def: $vgpr3
	s_or_saveexec_b64 s[6:7], s[6:7]
	v_mov_b32_e32 v4, s10
	s_xor_b64 exec, exec, s[6:7]
	s_cbranch_execz .LBB6_1142
.LBB6_3192:
	v_cmp_ne_u16_e32 vcc, 0, v3
	s_andn2_b64 s[4:5], s[4:5], exec
	s_and_b64 s[8:9], vcc, exec
	v_mov_b32_e32 v4, 0
	s_or_b64 s[4:5], s[4:5], s[8:9]
	s_or_b64 exec, exec, s[6:7]
	s_and_saveexec_b64 s[6:7], s[4:5]
	s_cbranch_execnz .LBB6_1143
	s_branch .LBB6_1144
.LBB6_3193:
	s_movk_i32 s4, 0x80
	v_cmp_eq_u16_sdwa s[12:13], v9, s4 src0_sel:BYTE_3 src1_sel:DWORD
	s_mov_b64 s[4:5], -1
                                        ; implicit-def: $sgpr10
	s_and_saveexec_b64 s[8:9], s[12:13]
; %bb.3194:
	s_mov_b32 s10, 0x7f800001
	s_xor_b64 s[4:5], exec, -1
; %bb.3195:
	s_or_b64 exec, exec, s[8:9]
	s_and_b64 s[4:5], s[4:5], exec
	s_or_saveexec_b64 s[6:7], s[6:7]
	v_mov_b32_e32 v2, s10
	s_xor_b64 exec, exec, s[6:7]
	s_cbranch_execz .LBB6_1146
.LBB6_3196:
	v_mov_b32_e32 v2, 0
	v_cmp_ne_u16_sdwa s[8:9], v9, v2 src0_sel:BYTE_3 src1_sel:DWORD
	s_andn2_b64 s[4:5], s[4:5], exec
	s_and_b64 s[8:9], s[8:9], exec
	s_or_b64 s[4:5], s[4:5], s[8:9]
	s_or_b64 exec, exec, s[6:7]
	s_and_saveexec_b64 s[6:7], s[4:5]
	s_cbranch_execnz .LBB6_1147
	s_branch .LBB6_1148
.LBB6_3197:
	s_movk_i32 s4, 0x80
	v_cmp_eq_u16_sdwa s[12:13], v5, s4 src0_sel:BYTE_3 src1_sel:DWORD
	s_mov_b64 s[4:5], -1
                                        ; implicit-def: $sgpr10
	s_and_saveexec_b64 s[8:9], s[12:13]
; %bb.3198:
	s_mov_b32 s10, 0x7f800001
	s_xor_b64 s[4:5], exec, -1
; %bb.3199:
	s_or_b64 exec, exec, s[8:9]
	s_and_b64 s[4:5], s[4:5], exec
	s_or_saveexec_b64 s[6:7], s[6:7]
	v_mov_b32_e32 v3, s10
	s_xor_b64 exec, exec, s[6:7]
	s_cbranch_execz .LBB6_1150
.LBB6_3200:
	v_mov_b32_e32 v3, 0
	v_cmp_ne_u16_sdwa s[8:9], v5, v3 src0_sel:BYTE_3 src1_sel:DWORD
	s_andn2_b64 s[4:5], s[4:5], exec
	s_and_b64 s[8:9], s[8:9], exec
	s_or_b64 s[4:5], s[4:5], s[8:9]
	s_or_b64 exec, exec, s[6:7]
	s_and_saveexec_b64 s[6:7], s[4:5]
	s_cbranch_execnz .LBB6_1151
	s_branch .LBB6_1152
.LBB6_3201:
	s_movk_i32 s4, 0x80
	v_cmp_eq_u16_sdwa s[12:13], v6, s4 src0_sel:BYTE_0 src1_sel:DWORD
	s_mov_b64 s[4:5], -1
                                        ; implicit-def: $sgpr10
	s_and_saveexec_b64 s[8:9], s[12:13]
; %bb.3202:
	s_mov_b32 s10, 0x7f800001
	s_xor_b64 s[4:5], exec, -1
; %bb.3203:
	s_or_b64 exec, exec, s[8:9]
	s_and_b64 s[4:5], s[4:5], exec
	s_or_saveexec_b64 s[6:7], s[6:7]
	v_mov_b32_e32 v12, s10
	s_xor_b64 exec, exec, s[6:7]
	s_cbranch_execz .LBB6_1154
.LBB6_3204:
	v_mov_b32_e32 v12, 0
	v_cmp_ne_u16_sdwa s[8:9], v6, v12 src0_sel:BYTE_0 src1_sel:DWORD
	s_andn2_b64 s[4:5], s[4:5], exec
	s_and_b64 s[8:9], s[8:9], exec
	s_or_b64 s[4:5], s[4:5], s[8:9]
	s_or_b64 exec, exec, s[6:7]
	s_and_saveexec_b64 s[6:7], s[4:5]
	s_cbranch_execnz .LBB6_1155
	s_branch .LBB6_1156
.LBB6_3205:
	s_movk_i32 s4, 0x80
	v_cmp_eq_u16_sdwa s[12:13], v2, s4 src0_sel:BYTE_0 src1_sel:DWORD
	s_mov_b64 s[4:5], -1
                                        ; implicit-def: $sgpr10
	s_and_saveexec_b64 s[8:9], s[12:13]
; %bb.3206:
	s_mov_b32 s10, 0x7f800001
	s_xor_b64 s[4:5], exec, -1
; %bb.3207:
	s_or_b64 exec, exec, s[8:9]
	s_and_b64 s[4:5], s[4:5], exec
	s_or_saveexec_b64 s[6:7], s[6:7]
	v_mov_b32_e32 v13, s10
	s_xor_b64 exec, exec, s[6:7]
	s_cbranch_execz .LBB6_1158
.LBB6_3208:
	v_mov_b32_e32 v13, 0
	v_cmp_ne_u16_sdwa s[8:9], v2, v13 src0_sel:BYTE_0 src1_sel:DWORD
	s_andn2_b64 s[4:5], s[4:5], exec
	s_and_b64 s[8:9], s[8:9], exec
	s_or_b64 s[4:5], s[4:5], s[8:9]
	s_or_b64 exec, exec, s[6:7]
	s_and_saveexec_b64 s[6:7], s[4:5]
	s_cbranch_execnz .LBB6_1159
	s_branch .LBB6_1160
.LBB6_3209:
	s_movk_i32 s4, 0x80
	v_cmp_eq_u16_sdwa s[12:13], v13, s4 src0_sel:BYTE_0 src1_sel:DWORD
	s_mov_b64 s[4:5], -1
                                        ; implicit-def: $sgpr10
	s_and_saveexec_b64 s[8:9], s[12:13]
; %bb.3210:
	s_mov_b32 s10, 0x7f800001
	s_xor_b64 s[4:5], exec, -1
; %bb.3211:
	s_or_b64 exec, exec, s[8:9]
	s_and_b64 s[4:5], s[4:5], exec
	s_or_saveexec_b64 s[6:7], s[6:7]
	v_mov_b32_e32 v12, s10
	s_xor_b64 exec, exec, s[6:7]
	s_cbranch_execz .LBB6_1162
.LBB6_3212:
	v_mov_b32_e32 v12, 0
	v_cmp_ne_u16_sdwa s[8:9], v13, v12 src0_sel:BYTE_0 src1_sel:DWORD
	s_andn2_b64 s[4:5], s[4:5], exec
	s_and_b64 s[8:9], s[8:9], exec
	s_or_b64 s[4:5], s[4:5], s[8:9]
	s_or_b64 exec, exec, s[6:7]
	s_and_saveexec_b64 s[6:7], s[4:5]
	s_cbranch_execnz .LBB6_1163
	s_branch .LBB6_1164
.LBB6_3213:
	s_movk_i32 s4, 0x80
	v_cmp_eq_u16_sdwa s[12:13], v13, s4 src0_sel:BYTE_0 src1_sel:DWORD
	s_mov_b64 s[4:5], -1
                                        ; implicit-def: $sgpr10
	s_and_saveexec_b64 s[8:9], s[12:13]
; %bb.3214:
	s_mov_b32 s10, 0x7f800001
	s_xor_b64 s[4:5], exec, -1
; %bb.3215:
	s_or_b64 exec, exec, s[8:9]
	s_and_b64 s[4:5], s[4:5], exec
	s_or_saveexec_b64 s[6:7], s[6:7]
	v_mov_b32_e32 v14, s10
	s_xor_b64 exec, exec, s[6:7]
	s_cbranch_execz .LBB6_1166
.LBB6_3216:
	v_mov_b32_e32 v14, 0
	v_cmp_ne_u16_sdwa s[8:9], v13, v14 src0_sel:BYTE_0 src1_sel:DWORD
	s_andn2_b64 s[4:5], s[4:5], exec
	s_and_b64 s[8:9], s[8:9], exec
	s_or_b64 s[4:5], s[4:5], s[8:9]
	s_or_b64 exec, exec, s[6:7]
	s_and_saveexec_b64 s[6:7], s[4:5]
	s_cbranch_execnz .LBB6_1167
	s_branch .LBB6_1168
.LBB6_3217:
	s_movk_i32 s4, 0x80
	v_cmp_eq_u16_e32 vcc, s4, v13
	s_mov_b64 s[4:5], -1
                                        ; implicit-def: $sgpr10
	s_and_saveexec_b64 s[8:9], vcc
; %bb.3218:
	s_mov_b32 s10, 0x7f800001
	s_xor_b64 s[4:5], exec, -1
; %bb.3219:
	s_or_b64 exec, exec, s[8:9]
	s_and_b64 s[4:5], s[4:5], exec
                                        ; implicit-def: $vgpr13
	s_or_saveexec_b64 s[6:7], s[6:7]
	v_mov_b32_e32 v12, s10
	s_xor_b64 exec, exec, s[6:7]
	s_cbranch_execz .LBB6_1170
.LBB6_3220:
	v_cmp_ne_u16_e32 vcc, 0, v13
	s_andn2_b64 s[4:5], s[4:5], exec
	s_and_b64 s[8:9], vcc, exec
	v_mov_b32_e32 v12, 0
	s_or_b64 s[4:5], s[4:5], s[8:9]
	s_or_b64 exec, exec, s[6:7]
	s_and_saveexec_b64 s[6:7], s[4:5]
	s_cbranch_execnz .LBB6_1171
	s_branch .LBB6_1172
.LBB6_3221:
	s_movk_i32 s4, 0x80
	v_cmp_eq_u16_e32 vcc, s4, v13
	s_mov_b64 s[4:5], -1
                                        ; implicit-def: $sgpr10
	s_and_saveexec_b64 s[8:9], vcc
; %bb.3222:
	s_mov_b32 s10, 0x7f800001
	s_xor_b64 s[4:5], exec, -1
; %bb.3223:
	s_or_b64 exec, exec, s[8:9]
	s_and_b64 s[4:5], s[4:5], exec
                                        ; implicit-def: $vgpr13
	s_or_saveexec_b64 s[6:7], s[6:7]
	v_mov_b32_e32 v14, s10
	s_xor_b64 exec, exec, s[6:7]
	s_cbranch_execz .LBB6_1174
.LBB6_3224:
	v_cmp_ne_u16_e32 vcc, 0, v13
	s_andn2_b64 s[4:5], s[4:5], exec
	s_and_b64 s[8:9], vcc, exec
	v_mov_b32_e32 v14, 0
	s_or_b64 s[4:5], s[4:5], s[8:9]
	s_or_b64 exec, exec, s[6:7]
	s_and_saveexec_b64 s[6:7], s[4:5]
	s_cbranch_execnz .LBB6_1175
	s_branch .LBB6_1176
.LBB6_3225:
	s_movk_i32 s4, 0x80
	v_cmp_eq_u16_sdwa s[12:13], v6, s4 src0_sel:BYTE_3 src1_sel:DWORD
	s_mov_b64 s[4:5], -1
                                        ; implicit-def: $sgpr10
	s_and_saveexec_b64 s[8:9], s[12:13]
; %bb.3226:
	s_mov_b32 s10, 0x7f800001
	s_xor_b64 s[4:5], exec, -1
; %bb.3227:
	s_or_b64 exec, exec, s[8:9]
	s_and_b64 s[4:5], s[4:5], exec
	s_or_saveexec_b64 s[6:7], s[6:7]
	v_mov_b32_e32 v12, s10
	s_xor_b64 exec, exec, s[6:7]
	s_cbranch_execz .LBB6_1178
.LBB6_3228:
	v_mov_b32_e32 v12, 0
	v_cmp_ne_u16_sdwa s[8:9], v6, v12 src0_sel:BYTE_3 src1_sel:DWORD
	s_andn2_b64 s[4:5], s[4:5], exec
	s_and_b64 s[8:9], s[8:9], exec
	s_or_b64 s[4:5], s[4:5], s[8:9]
	s_or_b64 exec, exec, s[6:7]
	s_and_saveexec_b64 s[6:7], s[4:5]
	s_cbranch_execnz .LBB6_1179
	s_branch .LBB6_1180
.LBB6_3229:
	s_movk_i32 s4, 0x80
	v_cmp_eq_u16_sdwa s[12:13], v2, s4 src0_sel:BYTE_3 src1_sel:DWORD
	s_mov_b64 s[4:5], -1
                                        ; implicit-def: $sgpr10
	s_and_saveexec_b64 s[8:9], s[12:13]
; %bb.3230:
	s_mov_b32 s10, 0x7f800001
	s_xor_b64 s[4:5], exec, -1
; %bb.3231:
	s_or_b64 exec, exec, s[8:9]
	s_and_b64 s[4:5], s[4:5], exec
	s_or_saveexec_b64 s[6:7], s[6:7]
	v_mov_b32_e32 v6, s10
	s_xor_b64 exec, exec, s[6:7]
	s_cbranch_execz .LBB6_1182
.LBB6_3232:
	v_mov_b32_e32 v6, 0
	v_cmp_ne_u16_sdwa s[8:9], v2, v6 src0_sel:BYTE_3 src1_sel:DWORD
	s_andn2_b64 s[4:5], s[4:5], exec
	s_and_b64 s[8:9], s[8:9], exec
	s_or_b64 s[4:5], s[4:5], s[8:9]
	s_or_b64 exec, exec, s[6:7]
	s_and_saveexec_b64 s[6:7], s[4:5]
	s_cbranch_execnz .LBB6_1183
	s_branch .LBB6_1184
.LBB6_3233:
	s_movk_i32 s4, 0x80
	v_cmp_eq_u16_sdwa s[12:13], v7, s4 src0_sel:BYTE_0 src1_sel:DWORD
	s_mov_b64 s[4:5], -1
                                        ; implicit-def: $sgpr10
	s_and_saveexec_b64 s[8:9], s[12:13]
; %bb.3234:
	s_mov_b32 s10, 0x7f800001
	s_xor_b64 s[4:5], exec, -1
; %bb.3235:
	s_or_b64 exec, exec, s[8:9]
	s_and_b64 s[4:5], s[4:5], exec
	s_or_saveexec_b64 s[6:7], s[6:7]
	v_mov_b32_e32 v2, s10
	s_xor_b64 exec, exec, s[6:7]
	s_cbranch_execz .LBB6_1186
.LBB6_3236:
	v_mov_b32_e32 v2, 0
	v_cmp_ne_u16_sdwa s[8:9], v7, v2 src0_sel:BYTE_0 src1_sel:DWORD
	s_andn2_b64 s[4:5], s[4:5], exec
	s_and_b64 s[8:9], s[8:9], exec
	s_or_b64 s[4:5], s[4:5], s[8:9]
	s_or_b64 exec, exec, s[6:7]
	s_and_saveexec_b64 s[6:7], s[4:5]
	s_cbranch_execnz .LBB6_1187
	s_branch .LBB6_1188
.LBB6_3237:
	s_movk_i32 s4, 0x80
	v_cmp_eq_u16_sdwa s[12:13], v3, s4 src0_sel:BYTE_0 src1_sel:DWORD
	s_mov_b64 s[4:5], -1
                                        ; implicit-def: $sgpr10
	s_and_saveexec_b64 s[8:9], s[12:13]
; %bb.3238:
	s_mov_b32 s10, 0x7f800001
	s_xor_b64 s[4:5], exec, -1
; %bb.3239:
	s_or_b64 exec, exec, s[8:9]
	s_and_b64 s[4:5], s[4:5], exec
	s_or_saveexec_b64 s[6:7], s[6:7]
	v_mov_b32_e32 v6, s10
	s_xor_b64 exec, exec, s[6:7]
	s_cbranch_execz .LBB6_1190
.LBB6_3240:
	v_mov_b32_e32 v6, 0
	v_cmp_ne_u16_sdwa s[8:9], v3, v6 src0_sel:BYTE_0 src1_sel:DWORD
	s_andn2_b64 s[4:5], s[4:5], exec
	s_and_b64 s[8:9], s[8:9], exec
	s_or_b64 s[4:5], s[4:5], s[8:9]
	s_or_b64 exec, exec, s[6:7]
	s_and_saveexec_b64 s[6:7], s[4:5]
	s_cbranch_execnz .LBB6_1191
	s_branch .LBB6_1192
.LBB6_3241:
	s_movk_i32 s4, 0x80
	v_cmp_eq_u16_sdwa s[12:13], v6, s4 src0_sel:BYTE_0 src1_sel:DWORD
	s_mov_b64 s[4:5], -1
                                        ; implicit-def: $sgpr10
	s_and_saveexec_b64 s[8:9], s[12:13]
; %bb.3242:
	s_mov_b32 s10, 0x7f800001
	s_xor_b64 s[4:5], exec, -1
; %bb.3243:
	s_or_b64 exec, exec, s[8:9]
	s_and_b64 s[4:5], s[4:5], exec
	s_or_saveexec_b64 s[6:7], s[6:7]
	v_mov_b32_e32 v2, s10
	s_xor_b64 exec, exec, s[6:7]
	s_cbranch_execz .LBB6_1194
.LBB6_3244:
	v_mov_b32_e32 v2, 0
	v_cmp_ne_u16_sdwa s[8:9], v6, v2 src0_sel:BYTE_0 src1_sel:DWORD
	s_andn2_b64 s[4:5], s[4:5], exec
	s_and_b64 s[8:9], s[8:9], exec
	s_or_b64 s[4:5], s[4:5], s[8:9]
	s_or_b64 exec, exec, s[6:7]
	s_and_saveexec_b64 s[6:7], s[4:5]
	s_cbranch_execnz .LBB6_1195
	s_branch .LBB6_1196
.LBB6_3245:
	s_movk_i32 s4, 0x80
	v_cmp_eq_u16_sdwa s[12:13], v6, s4 src0_sel:BYTE_0 src1_sel:DWORD
	s_mov_b64 s[4:5], -1
                                        ; implicit-def: $sgpr10
	s_and_saveexec_b64 s[8:9], s[12:13]
; %bb.3246:
	s_mov_b32 s10, 0x7f800001
	s_xor_b64 s[4:5], exec, -1
; %bb.3247:
	s_or_b64 exec, exec, s[8:9]
	s_and_b64 s[4:5], s[4:5], exec
	s_or_saveexec_b64 s[6:7], s[6:7]
	v_mov_b32_e32 v12, s10
	s_xor_b64 exec, exec, s[6:7]
	s_cbranch_execz .LBB6_1198
.LBB6_3248:
	v_mov_b32_e32 v12, 0
	v_cmp_ne_u16_sdwa s[8:9], v6, v12 src0_sel:BYTE_0 src1_sel:DWORD
	s_andn2_b64 s[4:5], s[4:5], exec
	s_and_b64 s[8:9], s[8:9], exec
	s_or_b64 s[4:5], s[4:5], s[8:9]
	s_or_b64 exec, exec, s[6:7]
	s_and_saveexec_b64 s[6:7], s[4:5]
	s_cbranch_execnz .LBB6_1199
	s_branch .LBB6_1200
.LBB6_3249:
	s_movk_i32 s4, 0x80
	v_cmp_eq_u16_e32 vcc, s4, v6
	s_mov_b64 s[4:5], -1
                                        ; implicit-def: $sgpr10
	s_and_saveexec_b64 s[8:9], vcc
; %bb.3250:
	s_mov_b32 s10, 0x7f800001
	s_xor_b64 s[4:5], exec, -1
; %bb.3251:
	s_or_b64 exec, exec, s[8:9]
	s_and_b64 s[4:5], s[4:5], exec
                                        ; implicit-def: $vgpr6
	s_or_saveexec_b64 s[6:7], s[6:7]
	v_mov_b32_e32 v2, s10
	s_xor_b64 exec, exec, s[6:7]
	s_cbranch_execz .LBB6_1202
.LBB6_3252:
	v_cmp_ne_u16_e32 vcc, 0, v6
	s_andn2_b64 s[4:5], s[4:5], exec
	s_and_b64 s[8:9], vcc, exec
	v_mov_b32_e32 v2, 0
	s_or_b64 s[4:5], s[4:5], s[8:9]
	s_or_b64 exec, exec, s[6:7]
	s_and_saveexec_b64 s[6:7], s[4:5]
	s_cbranch_execnz .LBB6_1203
	s_branch .LBB6_1204
.LBB6_3253:
	s_movk_i32 s4, 0x80
	v_cmp_eq_u16_e32 vcc, s4, v6
	s_mov_b64 s[4:5], -1
                                        ; implicit-def: $sgpr10
	s_and_saveexec_b64 s[8:9], vcc
; %bb.3254:
	s_mov_b32 s10, 0x7f800001
	s_xor_b64 s[4:5], exec, -1
; %bb.3255:
	s_or_b64 exec, exec, s[8:9]
	s_and_b64 s[4:5], s[4:5], exec
                                        ; implicit-def: $vgpr6
	s_or_saveexec_b64 s[6:7], s[6:7]
	v_mov_b32_e32 v12, s10
	s_xor_b64 exec, exec, s[6:7]
	s_cbranch_execz .LBB6_1206
.LBB6_3256:
	v_cmp_ne_u16_e32 vcc, 0, v6
	s_andn2_b64 s[4:5], s[4:5], exec
	s_and_b64 s[8:9], vcc, exec
	v_mov_b32_e32 v12, 0
	s_or_b64 s[4:5], s[4:5], s[8:9]
	s_or_b64 exec, exec, s[6:7]
	s_and_saveexec_b64 s[6:7], s[4:5]
	s_cbranch_execnz .LBB6_1207
	s_branch .LBB6_1208
.LBB6_3257:
	s_movk_i32 s4, 0x80
	v_cmp_eq_u16_sdwa s[12:13], v7, s4 src0_sel:BYTE_3 src1_sel:DWORD
	s_mov_b64 s[4:5], -1
                                        ; implicit-def: $sgpr10
	s_and_saveexec_b64 s[8:9], s[12:13]
; %bb.3258:
	s_mov_b32 s10, 0x7f800001
	s_xor_b64 s[4:5], exec, -1
; %bb.3259:
	s_or_b64 exec, exec, s[8:9]
	s_and_b64 s[4:5], s[4:5], exec
	s_or_saveexec_b64 s[6:7], s[6:7]
	v_mov_b32_e32 v2, s10
	s_xor_b64 exec, exec, s[6:7]
	s_cbranch_execz .LBB6_1210
.LBB6_3260:
	v_mov_b32_e32 v2, 0
	v_cmp_ne_u16_sdwa s[8:9], v7, v2 src0_sel:BYTE_3 src1_sel:DWORD
	s_andn2_b64 s[4:5], s[4:5], exec
	s_and_b64 s[8:9], s[8:9], exec
	s_or_b64 s[4:5], s[4:5], s[8:9]
	s_or_b64 exec, exec, s[6:7]
	s_and_saveexec_b64 s[6:7], s[4:5]
	s_cbranch_execnz .LBB6_1211
	s_branch .LBB6_1212
.LBB6_3261:
	s_movk_i32 s4, 0x80
	v_cmp_eq_u16_sdwa s[12:13], v3, s4 src0_sel:BYTE_3 src1_sel:DWORD
	s_mov_b64 s[4:5], -1
                                        ; implicit-def: $sgpr10
	s_and_saveexec_b64 s[8:9], s[12:13]
; %bb.3262:
	s_mov_b32 s10, 0x7f800001
	s_xor_b64 s[4:5], exec, -1
; %bb.3263:
	s_or_b64 exec, exec, s[8:9]
	s_and_b64 s[4:5], s[4:5], exec
	s_or_saveexec_b64 s[6:7], s[6:7]
	v_mov_b32_e32 v6, s10
	s_xor_b64 exec, exec, s[6:7]
	s_cbranch_execz .LBB6_1214
.LBB6_3264:
	v_mov_b32_e32 v6, 0
	v_cmp_ne_u16_sdwa s[8:9], v3, v6 src0_sel:BYTE_3 src1_sel:DWORD
	s_andn2_b64 s[4:5], s[4:5], exec
	s_and_b64 s[8:9], s[8:9], exec
	s_or_b64 s[4:5], s[4:5], s[8:9]
	s_or_b64 exec, exec, s[6:7]
	s_and_saveexec_b64 s[6:7], s[4:5]
	s_cbranch_execnz .LBB6_1215
	s_branch .LBB6_1216
.LBB6_3265:
	s_movk_i32 s4, 0x80
	v_cmp_eq_u16_sdwa s[12:13], v8, s4 src0_sel:BYTE_0 src1_sel:DWORD
	s_mov_b64 s[4:5], -1
                                        ; implicit-def: $sgpr10
	s_and_saveexec_b64 s[8:9], s[12:13]
; %bb.3266:
	s_mov_b32 s10, 0x7f800001
	s_xor_b64 s[4:5], exec, -1
; %bb.3267:
	s_or_b64 exec, exec, s[8:9]
	s_and_b64 s[4:5], s[4:5], exec
	s_or_saveexec_b64 s[6:7], s[6:7]
	v_mov_b32_e32 v2, s10
	s_xor_b64 exec, exec, s[6:7]
	s_cbranch_execz .LBB6_1218
.LBB6_3268:
	v_mov_b32_e32 v2, 0
	v_cmp_ne_u16_sdwa s[8:9], v8, v2 src0_sel:BYTE_0 src1_sel:DWORD
	s_andn2_b64 s[4:5], s[4:5], exec
	s_and_b64 s[8:9], s[8:9], exec
	s_or_b64 s[4:5], s[4:5], s[8:9]
	s_or_b64 exec, exec, s[6:7]
	s_and_saveexec_b64 s[6:7], s[4:5]
	s_cbranch_execnz .LBB6_1219
	s_branch .LBB6_1220
.LBB6_3269:
	s_movk_i32 s4, 0x80
	v_cmp_eq_u16_sdwa s[12:13], v4, s4 src0_sel:BYTE_0 src1_sel:DWORD
	s_mov_b64 s[4:5], -1
                                        ; implicit-def: $sgpr10
	s_and_saveexec_b64 s[8:9], s[12:13]
; %bb.3270:
	s_mov_b32 s10, 0x7f800001
	s_xor_b64 s[4:5], exec, -1
; %bb.3271:
	s_or_b64 exec, exec, s[8:9]
	s_and_b64 s[4:5], s[4:5], exec
	s_or_saveexec_b64 s[6:7], s[6:7]
	v_mov_b32_e32 v3, s10
	s_xor_b64 exec, exec, s[6:7]
	s_cbranch_execz .LBB6_1222
.LBB6_3272:
	v_mov_b32_e32 v3, 0
	v_cmp_ne_u16_sdwa s[8:9], v4, v3 src0_sel:BYTE_0 src1_sel:DWORD
	s_andn2_b64 s[4:5], s[4:5], exec
	s_and_b64 s[8:9], s[8:9], exec
	s_or_b64 s[4:5], s[4:5], s[8:9]
	s_or_b64 exec, exec, s[6:7]
	s_and_saveexec_b64 s[6:7], s[4:5]
	s_cbranch_execnz .LBB6_1223
	s_branch .LBB6_1224
.LBB6_3273:
	s_movk_i32 s4, 0x80
	v_cmp_eq_u16_sdwa s[12:13], v3, s4 src0_sel:BYTE_0 src1_sel:DWORD
	s_mov_b64 s[4:5], -1
                                        ; implicit-def: $sgpr10
	s_and_saveexec_b64 s[8:9], s[12:13]
; %bb.3274:
	s_mov_b32 s10, 0x7f800001
	s_xor_b64 s[4:5], exec, -1
; %bb.3275:
	s_or_b64 exec, exec, s[8:9]
	s_and_b64 s[4:5], s[4:5], exec
	s_or_saveexec_b64 s[6:7], s[6:7]
	v_mov_b32_e32 v2, s10
	s_xor_b64 exec, exec, s[6:7]
	s_cbranch_execz .LBB6_1226
.LBB6_3276:
	v_mov_b32_e32 v2, 0
	v_cmp_ne_u16_sdwa s[8:9], v3, v2 src0_sel:BYTE_0 src1_sel:DWORD
	s_andn2_b64 s[4:5], s[4:5], exec
	s_and_b64 s[8:9], s[8:9], exec
	s_or_b64 s[4:5], s[4:5], s[8:9]
	s_or_b64 exec, exec, s[6:7]
	s_and_saveexec_b64 s[6:7], s[4:5]
	s_cbranch_execnz .LBB6_1227
	s_branch .LBB6_1228
.LBB6_3277:
	s_movk_i32 s4, 0x80
	v_cmp_eq_u16_sdwa s[12:13], v3, s4 src0_sel:BYTE_0 src1_sel:DWORD
	s_mov_b64 s[4:5], -1
                                        ; implicit-def: $sgpr10
	s_and_saveexec_b64 s[8:9], s[12:13]
; %bb.3278:
	s_mov_b32 s10, 0x7f800001
	s_xor_b64 s[4:5], exec, -1
; %bb.3279:
	s_or_b64 exec, exec, s[8:9]
	s_and_b64 s[4:5], s[4:5], exec
	s_or_saveexec_b64 s[6:7], s[6:7]
	v_mov_b32_e32 v6, s10
	s_xor_b64 exec, exec, s[6:7]
	s_cbranch_execz .LBB6_1230
.LBB6_3280:
	v_mov_b32_e32 v6, 0
	v_cmp_ne_u16_sdwa s[8:9], v3, v6 src0_sel:BYTE_0 src1_sel:DWORD
	s_andn2_b64 s[4:5], s[4:5], exec
	s_and_b64 s[8:9], s[8:9], exec
	s_or_b64 s[4:5], s[4:5], s[8:9]
	s_or_b64 exec, exec, s[6:7]
	s_and_saveexec_b64 s[6:7], s[4:5]
	s_cbranch_execnz .LBB6_1231
	s_branch .LBB6_1232
.LBB6_3281:
	s_movk_i32 s4, 0x80
	v_cmp_eq_u16_e32 vcc, s4, v3
	s_mov_b64 s[4:5], -1
                                        ; implicit-def: $sgpr10
	s_and_saveexec_b64 s[8:9], vcc
; %bb.3282:
	s_mov_b32 s10, 0x7f800001
	s_xor_b64 s[4:5], exec, -1
; %bb.3283:
	s_or_b64 exec, exec, s[8:9]
	s_and_b64 s[4:5], s[4:5], exec
                                        ; implicit-def: $vgpr3
	s_or_saveexec_b64 s[6:7], s[6:7]
	v_mov_b32_e32 v2, s10
	s_xor_b64 exec, exec, s[6:7]
	s_cbranch_execz .LBB6_1234
.LBB6_3284:
	v_cmp_ne_u16_e32 vcc, 0, v3
	s_andn2_b64 s[4:5], s[4:5], exec
	s_and_b64 s[8:9], vcc, exec
	v_mov_b32_e32 v2, 0
	s_or_b64 s[4:5], s[4:5], s[8:9]
	s_or_b64 exec, exec, s[6:7]
	s_and_saveexec_b64 s[6:7], s[4:5]
	s_cbranch_execnz .LBB6_1235
	s_branch .LBB6_1236
.LBB6_3285:
	s_movk_i32 s4, 0x80
	v_cmp_eq_u16_e32 vcc, s4, v3
	s_mov_b64 s[4:5], -1
                                        ; implicit-def: $sgpr10
	s_and_saveexec_b64 s[8:9], vcc
; %bb.3286:
	s_mov_b32 s10, 0x7f800001
	s_xor_b64 s[4:5], exec, -1
; %bb.3287:
	s_or_b64 exec, exec, s[8:9]
	s_and_b64 s[4:5], s[4:5], exec
                                        ; implicit-def: $vgpr3
	s_or_saveexec_b64 s[6:7], s[6:7]
	v_mov_b32_e32 v6, s10
	s_xor_b64 exec, exec, s[6:7]
	s_cbranch_execz .LBB6_1238
.LBB6_3288:
	v_cmp_ne_u16_e32 vcc, 0, v3
	s_andn2_b64 s[4:5], s[4:5], exec
	s_and_b64 s[8:9], vcc, exec
	v_mov_b32_e32 v6, 0
	s_or_b64 s[4:5], s[4:5], s[8:9]
	s_or_b64 exec, exec, s[6:7]
	s_and_saveexec_b64 s[6:7], s[4:5]
	s_cbranch_execnz .LBB6_1239
	s_branch .LBB6_1240
.LBB6_3289:
	s_movk_i32 s4, 0x80
	v_cmp_eq_u16_sdwa s[12:13], v8, s4 src0_sel:BYTE_3 src1_sel:DWORD
	s_mov_b64 s[4:5], -1
                                        ; implicit-def: $sgpr10
	s_and_saveexec_b64 s[8:9], s[12:13]
; %bb.3290:
	s_mov_b32 s10, 0x7f800001
	s_xor_b64 s[4:5], exec, -1
; %bb.3291:
	s_or_b64 exec, exec, s[8:9]
	s_and_b64 s[4:5], s[4:5], exec
	s_or_saveexec_b64 s[6:7], s[6:7]
	v_mov_b32_e32 v2, s10
	s_xor_b64 exec, exec, s[6:7]
	s_cbranch_execz .LBB6_1242
.LBB6_3292:
	v_mov_b32_e32 v2, 0
	v_cmp_ne_u16_sdwa s[8:9], v8, v2 src0_sel:BYTE_3 src1_sel:DWORD
	s_andn2_b64 s[4:5], s[4:5], exec
	s_and_b64 s[8:9], s[8:9], exec
	s_or_b64 s[4:5], s[4:5], s[8:9]
	s_or_b64 exec, exec, s[6:7]
	s_and_saveexec_b64 s[6:7], s[4:5]
	s_cbranch_execnz .LBB6_1243
	s_branch .LBB6_1244
.LBB6_3293:
	s_movk_i32 s4, 0x80
	v_cmp_eq_u16_sdwa s[12:13], v4, s4 src0_sel:BYTE_3 src1_sel:DWORD
	s_mov_b64 s[4:5], -1
                                        ; implicit-def: $sgpr10
	s_and_saveexec_b64 s[8:9], s[12:13]
; %bb.3294:
	s_mov_b32 s10, 0x7f800001
	s_xor_b64 s[4:5], exec, -1
; %bb.3295:
	s_or_b64 exec, exec, s[8:9]
	s_and_b64 s[4:5], s[4:5], exec
	s_or_saveexec_b64 s[6:7], s[6:7]
	v_mov_b32_e32 v3, s10
	s_xor_b64 exec, exec, s[6:7]
	s_cbranch_execz .LBB6_1246
.LBB6_3296:
	v_mov_b32_e32 v3, 0
	v_cmp_ne_u16_sdwa s[8:9], v4, v3 src0_sel:BYTE_3 src1_sel:DWORD
	s_andn2_b64 s[4:5], s[4:5], exec
	s_and_b64 s[8:9], s[8:9], exec
	s_or_b64 s[4:5], s[4:5], s[8:9]
	s_or_b64 exec, exec, s[6:7]
	s_and_saveexec_b64 s[6:7], s[4:5]
	s_cbranch_execnz .LBB6_1247
	s_branch .LBB6_1248
.LBB6_3297:
	s_movk_i32 s4, 0x80
	v_cmp_eq_u16_sdwa s[12:13], v9, s4 src0_sel:BYTE_0 src1_sel:DWORD
	s_mov_b64 s[4:5], -1
                                        ; implicit-def: $sgpr10
	s_and_saveexec_b64 s[8:9], s[12:13]
; %bb.3298:
	s_mov_b32 s10, 0x7f800001
	s_xor_b64 s[4:5], exec, -1
; %bb.3299:
	s_or_b64 exec, exec, s[8:9]
	s_and_b64 s[4:5], s[4:5], exec
	s_or_saveexec_b64 s[6:7], s[6:7]
	v_mov_b32_e32 v2, s10
	s_xor_b64 exec, exec, s[6:7]
	s_cbranch_execz .LBB6_1250
.LBB6_3300:
	v_mov_b32_e32 v2, 0
	v_cmp_ne_u16_sdwa s[8:9], v9, v2 src0_sel:BYTE_0 src1_sel:DWORD
	s_andn2_b64 s[4:5], s[4:5], exec
	s_and_b64 s[8:9], s[8:9], exec
	s_or_b64 s[4:5], s[4:5], s[8:9]
	s_or_b64 exec, exec, s[6:7]
	s_and_saveexec_b64 s[6:7], s[4:5]
	s_cbranch_execnz .LBB6_1251
	s_branch .LBB6_1252
.LBB6_3301:
	s_movk_i32 s4, 0x80
	v_cmp_eq_u16_sdwa s[12:13], v5, s4 src0_sel:BYTE_0 src1_sel:DWORD
	s_mov_b64 s[4:5], -1
                                        ; implicit-def: $sgpr10
	s_and_saveexec_b64 s[8:9], s[12:13]
; %bb.3302:
	s_mov_b32 s10, 0x7f800001
	s_xor_b64 s[4:5], exec, -1
; %bb.3303:
	s_or_b64 exec, exec, s[8:9]
	s_and_b64 s[4:5], s[4:5], exec
	s_or_saveexec_b64 s[6:7], s[6:7]
	v_mov_b32_e32 v3, s10
	s_xor_b64 exec, exec, s[6:7]
	s_cbranch_execz .LBB6_1254
.LBB6_3304:
	v_mov_b32_e32 v3, 0
	v_cmp_ne_u16_sdwa s[8:9], v5, v3 src0_sel:BYTE_0 src1_sel:DWORD
	s_andn2_b64 s[4:5], s[4:5], exec
	s_and_b64 s[8:9], s[8:9], exec
	s_or_b64 s[4:5], s[4:5], s[8:9]
	s_or_b64 exec, exec, s[6:7]
	s_and_saveexec_b64 s[6:7], s[4:5]
	s_cbranch_execnz .LBB6_1255
	s_branch .LBB6_1256
.LBB6_3305:
	s_movk_i32 s4, 0x80
	v_cmp_eq_u16_sdwa s[12:13], v3, s4 src0_sel:BYTE_0 src1_sel:DWORD
	s_mov_b64 s[4:5], -1
                                        ; implicit-def: $sgpr10
	s_and_saveexec_b64 s[8:9], s[12:13]
; %bb.3306:
	s_mov_b32 s10, 0x7f800001
	s_xor_b64 s[4:5], exec, -1
; %bb.3307:
	s_or_b64 exec, exec, s[8:9]
	s_and_b64 s[4:5], s[4:5], exec
	s_or_saveexec_b64 s[6:7], s[6:7]
	v_mov_b32_e32 v2, s10
	s_xor_b64 exec, exec, s[6:7]
	s_cbranch_execz .LBB6_1258
.LBB6_3308:
	v_mov_b32_e32 v2, 0
	v_cmp_ne_u16_sdwa s[8:9], v3, v2 src0_sel:BYTE_0 src1_sel:DWORD
	s_andn2_b64 s[4:5], s[4:5], exec
	s_and_b64 s[8:9], s[8:9], exec
	s_or_b64 s[4:5], s[4:5], s[8:9]
	s_or_b64 exec, exec, s[6:7]
	s_and_saveexec_b64 s[6:7], s[4:5]
	s_cbranch_execnz .LBB6_1259
	s_branch .LBB6_1260
.LBB6_3309:
	s_movk_i32 s4, 0x80
	v_cmp_eq_u16_sdwa s[12:13], v3, s4 src0_sel:BYTE_0 src1_sel:DWORD
	s_mov_b64 s[4:5], -1
                                        ; implicit-def: $sgpr10
	s_and_saveexec_b64 s[8:9], s[12:13]
; %bb.3310:
	s_mov_b32 s10, 0x7f800001
	s_xor_b64 s[4:5], exec, -1
; %bb.3311:
	s_or_b64 exec, exec, s[8:9]
	s_and_b64 s[4:5], s[4:5], exec
	s_or_saveexec_b64 s[6:7], s[6:7]
	v_mov_b32_e32 v4, s10
	s_xor_b64 exec, exec, s[6:7]
	s_cbranch_execz .LBB6_1262
.LBB6_3312:
	v_mov_b32_e32 v4, 0
	v_cmp_ne_u16_sdwa s[8:9], v3, v4 src0_sel:BYTE_0 src1_sel:DWORD
	s_andn2_b64 s[4:5], s[4:5], exec
	s_and_b64 s[8:9], s[8:9], exec
	s_or_b64 s[4:5], s[4:5], s[8:9]
	s_or_b64 exec, exec, s[6:7]
	s_and_saveexec_b64 s[6:7], s[4:5]
	s_cbranch_execnz .LBB6_1263
	s_branch .LBB6_1264
.LBB6_3313:
	s_movk_i32 s4, 0x80
	v_cmp_eq_u16_e32 vcc, s4, v3
	s_mov_b64 s[4:5], -1
                                        ; implicit-def: $sgpr10
	s_and_saveexec_b64 s[8:9], vcc
; %bb.3314:
	s_mov_b32 s10, 0x7f800001
	s_xor_b64 s[4:5], exec, -1
; %bb.3315:
	s_or_b64 exec, exec, s[8:9]
	s_and_b64 s[4:5], s[4:5], exec
                                        ; implicit-def: $vgpr3
	s_or_saveexec_b64 s[6:7], s[6:7]
	v_mov_b32_e32 v2, s10
	s_xor_b64 exec, exec, s[6:7]
	s_cbranch_execz .LBB6_1266
.LBB6_3316:
	v_cmp_ne_u16_e32 vcc, 0, v3
	s_andn2_b64 s[4:5], s[4:5], exec
	s_and_b64 s[8:9], vcc, exec
	v_mov_b32_e32 v2, 0
	s_or_b64 s[4:5], s[4:5], s[8:9]
	s_or_b64 exec, exec, s[6:7]
	s_and_saveexec_b64 s[6:7], s[4:5]
	s_cbranch_execnz .LBB6_1267
	s_branch .LBB6_1268
.LBB6_3317:
	s_movk_i32 s4, 0x80
	v_cmp_eq_u16_e32 vcc, s4, v3
	s_mov_b64 s[4:5], -1
                                        ; implicit-def: $sgpr10
	s_and_saveexec_b64 s[8:9], vcc
; %bb.3318:
	s_mov_b32 s10, 0x7f800001
	s_xor_b64 s[4:5], exec, -1
; %bb.3319:
	s_or_b64 exec, exec, s[8:9]
	s_and_b64 s[4:5], s[4:5], exec
                                        ; implicit-def: $vgpr3
	s_or_saveexec_b64 s[6:7], s[6:7]
	v_mov_b32_e32 v4, s10
	s_xor_b64 exec, exec, s[6:7]
	s_cbranch_execz .LBB6_1270
.LBB6_3320:
	v_cmp_ne_u16_e32 vcc, 0, v3
	s_andn2_b64 s[4:5], s[4:5], exec
	s_and_b64 s[8:9], vcc, exec
	v_mov_b32_e32 v4, 0
	s_or_b64 s[4:5], s[4:5], s[8:9]
	s_or_b64 exec, exec, s[6:7]
	s_and_saveexec_b64 s[6:7], s[4:5]
	s_cbranch_execnz .LBB6_1271
	s_branch .LBB6_1272
.LBB6_3321:
	s_movk_i32 s4, 0x80
	v_cmp_eq_u16_sdwa s[12:13], v9, s4 src0_sel:BYTE_3 src1_sel:DWORD
	s_mov_b64 s[4:5], -1
                                        ; implicit-def: $sgpr10
	s_and_saveexec_b64 s[8:9], s[12:13]
; %bb.3322:
	s_mov_b32 s10, 0x7f800001
	s_xor_b64 s[4:5], exec, -1
; %bb.3323:
	s_or_b64 exec, exec, s[8:9]
	s_and_b64 s[4:5], s[4:5], exec
	s_or_saveexec_b64 s[6:7], s[6:7]
	v_mov_b32_e32 v2, s10
	s_xor_b64 exec, exec, s[6:7]
	s_cbranch_execz .LBB6_1274
.LBB6_3324:
	v_mov_b32_e32 v2, 0
	v_cmp_ne_u16_sdwa s[8:9], v9, v2 src0_sel:BYTE_3 src1_sel:DWORD
	s_andn2_b64 s[4:5], s[4:5], exec
	s_and_b64 s[8:9], s[8:9], exec
	s_or_b64 s[4:5], s[4:5], s[8:9]
	s_or_b64 exec, exec, s[6:7]
	s_and_saveexec_b64 s[6:7], s[4:5]
	s_cbranch_execnz .LBB6_1275
	s_branch .LBB6_1276
.LBB6_3325:
	s_movk_i32 s4, 0x80
	v_cmp_eq_u16_sdwa s[12:13], v5, s4 src0_sel:BYTE_3 src1_sel:DWORD
	s_mov_b64 s[4:5], -1
                                        ; implicit-def: $sgpr10
	s_and_saveexec_b64 s[8:9], s[12:13]
; %bb.3326:
	s_mov_b32 s10, 0x7f800001
	s_xor_b64 s[4:5], exec, -1
; %bb.3327:
	s_or_b64 exec, exec, s[8:9]
	s_and_b64 s[4:5], s[4:5], exec
	s_or_saveexec_b64 s[6:7], s[6:7]
	v_mov_b32_e32 v3, s10
	s_xor_b64 exec, exec, s[6:7]
	s_cbranch_execz .LBB6_1278
.LBB6_3328:
	v_mov_b32_e32 v3, 0
	v_cmp_ne_u16_sdwa s[8:9], v5, v3 src0_sel:BYTE_3 src1_sel:DWORD
	s_andn2_b64 s[4:5], s[4:5], exec
	s_and_b64 s[8:9], s[8:9], exec
	s_or_b64 s[4:5], s[4:5], s[8:9]
	s_or_b64 exec, exec, s[6:7]
	s_and_saveexec_b64 s[6:7], s[4:5]
	s_cbranch_execnz .LBB6_1279
	s_branch .LBB6_1280
.LBB6_3329:
	s_movk_i32 s4, 0x80
	v_cmp_eq_u16_sdwa s[12:13], v6, s4 src0_sel:BYTE_0 src1_sel:DWORD
	s_mov_b64 s[4:5], -1
                                        ; implicit-def: $sgpr10
	s_and_saveexec_b64 s[8:9], s[12:13]
; %bb.3330:
	s_mov_b32 s10, 0x7f800001
	s_xor_b64 s[4:5], exec, -1
; %bb.3331:
	s_or_b64 exec, exec, s[8:9]
	s_and_b64 s[4:5], s[4:5], exec
	s_or_saveexec_b64 s[6:7], s[6:7]
	v_mov_b32_e32 v12, s10
	s_xor_b64 exec, exec, s[6:7]
	s_cbranch_execz .LBB6_1282
.LBB6_3332:
	v_mov_b32_e32 v12, 0
	v_cmp_ne_u16_sdwa s[8:9], v6, v12 src0_sel:BYTE_0 src1_sel:DWORD
	s_andn2_b64 s[4:5], s[4:5], exec
	s_and_b64 s[8:9], s[8:9], exec
	s_or_b64 s[4:5], s[4:5], s[8:9]
	s_or_b64 exec, exec, s[6:7]
	s_and_saveexec_b64 s[6:7], s[4:5]
	s_cbranch_execnz .LBB6_1283
	s_branch .LBB6_1284
.LBB6_3333:
	s_movk_i32 s4, 0x80
	v_cmp_eq_u16_sdwa s[12:13], v2, s4 src0_sel:BYTE_0 src1_sel:DWORD
	s_mov_b64 s[4:5], -1
                                        ; implicit-def: $sgpr10
	s_and_saveexec_b64 s[8:9], s[12:13]
; %bb.3334:
	s_mov_b32 s10, 0x7f800001
	s_xor_b64 s[4:5], exec, -1
; %bb.3335:
	s_or_b64 exec, exec, s[8:9]
	s_and_b64 s[4:5], s[4:5], exec
	s_or_saveexec_b64 s[6:7], s[6:7]
	v_mov_b32_e32 v13, s10
	s_xor_b64 exec, exec, s[6:7]
	s_cbranch_execz .LBB6_1286
.LBB6_3336:
	v_mov_b32_e32 v13, 0
	v_cmp_ne_u16_sdwa s[8:9], v2, v13 src0_sel:BYTE_0 src1_sel:DWORD
	s_andn2_b64 s[4:5], s[4:5], exec
	s_and_b64 s[8:9], s[8:9], exec
	s_or_b64 s[4:5], s[4:5], s[8:9]
	s_or_b64 exec, exec, s[6:7]
	s_and_saveexec_b64 s[6:7], s[4:5]
	s_cbranch_execnz .LBB6_1287
	s_branch .LBB6_1288
.LBB6_3337:
	s_movk_i32 s4, 0x80
	v_cmp_eq_u16_sdwa s[12:13], v13, s4 src0_sel:BYTE_0 src1_sel:DWORD
	s_mov_b64 s[4:5], -1
                                        ; implicit-def: $sgpr10
	s_and_saveexec_b64 s[8:9], s[12:13]
; %bb.3338:
	s_mov_b32 s10, 0x7f800001
	s_xor_b64 s[4:5], exec, -1
; %bb.3339:
	s_or_b64 exec, exec, s[8:9]
	s_and_b64 s[4:5], s[4:5], exec
	s_or_saveexec_b64 s[6:7], s[6:7]
	v_mov_b32_e32 v12, s10
	s_xor_b64 exec, exec, s[6:7]
	s_cbranch_execz .LBB6_1290
.LBB6_3340:
	v_mov_b32_e32 v12, 0
	v_cmp_ne_u16_sdwa s[8:9], v13, v12 src0_sel:BYTE_0 src1_sel:DWORD
	s_andn2_b64 s[4:5], s[4:5], exec
	s_and_b64 s[8:9], s[8:9], exec
	s_or_b64 s[4:5], s[4:5], s[8:9]
	s_or_b64 exec, exec, s[6:7]
	s_and_saveexec_b64 s[6:7], s[4:5]
	s_cbranch_execnz .LBB6_1291
	s_branch .LBB6_1292
.LBB6_3341:
	s_movk_i32 s4, 0x80
	v_cmp_eq_u16_sdwa s[12:13], v13, s4 src0_sel:BYTE_0 src1_sel:DWORD
	s_mov_b64 s[4:5], -1
                                        ; implicit-def: $sgpr10
	s_and_saveexec_b64 s[8:9], s[12:13]
; %bb.3342:
	s_mov_b32 s10, 0x7f800001
	s_xor_b64 s[4:5], exec, -1
; %bb.3343:
	s_or_b64 exec, exec, s[8:9]
	s_and_b64 s[4:5], s[4:5], exec
	s_or_saveexec_b64 s[6:7], s[6:7]
	v_mov_b32_e32 v14, s10
	s_xor_b64 exec, exec, s[6:7]
	s_cbranch_execz .LBB6_1294
.LBB6_3344:
	v_mov_b32_e32 v14, 0
	v_cmp_ne_u16_sdwa s[8:9], v13, v14 src0_sel:BYTE_0 src1_sel:DWORD
	s_andn2_b64 s[4:5], s[4:5], exec
	s_and_b64 s[8:9], s[8:9], exec
	s_or_b64 s[4:5], s[4:5], s[8:9]
	s_or_b64 exec, exec, s[6:7]
	s_and_saveexec_b64 s[6:7], s[4:5]
	s_cbranch_execnz .LBB6_1295
	s_branch .LBB6_1296
.LBB6_3345:
	s_movk_i32 s4, 0x80
	v_cmp_eq_u16_e32 vcc, s4, v13
	s_mov_b64 s[4:5], -1
                                        ; implicit-def: $sgpr10
	s_and_saveexec_b64 s[8:9], vcc
; %bb.3346:
	s_mov_b32 s10, 0x7f800001
	s_xor_b64 s[4:5], exec, -1
; %bb.3347:
	s_or_b64 exec, exec, s[8:9]
	s_and_b64 s[4:5], s[4:5], exec
                                        ; implicit-def: $vgpr13
	s_or_saveexec_b64 s[6:7], s[6:7]
	v_mov_b32_e32 v12, s10
	s_xor_b64 exec, exec, s[6:7]
	s_cbranch_execz .LBB6_1298
.LBB6_3348:
	v_cmp_ne_u16_e32 vcc, 0, v13
	s_andn2_b64 s[4:5], s[4:5], exec
	s_and_b64 s[8:9], vcc, exec
	v_mov_b32_e32 v12, 0
	s_or_b64 s[4:5], s[4:5], s[8:9]
	s_or_b64 exec, exec, s[6:7]
	s_and_saveexec_b64 s[6:7], s[4:5]
	s_cbranch_execnz .LBB6_1299
	s_branch .LBB6_1300
.LBB6_3349:
	s_movk_i32 s4, 0x80
	v_cmp_eq_u16_e32 vcc, s4, v13
	s_mov_b64 s[4:5], -1
                                        ; implicit-def: $sgpr10
	s_and_saveexec_b64 s[8:9], vcc
; %bb.3350:
	s_mov_b32 s10, 0x7f800001
	s_xor_b64 s[4:5], exec, -1
; %bb.3351:
	s_or_b64 exec, exec, s[8:9]
	s_and_b64 s[4:5], s[4:5], exec
                                        ; implicit-def: $vgpr13
	s_or_saveexec_b64 s[6:7], s[6:7]
	v_mov_b32_e32 v14, s10
	s_xor_b64 exec, exec, s[6:7]
	s_cbranch_execz .LBB6_1302
.LBB6_3352:
	v_cmp_ne_u16_e32 vcc, 0, v13
	s_andn2_b64 s[4:5], s[4:5], exec
	s_and_b64 s[8:9], vcc, exec
	v_mov_b32_e32 v14, 0
	s_or_b64 s[4:5], s[4:5], s[8:9]
	s_or_b64 exec, exec, s[6:7]
	s_and_saveexec_b64 s[6:7], s[4:5]
	s_cbranch_execnz .LBB6_1303
	s_branch .LBB6_1304
.LBB6_3353:
	s_movk_i32 s4, 0x80
	v_cmp_eq_u16_sdwa s[12:13], v6, s4 src0_sel:BYTE_3 src1_sel:DWORD
	s_mov_b64 s[4:5], -1
                                        ; implicit-def: $sgpr10
	s_and_saveexec_b64 s[8:9], s[12:13]
; %bb.3354:
	s_mov_b32 s10, 0x7f800001
	s_xor_b64 s[4:5], exec, -1
; %bb.3355:
	s_or_b64 exec, exec, s[8:9]
	s_and_b64 s[4:5], s[4:5], exec
	s_or_saveexec_b64 s[6:7], s[6:7]
	v_mov_b32_e32 v12, s10
	s_xor_b64 exec, exec, s[6:7]
	s_cbranch_execz .LBB6_1306
.LBB6_3356:
	v_mov_b32_e32 v12, 0
	v_cmp_ne_u16_sdwa s[8:9], v6, v12 src0_sel:BYTE_3 src1_sel:DWORD
	s_andn2_b64 s[4:5], s[4:5], exec
	s_and_b64 s[8:9], s[8:9], exec
	s_or_b64 s[4:5], s[4:5], s[8:9]
	s_or_b64 exec, exec, s[6:7]
	s_and_saveexec_b64 s[6:7], s[4:5]
	s_cbranch_execnz .LBB6_1307
	s_branch .LBB6_1308
.LBB6_3357:
	s_movk_i32 s4, 0x80
	v_cmp_eq_u16_sdwa s[12:13], v2, s4 src0_sel:BYTE_3 src1_sel:DWORD
	s_mov_b64 s[4:5], -1
                                        ; implicit-def: $sgpr10
	s_and_saveexec_b64 s[8:9], s[12:13]
; %bb.3358:
	s_mov_b32 s10, 0x7f800001
	s_xor_b64 s[4:5], exec, -1
; %bb.3359:
	s_or_b64 exec, exec, s[8:9]
	s_and_b64 s[4:5], s[4:5], exec
	s_or_saveexec_b64 s[6:7], s[6:7]
	v_mov_b32_e32 v6, s10
	s_xor_b64 exec, exec, s[6:7]
	s_cbranch_execz .LBB6_1310
.LBB6_3360:
	v_mov_b32_e32 v6, 0
	v_cmp_ne_u16_sdwa s[8:9], v2, v6 src0_sel:BYTE_3 src1_sel:DWORD
	s_andn2_b64 s[4:5], s[4:5], exec
	s_and_b64 s[8:9], s[8:9], exec
	s_or_b64 s[4:5], s[4:5], s[8:9]
	s_or_b64 exec, exec, s[6:7]
	s_and_saveexec_b64 s[6:7], s[4:5]
	s_cbranch_execnz .LBB6_1311
	s_branch .LBB6_1312
.LBB6_3361:
	s_movk_i32 s4, 0x80
	v_cmp_eq_u16_sdwa s[12:13], v7, s4 src0_sel:BYTE_0 src1_sel:DWORD
	s_mov_b64 s[4:5], -1
                                        ; implicit-def: $sgpr10
	s_and_saveexec_b64 s[8:9], s[12:13]
; %bb.3362:
	s_mov_b32 s10, 0x7f800001
	s_xor_b64 s[4:5], exec, -1
; %bb.3363:
	s_or_b64 exec, exec, s[8:9]
	s_and_b64 s[4:5], s[4:5], exec
	s_or_saveexec_b64 s[6:7], s[6:7]
	v_mov_b32_e32 v2, s10
	s_xor_b64 exec, exec, s[6:7]
	s_cbranch_execz .LBB6_1314
.LBB6_3364:
	v_mov_b32_e32 v2, 0
	v_cmp_ne_u16_sdwa s[8:9], v7, v2 src0_sel:BYTE_0 src1_sel:DWORD
	s_andn2_b64 s[4:5], s[4:5], exec
	s_and_b64 s[8:9], s[8:9], exec
	s_or_b64 s[4:5], s[4:5], s[8:9]
	s_or_b64 exec, exec, s[6:7]
	s_and_saveexec_b64 s[6:7], s[4:5]
	s_cbranch_execnz .LBB6_1315
	s_branch .LBB6_1316
.LBB6_3365:
	s_movk_i32 s4, 0x80
	v_cmp_eq_u16_sdwa s[12:13], v3, s4 src0_sel:BYTE_0 src1_sel:DWORD
	s_mov_b64 s[4:5], -1
                                        ; implicit-def: $sgpr10
	s_and_saveexec_b64 s[8:9], s[12:13]
; %bb.3366:
	s_mov_b32 s10, 0x7f800001
	s_xor_b64 s[4:5], exec, -1
; %bb.3367:
	s_or_b64 exec, exec, s[8:9]
	s_and_b64 s[4:5], s[4:5], exec
	s_or_saveexec_b64 s[6:7], s[6:7]
	v_mov_b32_e32 v6, s10
	s_xor_b64 exec, exec, s[6:7]
	s_cbranch_execz .LBB6_1318
.LBB6_3368:
	v_mov_b32_e32 v6, 0
	v_cmp_ne_u16_sdwa s[8:9], v3, v6 src0_sel:BYTE_0 src1_sel:DWORD
	s_andn2_b64 s[4:5], s[4:5], exec
	s_and_b64 s[8:9], s[8:9], exec
	s_or_b64 s[4:5], s[4:5], s[8:9]
	s_or_b64 exec, exec, s[6:7]
	s_and_saveexec_b64 s[6:7], s[4:5]
	s_cbranch_execnz .LBB6_1319
	s_branch .LBB6_1320
.LBB6_3369:
	s_movk_i32 s4, 0x80
	v_cmp_eq_u16_sdwa s[12:13], v6, s4 src0_sel:BYTE_0 src1_sel:DWORD
	s_mov_b64 s[4:5], -1
                                        ; implicit-def: $sgpr10
	s_and_saveexec_b64 s[8:9], s[12:13]
; %bb.3370:
	s_mov_b32 s10, 0x7f800001
	s_xor_b64 s[4:5], exec, -1
; %bb.3371:
	s_or_b64 exec, exec, s[8:9]
	s_and_b64 s[4:5], s[4:5], exec
	s_or_saveexec_b64 s[6:7], s[6:7]
	v_mov_b32_e32 v2, s10
	s_xor_b64 exec, exec, s[6:7]
	s_cbranch_execz .LBB6_1322
.LBB6_3372:
	v_mov_b32_e32 v2, 0
	v_cmp_ne_u16_sdwa s[8:9], v6, v2 src0_sel:BYTE_0 src1_sel:DWORD
	s_andn2_b64 s[4:5], s[4:5], exec
	s_and_b64 s[8:9], s[8:9], exec
	s_or_b64 s[4:5], s[4:5], s[8:9]
	s_or_b64 exec, exec, s[6:7]
	s_and_saveexec_b64 s[6:7], s[4:5]
	s_cbranch_execnz .LBB6_1323
	s_branch .LBB6_1324
.LBB6_3373:
	s_movk_i32 s4, 0x80
	v_cmp_eq_u16_sdwa s[12:13], v6, s4 src0_sel:BYTE_0 src1_sel:DWORD
	s_mov_b64 s[4:5], -1
                                        ; implicit-def: $sgpr10
	s_and_saveexec_b64 s[8:9], s[12:13]
; %bb.3374:
	s_mov_b32 s10, 0x7f800001
	s_xor_b64 s[4:5], exec, -1
; %bb.3375:
	s_or_b64 exec, exec, s[8:9]
	s_and_b64 s[4:5], s[4:5], exec
	s_or_saveexec_b64 s[6:7], s[6:7]
	v_mov_b32_e32 v12, s10
	s_xor_b64 exec, exec, s[6:7]
	s_cbranch_execz .LBB6_1326
.LBB6_3376:
	v_mov_b32_e32 v12, 0
	v_cmp_ne_u16_sdwa s[8:9], v6, v12 src0_sel:BYTE_0 src1_sel:DWORD
	s_andn2_b64 s[4:5], s[4:5], exec
	s_and_b64 s[8:9], s[8:9], exec
	s_or_b64 s[4:5], s[4:5], s[8:9]
	s_or_b64 exec, exec, s[6:7]
	s_and_saveexec_b64 s[6:7], s[4:5]
	s_cbranch_execnz .LBB6_1327
	s_branch .LBB6_1328
.LBB6_3377:
	s_movk_i32 s4, 0x80
	v_cmp_eq_u16_e32 vcc, s4, v6
	s_mov_b64 s[4:5], -1
                                        ; implicit-def: $sgpr10
	s_and_saveexec_b64 s[8:9], vcc
; %bb.3378:
	s_mov_b32 s10, 0x7f800001
	s_xor_b64 s[4:5], exec, -1
; %bb.3379:
	s_or_b64 exec, exec, s[8:9]
	s_and_b64 s[4:5], s[4:5], exec
                                        ; implicit-def: $vgpr6
	s_or_saveexec_b64 s[6:7], s[6:7]
	v_mov_b32_e32 v2, s10
	s_xor_b64 exec, exec, s[6:7]
	s_cbranch_execz .LBB6_1330
.LBB6_3380:
	v_cmp_ne_u16_e32 vcc, 0, v6
	s_andn2_b64 s[4:5], s[4:5], exec
	s_and_b64 s[8:9], vcc, exec
	v_mov_b32_e32 v2, 0
	s_or_b64 s[4:5], s[4:5], s[8:9]
	s_or_b64 exec, exec, s[6:7]
	s_and_saveexec_b64 s[6:7], s[4:5]
	s_cbranch_execnz .LBB6_1331
	s_branch .LBB6_1332
.LBB6_3381:
	s_movk_i32 s4, 0x80
	v_cmp_eq_u16_e32 vcc, s4, v6
	s_mov_b64 s[4:5], -1
                                        ; implicit-def: $sgpr10
	s_and_saveexec_b64 s[8:9], vcc
; %bb.3382:
	s_mov_b32 s10, 0x7f800001
	s_xor_b64 s[4:5], exec, -1
; %bb.3383:
	s_or_b64 exec, exec, s[8:9]
	s_and_b64 s[4:5], s[4:5], exec
                                        ; implicit-def: $vgpr6
	s_or_saveexec_b64 s[6:7], s[6:7]
	v_mov_b32_e32 v12, s10
	s_xor_b64 exec, exec, s[6:7]
	s_cbranch_execz .LBB6_1334
.LBB6_3384:
	v_cmp_ne_u16_e32 vcc, 0, v6
	s_andn2_b64 s[4:5], s[4:5], exec
	s_and_b64 s[8:9], vcc, exec
	v_mov_b32_e32 v12, 0
	s_or_b64 s[4:5], s[4:5], s[8:9]
	s_or_b64 exec, exec, s[6:7]
	s_and_saveexec_b64 s[6:7], s[4:5]
	s_cbranch_execnz .LBB6_1335
	s_branch .LBB6_1336
.LBB6_3385:
	s_movk_i32 s4, 0x80
	v_cmp_eq_u16_sdwa s[12:13], v7, s4 src0_sel:BYTE_3 src1_sel:DWORD
	s_mov_b64 s[4:5], -1
                                        ; implicit-def: $sgpr10
	s_and_saveexec_b64 s[8:9], s[12:13]
; %bb.3386:
	s_mov_b32 s10, 0x7f800001
	s_xor_b64 s[4:5], exec, -1
; %bb.3387:
	s_or_b64 exec, exec, s[8:9]
	s_and_b64 s[4:5], s[4:5], exec
	s_or_saveexec_b64 s[6:7], s[6:7]
	v_mov_b32_e32 v2, s10
	s_xor_b64 exec, exec, s[6:7]
	s_cbranch_execz .LBB6_1338
.LBB6_3388:
	v_mov_b32_e32 v2, 0
	v_cmp_ne_u16_sdwa s[8:9], v7, v2 src0_sel:BYTE_3 src1_sel:DWORD
	s_andn2_b64 s[4:5], s[4:5], exec
	s_and_b64 s[8:9], s[8:9], exec
	s_or_b64 s[4:5], s[4:5], s[8:9]
	s_or_b64 exec, exec, s[6:7]
	s_and_saveexec_b64 s[6:7], s[4:5]
	s_cbranch_execnz .LBB6_1339
	s_branch .LBB6_1340
.LBB6_3389:
	s_movk_i32 s4, 0x80
	v_cmp_eq_u16_sdwa s[12:13], v3, s4 src0_sel:BYTE_3 src1_sel:DWORD
	s_mov_b64 s[4:5], -1
                                        ; implicit-def: $sgpr10
	s_and_saveexec_b64 s[8:9], s[12:13]
; %bb.3390:
	s_mov_b32 s10, 0x7f800001
	s_xor_b64 s[4:5], exec, -1
; %bb.3391:
	s_or_b64 exec, exec, s[8:9]
	s_and_b64 s[4:5], s[4:5], exec
	s_or_saveexec_b64 s[6:7], s[6:7]
	v_mov_b32_e32 v6, s10
	s_xor_b64 exec, exec, s[6:7]
	s_cbranch_execz .LBB6_1342
.LBB6_3392:
	v_mov_b32_e32 v6, 0
	v_cmp_ne_u16_sdwa s[8:9], v3, v6 src0_sel:BYTE_3 src1_sel:DWORD
	s_andn2_b64 s[4:5], s[4:5], exec
	s_and_b64 s[8:9], s[8:9], exec
	s_or_b64 s[4:5], s[4:5], s[8:9]
	s_or_b64 exec, exec, s[6:7]
	s_and_saveexec_b64 s[6:7], s[4:5]
	s_cbranch_execnz .LBB6_1343
	s_branch .LBB6_1344
.LBB6_3393:
	s_movk_i32 s4, 0x80
	v_cmp_eq_u16_sdwa s[12:13], v8, s4 src0_sel:BYTE_0 src1_sel:DWORD
	s_mov_b64 s[4:5], -1
                                        ; implicit-def: $sgpr10
	s_and_saveexec_b64 s[8:9], s[12:13]
; %bb.3394:
	s_mov_b32 s10, 0x7f800001
	s_xor_b64 s[4:5], exec, -1
; %bb.3395:
	s_or_b64 exec, exec, s[8:9]
	s_and_b64 s[4:5], s[4:5], exec
	s_or_saveexec_b64 s[6:7], s[6:7]
	v_mov_b32_e32 v2, s10
	s_xor_b64 exec, exec, s[6:7]
	s_cbranch_execz .LBB6_1346
.LBB6_3396:
	v_mov_b32_e32 v2, 0
	v_cmp_ne_u16_sdwa s[8:9], v8, v2 src0_sel:BYTE_0 src1_sel:DWORD
	s_andn2_b64 s[4:5], s[4:5], exec
	s_and_b64 s[8:9], s[8:9], exec
	s_or_b64 s[4:5], s[4:5], s[8:9]
	s_or_b64 exec, exec, s[6:7]
	s_and_saveexec_b64 s[6:7], s[4:5]
	s_cbranch_execnz .LBB6_1347
	s_branch .LBB6_1348
.LBB6_3397:
	s_movk_i32 s4, 0x80
	v_cmp_eq_u16_sdwa s[12:13], v4, s4 src0_sel:BYTE_0 src1_sel:DWORD
	s_mov_b64 s[4:5], -1
                                        ; implicit-def: $sgpr10
	s_and_saveexec_b64 s[8:9], s[12:13]
; %bb.3398:
	s_mov_b32 s10, 0x7f800001
	s_xor_b64 s[4:5], exec, -1
; %bb.3399:
	s_or_b64 exec, exec, s[8:9]
	s_and_b64 s[4:5], s[4:5], exec
	s_or_saveexec_b64 s[6:7], s[6:7]
	v_mov_b32_e32 v3, s10
	s_xor_b64 exec, exec, s[6:7]
	s_cbranch_execz .LBB6_1350
.LBB6_3400:
	v_mov_b32_e32 v3, 0
	v_cmp_ne_u16_sdwa s[8:9], v4, v3 src0_sel:BYTE_0 src1_sel:DWORD
	s_andn2_b64 s[4:5], s[4:5], exec
	s_and_b64 s[8:9], s[8:9], exec
	s_or_b64 s[4:5], s[4:5], s[8:9]
	s_or_b64 exec, exec, s[6:7]
	s_and_saveexec_b64 s[6:7], s[4:5]
	s_cbranch_execnz .LBB6_1351
	s_branch .LBB6_1352
.LBB6_3401:
	s_movk_i32 s4, 0x80
	v_cmp_eq_u16_sdwa s[12:13], v3, s4 src0_sel:BYTE_0 src1_sel:DWORD
	s_mov_b64 s[4:5], -1
                                        ; implicit-def: $sgpr10
	s_and_saveexec_b64 s[8:9], s[12:13]
; %bb.3402:
	s_mov_b32 s10, 0x7f800001
	s_xor_b64 s[4:5], exec, -1
; %bb.3403:
	s_or_b64 exec, exec, s[8:9]
	s_and_b64 s[4:5], s[4:5], exec
	s_or_saveexec_b64 s[6:7], s[6:7]
	v_mov_b32_e32 v2, s10
	s_xor_b64 exec, exec, s[6:7]
	s_cbranch_execz .LBB6_1354
.LBB6_3404:
	v_mov_b32_e32 v2, 0
	v_cmp_ne_u16_sdwa s[8:9], v3, v2 src0_sel:BYTE_0 src1_sel:DWORD
	s_andn2_b64 s[4:5], s[4:5], exec
	s_and_b64 s[8:9], s[8:9], exec
	s_or_b64 s[4:5], s[4:5], s[8:9]
	s_or_b64 exec, exec, s[6:7]
	s_and_saveexec_b64 s[6:7], s[4:5]
	s_cbranch_execnz .LBB6_1355
	s_branch .LBB6_1356
.LBB6_3405:
	s_movk_i32 s4, 0x80
	v_cmp_eq_u16_sdwa s[12:13], v3, s4 src0_sel:BYTE_0 src1_sel:DWORD
	s_mov_b64 s[4:5], -1
                                        ; implicit-def: $sgpr10
	s_and_saveexec_b64 s[8:9], s[12:13]
; %bb.3406:
	s_mov_b32 s10, 0x7f800001
	s_xor_b64 s[4:5], exec, -1
; %bb.3407:
	s_or_b64 exec, exec, s[8:9]
	s_and_b64 s[4:5], s[4:5], exec
	s_or_saveexec_b64 s[6:7], s[6:7]
	v_mov_b32_e32 v6, s10
	s_xor_b64 exec, exec, s[6:7]
	s_cbranch_execz .LBB6_1358
.LBB6_3408:
	v_mov_b32_e32 v6, 0
	v_cmp_ne_u16_sdwa s[8:9], v3, v6 src0_sel:BYTE_0 src1_sel:DWORD
	s_andn2_b64 s[4:5], s[4:5], exec
	s_and_b64 s[8:9], s[8:9], exec
	s_or_b64 s[4:5], s[4:5], s[8:9]
	s_or_b64 exec, exec, s[6:7]
	s_and_saveexec_b64 s[6:7], s[4:5]
	s_cbranch_execnz .LBB6_1359
	s_branch .LBB6_1360
.LBB6_3409:
	s_movk_i32 s4, 0x80
	v_cmp_eq_u16_e32 vcc, s4, v3
	s_mov_b64 s[4:5], -1
                                        ; implicit-def: $sgpr10
	s_and_saveexec_b64 s[8:9], vcc
; %bb.3410:
	s_mov_b32 s10, 0x7f800001
	s_xor_b64 s[4:5], exec, -1
; %bb.3411:
	s_or_b64 exec, exec, s[8:9]
	s_and_b64 s[4:5], s[4:5], exec
                                        ; implicit-def: $vgpr3
	s_or_saveexec_b64 s[6:7], s[6:7]
	v_mov_b32_e32 v2, s10
	s_xor_b64 exec, exec, s[6:7]
	s_cbranch_execz .LBB6_1362
.LBB6_3412:
	v_cmp_ne_u16_e32 vcc, 0, v3
	s_andn2_b64 s[4:5], s[4:5], exec
	s_and_b64 s[8:9], vcc, exec
	v_mov_b32_e32 v2, 0
	s_or_b64 s[4:5], s[4:5], s[8:9]
	s_or_b64 exec, exec, s[6:7]
	s_and_saveexec_b64 s[6:7], s[4:5]
	s_cbranch_execnz .LBB6_1363
	s_branch .LBB6_1364
.LBB6_3413:
	s_movk_i32 s4, 0x80
	v_cmp_eq_u16_e32 vcc, s4, v3
	s_mov_b64 s[4:5], -1
                                        ; implicit-def: $sgpr10
	s_and_saveexec_b64 s[8:9], vcc
; %bb.3414:
	s_mov_b32 s10, 0x7f800001
	s_xor_b64 s[4:5], exec, -1
; %bb.3415:
	s_or_b64 exec, exec, s[8:9]
	s_and_b64 s[4:5], s[4:5], exec
                                        ; implicit-def: $vgpr3
	s_or_saveexec_b64 s[6:7], s[6:7]
	v_mov_b32_e32 v6, s10
	s_xor_b64 exec, exec, s[6:7]
	s_cbranch_execz .LBB6_1366
.LBB6_3416:
	v_cmp_ne_u16_e32 vcc, 0, v3
	s_andn2_b64 s[4:5], s[4:5], exec
	s_and_b64 s[8:9], vcc, exec
	v_mov_b32_e32 v6, 0
	s_or_b64 s[4:5], s[4:5], s[8:9]
	s_or_b64 exec, exec, s[6:7]
	s_and_saveexec_b64 s[6:7], s[4:5]
	s_cbranch_execnz .LBB6_1367
	s_branch .LBB6_1368
.LBB6_3417:
	s_movk_i32 s4, 0x80
	v_cmp_eq_u16_sdwa s[12:13], v8, s4 src0_sel:BYTE_3 src1_sel:DWORD
	s_mov_b64 s[4:5], -1
                                        ; implicit-def: $sgpr10
	s_and_saveexec_b64 s[8:9], s[12:13]
; %bb.3418:
	s_mov_b32 s10, 0x7f800001
	s_xor_b64 s[4:5], exec, -1
; %bb.3419:
	s_or_b64 exec, exec, s[8:9]
	s_and_b64 s[4:5], s[4:5], exec
	s_or_saveexec_b64 s[6:7], s[6:7]
	v_mov_b32_e32 v2, s10
	s_xor_b64 exec, exec, s[6:7]
	s_cbranch_execz .LBB6_1370
.LBB6_3420:
	v_mov_b32_e32 v2, 0
	v_cmp_ne_u16_sdwa s[8:9], v8, v2 src0_sel:BYTE_3 src1_sel:DWORD
	s_andn2_b64 s[4:5], s[4:5], exec
	s_and_b64 s[8:9], s[8:9], exec
	s_or_b64 s[4:5], s[4:5], s[8:9]
	s_or_b64 exec, exec, s[6:7]
	s_and_saveexec_b64 s[6:7], s[4:5]
	s_cbranch_execnz .LBB6_1371
	s_branch .LBB6_1372
.LBB6_3421:
	s_movk_i32 s4, 0x80
	v_cmp_eq_u16_sdwa s[12:13], v4, s4 src0_sel:BYTE_3 src1_sel:DWORD
	s_mov_b64 s[4:5], -1
                                        ; implicit-def: $sgpr10
	s_and_saveexec_b64 s[8:9], s[12:13]
; %bb.3422:
	s_mov_b32 s10, 0x7f800001
	s_xor_b64 s[4:5], exec, -1
; %bb.3423:
	s_or_b64 exec, exec, s[8:9]
	s_and_b64 s[4:5], s[4:5], exec
	s_or_saveexec_b64 s[6:7], s[6:7]
	v_mov_b32_e32 v3, s10
	s_xor_b64 exec, exec, s[6:7]
	s_cbranch_execz .LBB6_1374
.LBB6_3424:
	v_mov_b32_e32 v3, 0
	v_cmp_ne_u16_sdwa s[8:9], v4, v3 src0_sel:BYTE_3 src1_sel:DWORD
	s_andn2_b64 s[4:5], s[4:5], exec
	s_and_b64 s[8:9], s[8:9], exec
	s_or_b64 s[4:5], s[4:5], s[8:9]
	s_or_b64 exec, exec, s[6:7]
	s_and_saveexec_b64 s[6:7], s[4:5]
	s_cbranch_execnz .LBB6_1375
	s_branch .LBB6_1376
.LBB6_3425:
	s_movk_i32 s4, 0x80
	v_cmp_eq_u16_sdwa s[12:13], v9, s4 src0_sel:BYTE_0 src1_sel:DWORD
	s_mov_b64 s[4:5], -1
                                        ; implicit-def: $sgpr10
	s_and_saveexec_b64 s[8:9], s[12:13]
; %bb.3426:
	s_mov_b32 s10, 0x7f800001
	s_xor_b64 s[4:5], exec, -1
; %bb.3427:
	s_or_b64 exec, exec, s[8:9]
	s_and_b64 s[4:5], s[4:5], exec
	s_or_saveexec_b64 s[6:7], s[6:7]
	v_mov_b32_e32 v2, s10
	s_xor_b64 exec, exec, s[6:7]
	s_cbranch_execz .LBB6_1378
.LBB6_3428:
	v_mov_b32_e32 v2, 0
	v_cmp_ne_u16_sdwa s[8:9], v9, v2 src0_sel:BYTE_0 src1_sel:DWORD
	s_andn2_b64 s[4:5], s[4:5], exec
	s_and_b64 s[8:9], s[8:9], exec
	s_or_b64 s[4:5], s[4:5], s[8:9]
	s_or_b64 exec, exec, s[6:7]
	s_and_saveexec_b64 s[6:7], s[4:5]
	s_cbranch_execnz .LBB6_1379
	s_branch .LBB6_1380
.LBB6_3429:
	s_movk_i32 s4, 0x80
	v_cmp_eq_u16_sdwa s[12:13], v5, s4 src0_sel:BYTE_0 src1_sel:DWORD
	s_mov_b64 s[4:5], -1
                                        ; implicit-def: $sgpr10
	s_and_saveexec_b64 s[8:9], s[12:13]
; %bb.3430:
	s_mov_b32 s10, 0x7f800001
	s_xor_b64 s[4:5], exec, -1
; %bb.3431:
	s_or_b64 exec, exec, s[8:9]
	s_and_b64 s[4:5], s[4:5], exec
	s_or_saveexec_b64 s[6:7], s[6:7]
	v_mov_b32_e32 v3, s10
	s_xor_b64 exec, exec, s[6:7]
	s_cbranch_execz .LBB6_1382
.LBB6_3432:
	v_mov_b32_e32 v3, 0
	v_cmp_ne_u16_sdwa s[8:9], v5, v3 src0_sel:BYTE_0 src1_sel:DWORD
	s_andn2_b64 s[4:5], s[4:5], exec
	s_and_b64 s[8:9], s[8:9], exec
	s_or_b64 s[4:5], s[4:5], s[8:9]
	s_or_b64 exec, exec, s[6:7]
	s_and_saveexec_b64 s[6:7], s[4:5]
	s_cbranch_execnz .LBB6_1383
	s_branch .LBB6_1384
.LBB6_3433:
	s_movk_i32 s4, 0x80
	v_cmp_eq_u16_sdwa s[12:13], v3, s4 src0_sel:BYTE_0 src1_sel:DWORD
	s_mov_b64 s[4:5], -1
                                        ; implicit-def: $sgpr10
	s_and_saveexec_b64 s[8:9], s[12:13]
; %bb.3434:
	s_mov_b32 s10, 0x7f800001
	s_xor_b64 s[4:5], exec, -1
; %bb.3435:
	s_or_b64 exec, exec, s[8:9]
	s_and_b64 s[4:5], s[4:5], exec
	s_or_saveexec_b64 s[6:7], s[6:7]
	v_mov_b32_e32 v2, s10
	s_xor_b64 exec, exec, s[6:7]
	s_cbranch_execz .LBB6_1386
.LBB6_3436:
	v_mov_b32_e32 v2, 0
	v_cmp_ne_u16_sdwa s[8:9], v3, v2 src0_sel:BYTE_0 src1_sel:DWORD
	s_andn2_b64 s[4:5], s[4:5], exec
	s_and_b64 s[8:9], s[8:9], exec
	s_or_b64 s[4:5], s[4:5], s[8:9]
	s_or_b64 exec, exec, s[6:7]
	s_and_saveexec_b64 s[6:7], s[4:5]
	s_cbranch_execnz .LBB6_1387
	s_branch .LBB6_1388
.LBB6_3437:
	s_movk_i32 s4, 0x80
	v_cmp_eq_u16_sdwa s[12:13], v3, s4 src0_sel:BYTE_0 src1_sel:DWORD
	s_mov_b64 s[4:5], -1
                                        ; implicit-def: $sgpr10
	s_and_saveexec_b64 s[8:9], s[12:13]
; %bb.3438:
	s_mov_b32 s10, 0x7f800001
	s_xor_b64 s[4:5], exec, -1
; %bb.3439:
	s_or_b64 exec, exec, s[8:9]
	s_and_b64 s[4:5], s[4:5], exec
	s_or_saveexec_b64 s[6:7], s[6:7]
	v_mov_b32_e32 v4, s10
	s_xor_b64 exec, exec, s[6:7]
	s_cbranch_execz .LBB6_1390
.LBB6_3440:
	v_mov_b32_e32 v4, 0
	v_cmp_ne_u16_sdwa s[8:9], v3, v4 src0_sel:BYTE_0 src1_sel:DWORD
	s_andn2_b64 s[4:5], s[4:5], exec
	s_and_b64 s[8:9], s[8:9], exec
	s_or_b64 s[4:5], s[4:5], s[8:9]
	s_or_b64 exec, exec, s[6:7]
	s_and_saveexec_b64 s[6:7], s[4:5]
	s_cbranch_execnz .LBB6_1391
	s_branch .LBB6_1392
.LBB6_3441:
	s_movk_i32 s4, 0x80
	v_cmp_eq_u16_e32 vcc, s4, v3
	s_mov_b64 s[4:5], -1
                                        ; implicit-def: $sgpr10
	s_and_saveexec_b64 s[8:9], vcc
; %bb.3442:
	s_mov_b32 s10, 0x7f800001
	s_xor_b64 s[4:5], exec, -1
; %bb.3443:
	s_or_b64 exec, exec, s[8:9]
	s_and_b64 s[4:5], s[4:5], exec
                                        ; implicit-def: $vgpr3
	s_or_saveexec_b64 s[6:7], s[6:7]
	v_mov_b32_e32 v2, s10
	s_xor_b64 exec, exec, s[6:7]
	s_cbranch_execz .LBB6_1394
.LBB6_3444:
	v_cmp_ne_u16_e32 vcc, 0, v3
	s_andn2_b64 s[4:5], s[4:5], exec
	s_and_b64 s[8:9], vcc, exec
	v_mov_b32_e32 v2, 0
	s_or_b64 s[4:5], s[4:5], s[8:9]
	s_or_b64 exec, exec, s[6:7]
	s_and_saveexec_b64 s[6:7], s[4:5]
	s_cbranch_execnz .LBB6_1395
	s_branch .LBB6_1396
.LBB6_3445:
	s_movk_i32 s4, 0x80
	v_cmp_eq_u16_e32 vcc, s4, v3
	s_mov_b64 s[4:5], -1
                                        ; implicit-def: $sgpr10
	s_and_saveexec_b64 s[8:9], vcc
; %bb.3446:
	s_mov_b32 s10, 0x7f800001
	s_xor_b64 s[4:5], exec, -1
; %bb.3447:
	s_or_b64 exec, exec, s[8:9]
	s_and_b64 s[4:5], s[4:5], exec
                                        ; implicit-def: $vgpr3
	s_or_saveexec_b64 s[6:7], s[6:7]
	v_mov_b32_e32 v4, s10
	s_xor_b64 exec, exec, s[6:7]
	s_cbranch_execz .LBB6_1398
.LBB6_3448:
	v_cmp_ne_u16_e32 vcc, 0, v3
	s_andn2_b64 s[4:5], s[4:5], exec
	s_and_b64 s[8:9], vcc, exec
	v_mov_b32_e32 v4, 0
	s_or_b64 s[4:5], s[4:5], s[8:9]
	s_or_b64 exec, exec, s[6:7]
	s_and_saveexec_b64 s[6:7], s[4:5]
	s_cbranch_execnz .LBB6_1399
	s_branch .LBB6_1400
.LBB6_3449:
	s_movk_i32 s4, 0x80
	v_cmp_eq_u16_sdwa s[12:13], v9, s4 src0_sel:BYTE_3 src1_sel:DWORD
	s_mov_b64 s[4:5], -1
                                        ; implicit-def: $sgpr10
	s_and_saveexec_b64 s[8:9], s[12:13]
; %bb.3450:
	s_mov_b32 s10, 0x7f800001
	s_xor_b64 s[4:5], exec, -1
; %bb.3451:
	s_or_b64 exec, exec, s[8:9]
	s_and_b64 s[4:5], s[4:5], exec
	s_or_saveexec_b64 s[6:7], s[6:7]
	v_mov_b32_e32 v2, s10
	s_xor_b64 exec, exec, s[6:7]
	s_cbranch_execz .LBB6_1402
.LBB6_3452:
	v_mov_b32_e32 v2, 0
	v_cmp_ne_u16_sdwa s[8:9], v9, v2 src0_sel:BYTE_3 src1_sel:DWORD
	s_andn2_b64 s[4:5], s[4:5], exec
	s_and_b64 s[8:9], s[8:9], exec
	s_or_b64 s[4:5], s[4:5], s[8:9]
	s_or_b64 exec, exec, s[6:7]
	s_and_saveexec_b64 s[6:7], s[4:5]
	s_cbranch_execnz .LBB6_1403
	s_branch .LBB6_1404
.LBB6_3453:
	s_movk_i32 s4, 0x80
	v_cmp_eq_u16_sdwa s[12:13], v5, s4 src0_sel:BYTE_3 src1_sel:DWORD
	s_mov_b64 s[4:5], -1
                                        ; implicit-def: $sgpr10
	s_and_saveexec_b64 s[8:9], s[12:13]
; %bb.3454:
	s_mov_b32 s10, 0x7f800001
	s_xor_b64 s[4:5], exec, -1
; %bb.3455:
	s_or_b64 exec, exec, s[8:9]
	s_and_b64 s[4:5], s[4:5], exec
	s_or_saveexec_b64 s[6:7], s[6:7]
	v_mov_b32_e32 v3, s10
	s_xor_b64 exec, exec, s[6:7]
	s_cbranch_execz .LBB6_1406
.LBB6_3456:
	v_mov_b32_e32 v3, 0
	v_cmp_ne_u16_sdwa s[8:9], v5, v3 src0_sel:BYTE_3 src1_sel:DWORD
	s_andn2_b64 s[4:5], s[4:5], exec
	s_and_b64 s[8:9], s[8:9], exec
	s_or_b64 s[4:5], s[4:5], s[8:9]
	s_or_b64 exec, exec, s[6:7]
	s_and_saveexec_b64 s[6:7], s[4:5]
	s_cbranch_execnz .LBB6_1407
	s_branch .LBB6_1408
.LBB6_3457:
	s_movk_i32 s4, 0x80
	v_cmp_eq_u16_sdwa s[12:13], v6, s4 src0_sel:BYTE_0 src1_sel:DWORD
	s_mov_b64 s[4:5], -1
                                        ; implicit-def: $sgpr10
	s_and_saveexec_b64 s[8:9], s[12:13]
; %bb.3458:
	s_mov_b32 s10, 0x7f800001
	s_xor_b64 s[4:5], exec, -1
; %bb.3459:
	s_or_b64 exec, exec, s[8:9]
	s_and_b64 s[4:5], s[4:5], exec
	s_or_saveexec_b64 s[6:7], s[6:7]
	v_mov_b32_e32 v12, s10
	s_xor_b64 exec, exec, s[6:7]
	s_cbranch_execz .LBB6_1410
.LBB6_3460:
	v_mov_b32_e32 v12, 0
	v_cmp_ne_u16_sdwa s[8:9], v6, v12 src0_sel:BYTE_0 src1_sel:DWORD
	s_andn2_b64 s[4:5], s[4:5], exec
	s_and_b64 s[8:9], s[8:9], exec
	s_or_b64 s[4:5], s[4:5], s[8:9]
	s_or_b64 exec, exec, s[6:7]
	s_and_saveexec_b64 s[6:7], s[4:5]
	s_cbranch_execnz .LBB6_1411
	s_branch .LBB6_1412
.LBB6_3461:
	s_movk_i32 s4, 0x80
	v_cmp_eq_u16_sdwa s[12:13], v2, s4 src0_sel:BYTE_0 src1_sel:DWORD
	s_mov_b64 s[4:5], -1
                                        ; implicit-def: $sgpr10
	s_and_saveexec_b64 s[8:9], s[12:13]
; %bb.3462:
	s_mov_b32 s10, 0x7f800001
	s_xor_b64 s[4:5], exec, -1
; %bb.3463:
	s_or_b64 exec, exec, s[8:9]
	s_and_b64 s[4:5], s[4:5], exec
	s_or_saveexec_b64 s[6:7], s[6:7]
	v_mov_b32_e32 v13, s10
	s_xor_b64 exec, exec, s[6:7]
	s_cbranch_execz .LBB6_1414
.LBB6_3464:
	v_mov_b32_e32 v13, 0
	v_cmp_ne_u16_sdwa s[8:9], v2, v13 src0_sel:BYTE_0 src1_sel:DWORD
	s_andn2_b64 s[4:5], s[4:5], exec
	s_and_b64 s[8:9], s[8:9], exec
	s_or_b64 s[4:5], s[4:5], s[8:9]
	s_or_b64 exec, exec, s[6:7]
	s_and_saveexec_b64 s[6:7], s[4:5]
	s_cbranch_execnz .LBB6_1415
	s_branch .LBB6_1416
.LBB6_3465:
	s_movk_i32 s4, 0x80
	v_cmp_eq_u16_sdwa s[12:13], v13, s4 src0_sel:BYTE_0 src1_sel:DWORD
	s_mov_b64 s[4:5], -1
                                        ; implicit-def: $sgpr10
	s_and_saveexec_b64 s[8:9], s[12:13]
; %bb.3466:
	s_mov_b32 s10, 0x7f800001
	s_xor_b64 s[4:5], exec, -1
; %bb.3467:
	s_or_b64 exec, exec, s[8:9]
	s_and_b64 s[4:5], s[4:5], exec
	s_or_saveexec_b64 s[6:7], s[6:7]
	v_mov_b32_e32 v12, s10
	s_xor_b64 exec, exec, s[6:7]
	s_cbranch_execz .LBB6_1418
.LBB6_3468:
	v_mov_b32_e32 v12, 0
	v_cmp_ne_u16_sdwa s[8:9], v13, v12 src0_sel:BYTE_0 src1_sel:DWORD
	s_andn2_b64 s[4:5], s[4:5], exec
	s_and_b64 s[8:9], s[8:9], exec
	s_or_b64 s[4:5], s[4:5], s[8:9]
	s_or_b64 exec, exec, s[6:7]
	s_and_saveexec_b64 s[6:7], s[4:5]
	s_cbranch_execnz .LBB6_1419
	s_branch .LBB6_1420
.LBB6_3469:
	s_movk_i32 s4, 0x80
	v_cmp_eq_u16_sdwa s[12:13], v13, s4 src0_sel:BYTE_0 src1_sel:DWORD
	s_mov_b64 s[4:5], -1
                                        ; implicit-def: $sgpr10
	s_and_saveexec_b64 s[8:9], s[12:13]
; %bb.3470:
	s_mov_b32 s10, 0x7f800001
	s_xor_b64 s[4:5], exec, -1
; %bb.3471:
	s_or_b64 exec, exec, s[8:9]
	s_and_b64 s[4:5], s[4:5], exec
	s_or_saveexec_b64 s[6:7], s[6:7]
	v_mov_b32_e32 v14, s10
	s_xor_b64 exec, exec, s[6:7]
	s_cbranch_execz .LBB6_1422
.LBB6_3472:
	v_mov_b32_e32 v14, 0
	v_cmp_ne_u16_sdwa s[8:9], v13, v14 src0_sel:BYTE_0 src1_sel:DWORD
	s_andn2_b64 s[4:5], s[4:5], exec
	s_and_b64 s[8:9], s[8:9], exec
	s_or_b64 s[4:5], s[4:5], s[8:9]
	s_or_b64 exec, exec, s[6:7]
	s_and_saveexec_b64 s[6:7], s[4:5]
	s_cbranch_execnz .LBB6_1423
	s_branch .LBB6_1424
.LBB6_3473:
	s_movk_i32 s4, 0x80
	v_cmp_eq_u16_e32 vcc, s4, v13
	s_mov_b64 s[4:5], -1
                                        ; implicit-def: $sgpr10
	s_and_saveexec_b64 s[8:9], vcc
; %bb.3474:
	s_mov_b32 s10, 0x7f800001
	s_xor_b64 s[4:5], exec, -1
; %bb.3475:
	s_or_b64 exec, exec, s[8:9]
	s_and_b64 s[4:5], s[4:5], exec
                                        ; implicit-def: $vgpr13
	s_or_saveexec_b64 s[6:7], s[6:7]
	v_mov_b32_e32 v12, s10
	s_xor_b64 exec, exec, s[6:7]
	s_cbranch_execz .LBB6_1426
.LBB6_3476:
	v_cmp_ne_u16_e32 vcc, 0, v13
	s_andn2_b64 s[4:5], s[4:5], exec
	s_and_b64 s[8:9], vcc, exec
	v_mov_b32_e32 v12, 0
	s_or_b64 s[4:5], s[4:5], s[8:9]
	s_or_b64 exec, exec, s[6:7]
	s_and_saveexec_b64 s[6:7], s[4:5]
	s_cbranch_execnz .LBB6_1427
	s_branch .LBB6_1428
.LBB6_3477:
	s_movk_i32 s4, 0x80
	v_cmp_eq_u16_e32 vcc, s4, v13
	s_mov_b64 s[4:5], -1
                                        ; implicit-def: $sgpr10
	s_and_saveexec_b64 s[8:9], vcc
; %bb.3478:
	s_mov_b32 s10, 0x7f800001
	s_xor_b64 s[4:5], exec, -1
; %bb.3479:
	s_or_b64 exec, exec, s[8:9]
	s_and_b64 s[4:5], s[4:5], exec
                                        ; implicit-def: $vgpr13
	s_or_saveexec_b64 s[6:7], s[6:7]
	v_mov_b32_e32 v14, s10
	s_xor_b64 exec, exec, s[6:7]
	s_cbranch_execz .LBB6_1430
.LBB6_3480:
	v_cmp_ne_u16_e32 vcc, 0, v13
	s_andn2_b64 s[4:5], s[4:5], exec
	s_and_b64 s[8:9], vcc, exec
	v_mov_b32_e32 v14, 0
	s_or_b64 s[4:5], s[4:5], s[8:9]
	s_or_b64 exec, exec, s[6:7]
	s_and_saveexec_b64 s[6:7], s[4:5]
	s_cbranch_execnz .LBB6_1431
	s_branch .LBB6_1432
.LBB6_3481:
	s_movk_i32 s4, 0x80
	v_cmp_eq_u16_sdwa s[12:13], v6, s4 src0_sel:BYTE_3 src1_sel:DWORD
	s_mov_b64 s[4:5], -1
                                        ; implicit-def: $sgpr10
	s_and_saveexec_b64 s[8:9], s[12:13]
; %bb.3482:
	s_mov_b32 s10, 0x7f800001
	s_xor_b64 s[4:5], exec, -1
; %bb.3483:
	s_or_b64 exec, exec, s[8:9]
	s_and_b64 s[4:5], s[4:5], exec
	s_or_saveexec_b64 s[6:7], s[6:7]
	v_mov_b32_e32 v12, s10
	s_xor_b64 exec, exec, s[6:7]
	s_cbranch_execz .LBB6_1434
.LBB6_3484:
	v_mov_b32_e32 v12, 0
	v_cmp_ne_u16_sdwa s[8:9], v6, v12 src0_sel:BYTE_3 src1_sel:DWORD
	s_andn2_b64 s[4:5], s[4:5], exec
	s_and_b64 s[8:9], s[8:9], exec
	s_or_b64 s[4:5], s[4:5], s[8:9]
	s_or_b64 exec, exec, s[6:7]
	s_and_saveexec_b64 s[6:7], s[4:5]
	s_cbranch_execnz .LBB6_1435
	s_branch .LBB6_1436
.LBB6_3485:
	s_movk_i32 s4, 0x80
	v_cmp_eq_u16_sdwa s[12:13], v2, s4 src0_sel:BYTE_3 src1_sel:DWORD
	s_mov_b64 s[4:5], -1
                                        ; implicit-def: $sgpr10
	s_and_saveexec_b64 s[8:9], s[12:13]
; %bb.3486:
	s_mov_b32 s10, 0x7f800001
	s_xor_b64 s[4:5], exec, -1
; %bb.3487:
	s_or_b64 exec, exec, s[8:9]
	s_and_b64 s[4:5], s[4:5], exec
	s_or_saveexec_b64 s[6:7], s[6:7]
	v_mov_b32_e32 v6, s10
	s_xor_b64 exec, exec, s[6:7]
	s_cbranch_execz .LBB6_1438
.LBB6_3488:
	v_mov_b32_e32 v6, 0
	v_cmp_ne_u16_sdwa s[8:9], v2, v6 src0_sel:BYTE_3 src1_sel:DWORD
	s_andn2_b64 s[4:5], s[4:5], exec
	s_and_b64 s[8:9], s[8:9], exec
	s_or_b64 s[4:5], s[4:5], s[8:9]
	s_or_b64 exec, exec, s[6:7]
	s_and_saveexec_b64 s[6:7], s[4:5]
	s_cbranch_execnz .LBB6_1439
	s_branch .LBB6_1440
.LBB6_3489:
	s_movk_i32 s4, 0x80
	v_cmp_eq_u16_sdwa s[12:13], v7, s4 src0_sel:BYTE_0 src1_sel:DWORD
	s_mov_b64 s[4:5], -1
                                        ; implicit-def: $sgpr10
	s_and_saveexec_b64 s[8:9], s[12:13]
; %bb.3490:
	s_mov_b32 s10, 0x7f800001
	s_xor_b64 s[4:5], exec, -1
; %bb.3491:
	s_or_b64 exec, exec, s[8:9]
	s_and_b64 s[4:5], s[4:5], exec
	s_or_saveexec_b64 s[6:7], s[6:7]
	v_mov_b32_e32 v2, s10
	s_xor_b64 exec, exec, s[6:7]
	s_cbranch_execz .LBB6_1442
.LBB6_3492:
	v_mov_b32_e32 v2, 0
	v_cmp_ne_u16_sdwa s[8:9], v7, v2 src0_sel:BYTE_0 src1_sel:DWORD
	s_andn2_b64 s[4:5], s[4:5], exec
	s_and_b64 s[8:9], s[8:9], exec
	s_or_b64 s[4:5], s[4:5], s[8:9]
	s_or_b64 exec, exec, s[6:7]
	s_and_saveexec_b64 s[6:7], s[4:5]
	s_cbranch_execnz .LBB6_1443
	s_branch .LBB6_1444
.LBB6_3493:
	s_movk_i32 s4, 0x80
	v_cmp_eq_u16_sdwa s[12:13], v3, s4 src0_sel:BYTE_0 src1_sel:DWORD
	s_mov_b64 s[4:5], -1
                                        ; implicit-def: $sgpr10
	s_and_saveexec_b64 s[8:9], s[12:13]
; %bb.3494:
	s_mov_b32 s10, 0x7f800001
	s_xor_b64 s[4:5], exec, -1
; %bb.3495:
	s_or_b64 exec, exec, s[8:9]
	s_and_b64 s[4:5], s[4:5], exec
	s_or_saveexec_b64 s[6:7], s[6:7]
	v_mov_b32_e32 v6, s10
	s_xor_b64 exec, exec, s[6:7]
	s_cbranch_execz .LBB6_1446
.LBB6_3496:
	v_mov_b32_e32 v6, 0
	v_cmp_ne_u16_sdwa s[8:9], v3, v6 src0_sel:BYTE_0 src1_sel:DWORD
	s_andn2_b64 s[4:5], s[4:5], exec
	s_and_b64 s[8:9], s[8:9], exec
	s_or_b64 s[4:5], s[4:5], s[8:9]
	s_or_b64 exec, exec, s[6:7]
	s_and_saveexec_b64 s[6:7], s[4:5]
	s_cbranch_execnz .LBB6_1447
	s_branch .LBB6_1448
.LBB6_3497:
	s_movk_i32 s4, 0x80
	v_cmp_eq_u16_sdwa s[12:13], v6, s4 src0_sel:BYTE_0 src1_sel:DWORD
	s_mov_b64 s[4:5], -1
                                        ; implicit-def: $sgpr10
	s_and_saveexec_b64 s[8:9], s[12:13]
; %bb.3498:
	s_mov_b32 s10, 0x7f800001
	s_xor_b64 s[4:5], exec, -1
; %bb.3499:
	s_or_b64 exec, exec, s[8:9]
	s_and_b64 s[4:5], s[4:5], exec
	s_or_saveexec_b64 s[6:7], s[6:7]
	v_mov_b32_e32 v2, s10
	s_xor_b64 exec, exec, s[6:7]
	s_cbranch_execz .LBB6_1450
.LBB6_3500:
	v_mov_b32_e32 v2, 0
	v_cmp_ne_u16_sdwa s[8:9], v6, v2 src0_sel:BYTE_0 src1_sel:DWORD
	s_andn2_b64 s[4:5], s[4:5], exec
	s_and_b64 s[8:9], s[8:9], exec
	s_or_b64 s[4:5], s[4:5], s[8:9]
	s_or_b64 exec, exec, s[6:7]
	s_and_saveexec_b64 s[6:7], s[4:5]
	s_cbranch_execnz .LBB6_1451
	s_branch .LBB6_1452
.LBB6_3501:
	s_movk_i32 s4, 0x80
	v_cmp_eq_u16_sdwa s[12:13], v6, s4 src0_sel:BYTE_0 src1_sel:DWORD
	s_mov_b64 s[4:5], -1
                                        ; implicit-def: $sgpr10
	s_and_saveexec_b64 s[8:9], s[12:13]
; %bb.3502:
	s_mov_b32 s10, 0x7f800001
	s_xor_b64 s[4:5], exec, -1
; %bb.3503:
	s_or_b64 exec, exec, s[8:9]
	s_and_b64 s[4:5], s[4:5], exec
	s_or_saveexec_b64 s[6:7], s[6:7]
	v_mov_b32_e32 v12, s10
	s_xor_b64 exec, exec, s[6:7]
	s_cbranch_execz .LBB6_1454
.LBB6_3504:
	v_mov_b32_e32 v12, 0
	v_cmp_ne_u16_sdwa s[8:9], v6, v12 src0_sel:BYTE_0 src1_sel:DWORD
	s_andn2_b64 s[4:5], s[4:5], exec
	s_and_b64 s[8:9], s[8:9], exec
	s_or_b64 s[4:5], s[4:5], s[8:9]
	s_or_b64 exec, exec, s[6:7]
	s_and_saveexec_b64 s[6:7], s[4:5]
	s_cbranch_execnz .LBB6_1455
	s_branch .LBB6_1456
.LBB6_3505:
	s_movk_i32 s4, 0x80
	v_cmp_eq_u16_e32 vcc, s4, v6
	s_mov_b64 s[4:5], -1
                                        ; implicit-def: $sgpr10
	s_and_saveexec_b64 s[8:9], vcc
; %bb.3506:
	s_mov_b32 s10, 0x7f800001
	s_xor_b64 s[4:5], exec, -1
; %bb.3507:
	s_or_b64 exec, exec, s[8:9]
	s_and_b64 s[4:5], s[4:5], exec
                                        ; implicit-def: $vgpr6
	s_or_saveexec_b64 s[6:7], s[6:7]
	v_mov_b32_e32 v2, s10
	s_xor_b64 exec, exec, s[6:7]
	s_cbranch_execz .LBB6_1458
.LBB6_3508:
	v_cmp_ne_u16_e32 vcc, 0, v6
	s_andn2_b64 s[4:5], s[4:5], exec
	s_and_b64 s[8:9], vcc, exec
	v_mov_b32_e32 v2, 0
	s_or_b64 s[4:5], s[4:5], s[8:9]
	s_or_b64 exec, exec, s[6:7]
	s_and_saveexec_b64 s[6:7], s[4:5]
	s_cbranch_execnz .LBB6_1459
	s_branch .LBB6_1460
.LBB6_3509:
	s_movk_i32 s4, 0x80
	v_cmp_eq_u16_e32 vcc, s4, v6
	s_mov_b64 s[4:5], -1
                                        ; implicit-def: $sgpr10
	s_and_saveexec_b64 s[8:9], vcc
; %bb.3510:
	s_mov_b32 s10, 0x7f800001
	s_xor_b64 s[4:5], exec, -1
; %bb.3511:
	s_or_b64 exec, exec, s[8:9]
	s_and_b64 s[4:5], s[4:5], exec
                                        ; implicit-def: $vgpr6
	s_or_saveexec_b64 s[6:7], s[6:7]
	v_mov_b32_e32 v12, s10
	s_xor_b64 exec, exec, s[6:7]
	s_cbranch_execz .LBB6_1462
.LBB6_3512:
	v_cmp_ne_u16_e32 vcc, 0, v6
	s_andn2_b64 s[4:5], s[4:5], exec
	s_and_b64 s[8:9], vcc, exec
	v_mov_b32_e32 v12, 0
	s_or_b64 s[4:5], s[4:5], s[8:9]
	s_or_b64 exec, exec, s[6:7]
	s_and_saveexec_b64 s[6:7], s[4:5]
	s_cbranch_execnz .LBB6_1463
	s_branch .LBB6_1464
.LBB6_3513:
	s_movk_i32 s4, 0x80
	v_cmp_eq_u16_sdwa s[12:13], v7, s4 src0_sel:BYTE_3 src1_sel:DWORD
	s_mov_b64 s[4:5], -1
                                        ; implicit-def: $sgpr10
	s_and_saveexec_b64 s[8:9], s[12:13]
; %bb.3514:
	s_mov_b32 s10, 0x7f800001
	s_xor_b64 s[4:5], exec, -1
; %bb.3515:
	s_or_b64 exec, exec, s[8:9]
	s_and_b64 s[4:5], s[4:5], exec
	s_or_saveexec_b64 s[6:7], s[6:7]
	v_mov_b32_e32 v2, s10
	s_xor_b64 exec, exec, s[6:7]
	s_cbranch_execz .LBB6_1466
.LBB6_3516:
	v_mov_b32_e32 v2, 0
	v_cmp_ne_u16_sdwa s[8:9], v7, v2 src0_sel:BYTE_3 src1_sel:DWORD
	s_andn2_b64 s[4:5], s[4:5], exec
	s_and_b64 s[8:9], s[8:9], exec
	s_or_b64 s[4:5], s[4:5], s[8:9]
	s_or_b64 exec, exec, s[6:7]
	s_and_saveexec_b64 s[6:7], s[4:5]
	s_cbranch_execnz .LBB6_1467
	s_branch .LBB6_1468
.LBB6_3517:
	s_movk_i32 s4, 0x80
	v_cmp_eq_u16_sdwa s[12:13], v3, s4 src0_sel:BYTE_3 src1_sel:DWORD
	s_mov_b64 s[4:5], -1
                                        ; implicit-def: $sgpr10
	s_and_saveexec_b64 s[8:9], s[12:13]
; %bb.3518:
	s_mov_b32 s10, 0x7f800001
	s_xor_b64 s[4:5], exec, -1
; %bb.3519:
	s_or_b64 exec, exec, s[8:9]
	s_and_b64 s[4:5], s[4:5], exec
	s_or_saveexec_b64 s[6:7], s[6:7]
	v_mov_b32_e32 v6, s10
	s_xor_b64 exec, exec, s[6:7]
	s_cbranch_execz .LBB6_1470
.LBB6_3520:
	v_mov_b32_e32 v6, 0
	v_cmp_ne_u16_sdwa s[8:9], v3, v6 src0_sel:BYTE_3 src1_sel:DWORD
	s_andn2_b64 s[4:5], s[4:5], exec
	s_and_b64 s[8:9], s[8:9], exec
	s_or_b64 s[4:5], s[4:5], s[8:9]
	s_or_b64 exec, exec, s[6:7]
	s_and_saveexec_b64 s[6:7], s[4:5]
	s_cbranch_execnz .LBB6_1471
	s_branch .LBB6_1472
.LBB6_3521:
	s_movk_i32 s4, 0x80
	v_cmp_eq_u16_sdwa s[12:13], v8, s4 src0_sel:BYTE_0 src1_sel:DWORD
	s_mov_b64 s[4:5], -1
                                        ; implicit-def: $sgpr10
	s_and_saveexec_b64 s[8:9], s[12:13]
; %bb.3522:
	s_mov_b32 s10, 0x7f800001
	s_xor_b64 s[4:5], exec, -1
; %bb.3523:
	s_or_b64 exec, exec, s[8:9]
	s_and_b64 s[4:5], s[4:5], exec
	s_or_saveexec_b64 s[6:7], s[6:7]
	v_mov_b32_e32 v2, s10
	s_xor_b64 exec, exec, s[6:7]
	s_cbranch_execz .LBB6_1474
.LBB6_3524:
	v_mov_b32_e32 v2, 0
	v_cmp_ne_u16_sdwa s[8:9], v8, v2 src0_sel:BYTE_0 src1_sel:DWORD
	s_andn2_b64 s[4:5], s[4:5], exec
	s_and_b64 s[8:9], s[8:9], exec
	s_or_b64 s[4:5], s[4:5], s[8:9]
	s_or_b64 exec, exec, s[6:7]
	s_and_saveexec_b64 s[6:7], s[4:5]
	s_cbranch_execnz .LBB6_1475
	s_branch .LBB6_1476
.LBB6_3525:
	s_movk_i32 s4, 0x80
	v_cmp_eq_u16_sdwa s[12:13], v4, s4 src0_sel:BYTE_0 src1_sel:DWORD
	s_mov_b64 s[4:5], -1
                                        ; implicit-def: $sgpr10
	s_and_saveexec_b64 s[8:9], s[12:13]
; %bb.3526:
	s_mov_b32 s10, 0x7f800001
	s_xor_b64 s[4:5], exec, -1
; %bb.3527:
	s_or_b64 exec, exec, s[8:9]
	s_and_b64 s[4:5], s[4:5], exec
	s_or_saveexec_b64 s[6:7], s[6:7]
	v_mov_b32_e32 v3, s10
	s_xor_b64 exec, exec, s[6:7]
	s_cbranch_execz .LBB6_1478
.LBB6_3528:
	v_mov_b32_e32 v3, 0
	v_cmp_ne_u16_sdwa s[8:9], v4, v3 src0_sel:BYTE_0 src1_sel:DWORD
	s_andn2_b64 s[4:5], s[4:5], exec
	s_and_b64 s[8:9], s[8:9], exec
	s_or_b64 s[4:5], s[4:5], s[8:9]
	s_or_b64 exec, exec, s[6:7]
	s_and_saveexec_b64 s[6:7], s[4:5]
	s_cbranch_execnz .LBB6_1479
	s_branch .LBB6_1480
.LBB6_3529:
	s_movk_i32 s4, 0x80
	v_cmp_eq_u16_sdwa s[12:13], v3, s4 src0_sel:BYTE_0 src1_sel:DWORD
	s_mov_b64 s[4:5], -1
                                        ; implicit-def: $sgpr10
	s_and_saveexec_b64 s[8:9], s[12:13]
; %bb.3530:
	s_mov_b32 s10, 0x7f800001
	s_xor_b64 s[4:5], exec, -1
; %bb.3531:
	s_or_b64 exec, exec, s[8:9]
	s_and_b64 s[4:5], s[4:5], exec
	s_or_saveexec_b64 s[6:7], s[6:7]
	v_mov_b32_e32 v2, s10
	s_xor_b64 exec, exec, s[6:7]
	s_cbranch_execz .LBB6_1482
.LBB6_3532:
	v_mov_b32_e32 v2, 0
	v_cmp_ne_u16_sdwa s[8:9], v3, v2 src0_sel:BYTE_0 src1_sel:DWORD
	s_andn2_b64 s[4:5], s[4:5], exec
	s_and_b64 s[8:9], s[8:9], exec
	s_or_b64 s[4:5], s[4:5], s[8:9]
	s_or_b64 exec, exec, s[6:7]
	s_and_saveexec_b64 s[6:7], s[4:5]
	s_cbranch_execnz .LBB6_1483
	s_branch .LBB6_1484
.LBB6_3533:
	s_movk_i32 s4, 0x80
	v_cmp_eq_u16_sdwa s[12:13], v3, s4 src0_sel:BYTE_0 src1_sel:DWORD
	s_mov_b64 s[4:5], -1
                                        ; implicit-def: $sgpr10
	s_and_saveexec_b64 s[8:9], s[12:13]
; %bb.3534:
	s_mov_b32 s10, 0x7f800001
	s_xor_b64 s[4:5], exec, -1
; %bb.3535:
	s_or_b64 exec, exec, s[8:9]
	s_and_b64 s[4:5], s[4:5], exec
	s_or_saveexec_b64 s[6:7], s[6:7]
	v_mov_b32_e32 v6, s10
	s_xor_b64 exec, exec, s[6:7]
	s_cbranch_execz .LBB6_1486
.LBB6_3536:
	v_mov_b32_e32 v6, 0
	v_cmp_ne_u16_sdwa s[8:9], v3, v6 src0_sel:BYTE_0 src1_sel:DWORD
	s_andn2_b64 s[4:5], s[4:5], exec
	s_and_b64 s[8:9], s[8:9], exec
	s_or_b64 s[4:5], s[4:5], s[8:9]
	s_or_b64 exec, exec, s[6:7]
	s_and_saveexec_b64 s[6:7], s[4:5]
	s_cbranch_execnz .LBB6_1487
	s_branch .LBB6_1488
.LBB6_3537:
	s_movk_i32 s4, 0x80
	v_cmp_eq_u16_e32 vcc, s4, v3
	s_mov_b64 s[4:5], -1
                                        ; implicit-def: $sgpr10
	s_and_saveexec_b64 s[8:9], vcc
; %bb.3538:
	s_mov_b32 s10, 0x7f800001
	s_xor_b64 s[4:5], exec, -1
; %bb.3539:
	s_or_b64 exec, exec, s[8:9]
	s_and_b64 s[4:5], s[4:5], exec
                                        ; implicit-def: $vgpr3
	s_or_saveexec_b64 s[6:7], s[6:7]
	v_mov_b32_e32 v2, s10
	s_xor_b64 exec, exec, s[6:7]
	s_cbranch_execz .LBB6_1490
.LBB6_3540:
	v_cmp_ne_u16_e32 vcc, 0, v3
	s_andn2_b64 s[4:5], s[4:5], exec
	s_and_b64 s[8:9], vcc, exec
	v_mov_b32_e32 v2, 0
	s_or_b64 s[4:5], s[4:5], s[8:9]
	s_or_b64 exec, exec, s[6:7]
	s_and_saveexec_b64 s[6:7], s[4:5]
	s_cbranch_execnz .LBB6_1491
	s_branch .LBB6_1492
.LBB6_3541:
	s_movk_i32 s4, 0x80
	v_cmp_eq_u16_e32 vcc, s4, v3
	s_mov_b64 s[4:5], -1
                                        ; implicit-def: $sgpr10
	s_and_saveexec_b64 s[8:9], vcc
; %bb.3542:
	s_mov_b32 s10, 0x7f800001
	s_xor_b64 s[4:5], exec, -1
; %bb.3543:
	s_or_b64 exec, exec, s[8:9]
	s_and_b64 s[4:5], s[4:5], exec
                                        ; implicit-def: $vgpr3
	s_or_saveexec_b64 s[6:7], s[6:7]
	v_mov_b32_e32 v6, s10
	s_xor_b64 exec, exec, s[6:7]
	s_cbranch_execz .LBB6_1494
.LBB6_3544:
	v_cmp_ne_u16_e32 vcc, 0, v3
	s_andn2_b64 s[4:5], s[4:5], exec
	s_and_b64 s[8:9], vcc, exec
	v_mov_b32_e32 v6, 0
	s_or_b64 s[4:5], s[4:5], s[8:9]
	s_or_b64 exec, exec, s[6:7]
	s_and_saveexec_b64 s[6:7], s[4:5]
	s_cbranch_execnz .LBB6_1495
	s_branch .LBB6_1496
.LBB6_3545:
	s_movk_i32 s4, 0x80
	v_cmp_eq_u16_sdwa s[12:13], v8, s4 src0_sel:BYTE_3 src1_sel:DWORD
	s_mov_b64 s[4:5], -1
                                        ; implicit-def: $sgpr10
	s_and_saveexec_b64 s[8:9], s[12:13]
; %bb.3546:
	s_mov_b32 s10, 0x7f800001
	s_xor_b64 s[4:5], exec, -1
; %bb.3547:
	s_or_b64 exec, exec, s[8:9]
	s_and_b64 s[4:5], s[4:5], exec
	s_or_saveexec_b64 s[6:7], s[6:7]
	v_mov_b32_e32 v2, s10
	s_xor_b64 exec, exec, s[6:7]
	s_cbranch_execz .LBB6_1498
.LBB6_3548:
	v_mov_b32_e32 v2, 0
	v_cmp_ne_u16_sdwa s[8:9], v8, v2 src0_sel:BYTE_3 src1_sel:DWORD
	s_andn2_b64 s[4:5], s[4:5], exec
	s_and_b64 s[8:9], s[8:9], exec
	s_or_b64 s[4:5], s[4:5], s[8:9]
	s_or_b64 exec, exec, s[6:7]
	s_and_saveexec_b64 s[6:7], s[4:5]
	s_cbranch_execnz .LBB6_1499
	s_branch .LBB6_1500
.LBB6_3549:
	s_movk_i32 s4, 0x80
	v_cmp_eq_u16_sdwa s[12:13], v4, s4 src0_sel:BYTE_3 src1_sel:DWORD
	s_mov_b64 s[4:5], -1
                                        ; implicit-def: $sgpr10
	s_and_saveexec_b64 s[8:9], s[12:13]
; %bb.3550:
	s_mov_b32 s10, 0x7f800001
	s_xor_b64 s[4:5], exec, -1
; %bb.3551:
	s_or_b64 exec, exec, s[8:9]
	s_and_b64 s[4:5], s[4:5], exec
	s_or_saveexec_b64 s[6:7], s[6:7]
	v_mov_b32_e32 v3, s10
	s_xor_b64 exec, exec, s[6:7]
	s_cbranch_execz .LBB6_1502
.LBB6_3552:
	v_mov_b32_e32 v3, 0
	v_cmp_ne_u16_sdwa s[8:9], v4, v3 src0_sel:BYTE_3 src1_sel:DWORD
	s_andn2_b64 s[4:5], s[4:5], exec
	s_and_b64 s[8:9], s[8:9], exec
	s_or_b64 s[4:5], s[4:5], s[8:9]
	s_or_b64 exec, exec, s[6:7]
	s_and_saveexec_b64 s[6:7], s[4:5]
	s_cbranch_execnz .LBB6_1503
	s_branch .LBB6_1504
.LBB6_3553:
	s_movk_i32 s4, 0x80
	v_cmp_eq_u16_sdwa s[12:13], v9, s4 src0_sel:BYTE_0 src1_sel:DWORD
	s_mov_b64 s[4:5], -1
                                        ; implicit-def: $sgpr10
	s_and_saveexec_b64 s[8:9], s[12:13]
; %bb.3554:
	s_mov_b32 s10, 0x7f800001
	s_xor_b64 s[4:5], exec, -1
; %bb.3555:
	s_or_b64 exec, exec, s[8:9]
	s_and_b64 s[4:5], s[4:5], exec
	s_or_saveexec_b64 s[6:7], s[6:7]
	v_mov_b32_e32 v2, s10
	s_xor_b64 exec, exec, s[6:7]
	s_cbranch_execz .LBB6_1506
.LBB6_3556:
	v_mov_b32_e32 v2, 0
	v_cmp_ne_u16_sdwa s[8:9], v9, v2 src0_sel:BYTE_0 src1_sel:DWORD
	s_andn2_b64 s[4:5], s[4:5], exec
	s_and_b64 s[8:9], s[8:9], exec
	s_or_b64 s[4:5], s[4:5], s[8:9]
	s_or_b64 exec, exec, s[6:7]
	s_and_saveexec_b64 s[6:7], s[4:5]
	s_cbranch_execnz .LBB6_1507
	s_branch .LBB6_1508
.LBB6_3557:
	s_movk_i32 s4, 0x80
	v_cmp_eq_u16_sdwa s[12:13], v5, s4 src0_sel:BYTE_0 src1_sel:DWORD
	s_mov_b64 s[4:5], -1
                                        ; implicit-def: $sgpr10
	s_and_saveexec_b64 s[8:9], s[12:13]
; %bb.3558:
	s_mov_b32 s10, 0x7f800001
	s_xor_b64 s[4:5], exec, -1
; %bb.3559:
	s_or_b64 exec, exec, s[8:9]
	s_and_b64 s[4:5], s[4:5], exec
	s_or_saveexec_b64 s[6:7], s[6:7]
	v_mov_b32_e32 v3, s10
	s_xor_b64 exec, exec, s[6:7]
	s_cbranch_execz .LBB6_1510
.LBB6_3560:
	v_mov_b32_e32 v3, 0
	v_cmp_ne_u16_sdwa s[8:9], v5, v3 src0_sel:BYTE_0 src1_sel:DWORD
	s_andn2_b64 s[4:5], s[4:5], exec
	s_and_b64 s[8:9], s[8:9], exec
	s_or_b64 s[4:5], s[4:5], s[8:9]
	s_or_b64 exec, exec, s[6:7]
	s_and_saveexec_b64 s[6:7], s[4:5]
	s_cbranch_execnz .LBB6_1511
	s_branch .LBB6_1512
.LBB6_3561:
	s_movk_i32 s4, 0x80
	v_cmp_eq_u16_sdwa s[12:13], v3, s4 src0_sel:BYTE_0 src1_sel:DWORD
	s_mov_b64 s[4:5], -1
                                        ; implicit-def: $sgpr10
	s_and_saveexec_b64 s[8:9], s[12:13]
; %bb.3562:
	s_mov_b32 s10, 0x7f800001
	s_xor_b64 s[4:5], exec, -1
; %bb.3563:
	s_or_b64 exec, exec, s[8:9]
	s_and_b64 s[4:5], s[4:5], exec
	s_or_saveexec_b64 s[6:7], s[6:7]
	v_mov_b32_e32 v2, s10
	s_xor_b64 exec, exec, s[6:7]
	s_cbranch_execz .LBB6_1514
.LBB6_3564:
	v_mov_b32_e32 v2, 0
	v_cmp_ne_u16_sdwa s[8:9], v3, v2 src0_sel:BYTE_0 src1_sel:DWORD
	s_andn2_b64 s[4:5], s[4:5], exec
	s_and_b64 s[8:9], s[8:9], exec
	s_or_b64 s[4:5], s[4:5], s[8:9]
	s_or_b64 exec, exec, s[6:7]
	s_and_saveexec_b64 s[6:7], s[4:5]
	s_cbranch_execnz .LBB6_1515
	s_branch .LBB6_1516
.LBB6_3565:
	s_movk_i32 s4, 0x80
	v_cmp_eq_u16_sdwa s[12:13], v3, s4 src0_sel:BYTE_0 src1_sel:DWORD
	s_mov_b64 s[4:5], -1
                                        ; implicit-def: $sgpr10
	s_and_saveexec_b64 s[8:9], s[12:13]
; %bb.3566:
	s_mov_b32 s10, 0x7f800001
	s_xor_b64 s[4:5], exec, -1
; %bb.3567:
	s_or_b64 exec, exec, s[8:9]
	s_and_b64 s[4:5], s[4:5], exec
	s_or_saveexec_b64 s[6:7], s[6:7]
	v_mov_b32_e32 v4, s10
	s_xor_b64 exec, exec, s[6:7]
	s_cbranch_execz .LBB6_1518
.LBB6_3568:
	v_mov_b32_e32 v4, 0
	v_cmp_ne_u16_sdwa s[8:9], v3, v4 src0_sel:BYTE_0 src1_sel:DWORD
	s_andn2_b64 s[4:5], s[4:5], exec
	s_and_b64 s[8:9], s[8:9], exec
	s_or_b64 s[4:5], s[4:5], s[8:9]
	s_or_b64 exec, exec, s[6:7]
	s_and_saveexec_b64 s[6:7], s[4:5]
	s_cbranch_execnz .LBB6_1519
	s_branch .LBB6_1520
.LBB6_3569:
	s_movk_i32 s4, 0x80
	v_cmp_eq_u16_e32 vcc, s4, v3
	s_mov_b64 s[4:5], -1
                                        ; implicit-def: $sgpr10
	s_and_saveexec_b64 s[8:9], vcc
; %bb.3570:
	s_mov_b32 s10, 0x7f800001
	s_xor_b64 s[4:5], exec, -1
; %bb.3571:
	s_or_b64 exec, exec, s[8:9]
	s_and_b64 s[4:5], s[4:5], exec
                                        ; implicit-def: $vgpr3
	s_or_saveexec_b64 s[6:7], s[6:7]
	v_mov_b32_e32 v2, s10
	s_xor_b64 exec, exec, s[6:7]
	s_cbranch_execz .LBB6_1522
.LBB6_3572:
	v_cmp_ne_u16_e32 vcc, 0, v3
	s_andn2_b64 s[4:5], s[4:5], exec
	s_and_b64 s[8:9], vcc, exec
	v_mov_b32_e32 v2, 0
	s_or_b64 s[4:5], s[4:5], s[8:9]
	s_or_b64 exec, exec, s[6:7]
	s_and_saveexec_b64 s[6:7], s[4:5]
	s_cbranch_execnz .LBB6_1523
	s_branch .LBB6_1524
.LBB6_3573:
	s_movk_i32 s4, 0x80
	v_cmp_eq_u16_e32 vcc, s4, v3
	s_mov_b64 s[4:5], -1
                                        ; implicit-def: $sgpr10
	s_and_saveexec_b64 s[8:9], vcc
; %bb.3574:
	s_mov_b32 s10, 0x7f800001
	s_xor_b64 s[4:5], exec, -1
; %bb.3575:
	s_or_b64 exec, exec, s[8:9]
	s_and_b64 s[4:5], s[4:5], exec
                                        ; implicit-def: $vgpr3
	s_or_saveexec_b64 s[6:7], s[6:7]
	v_mov_b32_e32 v4, s10
	s_xor_b64 exec, exec, s[6:7]
	s_cbranch_execz .LBB6_1526
.LBB6_3576:
	v_cmp_ne_u16_e32 vcc, 0, v3
	s_andn2_b64 s[4:5], s[4:5], exec
	s_and_b64 s[8:9], vcc, exec
	v_mov_b32_e32 v4, 0
	s_or_b64 s[4:5], s[4:5], s[8:9]
	s_or_b64 exec, exec, s[6:7]
	s_and_saveexec_b64 s[6:7], s[4:5]
	s_cbranch_execnz .LBB6_1527
	s_branch .LBB6_1528
.LBB6_3577:
	s_movk_i32 s4, 0x80
	v_cmp_eq_u16_sdwa s[12:13], v9, s4 src0_sel:BYTE_3 src1_sel:DWORD
	s_mov_b64 s[4:5], -1
                                        ; implicit-def: $sgpr10
	s_and_saveexec_b64 s[8:9], s[12:13]
; %bb.3578:
	s_mov_b32 s10, 0x7f800001
	s_xor_b64 s[4:5], exec, -1
; %bb.3579:
	s_or_b64 exec, exec, s[8:9]
	s_and_b64 s[4:5], s[4:5], exec
	s_or_saveexec_b64 s[6:7], s[6:7]
	v_mov_b32_e32 v2, s10
	s_xor_b64 exec, exec, s[6:7]
	s_cbranch_execz .LBB6_1530
.LBB6_3580:
	v_mov_b32_e32 v2, 0
	v_cmp_ne_u16_sdwa s[8:9], v9, v2 src0_sel:BYTE_3 src1_sel:DWORD
	s_andn2_b64 s[4:5], s[4:5], exec
	s_and_b64 s[8:9], s[8:9], exec
	s_or_b64 s[4:5], s[4:5], s[8:9]
	s_or_b64 exec, exec, s[6:7]
	s_and_saveexec_b64 s[6:7], s[4:5]
	s_cbranch_execnz .LBB6_1531
	s_branch .LBB6_1532
.LBB6_3581:
	s_movk_i32 s4, 0x80
	v_cmp_eq_u16_sdwa s[12:13], v5, s4 src0_sel:BYTE_3 src1_sel:DWORD
	s_mov_b64 s[4:5], -1
                                        ; implicit-def: $sgpr10
	s_and_saveexec_b64 s[8:9], s[12:13]
; %bb.3582:
	s_mov_b32 s10, 0x7f800001
	s_xor_b64 s[4:5], exec, -1
; %bb.3583:
	s_or_b64 exec, exec, s[8:9]
	s_and_b64 s[4:5], s[4:5], exec
	s_or_saveexec_b64 s[6:7], s[6:7]
	v_mov_b32_e32 v3, s10
	s_xor_b64 exec, exec, s[6:7]
	s_cbranch_execz .LBB6_1534
.LBB6_3584:
	v_mov_b32_e32 v3, 0
	v_cmp_ne_u16_sdwa s[8:9], v5, v3 src0_sel:BYTE_3 src1_sel:DWORD
	s_andn2_b64 s[4:5], s[4:5], exec
	s_and_b64 s[8:9], s[8:9], exec
	s_or_b64 s[4:5], s[4:5], s[8:9]
	s_or_b64 exec, exec, s[6:7]
	s_and_saveexec_b64 s[6:7], s[4:5]
	s_cbranch_execnz .LBB6_1535
	s_branch .LBB6_1536
.LBB6_3585:
	s_movk_i32 s4, 0x80
	v_cmp_eq_u16_sdwa s[12:13], v6, s4 src0_sel:BYTE_0 src1_sel:DWORD
	s_mov_b64 s[4:5], -1
                                        ; implicit-def: $sgpr10
	s_and_saveexec_b64 s[8:9], s[12:13]
; %bb.3586:
	s_mov_b32 s10, 0x7f800001
	s_xor_b64 s[4:5], exec, -1
; %bb.3587:
	s_or_b64 exec, exec, s[8:9]
	s_and_b64 s[4:5], s[4:5], exec
	s_or_saveexec_b64 s[6:7], s[6:7]
	v_mov_b32_e32 v12, s10
	s_xor_b64 exec, exec, s[6:7]
	s_cbranch_execz .LBB6_1538
.LBB6_3588:
	v_mov_b32_e32 v12, 0
	v_cmp_ne_u16_sdwa s[8:9], v6, v12 src0_sel:BYTE_0 src1_sel:DWORD
	s_andn2_b64 s[4:5], s[4:5], exec
	s_and_b64 s[8:9], s[8:9], exec
	s_or_b64 s[4:5], s[4:5], s[8:9]
	s_or_b64 exec, exec, s[6:7]
	s_and_saveexec_b64 s[6:7], s[4:5]
	s_cbranch_execnz .LBB6_1539
	s_branch .LBB6_1540
.LBB6_3589:
	s_movk_i32 s4, 0x80
	v_cmp_eq_u16_sdwa s[12:13], v2, s4 src0_sel:BYTE_0 src1_sel:DWORD
	s_mov_b64 s[4:5], -1
                                        ; implicit-def: $sgpr10
	s_and_saveexec_b64 s[8:9], s[12:13]
; %bb.3590:
	s_mov_b32 s10, 0x7f800001
	s_xor_b64 s[4:5], exec, -1
; %bb.3591:
	s_or_b64 exec, exec, s[8:9]
	s_and_b64 s[4:5], s[4:5], exec
	s_or_saveexec_b64 s[6:7], s[6:7]
	v_mov_b32_e32 v13, s10
	s_xor_b64 exec, exec, s[6:7]
	s_cbranch_execz .LBB6_1542
.LBB6_3592:
	v_mov_b32_e32 v13, 0
	v_cmp_ne_u16_sdwa s[8:9], v2, v13 src0_sel:BYTE_0 src1_sel:DWORD
	s_andn2_b64 s[4:5], s[4:5], exec
	s_and_b64 s[8:9], s[8:9], exec
	s_or_b64 s[4:5], s[4:5], s[8:9]
	s_or_b64 exec, exec, s[6:7]
	s_and_saveexec_b64 s[6:7], s[4:5]
	s_cbranch_execnz .LBB6_1543
	s_branch .LBB6_1544
.LBB6_3593:
	s_movk_i32 s4, 0x80
	v_cmp_eq_u16_sdwa s[12:13], v13, s4 src0_sel:BYTE_0 src1_sel:DWORD
	s_mov_b64 s[4:5], -1
                                        ; implicit-def: $sgpr10
	s_and_saveexec_b64 s[8:9], s[12:13]
; %bb.3594:
	s_mov_b32 s10, 0x7f800001
	s_xor_b64 s[4:5], exec, -1
; %bb.3595:
	s_or_b64 exec, exec, s[8:9]
	s_and_b64 s[4:5], s[4:5], exec
	s_or_saveexec_b64 s[6:7], s[6:7]
	v_mov_b32_e32 v12, s10
	s_xor_b64 exec, exec, s[6:7]
	s_cbranch_execz .LBB6_1546
.LBB6_3596:
	v_mov_b32_e32 v12, 0
	v_cmp_ne_u16_sdwa s[8:9], v13, v12 src0_sel:BYTE_0 src1_sel:DWORD
	s_andn2_b64 s[4:5], s[4:5], exec
	s_and_b64 s[8:9], s[8:9], exec
	s_or_b64 s[4:5], s[4:5], s[8:9]
	s_or_b64 exec, exec, s[6:7]
	s_and_saveexec_b64 s[6:7], s[4:5]
	s_cbranch_execnz .LBB6_1547
	s_branch .LBB6_1548
.LBB6_3597:
	s_movk_i32 s4, 0x80
	v_cmp_eq_u16_sdwa s[12:13], v13, s4 src0_sel:BYTE_0 src1_sel:DWORD
	s_mov_b64 s[4:5], -1
                                        ; implicit-def: $sgpr10
	s_and_saveexec_b64 s[8:9], s[12:13]
; %bb.3598:
	s_mov_b32 s10, 0x7f800001
	s_xor_b64 s[4:5], exec, -1
; %bb.3599:
	s_or_b64 exec, exec, s[8:9]
	s_and_b64 s[4:5], s[4:5], exec
	s_or_saveexec_b64 s[6:7], s[6:7]
	v_mov_b32_e32 v14, s10
	s_xor_b64 exec, exec, s[6:7]
	s_cbranch_execz .LBB6_1550
.LBB6_3600:
	v_mov_b32_e32 v14, 0
	v_cmp_ne_u16_sdwa s[8:9], v13, v14 src0_sel:BYTE_0 src1_sel:DWORD
	s_andn2_b64 s[4:5], s[4:5], exec
	s_and_b64 s[8:9], s[8:9], exec
	s_or_b64 s[4:5], s[4:5], s[8:9]
	s_or_b64 exec, exec, s[6:7]
	s_and_saveexec_b64 s[6:7], s[4:5]
	s_cbranch_execnz .LBB6_1551
	s_branch .LBB6_1552
.LBB6_3601:
	s_movk_i32 s4, 0x80
	v_cmp_eq_u16_e32 vcc, s4, v13
	s_mov_b64 s[4:5], -1
                                        ; implicit-def: $sgpr10
	s_and_saveexec_b64 s[8:9], vcc
; %bb.3602:
	s_mov_b32 s10, 0x7f800001
	s_xor_b64 s[4:5], exec, -1
; %bb.3603:
	s_or_b64 exec, exec, s[8:9]
	s_and_b64 s[4:5], s[4:5], exec
                                        ; implicit-def: $vgpr13
	s_or_saveexec_b64 s[6:7], s[6:7]
	v_mov_b32_e32 v12, s10
	s_xor_b64 exec, exec, s[6:7]
	s_cbranch_execz .LBB6_1554
.LBB6_3604:
	v_cmp_ne_u16_e32 vcc, 0, v13
	s_andn2_b64 s[4:5], s[4:5], exec
	s_and_b64 s[8:9], vcc, exec
	v_mov_b32_e32 v12, 0
	s_or_b64 s[4:5], s[4:5], s[8:9]
	s_or_b64 exec, exec, s[6:7]
	s_and_saveexec_b64 s[6:7], s[4:5]
	s_cbranch_execnz .LBB6_1555
	s_branch .LBB6_1556
.LBB6_3605:
	s_movk_i32 s4, 0x80
	v_cmp_eq_u16_e32 vcc, s4, v13
	s_mov_b64 s[4:5], -1
                                        ; implicit-def: $sgpr10
	s_and_saveexec_b64 s[8:9], vcc
; %bb.3606:
	s_mov_b32 s10, 0x7f800001
	s_xor_b64 s[4:5], exec, -1
; %bb.3607:
	s_or_b64 exec, exec, s[8:9]
	s_and_b64 s[4:5], s[4:5], exec
                                        ; implicit-def: $vgpr13
	s_or_saveexec_b64 s[6:7], s[6:7]
	v_mov_b32_e32 v14, s10
	s_xor_b64 exec, exec, s[6:7]
	s_cbranch_execz .LBB6_1558
.LBB6_3608:
	v_cmp_ne_u16_e32 vcc, 0, v13
	s_andn2_b64 s[4:5], s[4:5], exec
	s_and_b64 s[8:9], vcc, exec
	v_mov_b32_e32 v14, 0
	s_or_b64 s[4:5], s[4:5], s[8:9]
	s_or_b64 exec, exec, s[6:7]
	s_and_saveexec_b64 s[6:7], s[4:5]
	s_cbranch_execnz .LBB6_1559
	s_branch .LBB6_1560
.LBB6_3609:
	s_movk_i32 s4, 0x80
	v_cmp_eq_u16_sdwa s[12:13], v6, s4 src0_sel:BYTE_3 src1_sel:DWORD
	s_mov_b64 s[4:5], -1
                                        ; implicit-def: $sgpr10
	s_and_saveexec_b64 s[8:9], s[12:13]
; %bb.3610:
	s_mov_b32 s10, 0x7f800001
	s_xor_b64 s[4:5], exec, -1
; %bb.3611:
	s_or_b64 exec, exec, s[8:9]
	s_and_b64 s[4:5], s[4:5], exec
	s_or_saveexec_b64 s[6:7], s[6:7]
	v_mov_b32_e32 v12, s10
	s_xor_b64 exec, exec, s[6:7]
	s_cbranch_execz .LBB6_1562
.LBB6_3612:
	v_mov_b32_e32 v12, 0
	v_cmp_ne_u16_sdwa s[8:9], v6, v12 src0_sel:BYTE_3 src1_sel:DWORD
	s_andn2_b64 s[4:5], s[4:5], exec
	s_and_b64 s[8:9], s[8:9], exec
	s_or_b64 s[4:5], s[4:5], s[8:9]
	s_or_b64 exec, exec, s[6:7]
	s_and_saveexec_b64 s[6:7], s[4:5]
	s_cbranch_execnz .LBB6_1563
	s_branch .LBB6_1564
.LBB6_3613:
	s_movk_i32 s4, 0x80
	v_cmp_eq_u16_sdwa s[12:13], v2, s4 src0_sel:BYTE_3 src1_sel:DWORD
	s_mov_b64 s[4:5], -1
                                        ; implicit-def: $sgpr10
	s_and_saveexec_b64 s[8:9], s[12:13]
; %bb.3614:
	s_mov_b32 s10, 0x7f800001
	s_xor_b64 s[4:5], exec, -1
; %bb.3615:
	s_or_b64 exec, exec, s[8:9]
	s_and_b64 s[4:5], s[4:5], exec
	s_or_saveexec_b64 s[6:7], s[6:7]
	v_mov_b32_e32 v6, s10
	s_xor_b64 exec, exec, s[6:7]
	s_cbranch_execz .LBB6_1566
.LBB6_3616:
	v_mov_b32_e32 v6, 0
	v_cmp_ne_u16_sdwa s[8:9], v2, v6 src0_sel:BYTE_3 src1_sel:DWORD
	s_andn2_b64 s[4:5], s[4:5], exec
	s_and_b64 s[8:9], s[8:9], exec
	s_or_b64 s[4:5], s[4:5], s[8:9]
	s_or_b64 exec, exec, s[6:7]
	s_and_saveexec_b64 s[6:7], s[4:5]
	s_cbranch_execnz .LBB6_1567
	s_branch .LBB6_1568
.LBB6_3617:
	s_movk_i32 s4, 0x80
	v_cmp_eq_u16_sdwa s[12:13], v7, s4 src0_sel:BYTE_0 src1_sel:DWORD
	s_mov_b64 s[4:5], -1
                                        ; implicit-def: $sgpr10
	s_and_saveexec_b64 s[8:9], s[12:13]
; %bb.3618:
	s_mov_b32 s10, 0x7f800001
	s_xor_b64 s[4:5], exec, -1
; %bb.3619:
	s_or_b64 exec, exec, s[8:9]
	s_and_b64 s[4:5], s[4:5], exec
	s_or_saveexec_b64 s[6:7], s[6:7]
	v_mov_b32_e32 v2, s10
	s_xor_b64 exec, exec, s[6:7]
	s_cbranch_execz .LBB6_1570
.LBB6_3620:
	v_mov_b32_e32 v2, 0
	v_cmp_ne_u16_sdwa s[8:9], v7, v2 src0_sel:BYTE_0 src1_sel:DWORD
	s_andn2_b64 s[4:5], s[4:5], exec
	s_and_b64 s[8:9], s[8:9], exec
	s_or_b64 s[4:5], s[4:5], s[8:9]
	s_or_b64 exec, exec, s[6:7]
	s_and_saveexec_b64 s[6:7], s[4:5]
	s_cbranch_execnz .LBB6_1571
	s_branch .LBB6_1572
.LBB6_3621:
	s_movk_i32 s4, 0x80
	v_cmp_eq_u16_sdwa s[12:13], v3, s4 src0_sel:BYTE_0 src1_sel:DWORD
	s_mov_b64 s[4:5], -1
                                        ; implicit-def: $sgpr10
	s_and_saveexec_b64 s[8:9], s[12:13]
; %bb.3622:
	s_mov_b32 s10, 0x7f800001
	s_xor_b64 s[4:5], exec, -1
; %bb.3623:
	s_or_b64 exec, exec, s[8:9]
	s_and_b64 s[4:5], s[4:5], exec
	s_or_saveexec_b64 s[6:7], s[6:7]
	v_mov_b32_e32 v6, s10
	s_xor_b64 exec, exec, s[6:7]
	s_cbranch_execz .LBB6_1574
.LBB6_3624:
	v_mov_b32_e32 v6, 0
	v_cmp_ne_u16_sdwa s[8:9], v3, v6 src0_sel:BYTE_0 src1_sel:DWORD
	s_andn2_b64 s[4:5], s[4:5], exec
	s_and_b64 s[8:9], s[8:9], exec
	s_or_b64 s[4:5], s[4:5], s[8:9]
	s_or_b64 exec, exec, s[6:7]
	s_and_saveexec_b64 s[6:7], s[4:5]
	s_cbranch_execnz .LBB6_1575
	s_branch .LBB6_1576
.LBB6_3625:
	s_movk_i32 s4, 0x80
	v_cmp_eq_u16_sdwa s[12:13], v6, s4 src0_sel:BYTE_0 src1_sel:DWORD
	s_mov_b64 s[4:5], -1
                                        ; implicit-def: $sgpr10
	s_and_saveexec_b64 s[8:9], s[12:13]
; %bb.3626:
	s_mov_b32 s10, 0x7f800001
	s_xor_b64 s[4:5], exec, -1
; %bb.3627:
	s_or_b64 exec, exec, s[8:9]
	s_and_b64 s[4:5], s[4:5], exec
	s_or_saveexec_b64 s[6:7], s[6:7]
	v_mov_b32_e32 v2, s10
	s_xor_b64 exec, exec, s[6:7]
	s_cbranch_execz .LBB6_1578
.LBB6_3628:
	v_mov_b32_e32 v2, 0
	v_cmp_ne_u16_sdwa s[8:9], v6, v2 src0_sel:BYTE_0 src1_sel:DWORD
	s_andn2_b64 s[4:5], s[4:5], exec
	s_and_b64 s[8:9], s[8:9], exec
	s_or_b64 s[4:5], s[4:5], s[8:9]
	s_or_b64 exec, exec, s[6:7]
	s_and_saveexec_b64 s[6:7], s[4:5]
	s_cbranch_execnz .LBB6_1579
	s_branch .LBB6_1580
.LBB6_3629:
	s_movk_i32 s4, 0x80
	v_cmp_eq_u16_sdwa s[12:13], v6, s4 src0_sel:BYTE_0 src1_sel:DWORD
	s_mov_b64 s[4:5], -1
                                        ; implicit-def: $sgpr10
	s_and_saveexec_b64 s[8:9], s[12:13]
; %bb.3630:
	s_mov_b32 s10, 0x7f800001
	s_xor_b64 s[4:5], exec, -1
; %bb.3631:
	s_or_b64 exec, exec, s[8:9]
	s_and_b64 s[4:5], s[4:5], exec
	s_or_saveexec_b64 s[6:7], s[6:7]
	v_mov_b32_e32 v12, s10
	s_xor_b64 exec, exec, s[6:7]
	s_cbranch_execz .LBB6_1582
.LBB6_3632:
	v_mov_b32_e32 v12, 0
	v_cmp_ne_u16_sdwa s[8:9], v6, v12 src0_sel:BYTE_0 src1_sel:DWORD
	s_andn2_b64 s[4:5], s[4:5], exec
	s_and_b64 s[8:9], s[8:9], exec
	s_or_b64 s[4:5], s[4:5], s[8:9]
	s_or_b64 exec, exec, s[6:7]
	s_and_saveexec_b64 s[6:7], s[4:5]
	s_cbranch_execnz .LBB6_1583
	s_branch .LBB6_1584
.LBB6_3633:
	s_movk_i32 s4, 0x80
	v_cmp_eq_u16_e32 vcc, s4, v6
	s_mov_b64 s[4:5], -1
                                        ; implicit-def: $sgpr10
	s_and_saveexec_b64 s[8:9], vcc
; %bb.3634:
	s_mov_b32 s10, 0x7f800001
	s_xor_b64 s[4:5], exec, -1
; %bb.3635:
	s_or_b64 exec, exec, s[8:9]
	s_and_b64 s[4:5], s[4:5], exec
                                        ; implicit-def: $vgpr6
	s_or_saveexec_b64 s[6:7], s[6:7]
	v_mov_b32_e32 v2, s10
	s_xor_b64 exec, exec, s[6:7]
	s_cbranch_execz .LBB6_1586
.LBB6_3636:
	v_cmp_ne_u16_e32 vcc, 0, v6
	s_andn2_b64 s[4:5], s[4:5], exec
	s_and_b64 s[8:9], vcc, exec
	v_mov_b32_e32 v2, 0
	s_or_b64 s[4:5], s[4:5], s[8:9]
	s_or_b64 exec, exec, s[6:7]
	s_and_saveexec_b64 s[6:7], s[4:5]
	s_cbranch_execnz .LBB6_1587
	s_branch .LBB6_1588
.LBB6_3637:
	s_movk_i32 s4, 0x80
	v_cmp_eq_u16_e32 vcc, s4, v6
	s_mov_b64 s[4:5], -1
                                        ; implicit-def: $sgpr10
	s_and_saveexec_b64 s[8:9], vcc
; %bb.3638:
	s_mov_b32 s10, 0x7f800001
	s_xor_b64 s[4:5], exec, -1
; %bb.3639:
	s_or_b64 exec, exec, s[8:9]
	s_and_b64 s[4:5], s[4:5], exec
                                        ; implicit-def: $vgpr6
	s_or_saveexec_b64 s[6:7], s[6:7]
	v_mov_b32_e32 v12, s10
	s_xor_b64 exec, exec, s[6:7]
	s_cbranch_execz .LBB6_1590
.LBB6_3640:
	v_cmp_ne_u16_e32 vcc, 0, v6
	s_andn2_b64 s[4:5], s[4:5], exec
	s_and_b64 s[8:9], vcc, exec
	v_mov_b32_e32 v12, 0
	s_or_b64 s[4:5], s[4:5], s[8:9]
	s_or_b64 exec, exec, s[6:7]
	s_and_saveexec_b64 s[6:7], s[4:5]
	s_cbranch_execnz .LBB6_1591
	s_branch .LBB6_1592
.LBB6_3641:
	s_movk_i32 s4, 0x80
	v_cmp_eq_u16_sdwa s[12:13], v7, s4 src0_sel:BYTE_3 src1_sel:DWORD
	s_mov_b64 s[4:5], -1
                                        ; implicit-def: $sgpr10
	s_and_saveexec_b64 s[8:9], s[12:13]
; %bb.3642:
	s_mov_b32 s10, 0x7f800001
	s_xor_b64 s[4:5], exec, -1
; %bb.3643:
	s_or_b64 exec, exec, s[8:9]
	s_and_b64 s[4:5], s[4:5], exec
	s_or_saveexec_b64 s[6:7], s[6:7]
	v_mov_b32_e32 v2, s10
	s_xor_b64 exec, exec, s[6:7]
	s_cbranch_execz .LBB6_1594
.LBB6_3644:
	v_mov_b32_e32 v2, 0
	v_cmp_ne_u16_sdwa s[8:9], v7, v2 src0_sel:BYTE_3 src1_sel:DWORD
	s_andn2_b64 s[4:5], s[4:5], exec
	s_and_b64 s[8:9], s[8:9], exec
	s_or_b64 s[4:5], s[4:5], s[8:9]
	s_or_b64 exec, exec, s[6:7]
	s_and_saveexec_b64 s[6:7], s[4:5]
	s_cbranch_execnz .LBB6_1595
	s_branch .LBB6_1596
.LBB6_3645:
	s_movk_i32 s4, 0x80
	v_cmp_eq_u16_sdwa s[12:13], v3, s4 src0_sel:BYTE_3 src1_sel:DWORD
	s_mov_b64 s[4:5], -1
                                        ; implicit-def: $sgpr10
	s_and_saveexec_b64 s[8:9], s[12:13]
; %bb.3646:
	s_mov_b32 s10, 0x7f800001
	s_xor_b64 s[4:5], exec, -1
; %bb.3647:
	s_or_b64 exec, exec, s[8:9]
	s_and_b64 s[4:5], s[4:5], exec
	s_or_saveexec_b64 s[6:7], s[6:7]
	v_mov_b32_e32 v6, s10
	s_xor_b64 exec, exec, s[6:7]
	s_cbranch_execz .LBB6_1598
.LBB6_3648:
	v_mov_b32_e32 v6, 0
	v_cmp_ne_u16_sdwa s[8:9], v3, v6 src0_sel:BYTE_3 src1_sel:DWORD
	s_andn2_b64 s[4:5], s[4:5], exec
	s_and_b64 s[8:9], s[8:9], exec
	s_or_b64 s[4:5], s[4:5], s[8:9]
	s_or_b64 exec, exec, s[6:7]
	s_and_saveexec_b64 s[6:7], s[4:5]
	s_cbranch_execnz .LBB6_1599
	s_branch .LBB6_1600
.LBB6_3649:
	s_movk_i32 s4, 0x80
	v_cmp_eq_u16_sdwa s[12:13], v8, s4 src0_sel:BYTE_0 src1_sel:DWORD
	s_mov_b64 s[4:5], -1
                                        ; implicit-def: $sgpr10
	s_and_saveexec_b64 s[8:9], s[12:13]
; %bb.3650:
	s_mov_b32 s10, 0x7f800001
	s_xor_b64 s[4:5], exec, -1
; %bb.3651:
	s_or_b64 exec, exec, s[8:9]
	s_and_b64 s[4:5], s[4:5], exec
	s_or_saveexec_b64 s[6:7], s[6:7]
	v_mov_b32_e32 v2, s10
	s_xor_b64 exec, exec, s[6:7]
	s_cbranch_execz .LBB6_1602
.LBB6_3652:
	v_mov_b32_e32 v2, 0
	v_cmp_ne_u16_sdwa s[8:9], v8, v2 src0_sel:BYTE_0 src1_sel:DWORD
	s_andn2_b64 s[4:5], s[4:5], exec
	s_and_b64 s[8:9], s[8:9], exec
	s_or_b64 s[4:5], s[4:5], s[8:9]
	s_or_b64 exec, exec, s[6:7]
	s_and_saveexec_b64 s[6:7], s[4:5]
	s_cbranch_execnz .LBB6_1603
	s_branch .LBB6_1604
.LBB6_3653:
	s_movk_i32 s4, 0x80
	v_cmp_eq_u16_sdwa s[12:13], v4, s4 src0_sel:BYTE_0 src1_sel:DWORD
	s_mov_b64 s[4:5], -1
                                        ; implicit-def: $sgpr10
	s_and_saveexec_b64 s[8:9], s[12:13]
; %bb.3654:
	s_mov_b32 s10, 0x7f800001
	s_xor_b64 s[4:5], exec, -1
; %bb.3655:
	s_or_b64 exec, exec, s[8:9]
	s_and_b64 s[4:5], s[4:5], exec
	s_or_saveexec_b64 s[6:7], s[6:7]
	v_mov_b32_e32 v3, s10
	s_xor_b64 exec, exec, s[6:7]
	s_cbranch_execz .LBB6_1606
.LBB6_3656:
	v_mov_b32_e32 v3, 0
	v_cmp_ne_u16_sdwa s[8:9], v4, v3 src0_sel:BYTE_0 src1_sel:DWORD
	s_andn2_b64 s[4:5], s[4:5], exec
	s_and_b64 s[8:9], s[8:9], exec
	s_or_b64 s[4:5], s[4:5], s[8:9]
	s_or_b64 exec, exec, s[6:7]
	s_and_saveexec_b64 s[6:7], s[4:5]
	s_cbranch_execnz .LBB6_1607
	s_branch .LBB6_1608
.LBB6_3657:
	s_movk_i32 s4, 0x80
	v_cmp_eq_u16_sdwa s[12:13], v3, s4 src0_sel:BYTE_0 src1_sel:DWORD
	s_mov_b64 s[4:5], -1
                                        ; implicit-def: $sgpr10
	s_and_saveexec_b64 s[8:9], s[12:13]
; %bb.3658:
	s_mov_b32 s10, 0x7f800001
	s_xor_b64 s[4:5], exec, -1
; %bb.3659:
	s_or_b64 exec, exec, s[8:9]
	s_and_b64 s[4:5], s[4:5], exec
	s_or_saveexec_b64 s[6:7], s[6:7]
	v_mov_b32_e32 v2, s10
	s_xor_b64 exec, exec, s[6:7]
	s_cbranch_execz .LBB6_1610
.LBB6_3660:
	v_mov_b32_e32 v2, 0
	v_cmp_ne_u16_sdwa s[8:9], v3, v2 src0_sel:BYTE_0 src1_sel:DWORD
	s_andn2_b64 s[4:5], s[4:5], exec
	s_and_b64 s[8:9], s[8:9], exec
	s_or_b64 s[4:5], s[4:5], s[8:9]
	s_or_b64 exec, exec, s[6:7]
	s_and_saveexec_b64 s[6:7], s[4:5]
	s_cbranch_execnz .LBB6_1611
	s_branch .LBB6_1612
.LBB6_3661:
	s_movk_i32 s4, 0x80
	v_cmp_eq_u16_sdwa s[12:13], v3, s4 src0_sel:BYTE_0 src1_sel:DWORD
	s_mov_b64 s[4:5], -1
                                        ; implicit-def: $sgpr10
	s_and_saveexec_b64 s[8:9], s[12:13]
; %bb.3662:
	s_mov_b32 s10, 0x7f800001
	s_xor_b64 s[4:5], exec, -1
; %bb.3663:
	s_or_b64 exec, exec, s[8:9]
	s_and_b64 s[4:5], s[4:5], exec
	s_or_saveexec_b64 s[6:7], s[6:7]
	v_mov_b32_e32 v6, s10
	s_xor_b64 exec, exec, s[6:7]
	s_cbranch_execz .LBB6_1614
.LBB6_3664:
	v_mov_b32_e32 v6, 0
	v_cmp_ne_u16_sdwa s[8:9], v3, v6 src0_sel:BYTE_0 src1_sel:DWORD
	s_andn2_b64 s[4:5], s[4:5], exec
	s_and_b64 s[8:9], s[8:9], exec
	s_or_b64 s[4:5], s[4:5], s[8:9]
	s_or_b64 exec, exec, s[6:7]
	s_and_saveexec_b64 s[6:7], s[4:5]
	s_cbranch_execnz .LBB6_1615
	s_branch .LBB6_1616
.LBB6_3665:
	s_movk_i32 s4, 0x80
	v_cmp_eq_u16_e32 vcc, s4, v3
	s_mov_b64 s[4:5], -1
                                        ; implicit-def: $sgpr10
	s_and_saveexec_b64 s[8:9], vcc
; %bb.3666:
	s_mov_b32 s10, 0x7f800001
	s_xor_b64 s[4:5], exec, -1
; %bb.3667:
	s_or_b64 exec, exec, s[8:9]
	s_and_b64 s[4:5], s[4:5], exec
                                        ; implicit-def: $vgpr3
	s_or_saveexec_b64 s[6:7], s[6:7]
	v_mov_b32_e32 v2, s10
	s_xor_b64 exec, exec, s[6:7]
	s_cbranch_execz .LBB6_1618
.LBB6_3668:
	v_cmp_ne_u16_e32 vcc, 0, v3
	s_andn2_b64 s[4:5], s[4:5], exec
	s_and_b64 s[8:9], vcc, exec
	v_mov_b32_e32 v2, 0
	s_or_b64 s[4:5], s[4:5], s[8:9]
	s_or_b64 exec, exec, s[6:7]
	s_and_saveexec_b64 s[6:7], s[4:5]
	s_cbranch_execnz .LBB6_1619
	s_branch .LBB6_1620
.LBB6_3669:
	s_movk_i32 s4, 0x80
	v_cmp_eq_u16_e32 vcc, s4, v3
	s_mov_b64 s[4:5], -1
                                        ; implicit-def: $sgpr10
	s_and_saveexec_b64 s[8:9], vcc
; %bb.3670:
	s_mov_b32 s10, 0x7f800001
	s_xor_b64 s[4:5], exec, -1
; %bb.3671:
	s_or_b64 exec, exec, s[8:9]
	s_and_b64 s[4:5], s[4:5], exec
                                        ; implicit-def: $vgpr3
	s_or_saveexec_b64 s[6:7], s[6:7]
	v_mov_b32_e32 v6, s10
	s_xor_b64 exec, exec, s[6:7]
	s_cbranch_execz .LBB6_1622
.LBB6_3672:
	v_cmp_ne_u16_e32 vcc, 0, v3
	s_andn2_b64 s[4:5], s[4:5], exec
	s_and_b64 s[8:9], vcc, exec
	v_mov_b32_e32 v6, 0
	s_or_b64 s[4:5], s[4:5], s[8:9]
	s_or_b64 exec, exec, s[6:7]
	s_and_saveexec_b64 s[6:7], s[4:5]
	s_cbranch_execnz .LBB6_1623
	s_branch .LBB6_1624
.LBB6_3673:
	s_movk_i32 s4, 0x80
	v_cmp_eq_u16_sdwa s[12:13], v8, s4 src0_sel:BYTE_3 src1_sel:DWORD
	s_mov_b64 s[4:5], -1
                                        ; implicit-def: $sgpr10
	s_and_saveexec_b64 s[8:9], s[12:13]
; %bb.3674:
	s_mov_b32 s10, 0x7f800001
	s_xor_b64 s[4:5], exec, -1
; %bb.3675:
	s_or_b64 exec, exec, s[8:9]
	s_and_b64 s[4:5], s[4:5], exec
	s_or_saveexec_b64 s[6:7], s[6:7]
	v_mov_b32_e32 v2, s10
	s_xor_b64 exec, exec, s[6:7]
	s_cbranch_execz .LBB6_1626
.LBB6_3676:
	v_mov_b32_e32 v2, 0
	v_cmp_ne_u16_sdwa s[8:9], v8, v2 src0_sel:BYTE_3 src1_sel:DWORD
	s_andn2_b64 s[4:5], s[4:5], exec
	s_and_b64 s[8:9], s[8:9], exec
	s_or_b64 s[4:5], s[4:5], s[8:9]
	s_or_b64 exec, exec, s[6:7]
	s_and_saveexec_b64 s[6:7], s[4:5]
	s_cbranch_execnz .LBB6_1627
	s_branch .LBB6_1628
.LBB6_3677:
	s_movk_i32 s4, 0x80
	v_cmp_eq_u16_sdwa s[12:13], v4, s4 src0_sel:BYTE_3 src1_sel:DWORD
	s_mov_b64 s[4:5], -1
                                        ; implicit-def: $sgpr10
	s_and_saveexec_b64 s[8:9], s[12:13]
; %bb.3678:
	s_mov_b32 s10, 0x7f800001
	s_xor_b64 s[4:5], exec, -1
; %bb.3679:
	s_or_b64 exec, exec, s[8:9]
	s_and_b64 s[4:5], s[4:5], exec
	s_or_saveexec_b64 s[6:7], s[6:7]
	v_mov_b32_e32 v3, s10
	s_xor_b64 exec, exec, s[6:7]
	s_cbranch_execz .LBB6_1630
.LBB6_3680:
	v_mov_b32_e32 v3, 0
	v_cmp_ne_u16_sdwa s[8:9], v4, v3 src0_sel:BYTE_3 src1_sel:DWORD
	s_andn2_b64 s[4:5], s[4:5], exec
	s_and_b64 s[8:9], s[8:9], exec
	s_or_b64 s[4:5], s[4:5], s[8:9]
	s_or_b64 exec, exec, s[6:7]
	s_and_saveexec_b64 s[6:7], s[4:5]
	s_cbranch_execnz .LBB6_1631
	s_branch .LBB6_1632
.LBB6_3681:
	s_movk_i32 s4, 0x80
	v_cmp_eq_u16_sdwa s[12:13], v9, s4 src0_sel:BYTE_0 src1_sel:DWORD
	s_mov_b64 s[4:5], -1
                                        ; implicit-def: $sgpr10
	s_and_saveexec_b64 s[8:9], s[12:13]
; %bb.3682:
	s_mov_b32 s10, 0x7f800001
	s_xor_b64 s[4:5], exec, -1
; %bb.3683:
	s_or_b64 exec, exec, s[8:9]
	s_and_b64 s[4:5], s[4:5], exec
	s_or_saveexec_b64 s[6:7], s[6:7]
	v_mov_b32_e32 v2, s10
	s_xor_b64 exec, exec, s[6:7]
	s_cbranch_execz .LBB6_1634
.LBB6_3684:
	v_mov_b32_e32 v2, 0
	v_cmp_ne_u16_sdwa s[8:9], v9, v2 src0_sel:BYTE_0 src1_sel:DWORD
	s_andn2_b64 s[4:5], s[4:5], exec
	s_and_b64 s[8:9], s[8:9], exec
	s_or_b64 s[4:5], s[4:5], s[8:9]
	s_or_b64 exec, exec, s[6:7]
	s_and_saveexec_b64 s[6:7], s[4:5]
	s_cbranch_execnz .LBB6_1635
	s_branch .LBB6_1636
.LBB6_3685:
	s_movk_i32 s4, 0x80
	v_cmp_eq_u16_sdwa s[12:13], v5, s4 src0_sel:BYTE_0 src1_sel:DWORD
	s_mov_b64 s[4:5], -1
                                        ; implicit-def: $sgpr10
	s_and_saveexec_b64 s[8:9], s[12:13]
; %bb.3686:
	s_mov_b32 s10, 0x7f800001
	s_xor_b64 s[4:5], exec, -1
; %bb.3687:
	s_or_b64 exec, exec, s[8:9]
	s_and_b64 s[4:5], s[4:5], exec
	s_or_saveexec_b64 s[6:7], s[6:7]
	v_mov_b32_e32 v3, s10
	s_xor_b64 exec, exec, s[6:7]
	s_cbranch_execz .LBB6_1638
.LBB6_3688:
	v_mov_b32_e32 v3, 0
	v_cmp_ne_u16_sdwa s[8:9], v5, v3 src0_sel:BYTE_0 src1_sel:DWORD
	s_andn2_b64 s[4:5], s[4:5], exec
	s_and_b64 s[8:9], s[8:9], exec
	s_or_b64 s[4:5], s[4:5], s[8:9]
	s_or_b64 exec, exec, s[6:7]
	s_and_saveexec_b64 s[6:7], s[4:5]
	s_cbranch_execnz .LBB6_1639
	s_branch .LBB6_1640
.LBB6_3689:
	s_movk_i32 s4, 0x80
	v_cmp_eq_u16_sdwa s[12:13], v3, s4 src0_sel:BYTE_0 src1_sel:DWORD
	s_mov_b64 s[4:5], -1
                                        ; implicit-def: $sgpr10
	s_and_saveexec_b64 s[8:9], s[12:13]
; %bb.3690:
	s_mov_b32 s10, 0x7f800001
	s_xor_b64 s[4:5], exec, -1
; %bb.3691:
	s_or_b64 exec, exec, s[8:9]
	s_and_b64 s[4:5], s[4:5], exec
	s_or_saveexec_b64 s[6:7], s[6:7]
	v_mov_b32_e32 v2, s10
	s_xor_b64 exec, exec, s[6:7]
	s_cbranch_execz .LBB6_1642
.LBB6_3692:
	v_mov_b32_e32 v2, 0
	v_cmp_ne_u16_sdwa s[8:9], v3, v2 src0_sel:BYTE_0 src1_sel:DWORD
	s_andn2_b64 s[4:5], s[4:5], exec
	s_and_b64 s[8:9], s[8:9], exec
	s_or_b64 s[4:5], s[4:5], s[8:9]
	s_or_b64 exec, exec, s[6:7]
	s_and_saveexec_b64 s[6:7], s[4:5]
	s_cbranch_execnz .LBB6_1643
	s_branch .LBB6_1644
.LBB6_3693:
	s_movk_i32 s4, 0x80
	v_cmp_eq_u16_sdwa s[12:13], v3, s4 src0_sel:BYTE_0 src1_sel:DWORD
	s_mov_b64 s[4:5], -1
                                        ; implicit-def: $sgpr10
	s_and_saveexec_b64 s[8:9], s[12:13]
; %bb.3694:
	s_mov_b32 s10, 0x7f800001
	s_xor_b64 s[4:5], exec, -1
; %bb.3695:
	s_or_b64 exec, exec, s[8:9]
	s_and_b64 s[4:5], s[4:5], exec
	s_or_saveexec_b64 s[6:7], s[6:7]
	v_mov_b32_e32 v4, s10
	s_xor_b64 exec, exec, s[6:7]
	s_cbranch_execz .LBB6_1646
.LBB6_3696:
	v_mov_b32_e32 v4, 0
	v_cmp_ne_u16_sdwa s[8:9], v3, v4 src0_sel:BYTE_0 src1_sel:DWORD
	s_andn2_b64 s[4:5], s[4:5], exec
	s_and_b64 s[8:9], s[8:9], exec
	s_or_b64 s[4:5], s[4:5], s[8:9]
	s_or_b64 exec, exec, s[6:7]
	s_and_saveexec_b64 s[6:7], s[4:5]
	s_cbranch_execnz .LBB6_1647
	s_branch .LBB6_1648
.LBB6_3697:
	s_movk_i32 s4, 0x80
	v_cmp_eq_u16_e32 vcc, s4, v3
	s_mov_b64 s[4:5], -1
                                        ; implicit-def: $sgpr10
	s_and_saveexec_b64 s[8:9], vcc
; %bb.3698:
	s_mov_b32 s10, 0x7f800001
	s_xor_b64 s[4:5], exec, -1
; %bb.3699:
	s_or_b64 exec, exec, s[8:9]
	s_and_b64 s[4:5], s[4:5], exec
                                        ; implicit-def: $vgpr3
	s_or_saveexec_b64 s[6:7], s[6:7]
	v_mov_b32_e32 v2, s10
	s_xor_b64 exec, exec, s[6:7]
	s_cbranch_execz .LBB6_1650
.LBB6_3700:
	v_cmp_ne_u16_e32 vcc, 0, v3
	s_andn2_b64 s[4:5], s[4:5], exec
	s_and_b64 s[8:9], vcc, exec
	v_mov_b32_e32 v2, 0
	s_or_b64 s[4:5], s[4:5], s[8:9]
	s_or_b64 exec, exec, s[6:7]
	s_and_saveexec_b64 s[6:7], s[4:5]
	s_cbranch_execnz .LBB6_1651
	s_branch .LBB6_1652
.LBB6_3701:
	s_movk_i32 s4, 0x80
	v_cmp_eq_u16_e32 vcc, s4, v3
	s_mov_b64 s[4:5], -1
                                        ; implicit-def: $sgpr10
	s_and_saveexec_b64 s[8:9], vcc
; %bb.3702:
	s_mov_b32 s10, 0x7f800001
	s_xor_b64 s[4:5], exec, -1
; %bb.3703:
	s_or_b64 exec, exec, s[8:9]
	s_and_b64 s[4:5], s[4:5], exec
                                        ; implicit-def: $vgpr3
	s_or_saveexec_b64 s[6:7], s[6:7]
	v_mov_b32_e32 v4, s10
	s_xor_b64 exec, exec, s[6:7]
	s_cbranch_execz .LBB6_1654
.LBB6_3704:
	v_cmp_ne_u16_e32 vcc, 0, v3
	s_andn2_b64 s[4:5], s[4:5], exec
	s_and_b64 s[8:9], vcc, exec
	v_mov_b32_e32 v4, 0
	s_or_b64 s[4:5], s[4:5], s[8:9]
	s_or_b64 exec, exec, s[6:7]
	s_and_saveexec_b64 s[6:7], s[4:5]
	s_cbranch_execnz .LBB6_1655
	s_branch .LBB6_1656
.LBB6_3705:
	s_movk_i32 s4, 0x80
	v_cmp_eq_u16_sdwa s[12:13], v9, s4 src0_sel:BYTE_3 src1_sel:DWORD
	s_mov_b64 s[4:5], -1
                                        ; implicit-def: $sgpr10
	s_and_saveexec_b64 s[8:9], s[12:13]
; %bb.3706:
	s_mov_b32 s10, 0x7f800001
	s_xor_b64 s[4:5], exec, -1
; %bb.3707:
	s_or_b64 exec, exec, s[8:9]
	s_and_b64 s[4:5], s[4:5], exec
	s_or_saveexec_b64 s[6:7], s[6:7]
	v_mov_b32_e32 v2, s10
	s_xor_b64 exec, exec, s[6:7]
	s_cbranch_execz .LBB6_1658
.LBB6_3708:
	v_mov_b32_e32 v2, 0
	v_cmp_ne_u16_sdwa s[8:9], v9, v2 src0_sel:BYTE_3 src1_sel:DWORD
	s_andn2_b64 s[4:5], s[4:5], exec
	s_and_b64 s[8:9], s[8:9], exec
	s_or_b64 s[4:5], s[4:5], s[8:9]
	s_or_b64 exec, exec, s[6:7]
	s_and_saveexec_b64 s[6:7], s[4:5]
	s_cbranch_execnz .LBB6_1659
	s_branch .LBB6_1660
.LBB6_3709:
	s_movk_i32 s4, 0x80
	v_cmp_eq_u16_sdwa s[12:13], v5, s4 src0_sel:BYTE_3 src1_sel:DWORD
	s_mov_b64 s[4:5], -1
                                        ; implicit-def: $sgpr10
	s_and_saveexec_b64 s[8:9], s[12:13]
; %bb.3710:
	s_mov_b32 s10, 0x7f800001
	s_xor_b64 s[4:5], exec, -1
; %bb.3711:
	s_or_b64 exec, exec, s[8:9]
	s_and_b64 s[4:5], s[4:5], exec
	s_or_saveexec_b64 s[6:7], s[6:7]
	v_mov_b32_e32 v3, s10
	s_xor_b64 exec, exec, s[6:7]
	s_cbranch_execz .LBB6_1662
.LBB6_3712:
	v_mov_b32_e32 v3, 0
	v_cmp_ne_u16_sdwa s[8:9], v5, v3 src0_sel:BYTE_3 src1_sel:DWORD
	s_andn2_b64 s[4:5], s[4:5], exec
	s_and_b64 s[8:9], s[8:9], exec
	s_or_b64 s[4:5], s[4:5], s[8:9]
	s_or_b64 exec, exec, s[6:7]
	s_and_saveexec_b64 s[6:7], s[4:5]
	s_cbranch_execnz .LBB6_1663
	s_branch .LBB6_1664
.LBB6_3713:
	s_movk_i32 s4, 0x80
	v_cmp_eq_u16_sdwa s[12:13], v6, s4 src0_sel:BYTE_0 src1_sel:DWORD
	s_mov_b64 s[4:5], -1
                                        ; implicit-def: $sgpr10
	s_and_saveexec_b64 s[8:9], s[12:13]
; %bb.3714:
	s_mov_b32 s10, 0x7f800001
	s_xor_b64 s[4:5], exec, -1
; %bb.3715:
	s_or_b64 exec, exec, s[8:9]
	s_and_b64 s[4:5], s[4:5], exec
	s_or_saveexec_b64 s[6:7], s[6:7]
	v_mov_b32_e32 v12, s10
	s_xor_b64 exec, exec, s[6:7]
	s_cbranch_execz .LBB6_1666
.LBB6_3716:
	v_mov_b32_e32 v12, 0
	v_cmp_ne_u16_sdwa s[8:9], v6, v12 src0_sel:BYTE_0 src1_sel:DWORD
	s_andn2_b64 s[4:5], s[4:5], exec
	s_and_b64 s[8:9], s[8:9], exec
	s_or_b64 s[4:5], s[4:5], s[8:9]
	s_or_b64 exec, exec, s[6:7]
	s_and_saveexec_b64 s[6:7], s[4:5]
	s_cbranch_execnz .LBB6_1667
	s_branch .LBB6_1668
.LBB6_3717:
	s_movk_i32 s4, 0x80
	v_cmp_eq_u16_sdwa s[12:13], v2, s4 src0_sel:BYTE_0 src1_sel:DWORD
	s_mov_b64 s[4:5], -1
                                        ; implicit-def: $sgpr10
	s_and_saveexec_b64 s[8:9], s[12:13]
; %bb.3718:
	s_mov_b32 s10, 0x7f800001
	s_xor_b64 s[4:5], exec, -1
; %bb.3719:
	s_or_b64 exec, exec, s[8:9]
	s_and_b64 s[4:5], s[4:5], exec
	s_or_saveexec_b64 s[6:7], s[6:7]
	v_mov_b32_e32 v13, s10
	s_xor_b64 exec, exec, s[6:7]
	s_cbranch_execz .LBB6_1670
.LBB6_3720:
	v_mov_b32_e32 v13, 0
	v_cmp_ne_u16_sdwa s[8:9], v2, v13 src0_sel:BYTE_0 src1_sel:DWORD
	s_andn2_b64 s[4:5], s[4:5], exec
	s_and_b64 s[8:9], s[8:9], exec
	s_or_b64 s[4:5], s[4:5], s[8:9]
	s_or_b64 exec, exec, s[6:7]
	s_and_saveexec_b64 s[6:7], s[4:5]
	s_cbranch_execnz .LBB6_1671
	s_branch .LBB6_1672
.LBB6_3721:
	s_movk_i32 s4, 0x80
	v_cmp_eq_u16_sdwa s[12:13], v13, s4 src0_sel:BYTE_0 src1_sel:DWORD
	s_mov_b64 s[4:5], -1
                                        ; implicit-def: $sgpr10
	s_and_saveexec_b64 s[8:9], s[12:13]
; %bb.3722:
	s_mov_b32 s10, 0x7f800001
	s_xor_b64 s[4:5], exec, -1
; %bb.3723:
	s_or_b64 exec, exec, s[8:9]
	s_and_b64 s[4:5], s[4:5], exec
	s_or_saveexec_b64 s[6:7], s[6:7]
	v_mov_b32_e32 v12, s10
	s_xor_b64 exec, exec, s[6:7]
	s_cbranch_execz .LBB6_1674
.LBB6_3724:
	v_mov_b32_e32 v12, 0
	v_cmp_ne_u16_sdwa s[8:9], v13, v12 src0_sel:BYTE_0 src1_sel:DWORD
	s_andn2_b64 s[4:5], s[4:5], exec
	s_and_b64 s[8:9], s[8:9], exec
	s_or_b64 s[4:5], s[4:5], s[8:9]
	s_or_b64 exec, exec, s[6:7]
	s_and_saveexec_b64 s[6:7], s[4:5]
	s_cbranch_execnz .LBB6_1675
	s_branch .LBB6_1676
.LBB6_3725:
	s_movk_i32 s4, 0x80
	v_cmp_eq_u16_sdwa s[12:13], v13, s4 src0_sel:BYTE_0 src1_sel:DWORD
	s_mov_b64 s[4:5], -1
                                        ; implicit-def: $sgpr10
	s_and_saveexec_b64 s[8:9], s[12:13]
; %bb.3726:
	s_mov_b32 s10, 0x7f800001
	s_xor_b64 s[4:5], exec, -1
; %bb.3727:
	s_or_b64 exec, exec, s[8:9]
	s_and_b64 s[4:5], s[4:5], exec
	s_or_saveexec_b64 s[6:7], s[6:7]
	v_mov_b32_e32 v14, s10
	s_xor_b64 exec, exec, s[6:7]
	s_cbranch_execz .LBB6_1678
.LBB6_3728:
	v_mov_b32_e32 v14, 0
	v_cmp_ne_u16_sdwa s[8:9], v13, v14 src0_sel:BYTE_0 src1_sel:DWORD
	s_andn2_b64 s[4:5], s[4:5], exec
	s_and_b64 s[8:9], s[8:9], exec
	s_or_b64 s[4:5], s[4:5], s[8:9]
	s_or_b64 exec, exec, s[6:7]
	s_and_saveexec_b64 s[6:7], s[4:5]
	s_cbranch_execnz .LBB6_1679
	s_branch .LBB6_1680
.LBB6_3729:
	s_movk_i32 s4, 0x80
	v_cmp_eq_u16_e32 vcc, s4, v13
	s_mov_b64 s[4:5], -1
                                        ; implicit-def: $sgpr10
	s_and_saveexec_b64 s[8:9], vcc
; %bb.3730:
	s_mov_b32 s10, 0x7f800001
	s_xor_b64 s[4:5], exec, -1
; %bb.3731:
	s_or_b64 exec, exec, s[8:9]
	s_and_b64 s[4:5], s[4:5], exec
                                        ; implicit-def: $vgpr13
	s_or_saveexec_b64 s[6:7], s[6:7]
	v_mov_b32_e32 v12, s10
	s_xor_b64 exec, exec, s[6:7]
	s_cbranch_execz .LBB6_1682
.LBB6_3732:
	v_cmp_ne_u16_e32 vcc, 0, v13
	s_andn2_b64 s[4:5], s[4:5], exec
	s_and_b64 s[8:9], vcc, exec
	v_mov_b32_e32 v12, 0
	s_or_b64 s[4:5], s[4:5], s[8:9]
	s_or_b64 exec, exec, s[6:7]
	s_and_saveexec_b64 s[6:7], s[4:5]
	s_cbranch_execnz .LBB6_1683
	s_branch .LBB6_1684
.LBB6_3733:
	s_movk_i32 s4, 0x80
	v_cmp_eq_u16_e32 vcc, s4, v13
	s_mov_b64 s[4:5], -1
                                        ; implicit-def: $sgpr10
	s_and_saveexec_b64 s[8:9], vcc
; %bb.3734:
	s_mov_b32 s10, 0x7f800001
	s_xor_b64 s[4:5], exec, -1
; %bb.3735:
	s_or_b64 exec, exec, s[8:9]
	s_and_b64 s[4:5], s[4:5], exec
                                        ; implicit-def: $vgpr13
	s_or_saveexec_b64 s[6:7], s[6:7]
	v_mov_b32_e32 v14, s10
	s_xor_b64 exec, exec, s[6:7]
	s_cbranch_execz .LBB6_1686
.LBB6_3736:
	v_cmp_ne_u16_e32 vcc, 0, v13
	s_andn2_b64 s[4:5], s[4:5], exec
	s_and_b64 s[8:9], vcc, exec
	v_mov_b32_e32 v14, 0
	s_or_b64 s[4:5], s[4:5], s[8:9]
	s_or_b64 exec, exec, s[6:7]
	s_and_saveexec_b64 s[6:7], s[4:5]
	s_cbranch_execnz .LBB6_1687
	s_branch .LBB6_1688
.LBB6_3737:
	s_movk_i32 s4, 0x80
	v_cmp_eq_u16_sdwa s[12:13], v6, s4 src0_sel:BYTE_3 src1_sel:DWORD
	s_mov_b64 s[4:5], -1
                                        ; implicit-def: $sgpr10
	s_and_saveexec_b64 s[8:9], s[12:13]
; %bb.3738:
	s_mov_b32 s10, 0x7f800001
	s_xor_b64 s[4:5], exec, -1
; %bb.3739:
	s_or_b64 exec, exec, s[8:9]
	s_and_b64 s[4:5], s[4:5], exec
	s_or_saveexec_b64 s[6:7], s[6:7]
	v_mov_b32_e32 v12, s10
	s_xor_b64 exec, exec, s[6:7]
	s_cbranch_execz .LBB6_1690
.LBB6_3740:
	v_mov_b32_e32 v12, 0
	v_cmp_ne_u16_sdwa s[8:9], v6, v12 src0_sel:BYTE_3 src1_sel:DWORD
	s_andn2_b64 s[4:5], s[4:5], exec
	s_and_b64 s[8:9], s[8:9], exec
	s_or_b64 s[4:5], s[4:5], s[8:9]
	s_or_b64 exec, exec, s[6:7]
	s_and_saveexec_b64 s[6:7], s[4:5]
	s_cbranch_execnz .LBB6_1691
	s_branch .LBB6_1692
.LBB6_3741:
	s_movk_i32 s4, 0x80
	v_cmp_eq_u16_sdwa s[12:13], v2, s4 src0_sel:BYTE_3 src1_sel:DWORD
	s_mov_b64 s[4:5], -1
                                        ; implicit-def: $sgpr10
	s_and_saveexec_b64 s[8:9], s[12:13]
; %bb.3742:
	s_mov_b32 s10, 0x7f800001
	s_xor_b64 s[4:5], exec, -1
; %bb.3743:
	s_or_b64 exec, exec, s[8:9]
	s_and_b64 s[4:5], s[4:5], exec
	s_or_saveexec_b64 s[6:7], s[6:7]
	v_mov_b32_e32 v6, s10
	s_xor_b64 exec, exec, s[6:7]
	s_cbranch_execz .LBB6_1694
.LBB6_3744:
	v_mov_b32_e32 v6, 0
	v_cmp_ne_u16_sdwa s[8:9], v2, v6 src0_sel:BYTE_3 src1_sel:DWORD
	s_andn2_b64 s[4:5], s[4:5], exec
	s_and_b64 s[8:9], s[8:9], exec
	s_or_b64 s[4:5], s[4:5], s[8:9]
	s_or_b64 exec, exec, s[6:7]
	s_and_saveexec_b64 s[6:7], s[4:5]
	s_cbranch_execnz .LBB6_1695
	s_branch .LBB6_1696
.LBB6_3745:
	s_movk_i32 s4, 0x80
	v_cmp_eq_u16_sdwa s[12:13], v7, s4 src0_sel:BYTE_0 src1_sel:DWORD
	s_mov_b64 s[4:5], -1
                                        ; implicit-def: $sgpr10
	s_and_saveexec_b64 s[8:9], s[12:13]
; %bb.3746:
	s_mov_b32 s10, 0x7f800001
	s_xor_b64 s[4:5], exec, -1
; %bb.3747:
	s_or_b64 exec, exec, s[8:9]
	s_and_b64 s[4:5], s[4:5], exec
	s_or_saveexec_b64 s[6:7], s[6:7]
	v_mov_b32_e32 v2, s10
	s_xor_b64 exec, exec, s[6:7]
	s_cbranch_execz .LBB6_1698
.LBB6_3748:
	v_mov_b32_e32 v2, 0
	v_cmp_ne_u16_sdwa s[8:9], v7, v2 src0_sel:BYTE_0 src1_sel:DWORD
	s_andn2_b64 s[4:5], s[4:5], exec
	s_and_b64 s[8:9], s[8:9], exec
	s_or_b64 s[4:5], s[4:5], s[8:9]
	s_or_b64 exec, exec, s[6:7]
	s_and_saveexec_b64 s[6:7], s[4:5]
	s_cbranch_execnz .LBB6_1699
	s_branch .LBB6_1700
.LBB6_3749:
	s_movk_i32 s4, 0x80
	v_cmp_eq_u16_sdwa s[12:13], v3, s4 src0_sel:BYTE_0 src1_sel:DWORD
	s_mov_b64 s[4:5], -1
                                        ; implicit-def: $sgpr10
	s_and_saveexec_b64 s[8:9], s[12:13]
; %bb.3750:
	s_mov_b32 s10, 0x7f800001
	s_xor_b64 s[4:5], exec, -1
; %bb.3751:
	s_or_b64 exec, exec, s[8:9]
	s_and_b64 s[4:5], s[4:5], exec
	s_or_saveexec_b64 s[6:7], s[6:7]
	v_mov_b32_e32 v6, s10
	s_xor_b64 exec, exec, s[6:7]
	s_cbranch_execz .LBB6_1702
.LBB6_3752:
	v_mov_b32_e32 v6, 0
	v_cmp_ne_u16_sdwa s[8:9], v3, v6 src0_sel:BYTE_0 src1_sel:DWORD
	s_andn2_b64 s[4:5], s[4:5], exec
	s_and_b64 s[8:9], s[8:9], exec
	s_or_b64 s[4:5], s[4:5], s[8:9]
	s_or_b64 exec, exec, s[6:7]
	s_and_saveexec_b64 s[6:7], s[4:5]
	s_cbranch_execnz .LBB6_1703
	s_branch .LBB6_1704
.LBB6_3753:
	s_movk_i32 s4, 0x80
	v_cmp_eq_u16_sdwa s[12:13], v6, s4 src0_sel:BYTE_0 src1_sel:DWORD
	s_mov_b64 s[4:5], -1
                                        ; implicit-def: $sgpr10
	s_and_saveexec_b64 s[8:9], s[12:13]
; %bb.3754:
	s_mov_b32 s10, 0x7f800001
	s_xor_b64 s[4:5], exec, -1
; %bb.3755:
	s_or_b64 exec, exec, s[8:9]
	s_and_b64 s[4:5], s[4:5], exec
	s_or_saveexec_b64 s[6:7], s[6:7]
	v_mov_b32_e32 v2, s10
	s_xor_b64 exec, exec, s[6:7]
	s_cbranch_execz .LBB6_1706
.LBB6_3756:
	v_mov_b32_e32 v2, 0
	v_cmp_ne_u16_sdwa s[8:9], v6, v2 src0_sel:BYTE_0 src1_sel:DWORD
	s_andn2_b64 s[4:5], s[4:5], exec
	s_and_b64 s[8:9], s[8:9], exec
	s_or_b64 s[4:5], s[4:5], s[8:9]
	s_or_b64 exec, exec, s[6:7]
	s_and_saveexec_b64 s[6:7], s[4:5]
	s_cbranch_execnz .LBB6_1707
	s_branch .LBB6_1708
.LBB6_3757:
	s_movk_i32 s4, 0x80
	v_cmp_eq_u16_sdwa s[12:13], v6, s4 src0_sel:BYTE_0 src1_sel:DWORD
	s_mov_b64 s[4:5], -1
                                        ; implicit-def: $sgpr10
	s_and_saveexec_b64 s[8:9], s[12:13]
; %bb.3758:
	s_mov_b32 s10, 0x7f800001
	s_xor_b64 s[4:5], exec, -1
; %bb.3759:
	s_or_b64 exec, exec, s[8:9]
	s_and_b64 s[4:5], s[4:5], exec
	s_or_saveexec_b64 s[6:7], s[6:7]
	v_mov_b32_e32 v12, s10
	s_xor_b64 exec, exec, s[6:7]
	s_cbranch_execz .LBB6_1710
.LBB6_3760:
	v_mov_b32_e32 v12, 0
	v_cmp_ne_u16_sdwa s[8:9], v6, v12 src0_sel:BYTE_0 src1_sel:DWORD
	s_andn2_b64 s[4:5], s[4:5], exec
	s_and_b64 s[8:9], s[8:9], exec
	s_or_b64 s[4:5], s[4:5], s[8:9]
	s_or_b64 exec, exec, s[6:7]
	s_and_saveexec_b64 s[6:7], s[4:5]
	s_cbranch_execnz .LBB6_1711
	s_branch .LBB6_1712
.LBB6_3761:
	s_movk_i32 s4, 0x80
	v_cmp_eq_u16_e32 vcc, s4, v6
	s_mov_b64 s[4:5], -1
                                        ; implicit-def: $sgpr10
	s_and_saveexec_b64 s[8:9], vcc
; %bb.3762:
	s_mov_b32 s10, 0x7f800001
	s_xor_b64 s[4:5], exec, -1
; %bb.3763:
	s_or_b64 exec, exec, s[8:9]
	s_and_b64 s[4:5], s[4:5], exec
                                        ; implicit-def: $vgpr6
	s_or_saveexec_b64 s[6:7], s[6:7]
	v_mov_b32_e32 v2, s10
	s_xor_b64 exec, exec, s[6:7]
	s_cbranch_execz .LBB6_1714
.LBB6_3764:
	v_cmp_ne_u16_e32 vcc, 0, v6
	s_andn2_b64 s[4:5], s[4:5], exec
	s_and_b64 s[8:9], vcc, exec
	v_mov_b32_e32 v2, 0
	s_or_b64 s[4:5], s[4:5], s[8:9]
	s_or_b64 exec, exec, s[6:7]
	s_and_saveexec_b64 s[6:7], s[4:5]
	s_cbranch_execnz .LBB6_1715
	s_branch .LBB6_1716
.LBB6_3765:
	s_movk_i32 s4, 0x80
	v_cmp_eq_u16_e32 vcc, s4, v6
	s_mov_b64 s[4:5], -1
                                        ; implicit-def: $sgpr10
	s_and_saveexec_b64 s[8:9], vcc
; %bb.3766:
	s_mov_b32 s10, 0x7f800001
	s_xor_b64 s[4:5], exec, -1
; %bb.3767:
	s_or_b64 exec, exec, s[8:9]
	s_and_b64 s[4:5], s[4:5], exec
                                        ; implicit-def: $vgpr6
	s_or_saveexec_b64 s[6:7], s[6:7]
	v_mov_b32_e32 v12, s10
	s_xor_b64 exec, exec, s[6:7]
	s_cbranch_execz .LBB6_1718
.LBB6_3768:
	v_cmp_ne_u16_e32 vcc, 0, v6
	s_andn2_b64 s[4:5], s[4:5], exec
	s_and_b64 s[8:9], vcc, exec
	v_mov_b32_e32 v12, 0
	s_or_b64 s[4:5], s[4:5], s[8:9]
	s_or_b64 exec, exec, s[6:7]
	s_and_saveexec_b64 s[6:7], s[4:5]
	s_cbranch_execnz .LBB6_1719
	s_branch .LBB6_1720
.LBB6_3769:
	s_movk_i32 s4, 0x80
	v_cmp_eq_u16_sdwa s[12:13], v7, s4 src0_sel:BYTE_3 src1_sel:DWORD
	s_mov_b64 s[4:5], -1
                                        ; implicit-def: $sgpr10
	s_and_saveexec_b64 s[8:9], s[12:13]
; %bb.3770:
	s_mov_b32 s10, 0x7f800001
	s_xor_b64 s[4:5], exec, -1
; %bb.3771:
	s_or_b64 exec, exec, s[8:9]
	s_and_b64 s[4:5], s[4:5], exec
	s_or_saveexec_b64 s[6:7], s[6:7]
	v_mov_b32_e32 v2, s10
	s_xor_b64 exec, exec, s[6:7]
	s_cbranch_execz .LBB6_1722
.LBB6_3772:
	v_mov_b32_e32 v2, 0
	v_cmp_ne_u16_sdwa s[8:9], v7, v2 src0_sel:BYTE_3 src1_sel:DWORD
	s_andn2_b64 s[4:5], s[4:5], exec
	s_and_b64 s[8:9], s[8:9], exec
	s_or_b64 s[4:5], s[4:5], s[8:9]
	s_or_b64 exec, exec, s[6:7]
	s_and_saveexec_b64 s[6:7], s[4:5]
	s_cbranch_execnz .LBB6_1723
	s_branch .LBB6_1724
.LBB6_3773:
	s_movk_i32 s4, 0x80
	v_cmp_eq_u16_sdwa s[12:13], v3, s4 src0_sel:BYTE_3 src1_sel:DWORD
	s_mov_b64 s[4:5], -1
                                        ; implicit-def: $sgpr10
	s_and_saveexec_b64 s[8:9], s[12:13]
; %bb.3774:
	s_mov_b32 s10, 0x7f800001
	s_xor_b64 s[4:5], exec, -1
; %bb.3775:
	s_or_b64 exec, exec, s[8:9]
	s_and_b64 s[4:5], s[4:5], exec
	s_or_saveexec_b64 s[6:7], s[6:7]
	v_mov_b32_e32 v6, s10
	s_xor_b64 exec, exec, s[6:7]
	s_cbranch_execz .LBB6_1726
.LBB6_3776:
	v_mov_b32_e32 v6, 0
	v_cmp_ne_u16_sdwa s[8:9], v3, v6 src0_sel:BYTE_3 src1_sel:DWORD
	s_andn2_b64 s[4:5], s[4:5], exec
	s_and_b64 s[8:9], s[8:9], exec
	s_or_b64 s[4:5], s[4:5], s[8:9]
	s_or_b64 exec, exec, s[6:7]
	s_and_saveexec_b64 s[6:7], s[4:5]
	s_cbranch_execnz .LBB6_1727
	s_branch .LBB6_1728
.LBB6_3777:
	s_movk_i32 s4, 0x80
	v_cmp_eq_u16_sdwa s[12:13], v8, s4 src0_sel:BYTE_0 src1_sel:DWORD
	s_mov_b64 s[4:5], -1
                                        ; implicit-def: $sgpr10
	s_and_saveexec_b64 s[8:9], s[12:13]
; %bb.3778:
	s_mov_b32 s10, 0x7f800001
	s_xor_b64 s[4:5], exec, -1
; %bb.3779:
	s_or_b64 exec, exec, s[8:9]
	s_and_b64 s[4:5], s[4:5], exec
	s_or_saveexec_b64 s[6:7], s[6:7]
	v_mov_b32_e32 v2, s10
	s_xor_b64 exec, exec, s[6:7]
	s_cbranch_execz .LBB6_1730
.LBB6_3780:
	v_mov_b32_e32 v2, 0
	v_cmp_ne_u16_sdwa s[8:9], v8, v2 src0_sel:BYTE_0 src1_sel:DWORD
	s_andn2_b64 s[4:5], s[4:5], exec
	s_and_b64 s[8:9], s[8:9], exec
	s_or_b64 s[4:5], s[4:5], s[8:9]
	s_or_b64 exec, exec, s[6:7]
	s_and_saveexec_b64 s[6:7], s[4:5]
	s_cbranch_execnz .LBB6_1731
	s_branch .LBB6_1732
.LBB6_3781:
	s_movk_i32 s4, 0x80
	v_cmp_eq_u16_sdwa s[12:13], v4, s4 src0_sel:BYTE_0 src1_sel:DWORD
	s_mov_b64 s[4:5], -1
                                        ; implicit-def: $sgpr10
	s_and_saveexec_b64 s[8:9], s[12:13]
; %bb.3782:
	s_mov_b32 s10, 0x7f800001
	s_xor_b64 s[4:5], exec, -1
; %bb.3783:
	s_or_b64 exec, exec, s[8:9]
	s_and_b64 s[4:5], s[4:5], exec
	s_or_saveexec_b64 s[6:7], s[6:7]
	v_mov_b32_e32 v3, s10
	s_xor_b64 exec, exec, s[6:7]
	s_cbranch_execz .LBB6_1734
.LBB6_3784:
	v_mov_b32_e32 v3, 0
	v_cmp_ne_u16_sdwa s[8:9], v4, v3 src0_sel:BYTE_0 src1_sel:DWORD
	s_andn2_b64 s[4:5], s[4:5], exec
	s_and_b64 s[8:9], s[8:9], exec
	s_or_b64 s[4:5], s[4:5], s[8:9]
	s_or_b64 exec, exec, s[6:7]
	s_and_saveexec_b64 s[6:7], s[4:5]
	s_cbranch_execnz .LBB6_1735
	s_branch .LBB6_1736
.LBB6_3785:
	s_movk_i32 s4, 0x80
	v_cmp_eq_u16_sdwa s[12:13], v3, s4 src0_sel:BYTE_0 src1_sel:DWORD
	s_mov_b64 s[4:5], -1
                                        ; implicit-def: $sgpr10
	s_and_saveexec_b64 s[8:9], s[12:13]
; %bb.3786:
	s_mov_b32 s10, 0x7f800001
	s_xor_b64 s[4:5], exec, -1
; %bb.3787:
	s_or_b64 exec, exec, s[8:9]
	s_and_b64 s[4:5], s[4:5], exec
	s_or_saveexec_b64 s[6:7], s[6:7]
	v_mov_b32_e32 v2, s10
	s_xor_b64 exec, exec, s[6:7]
	s_cbranch_execz .LBB6_1738
.LBB6_3788:
	v_mov_b32_e32 v2, 0
	v_cmp_ne_u16_sdwa s[8:9], v3, v2 src0_sel:BYTE_0 src1_sel:DWORD
	s_andn2_b64 s[4:5], s[4:5], exec
	s_and_b64 s[8:9], s[8:9], exec
	s_or_b64 s[4:5], s[4:5], s[8:9]
	s_or_b64 exec, exec, s[6:7]
	s_and_saveexec_b64 s[6:7], s[4:5]
	s_cbranch_execnz .LBB6_1739
	s_branch .LBB6_1740
.LBB6_3789:
	s_movk_i32 s4, 0x80
	v_cmp_eq_u16_sdwa s[12:13], v3, s4 src0_sel:BYTE_0 src1_sel:DWORD
	s_mov_b64 s[4:5], -1
                                        ; implicit-def: $sgpr10
	s_and_saveexec_b64 s[8:9], s[12:13]
; %bb.3790:
	s_mov_b32 s10, 0x7f800001
	s_xor_b64 s[4:5], exec, -1
; %bb.3791:
	s_or_b64 exec, exec, s[8:9]
	s_and_b64 s[4:5], s[4:5], exec
	s_or_saveexec_b64 s[6:7], s[6:7]
	v_mov_b32_e32 v6, s10
	s_xor_b64 exec, exec, s[6:7]
	s_cbranch_execz .LBB6_1742
.LBB6_3792:
	v_mov_b32_e32 v6, 0
	v_cmp_ne_u16_sdwa s[8:9], v3, v6 src0_sel:BYTE_0 src1_sel:DWORD
	s_andn2_b64 s[4:5], s[4:5], exec
	s_and_b64 s[8:9], s[8:9], exec
	s_or_b64 s[4:5], s[4:5], s[8:9]
	s_or_b64 exec, exec, s[6:7]
	s_and_saveexec_b64 s[6:7], s[4:5]
	s_cbranch_execnz .LBB6_1743
	s_branch .LBB6_1744
.LBB6_3793:
	s_movk_i32 s4, 0x80
	v_cmp_eq_u16_e32 vcc, s4, v3
	s_mov_b64 s[4:5], -1
                                        ; implicit-def: $sgpr10
	s_and_saveexec_b64 s[8:9], vcc
; %bb.3794:
	s_mov_b32 s10, 0x7f800001
	s_xor_b64 s[4:5], exec, -1
; %bb.3795:
	s_or_b64 exec, exec, s[8:9]
	s_and_b64 s[4:5], s[4:5], exec
                                        ; implicit-def: $vgpr3
	s_or_saveexec_b64 s[6:7], s[6:7]
	v_mov_b32_e32 v2, s10
	s_xor_b64 exec, exec, s[6:7]
	s_cbranch_execz .LBB6_1746
.LBB6_3796:
	v_cmp_ne_u16_e32 vcc, 0, v3
	s_andn2_b64 s[4:5], s[4:5], exec
	s_and_b64 s[8:9], vcc, exec
	v_mov_b32_e32 v2, 0
	s_or_b64 s[4:5], s[4:5], s[8:9]
	s_or_b64 exec, exec, s[6:7]
	s_and_saveexec_b64 s[6:7], s[4:5]
	s_cbranch_execnz .LBB6_1747
	s_branch .LBB6_1748
.LBB6_3797:
	s_movk_i32 s4, 0x80
	v_cmp_eq_u16_e32 vcc, s4, v3
	s_mov_b64 s[4:5], -1
                                        ; implicit-def: $sgpr10
	s_and_saveexec_b64 s[8:9], vcc
; %bb.3798:
	s_mov_b32 s10, 0x7f800001
	s_xor_b64 s[4:5], exec, -1
; %bb.3799:
	s_or_b64 exec, exec, s[8:9]
	s_and_b64 s[4:5], s[4:5], exec
                                        ; implicit-def: $vgpr3
	s_or_saveexec_b64 s[6:7], s[6:7]
	v_mov_b32_e32 v6, s10
	s_xor_b64 exec, exec, s[6:7]
	s_cbranch_execz .LBB6_1750
.LBB6_3800:
	v_cmp_ne_u16_e32 vcc, 0, v3
	s_andn2_b64 s[4:5], s[4:5], exec
	s_and_b64 s[8:9], vcc, exec
	v_mov_b32_e32 v6, 0
	s_or_b64 s[4:5], s[4:5], s[8:9]
	s_or_b64 exec, exec, s[6:7]
	s_and_saveexec_b64 s[6:7], s[4:5]
	s_cbranch_execnz .LBB6_1751
	s_branch .LBB6_1752
.LBB6_3801:
	s_movk_i32 s4, 0x80
	v_cmp_eq_u16_sdwa s[12:13], v8, s4 src0_sel:BYTE_3 src1_sel:DWORD
	s_mov_b64 s[4:5], -1
                                        ; implicit-def: $sgpr10
	s_and_saveexec_b64 s[8:9], s[12:13]
; %bb.3802:
	s_mov_b32 s10, 0x7f800001
	s_xor_b64 s[4:5], exec, -1
; %bb.3803:
	s_or_b64 exec, exec, s[8:9]
	s_and_b64 s[4:5], s[4:5], exec
	s_or_saveexec_b64 s[6:7], s[6:7]
	v_mov_b32_e32 v2, s10
	s_xor_b64 exec, exec, s[6:7]
	s_cbranch_execz .LBB6_1754
.LBB6_3804:
	v_mov_b32_e32 v2, 0
	v_cmp_ne_u16_sdwa s[8:9], v8, v2 src0_sel:BYTE_3 src1_sel:DWORD
	s_andn2_b64 s[4:5], s[4:5], exec
	s_and_b64 s[8:9], s[8:9], exec
	s_or_b64 s[4:5], s[4:5], s[8:9]
	s_or_b64 exec, exec, s[6:7]
	s_and_saveexec_b64 s[6:7], s[4:5]
	s_cbranch_execnz .LBB6_1755
	s_branch .LBB6_1756
.LBB6_3805:
	s_movk_i32 s4, 0x80
	v_cmp_eq_u16_sdwa s[12:13], v4, s4 src0_sel:BYTE_3 src1_sel:DWORD
	s_mov_b64 s[4:5], -1
                                        ; implicit-def: $sgpr10
	s_and_saveexec_b64 s[8:9], s[12:13]
; %bb.3806:
	s_mov_b32 s10, 0x7f800001
	s_xor_b64 s[4:5], exec, -1
; %bb.3807:
	s_or_b64 exec, exec, s[8:9]
	s_and_b64 s[4:5], s[4:5], exec
	s_or_saveexec_b64 s[6:7], s[6:7]
	v_mov_b32_e32 v3, s10
	s_xor_b64 exec, exec, s[6:7]
	s_cbranch_execz .LBB6_1758
.LBB6_3808:
	v_mov_b32_e32 v3, 0
	v_cmp_ne_u16_sdwa s[8:9], v4, v3 src0_sel:BYTE_3 src1_sel:DWORD
	s_andn2_b64 s[4:5], s[4:5], exec
	s_and_b64 s[8:9], s[8:9], exec
	s_or_b64 s[4:5], s[4:5], s[8:9]
	s_or_b64 exec, exec, s[6:7]
	s_and_saveexec_b64 s[6:7], s[4:5]
	s_cbranch_execnz .LBB6_1759
	s_branch .LBB6_1760
.LBB6_3809:
	s_movk_i32 s4, 0x80
	v_cmp_eq_u16_sdwa s[12:13], v9, s4 src0_sel:BYTE_0 src1_sel:DWORD
	s_mov_b64 s[4:5], -1
                                        ; implicit-def: $sgpr10
	s_and_saveexec_b64 s[8:9], s[12:13]
; %bb.3810:
	s_mov_b32 s10, 0x7f800001
	s_xor_b64 s[4:5], exec, -1
; %bb.3811:
	s_or_b64 exec, exec, s[8:9]
	s_and_b64 s[4:5], s[4:5], exec
	s_or_saveexec_b64 s[6:7], s[6:7]
	v_mov_b32_e32 v2, s10
	s_xor_b64 exec, exec, s[6:7]
	s_cbranch_execz .LBB6_1762
.LBB6_3812:
	v_mov_b32_e32 v2, 0
	v_cmp_ne_u16_sdwa s[8:9], v9, v2 src0_sel:BYTE_0 src1_sel:DWORD
	s_andn2_b64 s[4:5], s[4:5], exec
	s_and_b64 s[8:9], s[8:9], exec
	s_or_b64 s[4:5], s[4:5], s[8:9]
	s_or_b64 exec, exec, s[6:7]
	s_and_saveexec_b64 s[6:7], s[4:5]
	s_cbranch_execnz .LBB6_1763
	s_branch .LBB6_1764
.LBB6_3813:
	s_movk_i32 s4, 0x80
	v_cmp_eq_u16_sdwa s[12:13], v5, s4 src0_sel:BYTE_0 src1_sel:DWORD
	s_mov_b64 s[4:5], -1
                                        ; implicit-def: $sgpr10
	s_and_saveexec_b64 s[8:9], s[12:13]
; %bb.3814:
	s_mov_b32 s10, 0x7f800001
	s_xor_b64 s[4:5], exec, -1
; %bb.3815:
	s_or_b64 exec, exec, s[8:9]
	s_and_b64 s[4:5], s[4:5], exec
	s_or_saveexec_b64 s[6:7], s[6:7]
	v_mov_b32_e32 v3, s10
	s_xor_b64 exec, exec, s[6:7]
	s_cbranch_execz .LBB6_1766
.LBB6_3816:
	v_mov_b32_e32 v3, 0
	v_cmp_ne_u16_sdwa s[8:9], v5, v3 src0_sel:BYTE_0 src1_sel:DWORD
	s_andn2_b64 s[4:5], s[4:5], exec
	s_and_b64 s[8:9], s[8:9], exec
	s_or_b64 s[4:5], s[4:5], s[8:9]
	s_or_b64 exec, exec, s[6:7]
	s_and_saveexec_b64 s[6:7], s[4:5]
	s_cbranch_execnz .LBB6_1767
	s_branch .LBB6_1768
.LBB6_3817:
	s_movk_i32 s4, 0x80
	v_cmp_eq_u16_sdwa s[12:13], v3, s4 src0_sel:BYTE_0 src1_sel:DWORD
	s_mov_b64 s[4:5], -1
                                        ; implicit-def: $sgpr10
	s_and_saveexec_b64 s[8:9], s[12:13]
; %bb.3818:
	s_mov_b32 s10, 0x7f800001
	s_xor_b64 s[4:5], exec, -1
; %bb.3819:
	s_or_b64 exec, exec, s[8:9]
	s_and_b64 s[4:5], s[4:5], exec
	s_or_saveexec_b64 s[6:7], s[6:7]
	v_mov_b32_e32 v2, s10
	s_xor_b64 exec, exec, s[6:7]
	s_cbranch_execz .LBB6_1770
.LBB6_3820:
	v_mov_b32_e32 v2, 0
	v_cmp_ne_u16_sdwa s[8:9], v3, v2 src0_sel:BYTE_0 src1_sel:DWORD
	s_andn2_b64 s[4:5], s[4:5], exec
	s_and_b64 s[8:9], s[8:9], exec
	s_or_b64 s[4:5], s[4:5], s[8:9]
	s_or_b64 exec, exec, s[6:7]
	s_and_saveexec_b64 s[6:7], s[4:5]
	s_cbranch_execnz .LBB6_1771
	s_branch .LBB6_1772
.LBB6_3821:
	s_movk_i32 s4, 0x80
	v_cmp_eq_u16_sdwa s[12:13], v3, s4 src0_sel:BYTE_0 src1_sel:DWORD
	s_mov_b64 s[4:5], -1
                                        ; implicit-def: $sgpr10
	s_and_saveexec_b64 s[8:9], s[12:13]
; %bb.3822:
	s_mov_b32 s10, 0x7f800001
	s_xor_b64 s[4:5], exec, -1
; %bb.3823:
	s_or_b64 exec, exec, s[8:9]
	s_and_b64 s[4:5], s[4:5], exec
	s_or_saveexec_b64 s[6:7], s[6:7]
	v_mov_b32_e32 v4, s10
	s_xor_b64 exec, exec, s[6:7]
	s_cbranch_execz .LBB6_1774
.LBB6_3824:
	v_mov_b32_e32 v4, 0
	v_cmp_ne_u16_sdwa s[8:9], v3, v4 src0_sel:BYTE_0 src1_sel:DWORD
	s_andn2_b64 s[4:5], s[4:5], exec
	s_and_b64 s[8:9], s[8:9], exec
	s_or_b64 s[4:5], s[4:5], s[8:9]
	s_or_b64 exec, exec, s[6:7]
	s_and_saveexec_b64 s[6:7], s[4:5]
	s_cbranch_execnz .LBB6_1775
	s_branch .LBB6_1776
.LBB6_3825:
	s_movk_i32 s4, 0x80
	v_cmp_eq_u16_e32 vcc, s4, v3
	s_mov_b64 s[4:5], -1
                                        ; implicit-def: $sgpr10
	s_and_saveexec_b64 s[8:9], vcc
; %bb.3826:
	s_mov_b32 s10, 0x7f800001
	s_xor_b64 s[4:5], exec, -1
; %bb.3827:
	s_or_b64 exec, exec, s[8:9]
	s_and_b64 s[4:5], s[4:5], exec
                                        ; implicit-def: $vgpr3
	s_or_saveexec_b64 s[6:7], s[6:7]
	v_mov_b32_e32 v2, s10
	s_xor_b64 exec, exec, s[6:7]
	s_cbranch_execz .LBB6_1778
.LBB6_3828:
	v_cmp_ne_u16_e32 vcc, 0, v3
	s_andn2_b64 s[4:5], s[4:5], exec
	s_and_b64 s[8:9], vcc, exec
	v_mov_b32_e32 v2, 0
	s_or_b64 s[4:5], s[4:5], s[8:9]
	s_or_b64 exec, exec, s[6:7]
	s_and_saveexec_b64 s[6:7], s[4:5]
	s_cbranch_execnz .LBB6_1779
	s_branch .LBB6_1780
.LBB6_3829:
	s_movk_i32 s4, 0x80
	v_cmp_eq_u16_e32 vcc, s4, v3
	s_mov_b64 s[4:5], -1
                                        ; implicit-def: $sgpr10
	s_and_saveexec_b64 s[8:9], vcc
; %bb.3830:
	s_mov_b32 s10, 0x7f800001
	s_xor_b64 s[4:5], exec, -1
; %bb.3831:
	s_or_b64 exec, exec, s[8:9]
	s_and_b64 s[4:5], s[4:5], exec
                                        ; implicit-def: $vgpr3
	s_or_saveexec_b64 s[6:7], s[6:7]
	v_mov_b32_e32 v4, s10
	s_xor_b64 exec, exec, s[6:7]
	s_cbranch_execz .LBB6_1782
.LBB6_3832:
	v_cmp_ne_u16_e32 vcc, 0, v3
	s_andn2_b64 s[4:5], s[4:5], exec
	s_and_b64 s[8:9], vcc, exec
	v_mov_b32_e32 v4, 0
	s_or_b64 s[4:5], s[4:5], s[8:9]
	s_or_b64 exec, exec, s[6:7]
	s_and_saveexec_b64 s[6:7], s[4:5]
	s_cbranch_execnz .LBB6_1783
	s_branch .LBB6_1784
.LBB6_3833:
	s_movk_i32 s4, 0x80
	v_cmp_eq_u16_sdwa s[12:13], v9, s4 src0_sel:BYTE_3 src1_sel:DWORD
	s_mov_b64 s[4:5], -1
                                        ; implicit-def: $sgpr10
	s_and_saveexec_b64 s[8:9], s[12:13]
; %bb.3834:
	s_mov_b32 s10, 0x7f800001
	s_xor_b64 s[4:5], exec, -1
; %bb.3835:
	s_or_b64 exec, exec, s[8:9]
	s_and_b64 s[4:5], s[4:5], exec
	s_or_saveexec_b64 s[6:7], s[6:7]
	v_mov_b32_e32 v2, s10
	s_xor_b64 exec, exec, s[6:7]
	s_cbranch_execz .LBB6_1786
.LBB6_3836:
	v_mov_b32_e32 v2, 0
	v_cmp_ne_u16_sdwa s[8:9], v9, v2 src0_sel:BYTE_3 src1_sel:DWORD
	s_andn2_b64 s[4:5], s[4:5], exec
	s_and_b64 s[8:9], s[8:9], exec
	s_or_b64 s[4:5], s[4:5], s[8:9]
	s_or_b64 exec, exec, s[6:7]
	s_and_saveexec_b64 s[6:7], s[4:5]
	s_cbranch_execnz .LBB6_1787
	s_branch .LBB6_1788
.LBB6_3837:
	s_movk_i32 s4, 0x80
	v_cmp_eq_u16_sdwa s[12:13], v5, s4 src0_sel:BYTE_3 src1_sel:DWORD
	s_mov_b64 s[4:5], -1
                                        ; implicit-def: $sgpr10
	s_and_saveexec_b64 s[8:9], s[12:13]
; %bb.3838:
	s_mov_b32 s10, 0x7f800001
	s_xor_b64 s[4:5], exec, -1
; %bb.3839:
	s_or_b64 exec, exec, s[8:9]
	s_and_b64 s[4:5], s[4:5], exec
	s_or_saveexec_b64 s[6:7], s[6:7]
	v_mov_b32_e32 v3, s10
	s_xor_b64 exec, exec, s[6:7]
	s_cbranch_execz .LBB6_1790
.LBB6_3840:
	v_mov_b32_e32 v3, 0
	v_cmp_ne_u16_sdwa s[8:9], v5, v3 src0_sel:BYTE_3 src1_sel:DWORD
	s_andn2_b64 s[4:5], s[4:5], exec
	s_and_b64 s[8:9], s[8:9], exec
	s_or_b64 s[4:5], s[4:5], s[8:9]
	s_or_b64 exec, exec, s[6:7]
	s_and_saveexec_b64 s[6:7], s[4:5]
	s_cbranch_execnz .LBB6_1791
	s_branch .LBB6_1792
.LBB6_3841:
	s_movk_i32 s4, 0x80
	v_cmp_eq_u16_sdwa s[12:13], v6, s4 src0_sel:BYTE_0 src1_sel:DWORD
	s_mov_b64 s[4:5], -1
                                        ; implicit-def: $sgpr10
	s_and_saveexec_b64 s[8:9], s[12:13]
; %bb.3842:
	s_mov_b32 s10, 0x7f800001
	s_xor_b64 s[4:5], exec, -1
; %bb.3843:
	s_or_b64 exec, exec, s[8:9]
	s_and_b64 s[4:5], s[4:5], exec
	s_or_saveexec_b64 s[6:7], s[6:7]
	v_mov_b32_e32 v12, s10
	s_xor_b64 exec, exec, s[6:7]
	s_cbranch_execz .LBB6_1794
.LBB6_3844:
	v_mov_b32_e32 v12, 0
	v_cmp_ne_u16_sdwa s[8:9], v6, v12 src0_sel:BYTE_0 src1_sel:DWORD
	s_andn2_b64 s[4:5], s[4:5], exec
	s_and_b64 s[8:9], s[8:9], exec
	s_or_b64 s[4:5], s[4:5], s[8:9]
	s_or_b64 exec, exec, s[6:7]
	s_and_saveexec_b64 s[6:7], s[4:5]
	s_cbranch_execnz .LBB6_1795
	s_branch .LBB6_1796
.LBB6_3845:
	s_movk_i32 s4, 0x80
	v_cmp_eq_u16_sdwa s[12:13], v2, s4 src0_sel:BYTE_0 src1_sel:DWORD
	s_mov_b64 s[4:5], -1
                                        ; implicit-def: $sgpr10
	s_and_saveexec_b64 s[8:9], s[12:13]
; %bb.3846:
	s_mov_b32 s10, 0x7f800001
	s_xor_b64 s[4:5], exec, -1
; %bb.3847:
	s_or_b64 exec, exec, s[8:9]
	s_and_b64 s[4:5], s[4:5], exec
	s_or_saveexec_b64 s[6:7], s[6:7]
	v_mov_b32_e32 v13, s10
	s_xor_b64 exec, exec, s[6:7]
	s_cbranch_execz .LBB6_1798
.LBB6_3848:
	v_mov_b32_e32 v13, 0
	v_cmp_ne_u16_sdwa s[8:9], v2, v13 src0_sel:BYTE_0 src1_sel:DWORD
	s_andn2_b64 s[4:5], s[4:5], exec
	s_and_b64 s[8:9], s[8:9], exec
	s_or_b64 s[4:5], s[4:5], s[8:9]
	s_or_b64 exec, exec, s[6:7]
	s_and_saveexec_b64 s[6:7], s[4:5]
	s_cbranch_execnz .LBB6_1799
	s_branch .LBB6_1800
.LBB6_3849:
	s_movk_i32 s4, 0x80
	v_cmp_eq_u16_sdwa s[12:13], v13, s4 src0_sel:BYTE_0 src1_sel:DWORD
	s_mov_b64 s[4:5], -1
                                        ; implicit-def: $sgpr10
	s_and_saveexec_b64 s[8:9], s[12:13]
; %bb.3850:
	s_mov_b32 s10, 0x7f800001
	s_xor_b64 s[4:5], exec, -1
; %bb.3851:
	s_or_b64 exec, exec, s[8:9]
	s_and_b64 s[4:5], s[4:5], exec
	s_or_saveexec_b64 s[6:7], s[6:7]
	v_mov_b32_e32 v12, s10
	s_xor_b64 exec, exec, s[6:7]
	s_cbranch_execz .LBB6_1802
.LBB6_3852:
	v_mov_b32_e32 v12, 0
	v_cmp_ne_u16_sdwa s[8:9], v13, v12 src0_sel:BYTE_0 src1_sel:DWORD
	s_andn2_b64 s[4:5], s[4:5], exec
	s_and_b64 s[8:9], s[8:9], exec
	s_or_b64 s[4:5], s[4:5], s[8:9]
	s_or_b64 exec, exec, s[6:7]
	s_and_saveexec_b64 s[6:7], s[4:5]
	s_cbranch_execnz .LBB6_1803
	s_branch .LBB6_1804
.LBB6_3853:
	s_movk_i32 s4, 0x80
	v_cmp_eq_u16_sdwa s[12:13], v13, s4 src0_sel:BYTE_0 src1_sel:DWORD
	s_mov_b64 s[4:5], -1
                                        ; implicit-def: $sgpr10
	s_and_saveexec_b64 s[8:9], s[12:13]
; %bb.3854:
	s_mov_b32 s10, 0x7f800001
	s_xor_b64 s[4:5], exec, -1
; %bb.3855:
	s_or_b64 exec, exec, s[8:9]
	s_and_b64 s[4:5], s[4:5], exec
	s_or_saveexec_b64 s[6:7], s[6:7]
	v_mov_b32_e32 v14, s10
	s_xor_b64 exec, exec, s[6:7]
	s_cbranch_execz .LBB6_1806
.LBB6_3856:
	v_mov_b32_e32 v14, 0
	v_cmp_ne_u16_sdwa s[8:9], v13, v14 src0_sel:BYTE_0 src1_sel:DWORD
	s_andn2_b64 s[4:5], s[4:5], exec
	s_and_b64 s[8:9], s[8:9], exec
	s_or_b64 s[4:5], s[4:5], s[8:9]
	s_or_b64 exec, exec, s[6:7]
	s_and_saveexec_b64 s[6:7], s[4:5]
	s_cbranch_execnz .LBB6_1807
	s_branch .LBB6_1808
.LBB6_3857:
	s_movk_i32 s4, 0x80
	v_cmp_eq_u16_e32 vcc, s4, v13
	s_mov_b64 s[4:5], -1
                                        ; implicit-def: $sgpr10
	s_and_saveexec_b64 s[8:9], vcc
; %bb.3858:
	s_mov_b32 s10, 0x7f800001
	s_xor_b64 s[4:5], exec, -1
; %bb.3859:
	s_or_b64 exec, exec, s[8:9]
	s_and_b64 s[4:5], s[4:5], exec
                                        ; implicit-def: $vgpr13
	s_or_saveexec_b64 s[6:7], s[6:7]
	v_mov_b32_e32 v12, s10
	s_xor_b64 exec, exec, s[6:7]
	s_cbranch_execz .LBB6_1810
.LBB6_3860:
	v_cmp_ne_u16_e32 vcc, 0, v13
	s_andn2_b64 s[4:5], s[4:5], exec
	s_and_b64 s[8:9], vcc, exec
	v_mov_b32_e32 v12, 0
	s_or_b64 s[4:5], s[4:5], s[8:9]
	s_or_b64 exec, exec, s[6:7]
	s_and_saveexec_b64 s[6:7], s[4:5]
	s_cbranch_execnz .LBB6_1811
	s_branch .LBB6_1812
.LBB6_3861:
	s_movk_i32 s4, 0x80
	v_cmp_eq_u16_e32 vcc, s4, v13
	s_mov_b64 s[4:5], -1
                                        ; implicit-def: $sgpr10
	s_and_saveexec_b64 s[8:9], vcc
; %bb.3862:
	s_mov_b32 s10, 0x7f800001
	s_xor_b64 s[4:5], exec, -1
; %bb.3863:
	s_or_b64 exec, exec, s[8:9]
	s_and_b64 s[4:5], s[4:5], exec
                                        ; implicit-def: $vgpr13
	s_or_saveexec_b64 s[6:7], s[6:7]
	v_mov_b32_e32 v14, s10
	s_xor_b64 exec, exec, s[6:7]
	s_cbranch_execz .LBB6_1814
.LBB6_3864:
	v_cmp_ne_u16_e32 vcc, 0, v13
	s_andn2_b64 s[4:5], s[4:5], exec
	s_and_b64 s[8:9], vcc, exec
	v_mov_b32_e32 v14, 0
	s_or_b64 s[4:5], s[4:5], s[8:9]
	s_or_b64 exec, exec, s[6:7]
	s_and_saveexec_b64 s[6:7], s[4:5]
	s_cbranch_execnz .LBB6_1815
	s_branch .LBB6_1816
.LBB6_3865:
	s_movk_i32 s4, 0x80
	v_cmp_eq_u16_sdwa s[12:13], v6, s4 src0_sel:BYTE_3 src1_sel:DWORD
	s_mov_b64 s[4:5], -1
                                        ; implicit-def: $sgpr10
	s_and_saveexec_b64 s[8:9], s[12:13]
; %bb.3866:
	s_mov_b32 s10, 0x7f800001
	s_xor_b64 s[4:5], exec, -1
; %bb.3867:
	s_or_b64 exec, exec, s[8:9]
	s_and_b64 s[4:5], s[4:5], exec
	s_or_saveexec_b64 s[6:7], s[6:7]
	v_mov_b32_e32 v12, s10
	s_xor_b64 exec, exec, s[6:7]
	s_cbranch_execz .LBB6_1818
.LBB6_3868:
	v_mov_b32_e32 v12, 0
	v_cmp_ne_u16_sdwa s[8:9], v6, v12 src0_sel:BYTE_3 src1_sel:DWORD
	s_andn2_b64 s[4:5], s[4:5], exec
	s_and_b64 s[8:9], s[8:9], exec
	s_or_b64 s[4:5], s[4:5], s[8:9]
	s_or_b64 exec, exec, s[6:7]
	s_and_saveexec_b64 s[6:7], s[4:5]
	s_cbranch_execnz .LBB6_1819
	s_branch .LBB6_1820
.LBB6_3869:
	s_movk_i32 s4, 0x80
	v_cmp_eq_u16_sdwa s[12:13], v2, s4 src0_sel:BYTE_3 src1_sel:DWORD
	s_mov_b64 s[4:5], -1
                                        ; implicit-def: $sgpr10
	s_and_saveexec_b64 s[8:9], s[12:13]
; %bb.3870:
	s_mov_b32 s10, 0x7f800001
	s_xor_b64 s[4:5], exec, -1
; %bb.3871:
	s_or_b64 exec, exec, s[8:9]
	s_and_b64 s[4:5], s[4:5], exec
	s_or_saveexec_b64 s[6:7], s[6:7]
	v_mov_b32_e32 v6, s10
	s_xor_b64 exec, exec, s[6:7]
	s_cbranch_execz .LBB6_1822
.LBB6_3872:
	v_mov_b32_e32 v6, 0
	v_cmp_ne_u16_sdwa s[8:9], v2, v6 src0_sel:BYTE_3 src1_sel:DWORD
	s_andn2_b64 s[4:5], s[4:5], exec
	s_and_b64 s[8:9], s[8:9], exec
	s_or_b64 s[4:5], s[4:5], s[8:9]
	s_or_b64 exec, exec, s[6:7]
	s_and_saveexec_b64 s[6:7], s[4:5]
	s_cbranch_execnz .LBB6_1823
	s_branch .LBB6_1824
.LBB6_3873:
	s_movk_i32 s4, 0x80
	v_cmp_eq_u16_sdwa s[12:13], v7, s4 src0_sel:BYTE_0 src1_sel:DWORD
	s_mov_b64 s[4:5], -1
                                        ; implicit-def: $sgpr10
	s_and_saveexec_b64 s[8:9], s[12:13]
; %bb.3874:
	s_mov_b32 s10, 0x7f800001
	s_xor_b64 s[4:5], exec, -1
; %bb.3875:
	s_or_b64 exec, exec, s[8:9]
	s_and_b64 s[4:5], s[4:5], exec
	s_or_saveexec_b64 s[6:7], s[6:7]
	v_mov_b32_e32 v2, s10
	s_xor_b64 exec, exec, s[6:7]
	s_cbranch_execz .LBB6_1826
.LBB6_3876:
	v_mov_b32_e32 v2, 0
	v_cmp_ne_u16_sdwa s[8:9], v7, v2 src0_sel:BYTE_0 src1_sel:DWORD
	s_andn2_b64 s[4:5], s[4:5], exec
	s_and_b64 s[8:9], s[8:9], exec
	s_or_b64 s[4:5], s[4:5], s[8:9]
	s_or_b64 exec, exec, s[6:7]
	s_and_saveexec_b64 s[6:7], s[4:5]
	s_cbranch_execnz .LBB6_1827
	s_branch .LBB6_1828
.LBB6_3877:
	s_movk_i32 s4, 0x80
	v_cmp_eq_u16_sdwa s[12:13], v3, s4 src0_sel:BYTE_0 src1_sel:DWORD
	s_mov_b64 s[4:5], -1
                                        ; implicit-def: $sgpr10
	s_and_saveexec_b64 s[8:9], s[12:13]
; %bb.3878:
	s_mov_b32 s10, 0x7f800001
	s_xor_b64 s[4:5], exec, -1
; %bb.3879:
	s_or_b64 exec, exec, s[8:9]
	s_and_b64 s[4:5], s[4:5], exec
	s_or_saveexec_b64 s[6:7], s[6:7]
	v_mov_b32_e32 v6, s10
	s_xor_b64 exec, exec, s[6:7]
	s_cbranch_execz .LBB6_1830
.LBB6_3880:
	v_mov_b32_e32 v6, 0
	v_cmp_ne_u16_sdwa s[8:9], v3, v6 src0_sel:BYTE_0 src1_sel:DWORD
	s_andn2_b64 s[4:5], s[4:5], exec
	s_and_b64 s[8:9], s[8:9], exec
	s_or_b64 s[4:5], s[4:5], s[8:9]
	s_or_b64 exec, exec, s[6:7]
	s_and_saveexec_b64 s[6:7], s[4:5]
	s_cbranch_execnz .LBB6_1831
	s_branch .LBB6_1832
.LBB6_3881:
	s_movk_i32 s4, 0x80
	v_cmp_eq_u16_sdwa s[12:13], v6, s4 src0_sel:BYTE_0 src1_sel:DWORD
	s_mov_b64 s[4:5], -1
                                        ; implicit-def: $sgpr10
	s_and_saveexec_b64 s[8:9], s[12:13]
; %bb.3882:
	s_mov_b32 s10, 0x7f800001
	s_xor_b64 s[4:5], exec, -1
; %bb.3883:
	s_or_b64 exec, exec, s[8:9]
	s_and_b64 s[4:5], s[4:5], exec
	s_or_saveexec_b64 s[6:7], s[6:7]
	v_mov_b32_e32 v2, s10
	s_xor_b64 exec, exec, s[6:7]
	s_cbranch_execz .LBB6_1834
.LBB6_3884:
	v_mov_b32_e32 v2, 0
	v_cmp_ne_u16_sdwa s[8:9], v6, v2 src0_sel:BYTE_0 src1_sel:DWORD
	s_andn2_b64 s[4:5], s[4:5], exec
	s_and_b64 s[8:9], s[8:9], exec
	s_or_b64 s[4:5], s[4:5], s[8:9]
	s_or_b64 exec, exec, s[6:7]
	s_and_saveexec_b64 s[6:7], s[4:5]
	s_cbranch_execnz .LBB6_1835
	s_branch .LBB6_1836
.LBB6_3885:
	s_movk_i32 s4, 0x80
	v_cmp_eq_u16_sdwa s[12:13], v6, s4 src0_sel:BYTE_0 src1_sel:DWORD
	s_mov_b64 s[4:5], -1
                                        ; implicit-def: $sgpr10
	s_and_saveexec_b64 s[8:9], s[12:13]
; %bb.3886:
	s_mov_b32 s10, 0x7f800001
	s_xor_b64 s[4:5], exec, -1
; %bb.3887:
	s_or_b64 exec, exec, s[8:9]
	s_and_b64 s[4:5], s[4:5], exec
	s_or_saveexec_b64 s[6:7], s[6:7]
	v_mov_b32_e32 v12, s10
	s_xor_b64 exec, exec, s[6:7]
	s_cbranch_execz .LBB6_1838
.LBB6_3888:
	v_mov_b32_e32 v12, 0
	v_cmp_ne_u16_sdwa s[8:9], v6, v12 src0_sel:BYTE_0 src1_sel:DWORD
	s_andn2_b64 s[4:5], s[4:5], exec
	s_and_b64 s[8:9], s[8:9], exec
	s_or_b64 s[4:5], s[4:5], s[8:9]
	s_or_b64 exec, exec, s[6:7]
	s_and_saveexec_b64 s[6:7], s[4:5]
	s_cbranch_execnz .LBB6_1839
	s_branch .LBB6_1840
.LBB6_3889:
	s_movk_i32 s4, 0x80
	v_cmp_eq_u16_e32 vcc, s4, v6
	s_mov_b64 s[4:5], -1
                                        ; implicit-def: $sgpr10
	s_and_saveexec_b64 s[8:9], vcc
; %bb.3890:
	s_mov_b32 s10, 0x7f800001
	s_xor_b64 s[4:5], exec, -1
; %bb.3891:
	s_or_b64 exec, exec, s[8:9]
	s_and_b64 s[4:5], s[4:5], exec
                                        ; implicit-def: $vgpr6
	s_or_saveexec_b64 s[6:7], s[6:7]
	v_mov_b32_e32 v2, s10
	s_xor_b64 exec, exec, s[6:7]
	s_cbranch_execz .LBB6_1842
.LBB6_3892:
	v_cmp_ne_u16_e32 vcc, 0, v6
	s_andn2_b64 s[4:5], s[4:5], exec
	s_and_b64 s[8:9], vcc, exec
	v_mov_b32_e32 v2, 0
	s_or_b64 s[4:5], s[4:5], s[8:9]
	s_or_b64 exec, exec, s[6:7]
	s_and_saveexec_b64 s[6:7], s[4:5]
	s_cbranch_execnz .LBB6_1843
	s_branch .LBB6_1844
.LBB6_3893:
	s_movk_i32 s4, 0x80
	v_cmp_eq_u16_e32 vcc, s4, v6
	s_mov_b64 s[4:5], -1
                                        ; implicit-def: $sgpr10
	s_and_saveexec_b64 s[8:9], vcc
; %bb.3894:
	s_mov_b32 s10, 0x7f800001
	s_xor_b64 s[4:5], exec, -1
; %bb.3895:
	s_or_b64 exec, exec, s[8:9]
	s_and_b64 s[4:5], s[4:5], exec
                                        ; implicit-def: $vgpr6
	s_or_saveexec_b64 s[6:7], s[6:7]
	v_mov_b32_e32 v12, s10
	s_xor_b64 exec, exec, s[6:7]
	s_cbranch_execz .LBB6_1846
.LBB6_3896:
	v_cmp_ne_u16_e32 vcc, 0, v6
	s_andn2_b64 s[4:5], s[4:5], exec
	s_and_b64 s[8:9], vcc, exec
	v_mov_b32_e32 v12, 0
	s_or_b64 s[4:5], s[4:5], s[8:9]
	s_or_b64 exec, exec, s[6:7]
	s_and_saveexec_b64 s[6:7], s[4:5]
	s_cbranch_execnz .LBB6_1847
	s_branch .LBB6_1848
.LBB6_3897:
	s_movk_i32 s4, 0x80
	v_cmp_eq_u16_sdwa s[12:13], v7, s4 src0_sel:BYTE_3 src1_sel:DWORD
	s_mov_b64 s[4:5], -1
                                        ; implicit-def: $sgpr10
	s_and_saveexec_b64 s[8:9], s[12:13]
; %bb.3898:
	s_mov_b32 s10, 0x7f800001
	s_xor_b64 s[4:5], exec, -1
; %bb.3899:
	s_or_b64 exec, exec, s[8:9]
	s_and_b64 s[4:5], s[4:5], exec
	s_or_saveexec_b64 s[6:7], s[6:7]
	v_mov_b32_e32 v2, s10
	s_xor_b64 exec, exec, s[6:7]
	s_cbranch_execz .LBB6_1850
.LBB6_3900:
	v_mov_b32_e32 v2, 0
	v_cmp_ne_u16_sdwa s[8:9], v7, v2 src0_sel:BYTE_3 src1_sel:DWORD
	s_andn2_b64 s[4:5], s[4:5], exec
	s_and_b64 s[8:9], s[8:9], exec
	s_or_b64 s[4:5], s[4:5], s[8:9]
	s_or_b64 exec, exec, s[6:7]
	s_and_saveexec_b64 s[6:7], s[4:5]
	s_cbranch_execnz .LBB6_1851
	s_branch .LBB6_1852
.LBB6_3901:
	s_movk_i32 s4, 0x80
	v_cmp_eq_u16_sdwa s[12:13], v3, s4 src0_sel:BYTE_3 src1_sel:DWORD
	s_mov_b64 s[4:5], -1
                                        ; implicit-def: $sgpr10
	s_and_saveexec_b64 s[8:9], s[12:13]
; %bb.3902:
	s_mov_b32 s10, 0x7f800001
	s_xor_b64 s[4:5], exec, -1
; %bb.3903:
	s_or_b64 exec, exec, s[8:9]
	s_and_b64 s[4:5], s[4:5], exec
	s_or_saveexec_b64 s[6:7], s[6:7]
	v_mov_b32_e32 v6, s10
	s_xor_b64 exec, exec, s[6:7]
	s_cbranch_execz .LBB6_1854
.LBB6_3904:
	v_mov_b32_e32 v6, 0
	v_cmp_ne_u16_sdwa s[8:9], v3, v6 src0_sel:BYTE_3 src1_sel:DWORD
	s_andn2_b64 s[4:5], s[4:5], exec
	s_and_b64 s[8:9], s[8:9], exec
	s_or_b64 s[4:5], s[4:5], s[8:9]
	s_or_b64 exec, exec, s[6:7]
	s_and_saveexec_b64 s[6:7], s[4:5]
	s_cbranch_execnz .LBB6_1855
	s_branch .LBB6_1856
.LBB6_3905:
	s_movk_i32 s4, 0x80
	v_cmp_eq_u16_sdwa s[12:13], v8, s4 src0_sel:BYTE_0 src1_sel:DWORD
	s_mov_b64 s[4:5], -1
                                        ; implicit-def: $sgpr10
	s_and_saveexec_b64 s[8:9], s[12:13]
; %bb.3906:
	s_mov_b32 s10, 0x7f800001
	s_xor_b64 s[4:5], exec, -1
; %bb.3907:
	s_or_b64 exec, exec, s[8:9]
	s_and_b64 s[4:5], s[4:5], exec
	s_or_saveexec_b64 s[6:7], s[6:7]
	v_mov_b32_e32 v2, s10
	s_xor_b64 exec, exec, s[6:7]
	s_cbranch_execz .LBB6_1858
.LBB6_3908:
	v_mov_b32_e32 v2, 0
	v_cmp_ne_u16_sdwa s[8:9], v8, v2 src0_sel:BYTE_0 src1_sel:DWORD
	s_andn2_b64 s[4:5], s[4:5], exec
	s_and_b64 s[8:9], s[8:9], exec
	s_or_b64 s[4:5], s[4:5], s[8:9]
	s_or_b64 exec, exec, s[6:7]
	s_and_saveexec_b64 s[6:7], s[4:5]
	s_cbranch_execnz .LBB6_1859
	s_branch .LBB6_1860
.LBB6_3909:
	s_movk_i32 s4, 0x80
	v_cmp_eq_u16_sdwa s[12:13], v4, s4 src0_sel:BYTE_0 src1_sel:DWORD
	s_mov_b64 s[4:5], -1
                                        ; implicit-def: $sgpr10
	s_and_saveexec_b64 s[8:9], s[12:13]
; %bb.3910:
	s_mov_b32 s10, 0x7f800001
	s_xor_b64 s[4:5], exec, -1
; %bb.3911:
	s_or_b64 exec, exec, s[8:9]
	s_and_b64 s[4:5], s[4:5], exec
	s_or_saveexec_b64 s[6:7], s[6:7]
	v_mov_b32_e32 v3, s10
	s_xor_b64 exec, exec, s[6:7]
	s_cbranch_execz .LBB6_1862
.LBB6_3912:
	v_mov_b32_e32 v3, 0
	v_cmp_ne_u16_sdwa s[8:9], v4, v3 src0_sel:BYTE_0 src1_sel:DWORD
	s_andn2_b64 s[4:5], s[4:5], exec
	s_and_b64 s[8:9], s[8:9], exec
	s_or_b64 s[4:5], s[4:5], s[8:9]
	s_or_b64 exec, exec, s[6:7]
	s_and_saveexec_b64 s[6:7], s[4:5]
	s_cbranch_execnz .LBB6_1863
	s_branch .LBB6_1864
.LBB6_3913:
	s_movk_i32 s4, 0x80
	v_cmp_eq_u16_sdwa s[12:13], v3, s4 src0_sel:BYTE_0 src1_sel:DWORD
	s_mov_b64 s[4:5], -1
                                        ; implicit-def: $sgpr10
	s_and_saveexec_b64 s[8:9], s[12:13]
; %bb.3914:
	s_mov_b32 s10, 0x7f800001
	s_xor_b64 s[4:5], exec, -1
; %bb.3915:
	s_or_b64 exec, exec, s[8:9]
	s_and_b64 s[4:5], s[4:5], exec
	s_or_saveexec_b64 s[6:7], s[6:7]
	v_mov_b32_e32 v2, s10
	s_xor_b64 exec, exec, s[6:7]
	s_cbranch_execz .LBB6_1866
.LBB6_3916:
	v_mov_b32_e32 v2, 0
	v_cmp_ne_u16_sdwa s[8:9], v3, v2 src0_sel:BYTE_0 src1_sel:DWORD
	s_andn2_b64 s[4:5], s[4:5], exec
	s_and_b64 s[8:9], s[8:9], exec
	s_or_b64 s[4:5], s[4:5], s[8:9]
	s_or_b64 exec, exec, s[6:7]
	s_and_saveexec_b64 s[6:7], s[4:5]
	s_cbranch_execnz .LBB6_1867
	s_branch .LBB6_1868
.LBB6_3917:
	s_movk_i32 s4, 0x80
	v_cmp_eq_u16_sdwa s[12:13], v3, s4 src0_sel:BYTE_0 src1_sel:DWORD
	s_mov_b64 s[4:5], -1
                                        ; implicit-def: $sgpr10
	s_and_saveexec_b64 s[8:9], s[12:13]
; %bb.3918:
	s_mov_b32 s10, 0x7f800001
	s_xor_b64 s[4:5], exec, -1
; %bb.3919:
	s_or_b64 exec, exec, s[8:9]
	s_and_b64 s[4:5], s[4:5], exec
	s_or_saveexec_b64 s[6:7], s[6:7]
	v_mov_b32_e32 v6, s10
	s_xor_b64 exec, exec, s[6:7]
	s_cbranch_execz .LBB6_1870
.LBB6_3920:
	v_mov_b32_e32 v6, 0
	v_cmp_ne_u16_sdwa s[8:9], v3, v6 src0_sel:BYTE_0 src1_sel:DWORD
	s_andn2_b64 s[4:5], s[4:5], exec
	s_and_b64 s[8:9], s[8:9], exec
	s_or_b64 s[4:5], s[4:5], s[8:9]
	s_or_b64 exec, exec, s[6:7]
	s_and_saveexec_b64 s[6:7], s[4:5]
	s_cbranch_execnz .LBB6_1871
	s_branch .LBB6_1872
.LBB6_3921:
	s_movk_i32 s4, 0x80
	v_cmp_eq_u16_e32 vcc, s4, v3
	s_mov_b64 s[4:5], -1
                                        ; implicit-def: $sgpr10
	s_and_saveexec_b64 s[8:9], vcc
; %bb.3922:
	s_mov_b32 s10, 0x7f800001
	s_xor_b64 s[4:5], exec, -1
; %bb.3923:
	s_or_b64 exec, exec, s[8:9]
	s_and_b64 s[4:5], s[4:5], exec
                                        ; implicit-def: $vgpr3
	s_or_saveexec_b64 s[6:7], s[6:7]
	v_mov_b32_e32 v2, s10
	s_xor_b64 exec, exec, s[6:7]
	s_cbranch_execz .LBB6_1874
.LBB6_3924:
	v_cmp_ne_u16_e32 vcc, 0, v3
	s_andn2_b64 s[4:5], s[4:5], exec
	s_and_b64 s[8:9], vcc, exec
	v_mov_b32_e32 v2, 0
	s_or_b64 s[4:5], s[4:5], s[8:9]
	s_or_b64 exec, exec, s[6:7]
	s_and_saveexec_b64 s[6:7], s[4:5]
	s_cbranch_execnz .LBB6_1875
	s_branch .LBB6_1876
.LBB6_3925:
	s_movk_i32 s4, 0x80
	v_cmp_eq_u16_e32 vcc, s4, v3
	s_mov_b64 s[4:5], -1
                                        ; implicit-def: $sgpr10
	s_and_saveexec_b64 s[8:9], vcc
; %bb.3926:
	s_mov_b32 s10, 0x7f800001
	s_xor_b64 s[4:5], exec, -1
; %bb.3927:
	s_or_b64 exec, exec, s[8:9]
	s_and_b64 s[4:5], s[4:5], exec
                                        ; implicit-def: $vgpr3
	s_or_saveexec_b64 s[6:7], s[6:7]
	v_mov_b32_e32 v6, s10
	s_xor_b64 exec, exec, s[6:7]
	s_cbranch_execz .LBB6_1878
.LBB6_3928:
	v_cmp_ne_u16_e32 vcc, 0, v3
	s_andn2_b64 s[4:5], s[4:5], exec
	s_and_b64 s[8:9], vcc, exec
	v_mov_b32_e32 v6, 0
	s_or_b64 s[4:5], s[4:5], s[8:9]
	s_or_b64 exec, exec, s[6:7]
	s_and_saveexec_b64 s[6:7], s[4:5]
	s_cbranch_execnz .LBB6_1879
	s_branch .LBB6_1880
.LBB6_3929:
	s_movk_i32 s4, 0x80
	v_cmp_eq_u16_sdwa s[12:13], v8, s4 src0_sel:BYTE_3 src1_sel:DWORD
	s_mov_b64 s[4:5], -1
                                        ; implicit-def: $sgpr10
	s_and_saveexec_b64 s[8:9], s[12:13]
; %bb.3930:
	s_mov_b32 s10, 0x7f800001
	s_xor_b64 s[4:5], exec, -1
; %bb.3931:
	s_or_b64 exec, exec, s[8:9]
	s_and_b64 s[4:5], s[4:5], exec
	s_or_saveexec_b64 s[6:7], s[6:7]
	v_mov_b32_e32 v2, s10
	s_xor_b64 exec, exec, s[6:7]
	s_cbranch_execz .LBB6_1882
.LBB6_3932:
	v_mov_b32_e32 v2, 0
	v_cmp_ne_u16_sdwa s[8:9], v8, v2 src0_sel:BYTE_3 src1_sel:DWORD
	s_andn2_b64 s[4:5], s[4:5], exec
	s_and_b64 s[8:9], s[8:9], exec
	s_or_b64 s[4:5], s[4:5], s[8:9]
	s_or_b64 exec, exec, s[6:7]
	s_and_saveexec_b64 s[6:7], s[4:5]
	s_cbranch_execnz .LBB6_1883
	s_branch .LBB6_1884
.LBB6_3933:
	s_movk_i32 s4, 0x80
	v_cmp_eq_u16_sdwa s[12:13], v4, s4 src0_sel:BYTE_3 src1_sel:DWORD
	s_mov_b64 s[4:5], -1
                                        ; implicit-def: $sgpr10
	s_and_saveexec_b64 s[8:9], s[12:13]
; %bb.3934:
	s_mov_b32 s10, 0x7f800001
	s_xor_b64 s[4:5], exec, -1
; %bb.3935:
	s_or_b64 exec, exec, s[8:9]
	s_and_b64 s[4:5], s[4:5], exec
	s_or_saveexec_b64 s[6:7], s[6:7]
	v_mov_b32_e32 v3, s10
	s_xor_b64 exec, exec, s[6:7]
	s_cbranch_execz .LBB6_1886
.LBB6_3936:
	v_mov_b32_e32 v3, 0
	v_cmp_ne_u16_sdwa s[8:9], v4, v3 src0_sel:BYTE_3 src1_sel:DWORD
	s_andn2_b64 s[4:5], s[4:5], exec
	s_and_b64 s[8:9], s[8:9], exec
	s_or_b64 s[4:5], s[4:5], s[8:9]
	s_or_b64 exec, exec, s[6:7]
	s_and_saveexec_b64 s[6:7], s[4:5]
	s_cbranch_execnz .LBB6_1887
	s_branch .LBB6_1888
.LBB6_3937:
	s_movk_i32 s4, 0x80
	v_cmp_eq_u16_sdwa s[12:13], v9, s4 src0_sel:BYTE_0 src1_sel:DWORD
	s_mov_b64 s[4:5], -1
                                        ; implicit-def: $sgpr10
	s_and_saveexec_b64 s[8:9], s[12:13]
; %bb.3938:
	s_mov_b32 s10, 0x7f800001
	s_xor_b64 s[4:5], exec, -1
; %bb.3939:
	s_or_b64 exec, exec, s[8:9]
	s_and_b64 s[4:5], s[4:5], exec
	s_or_saveexec_b64 s[6:7], s[6:7]
	v_mov_b32_e32 v2, s10
	s_xor_b64 exec, exec, s[6:7]
	s_cbranch_execz .LBB6_1890
.LBB6_3940:
	v_mov_b32_e32 v2, 0
	v_cmp_ne_u16_sdwa s[8:9], v9, v2 src0_sel:BYTE_0 src1_sel:DWORD
	s_andn2_b64 s[4:5], s[4:5], exec
	s_and_b64 s[8:9], s[8:9], exec
	s_or_b64 s[4:5], s[4:5], s[8:9]
	s_or_b64 exec, exec, s[6:7]
	s_and_saveexec_b64 s[6:7], s[4:5]
	s_cbranch_execnz .LBB6_1891
	s_branch .LBB6_1892
.LBB6_3941:
	s_movk_i32 s4, 0x80
	v_cmp_eq_u16_sdwa s[12:13], v5, s4 src0_sel:BYTE_0 src1_sel:DWORD
	s_mov_b64 s[4:5], -1
                                        ; implicit-def: $sgpr10
	s_and_saveexec_b64 s[8:9], s[12:13]
; %bb.3942:
	s_mov_b32 s10, 0x7f800001
	s_xor_b64 s[4:5], exec, -1
; %bb.3943:
	s_or_b64 exec, exec, s[8:9]
	s_and_b64 s[4:5], s[4:5], exec
	s_or_saveexec_b64 s[6:7], s[6:7]
	v_mov_b32_e32 v3, s10
	s_xor_b64 exec, exec, s[6:7]
	s_cbranch_execz .LBB6_1894
.LBB6_3944:
	v_mov_b32_e32 v3, 0
	v_cmp_ne_u16_sdwa s[8:9], v5, v3 src0_sel:BYTE_0 src1_sel:DWORD
	s_andn2_b64 s[4:5], s[4:5], exec
	s_and_b64 s[8:9], s[8:9], exec
	s_or_b64 s[4:5], s[4:5], s[8:9]
	s_or_b64 exec, exec, s[6:7]
	s_and_saveexec_b64 s[6:7], s[4:5]
	s_cbranch_execnz .LBB6_1895
	s_branch .LBB6_1896
.LBB6_3945:
	s_movk_i32 s4, 0x80
	v_cmp_eq_u16_sdwa s[12:13], v3, s4 src0_sel:BYTE_0 src1_sel:DWORD
	s_mov_b64 s[4:5], -1
                                        ; implicit-def: $sgpr10
	s_and_saveexec_b64 s[8:9], s[12:13]
; %bb.3946:
	s_mov_b32 s10, 0x7f800001
	s_xor_b64 s[4:5], exec, -1
; %bb.3947:
	s_or_b64 exec, exec, s[8:9]
	s_and_b64 s[4:5], s[4:5], exec
	s_or_saveexec_b64 s[6:7], s[6:7]
	v_mov_b32_e32 v2, s10
	s_xor_b64 exec, exec, s[6:7]
	s_cbranch_execz .LBB6_1898
.LBB6_3948:
	v_mov_b32_e32 v2, 0
	v_cmp_ne_u16_sdwa s[8:9], v3, v2 src0_sel:BYTE_0 src1_sel:DWORD
	s_andn2_b64 s[4:5], s[4:5], exec
	s_and_b64 s[8:9], s[8:9], exec
	s_or_b64 s[4:5], s[4:5], s[8:9]
	s_or_b64 exec, exec, s[6:7]
	s_and_saveexec_b64 s[6:7], s[4:5]
	s_cbranch_execnz .LBB6_1899
	s_branch .LBB6_1900
.LBB6_3949:
	s_movk_i32 s4, 0x80
	v_cmp_eq_u16_sdwa s[12:13], v3, s4 src0_sel:BYTE_0 src1_sel:DWORD
	s_mov_b64 s[4:5], -1
                                        ; implicit-def: $sgpr10
	s_and_saveexec_b64 s[8:9], s[12:13]
; %bb.3950:
	s_mov_b32 s10, 0x7f800001
	s_xor_b64 s[4:5], exec, -1
; %bb.3951:
	s_or_b64 exec, exec, s[8:9]
	s_and_b64 s[4:5], s[4:5], exec
	s_or_saveexec_b64 s[6:7], s[6:7]
	v_mov_b32_e32 v4, s10
	s_xor_b64 exec, exec, s[6:7]
	s_cbranch_execz .LBB6_1902
.LBB6_3952:
	v_mov_b32_e32 v4, 0
	v_cmp_ne_u16_sdwa s[8:9], v3, v4 src0_sel:BYTE_0 src1_sel:DWORD
	s_andn2_b64 s[4:5], s[4:5], exec
	s_and_b64 s[8:9], s[8:9], exec
	s_or_b64 s[4:5], s[4:5], s[8:9]
	s_or_b64 exec, exec, s[6:7]
	s_and_saveexec_b64 s[6:7], s[4:5]
	s_cbranch_execnz .LBB6_1903
	s_branch .LBB6_1904
.LBB6_3953:
	s_movk_i32 s4, 0x80
	v_cmp_eq_u16_e32 vcc, s4, v3
	s_mov_b64 s[4:5], -1
                                        ; implicit-def: $sgpr10
	s_and_saveexec_b64 s[8:9], vcc
; %bb.3954:
	s_mov_b32 s10, 0x7f800001
	s_xor_b64 s[4:5], exec, -1
; %bb.3955:
	s_or_b64 exec, exec, s[8:9]
	s_and_b64 s[4:5], s[4:5], exec
                                        ; implicit-def: $vgpr3
	s_or_saveexec_b64 s[6:7], s[6:7]
	v_mov_b32_e32 v2, s10
	s_xor_b64 exec, exec, s[6:7]
	s_cbranch_execz .LBB6_1906
.LBB6_3956:
	v_cmp_ne_u16_e32 vcc, 0, v3
	s_andn2_b64 s[4:5], s[4:5], exec
	s_and_b64 s[8:9], vcc, exec
	v_mov_b32_e32 v2, 0
	s_or_b64 s[4:5], s[4:5], s[8:9]
	s_or_b64 exec, exec, s[6:7]
	s_and_saveexec_b64 s[6:7], s[4:5]
	s_cbranch_execnz .LBB6_1907
	s_branch .LBB6_1908
.LBB6_3957:
	s_movk_i32 s4, 0x80
	v_cmp_eq_u16_e32 vcc, s4, v3
	s_mov_b64 s[4:5], -1
                                        ; implicit-def: $sgpr10
	s_and_saveexec_b64 s[8:9], vcc
; %bb.3958:
	s_mov_b32 s10, 0x7f800001
	s_xor_b64 s[4:5], exec, -1
; %bb.3959:
	s_or_b64 exec, exec, s[8:9]
	s_and_b64 s[4:5], s[4:5], exec
                                        ; implicit-def: $vgpr3
	s_or_saveexec_b64 s[6:7], s[6:7]
	v_mov_b32_e32 v4, s10
	s_xor_b64 exec, exec, s[6:7]
	s_cbranch_execz .LBB6_1910
.LBB6_3960:
	v_cmp_ne_u16_e32 vcc, 0, v3
	s_andn2_b64 s[4:5], s[4:5], exec
	s_and_b64 s[8:9], vcc, exec
	v_mov_b32_e32 v4, 0
	s_or_b64 s[4:5], s[4:5], s[8:9]
	s_or_b64 exec, exec, s[6:7]
	s_and_saveexec_b64 s[6:7], s[4:5]
	s_cbranch_execnz .LBB6_1911
	s_branch .LBB6_1912
.LBB6_3961:
	s_movk_i32 s4, 0x80
	v_cmp_eq_u16_sdwa s[12:13], v9, s4 src0_sel:BYTE_3 src1_sel:DWORD
	s_mov_b64 s[4:5], -1
                                        ; implicit-def: $sgpr10
	s_and_saveexec_b64 s[8:9], s[12:13]
; %bb.3962:
	s_mov_b32 s10, 0x7f800001
	s_xor_b64 s[4:5], exec, -1
; %bb.3963:
	s_or_b64 exec, exec, s[8:9]
	s_and_b64 s[4:5], s[4:5], exec
	s_or_saveexec_b64 s[6:7], s[6:7]
	v_mov_b32_e32 v2, s10
	s_xor_b64 exec, exec, s[6:7]
	s_cbranch_execz .LBB6_1914
.LBB6_3964:
	v_mov_b32_e32 v2, 0
	v_cmp_ne_u16_sdwa s[8:9], v9, v2 src0_sel:BYTE_3 src1_sel:DWORD
	s_andn2_b64 s[4:5], s[4:5], exec
	s_and_b64 s[8:9], s[8:9], exec
	s_or_b64 s[4:5], s[4:5], s[8:9]
	s_or_b64 exec, exec, s[6:7]
	s_and_saveexec_b64 s[6:7], s[4:5]
	s_cbranch_execnz .LBB6_1915
	s_branch .LBB6_1916
.LBB6_3965:
	s_movk_i32 s4, 0x80
	v_cmp_eq_u16_sdwa s[12:13], v5, s4 src0_sel:BYTE_3 src1_sel:DWORD
	s_mov_b64 s[4:5], -1
                                        ; implicit-def: $sgpr10
	s_and_saveexec_b64 s[8:9], s[12:13]
; %bb.3966:
	s_mov_b32 s10, 0x7f800001
	s_xor_b64 s[4:5], exec, -1
; %bb.3967:
	s_or_b64 exec, exec, s[8:9]
	s_and_b64 s[4:5], s[4:5], exec
	s_or_saveexec_b64 s[6:7], s[6:7]
	v_mov_b32_e32 v3, s10
	s_xor_b64 exec, exec, s[6:7]
	s_cbranch_execz .LBB6_1918
.LBB6_3968:
	v_mov_b32_e32 v3, 0
	v_cmp_ne_u16_sdwa s[8:9], v5, v3 src0_sel:BYTE_3 src1_sel:DWORD
	s_andn2_b64 s[4:5], s[4:5], exec
	s_and_b64 s[8:9], s[8:9], exec
	s_or_b64 s[4:5], s[4:5], s[8:9]
	s_or_b64 exec, exec, s[6:7]
	s_and_saveexec_b64 s[6:7], s[4:5]
	s_cbranch_execnz .LBB6_1919
	s_branch .LBB6_1920
.LBB6_3969:
	s_movk_i32 s4, 0x80
	v_cmp_eq_u16_sdwa s[12:13], v6, s4 src0_sel:BYTE_0 src1_sel:DWORD
	s_mov_b64 s[4:5], -1
                                        ; implicit-def: $sgpr10
	s_and_saveexec_b64 s[8:9], s[12:13]
; %bb.3970:
	s_mov_b32 s10, 0x7f800001
	s_xor_b64 s[4:5], exec, -1
; %bb.3971:
	s_or_b64 exec, exec, s[8:9]
	s_and_b64 s[4:5], s[4:5], exec
	s_or_saveexec_b64 s[6:7], s[6:7]
	v_mov_b32_e32 v10, s10
	s_xor_b64 exec, exec, s[6:7]
	s_cbranch_execz .LBB6_1922
.LBB6_3972:
	v_mov_b32_e32 v10, 0
	v_cmp_ne_u16_sdwa s[8:9], v6, v10 src0_sel:BYTE_0 src1_sel:DWORD
	s_andn2_b64 s[4:5], s[4:5], exec
	s_and_b64 s[8:9], s[8:9], exec
	s_or_b64 s[4:5], s[4:5], s[8:9]
	s_or_b64 exec, exec, s[6:7]
	s_and_saveexec_b64 s[6:7], s[4:5]
	s_cbranch_execnz .LBB6_1923
	s_branch .LBB6_1924
.LBB6_3973:
	s_movk_i32 s4, 0x80
	v_cmp_eq_u16_sdwa s[12:13], v2, s4 src0_sel:BYTE_0 src1_sel:DWORD
	s_mov_b64 s[4:5], -1
                                        ; implicit-def: $sgpr10
	s_and_saveexec_b64 s[8:9], s[12:13]
; %bb.3974:
	s_mov_b32 s10, 0x7f800001
	s_xor_b64 s[4:5], exec, -1
; %bb.3975:
	s_or_b64 exec, exec, s[8:9]
	s_and_b64 s[4:5], s[4:5], exec
	s_or_saveexec_b64 s[6:7], s[6:7]
	v_mov_b32_e32 v11, s10
	s_xor_b64 exec, exec, s[6:7]
	s_cbranch_execz .LBB6_1926
.LBB6_3976:
	v_mov_b32_e32 v11, 0
	v_cmp_ne_u16_sdwa s[8:9], v2, v11 src0_sel:BYTE_0 src1_sel:DWORD
	s_andn2_b64 s[4:5], s[4:5], exec
	s_and_b64 s[8:9], s[8:9], exec
	s_or_b64 s[4:5], s[4:5], s[8:9]
	s_or_b64 exec, exec, s[6:7]
	s_and_saveexec_b64 s[6:7], s[4:5]
	s_cbranch_execnz .LBB6_1927
	s_branch .LBB6_1928
.LBB6_3977:
	s_movk_i32 s4, 0x80
	v_cmp_eq_u16_sdwa s[12:13], v11, s4 src0_sel:BYTE_0 src1_sel:DWORD
	s_mov_b64 s[4:5], -1
                                        ; implicit-def: $sgpr10
	s_and_saveexec_b64 s[8:9], s[12:13]
; %bb.3978:
	s_mov_b32 s10, 0x7f800001
	s_xor_b64 s[4:5], exec, -1
; %bb.3979:
	s_or_b64 exec, exec, s[8:9]
	s_and_b64 s[4:5], s[4:5], exec
	s_or_saveexec_b64 s[6:7], s[6:7]
	v_mov_b32_e32 v10, s10
	s_xor_b64 exec, exec, s[6:7]
	s_cbranch_execz .LBB6_1930
.LBB6_3980:
	v_mov_b32_e32 v10, 0
	v_cmp_ne_u16_sdwa s[8:9], v11, v10 src0_sel:BYTE_0 src1_sel:DWORD
	s_andn2_b64 s[4:5], s[4:5], exec
	s_and_b64 s[8:9], s[8:9], exec
	s_or_b64 s[4:5], s[4:5], s[8:9]
	s_or_b64 exec, exec, s[6:7]
	s_and_saveexec_b64 s[6:7], s[4:5]
	s_cbranch_execnz .LBB6_1931
	s_branch .LBB6_1932
.LBB6_3981:
	s_movk_i32 s4, 0x80
	v_cmp_eq_u16_sdwa s[12:13], v11, s4 src0_sel:BYTE_0 src1_sel:DWORD
	s_mov_b64 s[4:5], -1
                                        ; implicit-def: $sgpr10
	s_and_saveexec_b64 s[8:9], s[12:13]
; %bb.3982:
	s_mov_b32 s10, 0x7f800001
	s_xor_b64 s[4:5], exec, -1
; %bb.3983:
	s_or_b64 exec, exec, s[8:9]
	s_and_b64 s[4:5], s[4:5], exec
	s_or_saveexec_b64 s[6:7], s[6:7]
	v_mov_b32_e32 v12, s10
	s_xor_b64 exec, exec, s[6:7]
	s_cbranch_execz .LBB6_1934
.LBB6_3984:
	v_mov_b32_e32 v12, 0
	v_cmp_ne_u16_sdwa s[8:9], v11, v12 src0_sel:BYTE_0 src1_sel:DWORD
	s_andn2_b64 s[4:5], s[4:5], exec
	s_and_b64 s[8:9], s[8:9], exec
	s_or_b64 s[4:5], s[4:5], s[8:9]
	s_or_b64 exec, exec, s[6:7]
	s_and_saveexec_b64 s[6:7], s[4:5]
	s_cbranch_execnz .LBB6_1935
	s_branch .LBB6_1936
.LBB6_3985:
	s_movk_i32 s4, 0x80
	v_cmp_eq_u16_e32 vcc, s4, v11
	s_mov_b64 s[4:5], -1
                                        ; implicit-def: $sgpr10
	s_and_saveexec_b64 s[8:9], vcc
; %bb.3986:
	s_mov_b32 s10, 0x7f800001
	s_xor_b64 s[4:5], exec, -1
; %bb.3987:
	s_or_b64 exec, exec, s[8:9]
	s_and_b64 s[4:5], s[4:5], exec
                                        ; implicit-def: $vgpr11
	s_or_saveexec_b64 s[6:7], s[6:7]
	v_mov_b32_e32 v10, s10
	s_xor_b64 exec, exec, s[6:7]
	s_cbranch_execz .LBB6_1938
.LBB6_3988:
	v_cmp_ne_u16_e32 vcc, 0, v11
	s_andn2_b64 s[4:5], s[4:5], exec
	s_and_b64 s[8:9], vcc, exec
	v_mov_b32_e32 v10, 0
	s_or_b64 s[4:5], s[4:5], s[8:9]
	s_or_b64 exec, exec, s[6:7]
	s_and_saveexec_b64 s[6:7], s[4:5]
	s_cbranch_execnz .LBB6_1939
	s_branch .LBB6_1940
.LBB6_3989:
	s_movk_i32 s4, 0x80
	v_cmp_eq_u16_e32 vcc, s4, v11
	s_mov_b64 s[4:5], -1
                                        ; implicit-def: $sgpr10
	s_and_saveexec_b64 s[8:9], vcc
; %bb.3990:
	s_mov_b32 s10, 0x7f800001
	s_xor_b64 s[4:5], exec, -1
; %bb.3991:
	s_or_b64 exec, exec, s[8:9]
	s_and_b64 s[4:5], s[4:5], exec
                                        ; implicit-def: $vgpr11
	s_or_saveexec_b64 s[6:7], s[6:7]
	v_mov_b32_e32 v12, s10
	s_xor_b64 exec, exec, s[6:7]
	s_cbranch_execz .LBB6_1942
.LBB6_3992:
	v_cmp_ne_u16_e32 vcc, 0, v11
	s_andn2_b64 s[4:5], s[4:5], exec
	s_and_b64 s[8:9], vcc, exec
	v_mov_b32_e32 v12, 0
	s_or_b64 s[4:5], s[4:5], s[8:9]
	s_or_b64 exec, exec, s[6:7]
	s_and_saveexec_b64 s[6:7], s[4:5]
	s_cbranch_execnz .LBB6_1943
	s_branch .LBB6_1944
.LBB6_3993:
	s_movk_i32 s4, 0x80
	v_cmp_eq_u16_sdwa s[12:13], v6, s4 src0_sel:BYTE_3 src1_sel:DWORD
	s_mov_b64 s[4:5], -1
                                        ; implicit-def: $sgpr10
	s_and_saveexec_b64 s[8:9], s[12:13]
; %bb.3994:
	s_mov_b32 s10, 0x7f800001
	s_xor_b64 s[4:5], exec, -1
; %bb.3995:
	s_or_b64 exec, exec, s[8:9]
	s_and_b64 s[4:5], s[4:5], exec
	s_or_saveexec_b64 s[6:7], s[6:7]
	v_mov_b32_e32 v10, s10
	s_xor_b64 exec, exec, s[6:7]
	s_cbranch_execz .LBB6_1946
.LBB6_3996:
	v_mov_b32_e32 v10, 0
	v_cmp_ne_u16_sdwa s[8:9], v6, v10 src0_sel:BYTE_3 src1_sel:DWORD
	s_andn2_b64 s[4:5], s[4:5], exec
	s_and_b64 s[8:9], s[8:9], exec
	s_or_b64 s[4:5], s[4:5], s[8:9]
	s_or_b64 exec, exec, s[6:7]
	s_and_saveexec_b64 s[6:7], s[4:5]
	s_cbranch_execnz .LBB6_1947
	s_branch .LBB6_1948
.LBB6_3997:
	s_movk_i32 s4, 0x80
	v_cmp_eq_u16_sdwa s[12:13], v2, s4 src0_sel:BYTE_3 src1_sel:DWORD
	s_mov_b64 s[4:5], -1
                                        ; implicit-def: $sgpr10
	s_and_saveexec_b64 s[8:9], s[12:13]
; %bb.3998:
	s_mov_b32 s10, 0x7f800001
	s_xor_b64 s[4:5], exec, -1
; %bb.3999:
	s_or_b64 exec, exec, s[8:9]
	s_and_b64 s[4:5], s[4:5], exec
	s_or_saveexec_b64 s[6:7], s[6:7]
	v_mov_b32_e32 v6, s10
	s_xor_b64 exec, exec, s[6:7]
	s_cbranch_execz .LBB6_1950
.LBB6_4000:
	v_mov_b32_e32 v6, 0
	v_cmp_ne_u16_sdwa s[8:9], v2, v6 src0_sel:BYTE_3 src1_sel:DWORD
	s_andn2_b64 s[4:5], s[4:5], exec
	s_and_b64 s[8:9], s[8:9], exec
	s_or_b64 s[4:5], s[4:5], s[8:9]
	s_or_b64 exec, exec, s[6:7]
	s_and_saveexec_b64 s[6:7], s[4:5]
	s_cbranch_execnz .LBB6_1951
	s_branch .LBB6_1952
.LBB6_4001:
	s_movk_i32 s4, 0x80
	v_cmp_eq_u16_sdwa s[12:13], v7, s4 src0_sel:BYTE_0 src1_sel:DWORD
	s_mov_b64 s[4:5], -1
                                        ; implicit-def: $sgpr10
	s_and_saveexec_b64 s[8:9], s[12:13]
; %bb.4002:
	s_mov_b32 s10, 0x7f800001
	s_xor_b64 s[4:5], exec, -1
; %bb.4003:
	s_or_b64 exec, exec, s[8:9]
	s_and_b64 s[4:5], s[4:5], exec
	s_or_saveexec_b64 s[6:7], s[6:7]
	v_mov_b32_e32 v2, s10
	s_xor_b64 exec, exec, s[6:7]
	s_cbranch_execz .LBB6_1954
.LBB6_4004:
	v_mov_b32_e32 v2, 0
	v_cmp_ne_u16_sdwa s[8:9], v7, v2 src0_sel:BYTE_0 src1_sel:DWORD
	s_andn2_b64 s[4:5], s[4:5], exec
	s_and_b64 s[8:9], s[8:9], exec
	s_or_b64 s[4:5], s[4:5], s[8:9]
	s_or_b64 exec, exec, s[6:7]
	s_and_saveexec_b64 s[6:7], s[4:5]
	s_cbranch_execnz .LBB6_1955
	s_branch .LBB6_1956
.LBB6_4005:
	s_movk_i32 s4, 0x80
	v_cmp_eq_u16_sdwa s[12:13], v3, s4 src0_sel:BYTE_0 src1_sel:DWORD
	s_mov_b64 s[4:5], -1
                                        ; implicit-def: $sgpr10
	s_and_saveexec_b64 s[8:9], s[12:13]
; %bb.4006:
	s_mov_b32 s10, 0x7f800001
	s_xor_b64 s[4:5], exec, -1
; %bb.4007:
	s_or_b64 exec, exec, s[8:9]
	s_and_b64 s[4:5], s[4:5], exec
	s_or_saveexec_b64 s[6:7], s[6:7]
	v_mov_b32_e32 v6, s10
	s_xor_b64 exec, exec, s[6:7]
	s_cbranch_execz .LBB6_1958
.LBB6_4008:
	v_mov_b32_e32 v6, 0
	v_cmp_ne_u16_sdwa s[8:9], v3, v6 src0_sel:BYTE_0 src1_sel:DWORD
	s_andn2_b64 s[4:5], s[4:5], exec
	s_and_b64 s[8:9], s[8:9], exec
	s_or_b64 s[4:5], s[4:5], s[8:9]
	s_or_b64 exec, exec, s[6:7]
	s_and_saveexec_b64 s[6:7], s[4:5]
	s_cbranch_execnz .LBB6_1959
	s_branch .LBB6_1960
.LBB6_4009:
	s_movk_i32 s4, 0x80
	v_cmp_eq_u16_sdwa s[12:13], v6, s4 src0_sel:BYTE_0 src1_sel:DWORD
	s_mov_b64 s[4:5], -1
                                        ; implicit-def: $sgpr10
	s_and_saveexec_b64 s[8:9], s[12:13]
; %bb.4010:
	s_mov_b32 s10, 0x7f800001
	s_xor_b64 s[4:5], exec, -1
; %bb.4011:
	s_or_b64 exec, exec, s[8:9]
	s_and_b64 s[4:5], s[4:5], exec
	s_or_saveexec_b64 s[6:7], s[6:7]
	v_mov_b32_e32 v2, s10
	s_xor_b64 exec, exec, s[6:7]
	s_cbranch_execz .LBB6_1962
.LBB6_4012:
	v_mov_b32_e32 v2, 0
	v_cmp_ne_u16_sdwa s[8:9], v6, v2 src0_sel:BYTE_0 src1_sel:DWORD
	s_andn2_b64 s[4:5], s[4:5], exec
	s_and_b64 s[8:9], s[8:9], exec
	s_or_b64 s[4:5], s[4:5], s[8:9]
	s_or_b64 exec, exec, s[6:7]
	s_and_saveexec_b64 s[6:7], s[4:5]
	s_cbranch_execnz .LBB6_1963
	s_branch .LBB6_1964
.LBB6_4013:
	s_movk_i32 s4, 0x80
	v_cmp_eq_u16_sdwa s[12:13], v6, s4 src0_sel:BYTE_0 src1_sel:DWORD
	s_mov_b64 s[4:5], -1
                                        ; implicit-def: $sgpr10
	s_and_saveexec_b64 s[8:9], s[12:13]
; %bb.4014:
	s_mov_b32 s10, 0x7f800001
	s_xor_b64 s[4:5], exec, -1
; %bb.4015:
	s_or_b64 exec, exec, s[8:9]
	s_and_b64 s[4:5], s[4:5], exec
	s_or_saveexec_b64 s[6:7], s[6:7]
	v_mov_b32_e32 v10, s10
	s_xor_b64 exec, exec, s[6:7]
	s_cbranch_execz .LBB6_1966
.LBB6_4016:
	v_mov_b32_e32 v10, 0
	v_cmp_ne_u16_sdwa s[8:9], v6, v10 src0_sel:BYTE_0 src1_sel:DWORD
	s_andn2_b64 s[4:5], s[4:5], exec
	s_and_b64 s[8:9], s[8:9], exec
	s_or_b64 s[4:5], s[4:5], s[8:9]
	s_or_b64 exec, exec, s[6:7]
	s_and_saveexec_b64 s[6:7], s[4:5]
	s_cbranch_execnz .LBB6_1967
	s_branch .LBB6_1968
.LBB6_4017:
	s_movk_i32 s4, 0x80
	v_cmp_eq_u16_e32 vcc, s4, v6
	s_mov_b64 s[4:5], -1
                                        ; implicit-def: $sgpr10
	s_and_saveexec_b64 s[8:9], vcc
; %bb.4018:
	s_mov_b32 s10, 0x7f800001
	s_xor_b64 s[4:5], exec, -1
; %bb.4019:
	s_or_b64 exec, exec, s[8:9]
	s_and_b64 s[4:5], s[4:5], exec
                                        ; implicit-def: $vgpr6
	s_or_saveexec_b64 s[6:7], s[6:7]
	v_mov_b32_e32 v2, s10
	s_xor_b64 exec, exec, s[6:7]
	s_cbranch_execz .LBB6_1970
.LBB6_4020:
	v_cmp_ne_u16_e32 vcc, 0, v6
	s_andn2_b64 s[4:5], s[4:5], exec
	s_and_b64 s[8:9], vcc, exec
	v_mov_b32_e32 v2, 0
	s_or_b64 s[4:5], s[4:5], s[8:9]
	s_or_b64 exec, exec, s[6:7]
	s_and_saveexec_b64 s[6:7], s[4:5]
	s_cbranch_execnz .LBB6_1971
	s_branch .LBB6_1972
.LBB6_4021:
	s_movk_i32 s4, 0x80
	v_cmp_eq_u16_e32 vcc, s4, v6
	s_mov_b64 s[4:5], -1
                                        ; implicit-def: $sgpr10
	s_and_saveexec_b64 s[8:9], vcc
; %bb.4022:
	s_mov_b32 s10, 0x7f800001
	s_xor_b64 s[4:5], exec, -1
; %bb.4023:
	s_or_b64 exec, exec, s[8:9]
	s_and_b64 s[4:5], s[4:5], exec
                                        ; implicit-def: $vgpr6
	s_or_saveexec_b64 s[6:7], s[6:7]
	v_mov_b32_e32 v10, s10
	s_xor_b64 exec, exec, s[6:7]
	s_cbranch_execz .LBB6_1974
.LBB6_4024:
	v_cmp_ne_u16_e32 vcc, 0, v6
	s_andn2_b64 s[4:5], s[4:5], exec
	s_and_b64 s[8:9], vcc, exec
	v_mov_b32_e32 v10, 0
	s_or_b64 s[4:5], s[4:5], s[8:9]
	s_or_b64 exec, exec, s[6:7]
	s_and_saveexec_b64 s[6:7], s[4:5]
	s_cbranch_execnz .LBB6_1975
	s_branch .LBB6_1976
.LBB6_4025:
	s_movk_i32 s4, 0x80
	v_cmp_eq_u16_sdwa s[12:13], v7, s4 src0_sel:BYTE_3 src1_sel:DWORD
	s_mov_b64 s[4:5], -1
                                        ; implicit-def: $sgpr10
	s_and_saveexec_b64 s[8:9], s[12:13]
; %bb.4026:
	s_mov_b32 s10, 0x7f800001
	s_xor_b64 s[4:5], exec, -1
; %bb.4027:
	s_or_b64 exec, exec, s[8:9]
	s_and_b64 s[4:5], s[4:5], exec
	s_or_saveexec_b64 s[6:7], s[6:7]
	v_mov_b32_e32 v2, s10
	s_xor_b64 exec, exec, s[6:7]
	s_cbranch_execz .LBB6_1978
.LBB6_4028:
	v_mov_b32_e32 v2, 0
	v_cmp_ne_u16_sdwa s[8:9], v7, v2 src0_sel:BYTE_3 src1_sel:DWORD
	s_andn2_b64 s[4:5], s[4:5], exec
	s_and_b64 s[8:9], s[8:9], exec
	s_or_b64 s[4:5], s[4:5], s[8:9]
	s_or_b64 exec, exec, s[6:7]
	s_and_saveexec_b64 s[6:7], s[4:5]
	s_cbranch_execnz .LBB6_1979
	s_branch .LBB6_1980
.LBB6_4029:
	s_movk_i32 s4, 0x80
	v_cmp_eq_u16_sdwa s[12:13], v3, s4 src0_sel:BYTE_3 src1_sel:DWORD
	s_mov_b64 s[4:5], -1
                                        ; implicit-def: $sgpr10
	s_and_saveexec_b64 s[8:9], s[12:13]
; %bb.4030:
	s_mov_b32 s10, 0x7f800001
	s_xor_b64 s[4:5], exec, -1
; %bb.4031:
	s_or_b64 exec, exec, s[8:9]
	s_and_b64 s[4:5], s[4:5], exec
	s_or_saveexec_b64 s[6:7], s[6:7]
	v_mov_b32_e32 v6, s10
	s_xor_b64 exec, exec, s[6:7]
	s_cbranch_execz .LBB6_1982
.LBB6_4032:
	v_mov_b32_e32 v6, 0
	v_cmp_ne_u16_sdwa s[8:9], v3, v6 src0_sel:BYTE_3 src1_sel:DWORD
	s_andn2_b64 s[4:5], s[4:5], exec
	s_and_b64 s[8:9], s[8:9], exec
	s_or_b64 s[4:5], s[4:5], s[8:9]
	s_or_b64 exec, exec, s[6:7]
	s_and_saveexec_b64 s[6:7], s[4:5]
	s_cbranch_execnz .LBB6_1983
	s_branch .LBB6_1984
.LBB6_4033:
	s_movk_i32 s4, 0x80
	v_cmp_eq_u16_sdwa s[12:13], v8, s4 src0_sel:BYTE_0 src1_sel:DWORD
	s_mov_b64 s[4:5], -1
                                        ; implicit-def: $sgpr10
	s_and_saveexec_b64 s[8:9], s[12:13]
; %bb.4034:
	s_mov_b32 s10, 0x7f800001
	s_xor_b64 s[4:5], exec, -1
; %bb.4035:
	s_or_b64 exec, exec, s[8:9]
	s_and_b64 s[4:5], s[4:5], exec
	s_or_saveexec_b64 s[6:7], s[6:7]
	v_mov_b32_e32 v2, s10
	s_xor_b64 exec, exec, s[6:7]
	s_cbranch_execz .LBB6_1986
.LBB6_4036:
	v_mov_b32_e32 v2, 0
	v_cmp_ne_u16_sdwa s[8:9], v8, v2 src0_sel:BYTE_0 src1_sel:DWORD
	s_andn2_b64 s[4:5], s[4:5], exec
	s_and_b64 s[8:9], s[8:9], exec
	s_or_b64 s[4:5], s[4:5], s[8:9]
	s_or_b64 exec, exec, s[6:7]
	s_and_saveexec_b64 s[6:7], s[4:5]
	s_cbranch_execnz .LBB6_1987
	s_branch .LBB6_1988
.LBB6_4037:
	s_movk_i32 s4, 0x80
	v_cmp_eq_u16_sdwa s[12:13], v4, s4 src0_sel:BYTE_0 src1_sel:DWORD
	s_mov_b64 s[4:5], -1
                                        ; implicit-def: $sgpr10
	s_and_saveexec_b64 s[8:9], s[12:13]
; %bb.4038:
	s_mov_b32 s10, 0x7f800001
	s_xor_b64 s[4:5], exec, -1
; %bb.4039:
	s_or_b64 exec, exec, s[8:9]
	s_and_b64 s[4:5], s[4:5], exec
	s_or_saveexec_b64 s[6:7], s[6:7]
	v_mov_b32_e32 v3, s10
	s_xor_b64 exec, exec, s[6:7]
	s_cbranch_execz .LBB6_1990
.LBB6_4040:
	v_mov_b32_e32 v3, 0
	v_cmp_ne_u16_sdwa s[8:9], v4, v3 src0_sel:BYTE_0 src1_sel:DWORD
	s_andn2_b64 s[4:5], s[4:5], exec
	s_and_b64 s[8:9], s[8:9], exec
	s_or_b64 s[4:5], s[4:5], s[8:9]
	s_or_b64 exec, exec, s[6:7]
	s_and_saveexec_b64 s[6:7], s[4:5]
	s_cbranch_execnz .LBB6_1991
	s_branch .LBB6_1992
.LBB6_4041:
	s_movk_i32 s4, 0x80
	v_cmp_eq_u16_sdwa s[12:13], v3, s4 src0_sel:BYTE_0 src1_sel:DWORD
	s_mov_b64 s[4:5], -1
                                        ; implicit-def: $sgpr10
	s_and_saveexec_b64 s[8:9], s[12:13]
; %bb.4042:
	s_mov_b32 s10, 0x7f800001
	s_xor_b64 s[4:5], exec, -1
; %bb.4043:
	s_or_b64 exec, exec, s[8:9]
	s_and_b64 s[4:5], s[4:5], exec
	s_or_saveexec_b64 s[6:7], s[6:7]
	v_mov_b32_e32 v2, s10
	s_xor_b64 exec, exec, s[6:7]
	s_cbranch_execz .LBB6_1994
.LBB6_4044:
	v_mov_b32_e32 v2, 0
	v_cmp_ne_u16_sdwa s[8:9], v3, v2 src0_sel:BYTE_0 src1_sel:DWORD
	s_andn2_b64 s[4:5], s[4:5], exec
	s_and_b64 s[8:9], s[8:9], exec
	s_or_b64 s[4:5], s[4:5], s[8:9]
	s_or_b64 exec, exec, s[6:7]
	s_and_saveexec_b64 s[6:7], s[4:5]
	s_cbranch_execnz .LBB6_1995
	s_branch .LBB6_1996
.LBB6_4045:
	s_movk_i32 s4, 0x80
	v_cmp_eq_u16_sdwa s[12:13], v3, s4 src0_sel:BYTE_0 src1_sel:DWORD
	s_mov_b64 s[4:5], -1
                                        ; implicit-def: $sgpr10
	s_and_saveexec_b64 s[8:9], s[12:13]
; %bb.4046:
	s_mov_b32 s10, 0x7f800001
	s_xor_b64 s[4:5], exec, -1
; %bb.4047:
	s_or_b64 exec, exec, s[8:9]
	s_and_b64 s[4:5], s[4:5], exec
	s_or_saveexec_b64 s[6:7], s[6:7]
	v_mov_b32_e32 v6, s10
	s_xor_b64 exec, exec, s[6:7]
	s_cbranch_execz .LBB6_1998
.LBB6_4048:
	v_mov_b32_e32 v6, 0
	v_cmp_ne_u16_sdwa s[8:9], v3, v6 src0_sel:BYTE_0 src1_sel:DWORD
	s_andn2_b64 s[4:5], s[4:5], exec
	s_and_b64 s[8:9], s[8:9], exec
	s_or_b64 s[4:5], s[4:5], s[8:9]
	s_or_b64 exec, exec, s[6:7]
	s_and_saveexec_b64 s[6:7], s[4:5]
	s_cbranch_execnz .LBB6_1999
	s_branch .LBB6_2000
.LBB6_4049:
	s_movk_i32 s4, 0x80
	v_cmp_eq_u16_e32 vcc, s4, v3
	s_mov_b64 s[4:5], -1
                                        ; implicit-def: $sgpr10
	s_and_saveexec_b64 s[8:9], vcc
; %bb.4050:
	s_mov_b32 s10, 0x7f800001
	s_xor_b64 s[4:5], exec, -1
; %bb.4051:
	s_or_b64 exec, exec, s[8:9]
	s_and_b64 s[4:5], s[4:5], exec
                                        ; implicit-def: $vgpr3
	s_or_saveexec_b64 s[6:7], s[6:7]
	v_mov_b32_e32 v2, s10
	s_xor_b64 exec, exec, s[6:7]
	s_cbranch_execz .LBB6_2002
.LBB6_4052:
	v_cmp_ne_u16_e32 vcc, 0, v3
	s_andn2_b64 s[4:5], s[4:5], exec
	s_and_b64 s[8:9], vcc, exec
	v_mov_b32_e32 v2, 0
	s_or_b64 s[4:5], s[4:5], s[8:9]
	s_or_b64 exec, exec, s[6:7]
	s_and_saveexec_b64 s[6:7], s[4:5]
	s_cbranch_execnz .LBB6_2003
	s_branch .LBB6_2004
.LBB6_4053:
	s_movk_i32 s4, 0x80
	v_cmp_eq_u16_e32 vcc, s4, v3
	s_mov_b64 s[4:5], -1
                                        ; implicit-def: $sgpr10
	s_and_saveexec_b64 s[8:9], vcc
; %bb.4054:
	s_mov_b32 s10, 0x7f800001
	s_xor_b64 s[4:5], exec, -1
; %bb.4055:
	s_or_b64 exec, exec, s[8:9]
	s_and_b64 s[4:5], s[4:5], exec
                                        ; implicit-def: $vgpr3
	s_or_saveexec_b64 s[6:7], s[6:7]
	v_mov_b32_e32 v6, s10
	s_xor_b64 exec, exec, s[6:7]
	s_cbranch_execz .LBB6_2006
.LBB6_4056:
	v_cmp_ne_u16_e32 vcc, 0, v3
	s_andn2_b64 s[4:5], s[4:5], exec
	s_and_b64 s[8:9], vcc, exec
	v_mov_b32_e32 v6, 0
	s_or_b64 s[4:5], s[4:5], s[8:9]
	s_or_b64 exec, exec, s[6:7]
	s_and_saveexec_b64 s[6:7], s[4:5]
	s_cbranch_execnz .LBB6_2007
	s_branch .LBB6_2008
.LBB6_4057:
	s_movk_i32 s4, 0x80
	v_cmp_eq_u16_sdwa s[12:13], v8, s4 src0_sel:BYTE_3 src1_sel:DWORD
	s_mov_b64 s[4:5], -1
                                        ; implicit-def: $sgpr10
	s_and_saveexec_b64 s[8:9], s[12:13]
; %bb.4058:
	s_mov_b32 s10, 0x7f800001
	s_xor_b64 s[4:5], exec, -1
; %bb.4059:
	s_or_b64 exec, exec, s[8:9]
	s_and_b64 s[4:5], s[4:5], exec
	s_or_saveexec_b64 s[6:7], s[6:7]
	v_mov_b32_e32 v2, s10
	s_xor_b64 exec, exec, s[6:7]
	s_cbranch_execz .LBB6_2010
.LBB6_4060:
	v_mov_b32_e32 v2, 0
	v_cmp_ne_u16_sdwa s[8:9], v8, v2 src0_sel:BYTE_3 src1_sel:DWORD
	s_andn2_b64 s[4:5], s[4:5], exec
	s_and_b64 s[8:9], s[8:9], exec
	s_or_b64 s[4:5], s[4:5], s[8:9]
	s_or_b64 exec, exec, s[6:7]
	s_and_saveexec_b64 s[6:7], s[4:5]
	s_cbranch_execnz .LBB6_2011
	s_branch .LBB6_2012
.LBB6_4061:
	s_movk_i32 s4, 0x80
	v_cmp_eq_u16_sdwa s[12:13], v4, s4 src0_sel:BYTE_3 src1_sel:DWORD
	s_mov_b64 s[4:5], -1
                                        ; implicit-def: $sgpr10
	s_and_saveexec_b64 s[8:9], s[12:13]
; %bb.4062:
	s_mov_b32 s10, 0x7f800001
	s_xor_b64 s[4:5], exec, -1
; %bb.4063:
	s_or_b64 exec, exec, s[8:9]
	s_and_b64 s[4:5], s[4:5], exec
	s_or_saveexec_b64 s[6:7], s[6:7]
	v_mov_b32_e32 v3, s10
	s_xor_b64 exec, exec, s[6:7]
	s_cbranch_execz .LBB6_2014
.LBB6_4064:
	v_mov_b32_e32 v3, 0
	v_cmp_ne_u16_sdwa s[8:9], v4, v3 src0_sel:BYTE_3 src1_sel:DWORD
	s_andn2_b64 s[4:5], s[4:5], exec
	s_and_b64 s[8:9], s[8:9], exec
	s_or_b64 s[4:5], s[4:5], s[8:9]
	s_or_b64 exec, exec, s[6:7]
	s_and_saveexec_b64 s[6:7], s[4:5]
	s_cbranch_execnz .LBB6_2015
	s_branch .LBB6_2016
.LBB6_4065:
	s_movk_i32 s4, 0x80
	v_cmp_eq_u16_sdwa s[12:13], v9, s4 src0_sel:BYTE_0 src1_sel:DWORD
	s_mov_b64 s[4:5], -1
                                        ; implicit-def: $sgpr10
	s_and_saveexec_b64 s[8:9], s[12:13]
; %bb.4066:
	s_mov_b32 s10, 0x7f800001
	s_xor_b64 s[4:5], exec, -1
; %bb.4067:
	s_or_b64 exec, exec, s[8:9]
	s_and_b64 s[4:5], s[4:5], exec
	s_or_saveexec_b64 s[6:7], s[6:7]
	v_mov_b32_e32 v2, s10
	s_xor_b64 exec, exec, s[6:7]
	s_cbranch_execz .LBB6_2018
.LBB6_4068:
	v_mov_b32_e32 v2, 0
	v_cmp_ne_u16_sdwa s[8:9], v9, v2 src0_sel:BYTE_0 src1_sel:DWORD
	s_andn2_b64 s[4:5], s[4:5], exec
	s_and_b64 s[8:9], s[8:9], exec
	s_or_b64 s[4:5], s[4:5], s[8:9]
	s_or_b64 exec, exec, s[6:7]
	s_and_saveexec_b64 s[6:7], s[4:5]
	s_cbranch_execnz .LBB6_2019
	s_branch .LBB6_2020
.LBB6_4069:
	s_movk_i32 s4, 0x80
	v_cmp_eq_u16_sdwa s[12:13], v5, s4 src0_sel:BYTE_0 src1_sel:DWORD
	s_mov_b64 s[4:5], -1
                                        ; implicit-def: $sgpr10
	s_and_saveexec_b64 s[8:9], s[12:13]
; %bb.4070:
	s_mov_b32 s10, 0x7f800001
	s_xor_b64 s[4:5], exec, -1
; %bb.4071:
	s_or_b64 exec, exec, s[8:9]
	s_and_b64 s[4:5], s[4:5], exec
	s_or_saveexec_b64 s[6:7], s[6:7]
	v_mov_b32_e32 v3, s10
	s_xor_b64 exec, exec, s[6:7]
	s_cbranch_execz .LBB6_2022
.LBB6_4072:
	v_mov_b32_e32 v3, 0
	v_cmp_ne_u16_sdwa s[8:9], v5, v3 src0_sel:BYTE_0 src1_sel:DWORD
	s_andn2_b64 s[4:5], s[4:5], exec
	s_and_b64 s[8:9], s[8:9], exec
	s_or_b64 s[4:5], s[4:5], s[8:9]
	s_or_b64 exec, exec, s[6:7]
	s_and_saveexec_b64 s[6:7], s[4:5]
	s_cbranch_execnz .LBB6_2023
	s_branch .LBB6_2024
.LBB6_4073:
	s_movk_i32 s4, 0x80
	v_cmp_eq_u16_sdwa s[12:13], v3, s4 src0_sel:BYTE_0 src1_sel:DWORD
	s_mov_b64 s[4:5], -1
                                        ; implicit-def: $sgpr10
	s_and_saveexec_b64 s[8:9], s[12:13]
; %bb.4074:
	s_mov_b32 s10, 0x7f800001
	s_xor_b64 s[4:5], exec, -1
; %bb.4075:
	s_or_b64 exec, exec, s[8:9]
	s_and_b64 s[4:5], s[4:5], exec
	s_or_saveexec_b64 s[6:7], s[6:7]
	v_mov_b32_e32 v2, s10
	s_xor_b64 exec, exec, s[6:7]
	s_cbranch_execz .LBB6_2026
.LBB6_4076:
	v_mov_b32_e32 v2, 0
	v_cmp_ne_u16_sdwa s[8:9], v3, v2 src0_sel:BYTE_0 src1_sel:DWORD
	s_andn2_b64 s[4:5], s[4:5], exec
	s_and_b64 s[8:9], s[8:9], exec
	s_or_b64 s[4:5], s[4:5], s[8:9]
	s_or_b64 exec, exec, s[6:7]
	s_and_saveexec_b64 s[6:7], s[4:5]
	s_cbranch_execnz .LBB6_2027
	s_branch .LBB6_2028
.LBB6_4077:
	s_movk_i32 s4, 0x80
	v_cmp_eq_u16_sdwa s[12:13], v3, s4 src0_sel:BYTE_0 src1_sel:DWORD
	s_mov_b64 s[4:5], -1
                                        ; implicit-def: $sgpr10
	s_and_saveexec_b64 s[8:9], s[12:13]
; %bb.4078:
	s_mov_b32 s10, 0x7f800001
	s_xor_b64 s[4:5], exec, -1
; %bb.4079:
	s_or_b64 exec, exec, s[8:9]
	s_and_b64 s[4:5], s[4:5], exec
	s_or_saveexec_b64 s[6:7], s[6:7]
	v_mov_b32_e32 v4, s10
	s_xor_b64 exec, exec, s[6:7]
	s_cbranch_execz .LBB6_2030
.LBB6_4080:
	v_mov_b32_e32 v4, 0
	v_cmp_ne_u16_sdwa s[8:9], v3, v4 src0_sel:BYTE_0 src1_sel:DWORD
	s_andn2_b64 s[4:5], s[4:5], exec
	s_and_b64 s[8:9], s[8:9], exec
	s_or_b64 s[4:5], s[4:5], s[8:9]
	s_or_b64 exec, exec, s[6:7]
	s_and_saveexec_b64 s[6:7], s[4:5]
	s_cbranch_execnz .LBB6_2031
	s_branch .LBB6_2032
.LBB6_4081:
	s_movk_i32 s4, 0x80
	v_cmp_eq_u16_e32 vcc, s4, v3
	s_mov_b64 s[4:5], -1
                                        ; implicit-def: $sgpr10
	s_and_saveexec_b64 s[8:9], vcc
; %bb.4082:
	s_mov_b32 s10, 0x7f800001
	s_xor_b64 s[4:5], exec, -1
; %bb.4083:
	s_or_b64 exec, exec, s[8:9]
	s_and_b64 s[4:5], s[4:5], exec
                                        ; implicit-def: $vgpr3
	s_or_saveexec_b64 s[6:7], s[6:7]
	v_mov_b32_e32 v2, s10
	s_xor_b64 exec, exec, s[6:7]
	s_cbranch_execz .LBB6_2034
.LBB6_4084:
	v_cmp_ne_u16_e32 vcc, 0, v3
	s_andn2_b64 s[4:5], s[4:5], exec
	s_and_b64 s[8:9], vcc, exec
	v_mov_b32_e32 v2, 0
	s_or_b64 s[4:5], s[4:5], s[8:9]
	s_or_b64 exec, exec, s[6:7]
	s_and_saveexec_b64 s[6:7], s[4:5]
	s_cbranch_execnz .LBB6_2035
	s_branch .LBB6_2036
.LBB6_4085:
	s_movk_i32 s4, 0x80
	v_cmp_eq_u16_e32 vcc, s4, v3
	s_mov_b64 s[4:5], -1
                                        ; implicit-def: $sgpr10
	s_and_saveexec_b64 s[8:9], vcc
; %bb.4086:
	s_mov_b32 s10, 0x7f800001
	s_xor_b64 s[4:5], exec, -1
; %bb.4087:
	s_or_b64 exec, exec, s[8:9]
	s_and_b64 s[4:5], s[4:5], exec
                                        ; implicit-def: $vgpr3
	s_or_saveexec_b64 s[6:7], s[6:7]
	v_mov_b32_e32 v4, s10
	s_xor_b64 exec, exec, s[6:7]
	s_cbranch_execz .LBB6_2038
.LBB6_4088:
	v_cmp_ne_u16_e32 vcc, 0, v3
	s_andn2_b64 s[4:5], s[4:5], exec
	s_and_b64 s[8:9], vcc, exec
	v_mov_b32_e32 v4, 0
	s_or_b64 s[4:5], s[4:5], s[8:9]
	s_or_b64 exec, exec, s[6:7]
	s_and_saveexec_b64 s[6:7], s[4:5]
	s_cbranch_execnz .LBB6_2039
	s_branch .LBB6_2040
.LBB6_4089:
	s_movk_i32 s4, 0x80
	v_cmp_eq_u16_sdwa s[12:13], v9, s4 src0_sel:BYTE_3 src1_sel:DWORD
	s_mov_b64 s[4:5], -1
                                        ; implicit-def: $sgpr10
	s_and_saveexec_b64 s[8:9], s[12:13]
; %bb.4090:
	s_mov_b32 s10, 0x7f800001
	s_xor_b64 s[4:5], exec, -1
; %bb.4091:
	s_or_b64 exec, exec, s[8:9]
	s_and_b64 s[4:5], s[4:5], exec
	s_or_saveexec_b64 s[6:7], s[6:7]
	v_mov_b32_e32 v2, s10
	s_xor_b64 exec, exec, s[6:7]
	s_cbranch_execz .LBB6_2042
.LBB6_4092:
	v_mov_b32_e32 v2, 0
	v_cmp_ne_u16_sdwa s[8:9], v9, v2 src0_sel:BYTE_3 src1_sel:DWORD
	s_andn2_b64 s[4:5], s[4:5], exec
	s_and_b64 s[8:9], s[8:9], exec
	s_or_b64 s[4:5], s[4:5], s[8:9]
	s_or_b64 exec, exec, s[6:7]
	s_and_saveexec_b64 s[6:7], s[4:5]
	s_cbranch_execnz .LBB6_2043
	s_branch .LBB6_2044
.LBB6_4093:
	s_movk_i32 s4, 0x80
	v_cmp_eq_u16_sdwa s[12:13], v5, s4 src0_sel:BYTE_3 src1_sel:DWORD
	s_mov_b64 s[4:5], -1
                                        ; implicit-def: $sgpr10
	s_and_saveexec_b64 s[8:9], s[12:13]
; %bb.4094:
	s_mov_b32 s10, 0x7f800001
	s_xor_b64 s[4:5], exec, -1
; %bb.4095:
	s_or_b64 exec, exec, s[8:9]
	s_and_b64 s[4:5], s[4:5], exec
	s_or_saveexec_b64 s[6:7], s[6:7]
	v_mov_b32_e32 v3, s10
	s_xor_b64 exec, exec, s[6:7]
	s_cbranch_execz .LBB6_2046
.LBB6_4096:
	v_mov_b32_e32 v3, 0
	v_cmp_ne_u16_sdwa s[8:9], v5, v3 src0_sel:BYTE_3 src1_sel:DWORD
	s_andn2_b64 s[4:5], s[4:5], exec
	s_and_b64 s[8:9], s[8:9], exec
	s_or_b64 s[4:5], s[4:5], s[8:9]
	s_or_b64 exec, exec, s[6:7]
	s_and_saveexec_b64 s[6:7], s[4:5]
	s_cbranch_execnz .LBB6_2047
	s_branch .LBB6_2048
.Lfunc_end6:
	.size	_ZNK2ck6detail7applierIiJLi0ELi1ELi2ELi3ELi4ELi5ELi6ELi7ELi8ELi9ELi10ELi11ELi12ELi13ELi14ELi15EEEclIZNKS_11static_fordINS_8SequenceIJLi4ELi4EEEENS5_IJLi0ELi1EEEEEclIZZZNKS_31BlockwiseGemmXdlops_pipeline_v2ILNS_26BlockGemmPipelineSchedulerE1ELi256ENS_9f8_fnuz_tENS_7pk_i4_tESC_fNS_16TensorDescriptorINS_5TupleIJNS_5EmbedINSF_IJNS_17integral_constantIiLi8EEENSH_IiLi128EEENSH_IiLi16EEEEEENSF_IJSK_SJ_NSH_IiLi1EEEEEELb0EEENS_3XorINSF_IJSJ_SI_EEELb1EEENS_11PassThroughISK_EENS_7UnMergeINSF_IJSI_SM_EEELb0EEENSS_ISJ_EEST_NSS_ISI_EENS_21Merge_v3_division_modINSF_IJSJ_SM_EEEEEST_EEENSF_IJNS5_IJLi0EEEENS5_IJLi2ELi1EEEENS5_IJLi3EEEENS5_IJLi5EEEENS5_IJLi4EEEENS5_IJLi6EEEENS5_IJLi7EEEENS5_IJLi9ELi8EEEENS5_IJLi10EEEEEEENSF_IJNS5_IJLi1ELi2ELi3EEEENS5_IJLi4ELi5EEEES18_NS5_IJLi7ELi8EEEENS5_IJLi9EEEES1B_NS5_IJLi11EEEENS5_IJLi12EEEENS5_IJLi13EEEEEEENS5_IJLi11ELi12ELi13EEEENSH_IlLl16384EEEEENSE_INSF_IJNSG_INSF_IJSK_NSH_IiLi64EEESK_EEENSF_IJSK_NSH_IiLi256EEESM_EEELb0EEENSP_INSF_IJS1O_SK_EEELb1EEEST_NSU_INSF_IJSI_NSH_IiLi2EEEEEELb0EEENSS_IS1O_EEST_SY_NSZ_INSF_IJS1O_S1V_EEEEEST_EEES1C_S1K_S1L_S1M_EENSE_INSF_IJSO_SR_ST_SW_SX_ST_SY_S11_ST_NSZ_INSF_IJSI_SK_EEEEENSU_INSF_IJNSH_IiLi4EEES1V_SK_EEELb0EEEEEENSF_IJS13_S14_S15_S16_S17_S18_S19_S1A_S1B_NS5_IJLi11ELi13EEEES1I_EEENSF_IJS1D_S1E_S18_S1F_S1G_S1B_S1H_S1I_S1J_NS5_IJLi14EEEENS5_IJLi15ELi16ELi17EEEEEEENS5_IJLi15ELi16ELi17ELi14EEEES1M_EENSE_INSF_IJS1S_S1U_ST_S1X_S1Y_ST_SY_S20_ST_S24_S27_EEES2A_S2D_S2E_S1M_EELi16ELi16ELi128ELi128ELi128ELi16ELi16ELi4ELi4ELi16ELb0EE3RunILb1ELNS_10TailNumberE2ENSE_INSF_IJNSG_INSF_IJiiEEENSF_IJiSM_EEELb0EEENSU_IS2L_Lb0EEENSS_IiEEEEENSF_IJS13_NS5_IJLi2EEEENS5_IJLi1EEEEEEENSF_IJNS5_IJLi1ELi2EEEENS5_IJLi3ELi4EEEES16_EEENS5_IJLi3ELi5ELi4EEEElEES1N_NS_35ThreadGroupTensorSliceTransfer_v4r1INS_15ThisThreadBlockILi256EEENS_16tensor_operation12element_wise11PassThroughES34_LNS_25InMemoryDataOperationEnumE0ENS5_IJLi8ELi128ELi16EEEENS5_IJLi8ELi32ELi1EEEENS5_IJLi1ELi0ELi2EEEESC_SC_RKS2Y_KS1N_S38_NS5_IJLi0ELi1ELi2EEEELi2ELi2ELi16ELi16ELi1ELi1ELb0ELb1ELi2EiEENS_13DynamicBufferILNS_16AddressSpaceEnumE1EKSC_lLb1ELNS_22AmdBufferCoherenceEnumE0EiEENS3E_ILS3F_2ESC_S1M_Lb1ELS3H_0EiEENSF_IJiiiEEENSE_INSF_IJNSU_INSF_IJiiiiEEELb0EEENS_23Merge_v2_magic_divisionIS2L_EENSS_INSF_IJiEEEEES2P_EEENSF_IJS13_NS5_IJLi1ELi3EEEES2R_S17_EEENSF_IJNS5_IJLi1ELi2ELi3ELi4EEEES16_S18_S19_EEENS5_IJLi5ELi6ELi7EEEElEES22_NS2Z_IS31_S34_S34_LS35_0ES36_NS5_IJLi4ELi64ELi1EEEES38_SD_SD_RKS3X_KS22_S38_S3C_Li2ELi2ELi16ELi16ELi1ELi1ELb0ELb1ELi2EiEENS3E_ILS3F_1EKSD_lLb1ELS3H_0EiEENS3E_ILS3F_2ESD_S1M_Lb1ELS3H_0EiEES3K_NS_25StaticBufferTupleOfVectorILS3F_4EfLi16ELi4ELb1ELb0EEEEEvRKT1_RKT2_RT3_RKT4_RT5_RKT6_RKT7_RKT8_RT9_RKT10_RT11_RKT12_RT13_iENKUlT_E2_clINSH_IiLi0EEEEEDaS56_ENKUlS56_E1_clISK_EEDaS56_EUlS56_E_EEvS56_EUlS56_E_EEvS56_, .Lfunc_end6-_ZNK2ck6detail7applierIiJLi0ELi1ELi2ELi3ELi4ELi5ELi6ELi7ELi8ELi9ELi10ELi11ELi12ELi13ELi14ELi15EEEclIZNKS_11static_fordINS_8SequenceIJLi4ELi4EEEENS5_IJLi0ELi1EEEEEclIZZZNKS_31BlockwiseGemmXdlops_pipeline_v2ILNS_26BlockGemmPipelineSchedulerE1ELi256ENS_9f8_fnuz_tENS_7pk_i4_tESC_fNS_16TensorDescriptorINS_5TupleIJNS_5EmbedINSF_IJNS_17integral_constantIiLi8EEENSH_IiLi128EEENSH_IiLi16EEEEEENSF_IJSK_SJ_NSH_IiLi1EEEEEELb0EEENS_3XorINSF_IJSJ_SI_EEELb1EEENS_11PassThroughISK_EENS_7UnMergeINSF_IJSI_SM_EEELb0EEENSS_ISJ_EEST_NSS_ISI_EENS_21Merge_v3_division_modINSF_IJSJ_SM_EEEEEST_EEENSF_IJNS5_IJLi0EEEENS5_IJLi2ELi1EEEENS5_IJLi3EEEENS5_IJLi5EEEENS5_IJLi4EEEENS5_IJLi6EEEENS5_IJLi7EEEENS5_IJLi9ELi8EEEENS5_IJLi10EEEEEEENSF_IJNS5_IJLi1ELi2ELi3EEEENS5_IJLi4ELi5EEEES18_NS5_IJLi7ELi8EEEENS5_IJLi9EEEES1B_NS5_IJLi11EEEENS5_IJLi12EEEENS5_IJLi13EEEEEEENS5_IJLi11ELi12ELi13EEEENSH_IlLl16384EEEEENSE_INSF_IJNSG_INSF_IJSK_NSH_IiLi64EEESK_EEENSF_IJSK_NSH_IiLi256EEESM_EEELb0EEENSP_INSF_IJS1O_SK_EEELb1EEEST_NSU_INSF_IJSI_NSH_IiLi2EEEEEELb0EEENSS_IS1O_EEST_SY_NSZ_INSF_IJS1O_S1V_EEEEEST_EEES1C_S1K_S1L_S1M_EENSE_INSF_IJSO_SR_ST_SW_SX_ST_SY_S11_ST_NSZ_INSF_IJSI_SK_EEEEENSU_INSF_IJNSH_IiLi4EEES1V_SK_EEELb0EEEEEENSF_IJS13_S14_S15_S16_S17_S18_S19_S1A_S1B_NS5_IJLi11ELi13EEEES1I_EEENSF_IJS1D_S1E_S18_S1F_S1G_S1B_S1H_S1I_S1J_NS5_IJLi14EEEENS5_IJLi15ELi16ELi17EEEEEEENS5_IJLi15ELi16ELi17ELi14EEEES1M_EENSE_INSF_IJS1S_S1U_ST_S1X_S1Y_ST_SY_S20_ST_S24_S27_EEES2A_S2D_S2E_S1M_EELi16ELi16ELi128ELi128ELi128ELi16ELi16ELi4ELi4ELi16ELb0EE3RunILb1ELNS_10TailNumberE2ENSE_INSF_IJNSG_INSF_IJiiEEENSF_IJiSM_EEELb0EEENSU_IS2L_Lb0EEENSS_IiEEEEENSF_IJS13_NS5_IJLi2EEEENS5_IJLi1EEEEEEENSF_IJNS5_IJLi1ELi2EEEENS5_IJLi3ELi4EEEES16_EEENS5_IJLi3ELi5ELi4EEEElEES1N_NS_35ThreadGroupTensorSliceTransfer_v4r1INS_15ThisThreadBlockILi256EEENS_16tensor_operation12element_wise11PassThroughES34_LNS_25InMemoryDataOperationEnumE0ENS5_IJLi8ELi128ELi16EEEENS5_IJLi8ELi32ELi1EEEENS5_IJLi1ELi0ELi2EEEESC_SC_RKS2Y_KS1N_S38_NS5_IJLi0ELi1ELi2EEEELi2ELi2ELi16ELi16ELi1ELi1ELb0ELb1ELi2EiEENS_13DynamicBufferILNS_16AddressSpaceEnumE1EKSC_lLb1ELNS_22AmdBufferCoherenceEnumE0EiEENS3E_ILS3F_2ESC_S1M_Lb1ELS3H_0EiEENSF_IJiiiEEENSE_INSF_IJNSU_INSF_IJiiiiEEELb0EEENS_23Merge_v2_magic_divisionIS2L_EENSS_INSF_IJiEEEEES2P_EEENSF_IJS13_NS5_IJLi1ELi3EEEES2R_S17_EEENSF_IJNS5_IJLi1ELi2ELi3ELi4EEEES16_S18_S19_EEENS5_IJLi5ELi6ELi7EEEElEES22_NS2Z_IS31_S34_S34_LS35_0ES36_NS5_IJLi4ELi64ELi1EEEES38_SD_SD_RKS3X_KS22_S38_S3C_Li2ELi2ELi16ELi16ELi1ELi1ELb0ELb1ELi2EiEENS3E_ILS3F_1EKSD_lLb1ELS3H_0EiEENS3E_ILS3F_2ESD_S1M_Lb1ELS3H_0EiEES3K_NS_25StaticBufferTupleOfVectorILS3F_4EfLi16ELi4ELb1ELb0EEEEEvRKT1_RKT2_RT3_RKT4_RT5_RKT6_RKT7_RKT8_RT9_RKT10_RT11_RKT12_RT13_iENKUlT_E2_clINSH_IiLi0EEEEEDaS56_ENKUlS56_E1_clISK_EEDaS56_EUlS56_E_EEvS56_EUlS56_E_EEvS56_
                                        ; -- End function
	.section	.AMDGPU.csdata,"",@progbits
; Function info:
; codeLenInByte = 134352
; NumSgprs: 36
; NumVgprs: 18
; NumAgprs: 4
; TotalNumVgprs: 24
; ScratchSize: 0
; MemoryBound: 1
	.section	.text._ZN2ck27kernel_gemm_xdl_cshuffle_v3INS_28GridwiseGemm_xdl_cshuffle_v3INS_13tensor_layout4gemm8RowMajorENS3_11ColumnMajorES4_NS_9f8_fnuz_tENS_7pk_i4_tEfDF16_DF16_NS_16tensor_operation12element_wise11PassThroughESA_SA_LNS8_6device18GemmSpecializationE0ELi256ELi128ELi128ELi128ELi16ELi16ELi16ELi16ELi4ELi4ENS_8SequenceIJLi8ELi32ELi1EEEENSD_IJLi1ELi0ELi2EEEESF_Li2ELi16ELi16ELb0ELi0ENSD_IJLi4ELi64ELi1EEEESF_SF_Li2ELi16ELi16ELb0ELi0ELi1ELi1ENSD_IJLi1ELi32ELi1ELi8EEEELi4ELNS_26BlockGemmPipelineSchedulerE1ELNS_24BlockGemmPipelineVersionE1ES6_S6_Lb0ELb1ELb0ELi0ELb0EEELb1ELNS_25InMemoryDataOperationEnumE1ELi2ELNS_10TailNumberE2EEEvNT_8ArgumentE,"axG",@progbits,_ZN2ck27kernel_gemm_xdl_cshuffle_v3INS_28GridwiseGemm_xdl_cshuffle_v3INS_13tensor_layout4gemm8RowMajorENS3_11ColumnMajorES4_NS_9f8_fnuz_tENS_7pk_i4_tEfDF16_DF16_NS_16tensor_operation12element_wise11PassThroughESA_SA_LNS8_6device18GemmSpecializationE0ELi256ELi128ELi128ELi128ELi16ELi16ELi16ELi16ELi4ELi4ENS_8SequenceIJLi8ELi32ELi1EEEENSD_IJLi1ELi0ELi2EEEESF_Li2ELi16ELi16ELb0ELi0ENSD_IJLi4ELi64ELi1EEEESF_SF_Li2ELi16ELi16ELb0ELi0ELi1ELi1ENSD_IJLi1ELi32ELi1ELi8EEEELi4ELNS_26BlockGemmPipelineSchedulerE1ELNS_24BlockGemmPipelineVersionE1ES6_S6_Lb0ELb1ELb0ELi0ELb0EEELb1ELNS_25InMemoryDataOperationEnumE1ELi2ELNS_10TailNumberE2EEEvNT_8ArgumentE,comdat
	.protected	_ZN2ck27kernel_gemm_xdl_cshuffle_v3INS_28GridwiseGemm_xdl_cshuffle_v3INS_13tensor_layout4gemm8RowMajorENS3_11ColumnMajorES4_NS_9f8_fnuz_tENS_7pk_i4_tEfDF16_DF16_NS_16tensor_operation12element_wise11PassThroughESA_SA_LNS8_6device18GemmSpecializationE0ELi256ELi128ELi128ELi128ELi16ELi16ELi16ELi16ELi4ELi4ENS_8SequenceIJLi8ELi32ELi1EEEENSD_IJLi1ELi0ELi2EEEESF_Li2ELi16ELi16ELb0ELi0ENSD_IJLi4ELi64ELi1EEEESF_SF_Li2ELi16ELi16ELb0ELi0ELi1ELi1ENSD_IJLi1ELi32ELi1ELi8EEEELi4ELNS_26BlockGemmPipelineSchedulerE1ELNS_24BlockGemmPipelineVersionE1ES6_S6_Lb0ELb1ELb0ELi0ELb0EEELb1ELNS_25InMemoryDataOperationEnumE1ELi2ELNS_10TailNumberE2EEEvNT_8ArgumentE ; -- Begin function _ZN2ck27kernel_gemm_xdl_cshuffle_v3INS_28GridwiseGemm_xdl_cshuffle_v3INS_13tensor_layout4gemm8RowMajorENS3_11ColumnMajorES4_NS_9f8_fnuz_tENS_7pk_i4_tEfDF16_DF16_NS_16tensor_operation12element_wise11PassThroughESA_SA_LNS8_6device18GemmSpecializationE0ELi256ELi128ELi128ELi128ELi16ELi16ELi16ELi16ELi4ELi4ENS_8SequenceIJLi8ELi32ELi1EEEENSD_IJLi1ELi0ELi2EEEESF_Li2ELi16ELi16ELb0ELi0ENSD_IJLi4ELi64ELi1EEEESF_SF_Li2ELi16ELi16ELb0ELi0ELi1ELi1ENSD_IJLi1ELi32ELi1ELi8EEEELi4ELNS_26BlockGemmPipelineSchedulerE1ELNS_24BlockGemmPipelineVersionE1ES6_S6_Lb0ELb1ELb0ELi0ELb0EEELb1ELNS_25InMemoryDataOperationEnumE1ELi2ELNS_10TailNumberE2EEEvNT_8ArgumentE
	.globl	_ZN2ck27kernel_gemm_xdl_cshuffle_v3INS_28GridwiseGemm_xdl_cshuffle_v3INS_13tensor_layout4gemm8RowMajorENS3_11ColumnMajorES4_NS_9f8_fnuz_tENS_7pk_i4_tEfDF16_DF16_NS_16tensor_operation12element_wise11PassThroughESA_SA_LNS8_6device18GemmSpecializationE0ELi256ELi128ELi128ELi128ELi16ELi16ELi16ELi16ELi4ELi4ENS_8SequenceIJLi8ELi32ELi1EEEENSD_IJLi1ELi0ELi2EEEESF_Li2ELi16ELi16ELb0ELi0ENSD_IJLi4ELi64ELi1EEEESF_SF_Li2ELi16ELi16ELb0ELi0ELi1ELi1ENSD_IJLi1ELi32ELi1ELi8EEEELi4ELNS_26BlockGemmPipelineSchedulerE1ELNS_24BlockGemmPipelineVersionE1ES6_S6_Lb0ELb1ELb0ELi0ELb0EEELb1ELNS_25InMemoryDataOperationEnumE1ELi2ELNS_10TailNumberE2EEEvNT_8ArgumentE
	.p2align	8
	.type	_ZN2ck27kernel_gemm_xdl_cshuffle_v3INS_28GridwiseGemm_xdl_cshuffle_v3INS_13tensor_layout4gemm8RowMajorENS3_11ColumnMajorES4_NS_9f8_fnuz_tENS_7pk_i4_tEfDF16_DF16_NS_16tensor_operation12element_wise11PassThroughESA_SA_LNS8_6device18GemmSpecializationE0ELi256ELi128ELi128ELi128ELi16ELi16ELi16ELi16ELi4ELi4ENS_8SequenceIJLi8ELi32ELi1EEEENSD_IJLi1ELi0ELi2EEEESF_Li2ELi16ELi16ELb0ELi0ENSD_IJLi4ELi64ELi1EEEESF_SF_Li2ELi16ELi16ELb0ELi0ELi1ELi1ENSD_IJLi1ELi32ELi1ELi8EEEELi4ELNS_26BlockGemmPipelineSchedulerE1ELNS_24BlockGemmPipelineVersionE1ES6_S6_Lb0ELb1ELb0ELi0ELb0EEELb1ELNS_25InMemoryDataOperationEnumE1ELi2ELNS_10TailNumberE2EEEvNT_8ArgumentE,@function
_ZN2ck27kernel_gemm_xdl_cshuffle_v3INS_28GridwiseGemm_xdl_cshuffle_v3INS_13tensor_layout4gemm8RowMajorENS3_11ColumnMajorES4_NS_9f8_fnuz_tENS_7pk_i4_tEfDF16_DF16_NS_16tensor_operation12element_wise11PassThroughESA_SA_LNS8_6device18GemmSpecializationE0ELi256ELi128ELi128ELi128ELi16ELi16ELi16ELi16ELi4ELi4ENS_8SequenceIJLi8ELi32ELi1EEEENSD_IJLi1ELi0ELi2EEEESF_Li2ELi16ELi16ELb0ELi0ENSD_IJLi4ELi64ELi1EEEESF_SF_Li2ELi16ELi16ELb0ELi0ELi1ELi1ENSD_IJLi1ELi32ELi1ELi8EEEELi4ELNS_26BlockGemmPipelineSchedulerE1ELNS_24BlockGemmPipelineVersionE1ES6_S6_Lb0ELb1ELb0ELi0ELb0EEELb1ELNS_25InMemoryDataOperationEnumE1ELi2ELNS_10TailNumberE2EEEvNT_8ArgumentE: ; @_ZN2ck27kernel_gemm_xdl_cshuffle_v3INS_28GridwiseGemm_xdl_cshuffle_v3INS_13tensor_layout4gemm8RowMajorENS3_11ColumnMajorES4_NS_9f8_fnuz_tENS_7pk_i4_tEfDF16_DF16_NS_16tensor_operation12element_wise11PassThroughESA_SA_LNS8_6device18GemmSpecializationE0ELi256ELi128ELi128ELi128ELi16ELi16ELi16ELi16ELi4ELi4ENS_8SequenceIJLi8ELi32ELi1EEEENSD_IJLi1ELi0ELi2EEEESF_Li2ELi16ELi16ELb0ELi0ENSD_IJLi4ELi64ELi1EEEESF_SF_Li2ELi16ELi16ELb0ELi0ELi1ELi1ENSD_IJLi1ELi32ELi1ELi8EEEELi4ELNS_26BlockGemmPipelineSchedulerE1ELNS_24BlockGemmPipelineVersionE1ES6_S6_Lb0ELb1ELb0ELi0ELb0EEELb1ELNS_25InMemoryDataOperationEnumE1ELi2ELNS_10TailNumberE2EEEvNT_8ArgumentE
; %bb.0:
	s_add_u32 flat_scratch_lo, s6, s10
	s_addc_u32 flat_scratch_hi, s7, 0
	s_add_u32 s0, s0, s10
	s_load_dwordx8 s[16:23], s[4:5], 0x10
	s_load_dword s10, s[4:5], 0x68
	s_load_dwordx2 s[28:29], s[4:5], 0x60
	s_load_dwordx4 s[12:15], s[4:5], 0x50
	s_addc_u32 s1, s1, 0
	s_waitcnt lgkmcnt(0)
	s_cmp_gt_i32 s22, 1
	s_cselect_b64 s[6:7], -1, 0
	s_bitcmp1_b32 s10, 0
	s_cselect_b64 s[10:11], -1, 0
	s_and_b64 s[6:7], s[6:7], s[10:11]
	v_mov_b32_e32 v18, v0
	s_andn2_b64 vcc, exec, s[6:7]
	s_mov_b64 s[34:35], 0
	s_mov_b32 s32, 0x9000
	s_cbranch_vccnz .LBB7_2
; %bb.1:
	s_mul_i32 s6, s16, s9
	s_mul_i32 s34, s6, s17
	s_ashr_i32 s35, s34, 31
.LBB7_2:
	s_load_dword s7, s[4:5], 0x34
	s_load_dword s6, s[4:5], 0x3c
	s_add_i32 s4, s16, -1
	s_cmpk_lt_u32 s4, 0x80
	s_mov_b32 s23, 0
	s_cbranch_scc1 .LBB7_6
; %bb.3:
	s_add_i32 s4, s17, -1
	s_cmpk_lt_u32 s4, 0x80
	s_mov_b32 s4, 0
	s_cbranch_scc1 .LBB7_10
; %bb.4:
	s_add_i32 s4, s16, 0x7f
	s_ashr_i32 s5, s4, 31
	s_lshr_b32 s5, s5, 25
	s_add_i32 s4, s4, s5
	s_ashr_i32 s11, s4, 7
	s_add_i32 s4, s17, 0x7f
	s_ashr_i32 s5, s4, 31
	s_lshr_b32 s5, s5, 25
	s_add_i32 s4, s4, s5
	s_ashr_i32 s10, s4, 7
	s_mul_i32 s4, s10, s11
	s_add_i32 s5, s4, 7
	s_ashr_i32 s24, s5, 31
	s_lshr_b32 s24, s24, 29
	s_add_i32 s5, s5, s24
	s_ashr_i32 s24, s5, 3
	s_and_b32 s5, s5, -8
	s_sub_i32 s25, s4, s5
	s_ashr_i32 s4, s8, 31
	s_lshr_b32 s4, s4, 29
	s_add_i32 s27, s8, s4
	s_and_b32 s4, s27, -8
	s_add_i32 s25, s25, 8
	s_sub_i32 s26, s8, s4
	s_cmp_gt_i32 s26, s25
	s_cbranch_scc1 .LBB7_7
; %bb.5:
	s_mul_i32 s8, s24, s26
	s_ashr_i32 s4, s27, 3
	s_cbranch_execz .LBB7_8
	s_branch .LBB7_9
.LBB7_6:
	s_mov_b32 s11, 0
	s_branch .LBB7_11
.LBB7_7:
                                        ; implicit-def: $sgpr8
	s_ashr_i32 s4, s27, 3
.LBB7_8:
	s_add_i32 s5, s24, -1
	s_mul_i32 s5, s5, s26
	s_add_i32 s8, s25, s5
.LBB7_9:
	s_abs_i32 s5, s10
	v_cvt_f32_u32_e32 v0, s5
	s_sub_i32 s25, 0, s5
	s_add_i32 s4, s8, s4
	s_abs_i32 s24, s4
	v_rcp_iflag_f32_e32 v0, v0
	s_xor_b32 s8, s4, s10
	s_ashr_i32 s8, s8, 31
	v_mul_f32_e32 v0, 0x4f7ffffe, v0
	v_cvt_u32_f32_e32 v0, v0
	v_readfirstlane_b32 s26, v0
	s_mul_i32 s25, s25, s26
	s_mul_hi_u32 s25, s26, s25
	s_add_i32 s26, s26, s25
	s_mul_hi_u32 s25, s24, s26
	s_mul_i32 s26, s25, s5
	s_sub_i32 s24, s24, s26
	s_add_i32 s27, s25, 1
	s_sub_i32 s26, s24, s5
	s_cmp_ge_u32 s24, s5
	s_cselect_b32 s25, s27, s25
	s_cselect_b32 s24, s26, s24
	s_add_i32 s26, s25, 1
	s_cmp_ge_u32 s24, s5
	s_cselect_b32 s5, s26, s25
	s_xor_b32 s5, s5, s8
	s_lshr_b32 s24, s11, 30
	s_sub_i32 s5, s5, s8
	s_add_i32 s24, s11, s24
	s_mul_i32 s8, s5, s10
	s_sub_i32 s4, s4, s8
	s_and_b32 s8, s24, -4
	s_sub_i32 s11, s11, s8
	s_cmp_ge_i32 s5, s8
	s_cselect_b32 s8, s11, 4
	s_abs_i32 s24, s8
	v_cvt_f32_u32_e32 v0, s24
	s_ashr_i32 s11, s5, 31
	s_lshr_b32 s11, s11, 30
	s_add_i32 s11, s5, s11
	v_rcp_iflag_f32_e32 v0, v0
	s_and_b32 s11, s11, -4
	s_sub_i32 s11, s5, s11
	s_sub_i32 s26, 0, s24
	v_mul_f32_e32 v0, 0x4f7ffffe, v0
	v_cvt_u32_f32_e32 v0, v0
	s_mul_i32 s10, s11, s10
	s_add_i32 s10, s10, s4
	s_abs_i32 s25, s10
	v_readfirstlane_b32 s27, v0
	s_mul_i32 s26, s26, s27
	s_mul_hi_u32 s26, s27, s26
	s_add_i32 s27, s27, s26
	s_mul_hi_u32 s26, s25, s27
	s_mul_i32 s27, s26, s24
	s_xor_b32 s4, s10, s8
	s_sub_i32 s25, s25, s27
	s_ashr_i32 s4, s4, 31
	s_add_i32 s27, s26, 1
	s_sub_i32 s30, s25, s24
	s_cmp_ge_u32 s25, s24
	s_cselect_b32 s26, s27, s26
	s_cselect_b32 s25, s30, s25
	s_add_i32 s27, s26, 1
	s_cmp_ge_u32 s25, s24
	s_cselect_b32 s24, s27, s26
	s_xor_b32 s24, s24, s4
	s_sub_i32 s4, s24, s4
	s_mul_i32 s8, s4, s8
	s_sub_i32 s8, s10, s8
	s_add_i32 s8, s8, s5
	s_sub_i32 s8, s8, s11
.LBB7_10:
	s_mov_b32 s11, s8
	s_mov_b32 s8, s4
.LBB7_11:
	s_waitcnt lgkmcnt(0)
	s_mul_i32 s4, s7, s9
	s_mul_i32 s5, s4, s17
	s_lshr_b32 s5, s5, 1
	s_ashr_i32 s10, s4, 31
	s_add_u32 s24, s12, s4
	s_addc_u32 s25, s13, s10
	s_add_u32 s36, s14, s5
	s_addc_u32 s37, s15, 0
	s_add_u32 s42, 0, 0
	s_addc_u32 s43, s16, -1
	s_ashr_i32 s4, s20, 31
	s_lshr_b32 s4, s4, 25
	s_add_i32 s10, s22, -1
	s_add_i32 s4, s20, s4
	s_mul_i32 s12, s10, s7
	s_ashr_i32 s4, s4, 7
	s_lshl_b32 s44, s17, 7
	s_sub_i32 s12, s18, s12
	s_cmp_lt_u32 s9, s10
	v_lshrrev_b32_e32 v3, 1, v18
	s_cselect_b32 s7, s7, s12
	s_lshl_b32 s9, s11, 7
	v_and_b32_e32 v37, 7, v18
	v_and_b32_e32 v5, 0x7c, v3
	;; [unrolled: 1-line block ×3, first 2 shown]
	v_add_u32_e32 v1, s9, v5
	v_xor_b32_e32 v4, v32, v37
	v_lshlrev_b32_e32 v5, 7, v5
	s_mov_b64 s[14:15], src_private_base
	v_lshl_or_b32 v33, v4, 4, v5
	v_lshlrev_b32_e32 v5, 1, v18
	s_lshl_b32 s14, s8, 7
	v_and_b32_e32 v38, 6, v5
	v_and_b32_e32 v6, 0x7e, v3
	v_add_u32_e32 v6, s14, v6
	v_lshlrev_b32_e32 v7, 4, v38
	v_lshl_or_b32 v24, v6, 7, v7
	v_lshrrev_b32_e32 v6, 2, v18
	v_lshlrev_b32_e32 v34, 1, v38
	v_bfe_u32 v35, v18, 2, 4
	v_xor_b32_e32 v36, v34, v35
	v_lshlrev_b32_e32 v7, 8, v6
	v_lshl_or_b32 v39, v36, 4, v7
	v_and_b32_e32 v7, 63, v18
	v_and_b32_e32 v8, 48, v18
	v_sub_u32_e32 v7, v7, v8
	v_and_b32_e32 v72, 16, v6
	v_add_u32_e32 v44, v72, v7
	v_lshrrev_b16_e32 v6, 7, v44
	v_lshrrev_b32_e32 v19, 3, v18
	v_and_b32_e32 v6, 1, v6
	v_and_b32_e32 v8, 0x60, v5
	;; [unrolled: 1-line block ×3, first 2 shown]
	v_add_u16_e32 v6, v44, v6
	v_mov_b32_e32 v45, 1
	v_mov_b32_e32 v50, 11
	v_add_u32_e32 v40, v7, v5
	v_ashrrev_i16_sdwa v46, v45, sext(v6) dst_sel:DWORD dst_unused:UNUSED_PAD src0_sel:DWORD src1_sel:BYTE_0
	v_and_b32_e32 v7, 0xfe, v6
	v_lshrrev_b16_sdwa v6, v50, sext(v6) dst_sel:DWORD dst_unused:UNUSED_PAD src0_sel:DWORD src1_sel:BYTE_0
	v_and_b32_e32 v6, 15, v6
	v_add_u16_e32 v6, v46, v6
	s_mul_i32 s5, s43, s19
	v_lshlrev_b32_e32 v0, 4, v37
	v_mul_lo_u32 v2, v1, s19
	v_and_b32_e32 v6, 0xf0, v6
	v_mov_b32_e32 v48, 0
	v_add_u32_e32 v73, v2, v0
	v_sub_u16_e32 v7, v44, v7
	v_lshrrev_b32_e32 v47, 3, v8
	v_sub_u16_e32 v51, v46, v6
	v_mov_b32_e32 v6, 8
	buffer_store_dword v48, off, s[0:3], 0 offset:556
	buffer_store_dword v48, off, s[0:3], 0 offset:552
	;; [unrolled: 1-line block ×128, first 2 shown]
	s_add_i32 s26, s7, s5
	s_mov_b32 s27, 0x20000
	v_lshrrev_b32_e32 v41, 4, v8
	v_add_u32_sdwa v49, v47, sext(v7) dst_sel:DWORD dst_unused:UNUSED_PAD src0_sel:DWORD src1_sel:BYTE_0
	v_lshlrev_b32_sdwa v54, v6, sext(v46) dst_sel:DWORD dst_unused:UNUSED_PAD src0_sel:DWORD src1_sel:WORD_0
	v_add_u32_e32 v14, s19, v73
	buffer_load_dwordx4 v[6:9], v73, s[24:27], 0 offen
	buffer_load_dwordx4 v[10:13], v14, s[24:27], 0 offen
	v_add_u32_e32 v25, s19, v14
	v_add_u32_e32 v56, s19, v25
	buffer_load_dwordx4 v[14:17], v25, s[24:27], 0 offen
	buffer_load_dwordx4 v[20:23], v56, s[24:27], 0 offen
	v_or_b32_e32 v25, 1, v38
	v_sub_u32_e32 v26, v25, v38
	v_lshlrev_b32_e32 v58, 4, v26
	v_ashrrev_i32_e32 v57, 1, v24
	v_add_u32_e32 v24, v24, v58
	v_sub_u32_e32 v25, v38, v25
	s_mul_i32 s4, s17, s4
	v_ashrrev_i32_e32 v59, 1, v24
	v_add_u32_e32 v24, 0x80, v24
	v_lshlrev_b32_e32 v61, 4, v25
	s_lshl_b32 s38, s4, 6
	s_mov_b32 s39, s27
	v_add_u32_e32 v62, v24, v61
	v_ashrrev_i32_e32 v60, 1, v24
	v_ashrrev_i32_e32 v63, 1, v62
	buffer_load_dwordx2 v[24:25], v57, s[36:39], 0 offen
	buffer_load_dwordx2 v[26:27], v59, s[36:39], 0 offen
	;; [unrolled: 1-line block ×4, first 2 shown]
	s_nop 0
	buffer_store_dword v48, off, s[0:3], 0 offset:308
	buffer_store_dword v48, off, s[0:3], 0 offset:304
	;; [unrolled: 1-line block ×64, first 2 shown]
	s_movk_i32 s5, 0xff00
	s_mul_i32 s4, s19, -3
	s_addk_i32 s4, 0x80
	v_add_u32_e32 v56, s4, v56
	s_add_i32 s4, s44, 0xffffff80
	v_add_u32_e32 v57, s4, v62
	v_lshrrev_b16_e32 v5, 13, v40
	v_add_u16_e32 v5, v40, v5
	v_and_b32_e32 v5, -8, v5
	v_sub_u16_e32 v42, v40, v5
	v_xor_b32_sdwa v43, v41, sext(v42) dst_sel:DWORD dst_unused:UNUSED_PAD src0_sel:DWORD src1_sel:WORD_0
	v_lshlrev_b32_e32 v5, 7, v40
	v_lshl_add_u32 v75, v43, 4, v5
	v_xor_b32_sdwa v52, v49, sext(v51) dst_sel:DWORD dst_unused:UNUSED_PAD src0_sel:DWORD src1_sel:BYTE_0
	v_lshlrev_b32_e32 v53, 4, v52
	v_add_u32_e32 v55, v53, v54
	v_or_b32_e32 v3, 3, v3
	v_xor_b32_e32 v3, v3, v18
	v_and_b32_e32 v3, 7, v3
	s_ashr_i32 s8, s6, 31
	s_lshr_b32 s8, s8, 29
	s_add_i32 s6, s6, s8
	s_movk_i32 s20, 0x130
	s_ashr_i32 s47, s6, 3
	s_mov_b32 s22, 44
	s_movk_i32 s33, 0xac
	s_mov_b32 s6, 41
	s_mov_b32 s8, 40
	v_mov_b32_e32 v74, 2
	s_mov_b32 s40, s15
	s_mov_b32 s41, s15
	s_movk_i32 s18, 0xff80
	v_or_b32_e32 v92, 16, v38
	s_mov_b32 s45, 0
	s_mov_b32 s46, s15
	s_add_i32 s47, s47, -2
	v_mov_b32_e32 v97, 2
	v_add3_u32 v98, v2, s19, v0
	s_movk_i32 s48, 0x190
	v_mov_b32_e32 v99, s15
	v_mov_b32_e32 v100, s8
	;; [unrolled: 1-line block ×11, first 2 shown]
	s_waitcnt vmcnt(62)
	ds_write_b128 v33, v[6:9]
	v_or_b32_e32 v6, 1, v32
	v_xor_b32_e32 v6, v6, v37
	v_sub_u32_e32 v7, v6, v4
	v_or_b32_e32 v8, 2, v32
	v_lshlrev_b32_e32 v76, 4, v7
	v_xor_b32_e32 v8, v8, v37
	v_add_u32_e32 v77, 0x80, v76
	v_sub_u32_e32 v6, v8, v6
	v_mov_b32_e32 v9, 0x80
	v_add_u32_e32 v7, v77, v33
	v_lshl_add_u32 v78, v6, 4, v9
	ds_write_b128 v7, v[10:13]
	v_add_u32_e32 v6, v78, v7
	v_or_b32_e32 v7, 3, v32
	v_xor_b32_e32 v7, v7, v37
	v_sub_u32_e32 v10, v7, v8
	v_lshlrev_b32_e32 v10, 4, v10
	v_sub_u32_e32 v7, v4, v7
	ds_write_b128 v6, v[14:17]
	v_add_u32_e32 v6, v10, v6
	v_lshlrev_b32_e32 v7, 4, v7
	ds_write_b128 v6, v[20:23] offset:128
	v_add3_u32 v48, v6, v7, s5
	v_and_b32_e32 v6, 0xff000000, v25
	v_and_b32_e32 v7, 0xff0000, v25
	v_or_b32_e32 v6, v7, v6
	v_and_b32_e32 v7, 0xff00, v25
	v_and_b32_e32 v10, 0xff, v25
	v_or3_b32 v25, v6, v7, v10
	v_lshrrev_b32_e32 v6, 1, v39
	ds_write_b64 v6, v[24:25] offset:16384
	v_or_b32_e32 v6, 1, v34
	v_xor_b32_e32 v6, v6, v35
	v_sub_u32_e32 v7, v6, v36
	v_lshlrev_b32_e32 v79, 4, v7
	v_and_b32_e32 v10, 0xff000000, v31
	v_and_b32_e32 v11, 0xff0000, v31
	v_add_u32_e32 v7, v79, v39
	v_or_b32_e32 v10, v11, v10
	v_and_b32_e32 v11, 0xff00, v31
	v_and_b32_e32 v12, 0xff, v31
	v_or3_b32 v31, v10, v11, v12
	v_ashrrev_i32_e32 v10, 1, v7
	ds_write_b64 v10, v[30:31] offset:16384
	v_or_b32_e32 v10, 3, v34
	v_xor_b32_e32 v10, v10, v35
	v_sub_u32_e32 v6, v10, v6
	v_lshlrev_b32_e32 v81, 4, v6
	v_add_u32_e32 v6, v7, v81
	v_and_b32_e32 v7, 0xff000000, v29
	v_and_b32_e32 v11, 0xff0000, v29
	v_or_b32_e32 v7, v7, v11
	v_and_b32_e32 v11, 0xff00, v29
	v_and_b32_e32 v12, 0xff, v29
	v_or3_b32 v29, v7, v11, v12
	v_ashrrev_i32_e32 v7, 1, v6
	ds_write_b64 v7, v[28:29] offset:16384
	v_or_b32_e32 v7, 2, v34
	v_xor_b32_e32 v7, v7, v35
	v_sub_u32_e32 v11, v7, v10
	v_lshlrev_b32_e32 v84, 4, v11
	v_and_b32_e32 v12, 0xff000000, v27
	v_and_b32_e32 v13, 0xff0000, v27
	v_add_u32_e32 v11, v6, v84
	v_or_b32_e32 v12, v12, v13
	v_and_b32_e32 v13, 0xff00, v27
	v_and_b32_e32 v14, 0xff, v27
	v_or3_b32 v27, v12, v13, v14
	v_ashrrev_i32_e32 v11, 1, v11
	v_sub_u32_e32 v10, v36, v10
	ds_write_b64 v11, v[26:27] offset:16384
	v_sub_u32_e32 v7, v36, v7
	v_lshl_add_u32 v36, v10, 4, v6
	v_add_u32_e32 v6, s19, v56
	buffer_load_dwordx4 v[20:23], v56, s[24:27], 0 offen
	buffer_load_dwordx4 v[24:27], v6, s[24:27], 0 offen
	v_add_u32_e32 v6, s19, v6
	v_add_u32_e32 v10, s19, v6
	buffer_load_dwordx4 v[28:31], v6, s[24:27], 0 offen
	buffer_load_dwordx4 v[32:35], v10, s[24:27], 0 offen
	v_add_u32_e32 v10, v57, v58
	v_lshrrev_b32_e32 v11, 31, v10
	v_add_u32_e32 v11, v10, v11
	v_add_u32_e32 v10, 0x80, v10
	v_lshrrev_b32_e32 v12, 31, v10
	v_add_u32_e32 v12, v10, v12
	v_add_u32_e32 v10, v10, v61
	v_lshrrev_b32_e32 v13, 31, v10
	v_ashrrev_i32_e32 v6, 1, v57
	v_add_u32_e32 v13, v10, v13
	v_ashrrev_i32_e32 v11, 1, v11
	v_ashrrev_i32_e32 v12, 1, v12
	v_ashrrev_i32_e32 v13, 1, v13
	buffer_load_dwordx2 v[62:63], v6, s[36:39], 0 offen
	buffer_load_dwordx2 v[56:57], v11, s[36:39], 0 offen
	;; [unrolled: 1-line block ×4, first 2 shown]
	v_add_u16_e32 v11, 32, v40
	v_ashrrev_i16_e32 v12, 15, v11
	v_xor_b32_e32 v13, v41, v37
	v_or_b32_e32 v6, 1, v41
	v_lshrrev_b16_e32 v12, 13, v12
	v_sub_u32_e32 v13, v13, v43
	v_add_u16_e32 v12, v11, v12
	v_lshl_add_u32 v91, v13, 4, v75
	v_xor_b32_e32 v13, v6, v37
	v_and_b32_e32 v12, -8, v12
	v_sub_u32_e32 v13, v13, v43
	v_sub_u16_e32 v11, v11, v12
	v_lshlrev_b32_e32 v13, 4, v13
	v_add_u32_e32 v109, s4, v10
	v_xor_b32_sdwa v10, v6, sext(v42) dst_sel:DWORD dst_unused:UNUSED_PAD src0_sel:DWORD src1_sel:WORD_0
	v_xor_b32_sdwa v12, v41, sext(v11) dst_sel:DWORD dst_unused:UNUSED_PAD src0_sel:DWORD src1_sel:WORD_0
	;; [unrolled: 1-line block ×3, first 2 shown]
	v_add_u32_e32 v90, v75, v13
	v_add_u16_e32 v13, v53, v54
	v_sub_u32_e32 v6, v6, v41
	v_ashrrev_i16_e32 v13, 1, v13
	v_lshlrev_b32_e32 v6, 1, v6
	v_bfe_i32 v89, v13, 0, 16
	v_add_u32_e32 v13, v49, v6
	v_xor_b32_sdwa v13, v13, sext(v51) dst_sel:DWORD dst_unused:UNUSED_PAD src0_sel:DWORD src1_sel:BYTE_0
	v_lshl_add_u32 v13, v13, 4, v54
	v_ashrrev_i32_e32 v87, 1, v13
	v_add_u16_e32 v13, 32, v44
	v_lshrrev_b16_e32 v14, 7, v13
	v_and_b32_e32 v14, 1, v14
	v_add_u16_e32 v14, v13, v14
	v_ashrrev_i16_sdwa v15, v45, sext(v14) dst_sel:DWORD dst_unused:UNUSED_PAD src0_sel:DWORD src1_sel:BYTE_0
	v_and_b32_e32 v17, 0xfe, v14
	v_lshrrev_b16_sdwa v14, v50, sext(v14) dst_sel:DWORD dst_unused:UNUSED_PAD src0_sel:DWORD src1_sel:BYTE_0
	v_and_b32_e32 v14, 15, v14
	v_add_u16_e32 v14, v15, v14
	v_sub_u16_e32 v13, v13, v17
	v_and_b32_e32 v14, 0xf0, v14
	v_add_u32_sdwa v13, v47, sext(v13) dst_sel:DWORD dst_unused:UNUSED_PAD src0_sel:DWORD src1_sel:BYTE_0
	v_sub_u16_e32 v14, v15, v14
	v_sub_u16_e32 v16, v15, v46
	v_xor_b32_sdwa v15, v13, sext(v14) dst_sel:DWORD dst_unused:UNUSED_PAD src0_sel:DWORD src1_sel:BYTE_0
	v_add_u32_e32 v13, v13, v6
	v_bfe_i32 v16, v16, 0, 16
	v_xor_b32_sdwa v13, v13, sext(v14) dst_sel:DWORD dst_unused:UNUSED_PAD src0_sel:DWORD src1_sel:BYTE_0
	v_sub_u32_e32 v15, v15, v52
	v_lshl_add_u32 v16, v16, 8, v55
	v_sub_u32_e32 v13, v13, v52
	v_lshl_add_u32 v15, v15, 4, v16
	v_lshl_add_u32 v13, v13, 4, v16
	v_ashrrev_i32_e32 v88, 1, v15
	v_ashrrev_i32_e32 v86, 1, v13
	v_add_u32_e32 v13, 64, v44
	v_and_or_b32 v15, v18, 1, v47
	v_lshrrev_b32_e32 v14, 1, v13
	v_bfe_u32 v13, v13, 1, 4
	v_add_u32_e32 v6, v6, v15
	v_sub_u32_sdwa v14, v14, sext(v46) dst_sel:DWORD dst_unused:UNUSED_PAD src0_sel:DWORD src1_sel:WORD_0
	v_xor_b32_e32 v16, v13, v15
	v_xor_b32_e32 v13, v6, v13
	v_lshl_add_u32 v14, v14, 8, v55
	v_sub_u32_e32 v13, v13, v52
	v_lshl_add_u32 v13, v13, 4, v14
	v_sub_u32_e32 v16, v16, v52
	v_ashrrev_i32_e32 v83, 1, v13
	v_add_u32_e32 v13, 0x60, v44
	v_lshl_add_u32 v16, v16, 4, v14
	v_lshrrev_b32_e32 v14, 1, v13
	v_bfe_u32 v13, v13, 1, 4
	v_sub_u32_sdwa v14, v14, sext(v46) dst_sel:DWORD dst_unused:UNUSED_PAD src0_sel:DWORD src1_sel:WORD_0
	v_xor_b32_e32 v6, v6, v13
	v_lshl_add_u32 v14, v14, 8, v55
	v_sub_u32_e32 v6, v6, v52
	v_lshl_add_u32 v6, v6, 4, v14
	v_ashrrev_i32_e32 v80, 1, v6
	v_sub_u32_e32 v6, v3, v8
	v_sub_u32_e32 v3, v4, v3
	v_mov_b32_e32 v4, 0xfffffe80
	v_xor_b32_e32 v15, v13, v15
	v_lshl_add_u32 v95, v3, 4, v4
	v_add_u32_e32 v3, 3, v1
	v_sub_u32_e32 v12, v12, v43
	v_sub_u32_e32 v11, v11, v43
	;; [unrolled: 1-line block ×3, first 2 shown]
	v_mad_u64_u32 v[52:53], s[4:5], s19, v3, v[0:1]
	v_add_u32_e32 v1, 2, v1
	v_lshlrev_b32_e32 v10, 4, v10
	v_lshlrev_b32_e32 v12, 4, v12
	;; [unrolled: 1-line block ×3, first 2 shown]
	v_lshl_add_u32 v15, v15, 4, v14
	v_mad_u64_u32 v[54:55], s[4:5], s19, v1, v[0:1]
	v_ashrrev_i32_e32 v85, 1, v16
	v_ashrrev_i32_e32 v82, 1, v15
	v_lshl_add_u32 v94, v6, 4, v9
	v_lshlrev_b32_e32 v96, 4, v7
	s_movk_i32 s19, 0xfef0
	v_add_u32_e32 v93, v10, v5
	v_add_u32_e32 v55, v75, v12
	;; [unrolled: 1-line block ×3, first 2 shown]
.LBB7_12:                               ; =>This Inner Loop Header: Depth=1
	s_waitcnt lgkmcnt(0)
	s_barrier
	ds_read_b128 v[0:3], v75
	ds_read_b128 v[4:7], v91 offset:8192
	ds_read_b128 v[8:11], v93
	v_add_u32_e32 v111, s48, v73
	v_lshlrev_b32_e32 v64, 7, v97
	s_waitcnt lgkmcnt(2)
	buffer_store_dword v0, off, s[0:3], 0 offset:44
	buffer_store_dword v1, off, s[0:3], 0 offset:48
	;; [unrolled: 1-line block ×4, first 2 shown]
	ds_read_b128 v[0:3], v55 offset:4096
	s_waitcnt lgkmcnt(1)
	buffer_store_dword v8, off, s[0:3], 0 offset:60
	buffer_store_dword v9, off, s[0:3], 0 offset:64
	;; [unrolled: 1-line block ×4, first 2 shown]
	ds_read_b128 v[8:11], v53 offset:4096
	s_waitcnt lgkmcnt(1)
	buffer_store_dword v0, off, s[0:3], 0 offset:76
	buffer_store_dword v1, off, s[0:3], 0 offset:80
	;; [unrolled: 1-line block ×4, first 2 shown]
	s_waitcnt lgkmcnt(0)
	buffer_store_dword v8, off, s[0:3], 0 offset:92
	buffer_store_dword v9, off, s[0:3], 0 offset:96
	;; [unrolled: 1-line block ×5, first 2 shown]
	ds_read_b128 v[0:3], v90 offset:8192
	buffer_store_dword v5, off, s[0:3], 0 offset:112
	buffer_store_dword v6, off, s[0:3], 0 offset:116
	;; [unrolled: 1-line block ×3, first 2 shown]
	ds_read_b128 v[4:7], v91 offset:12288
	s_waitcnt lgkmcnt(1)
	buffer_store_dword v0, off, s[0:3], 0 offset:124
	buffer_store_dword v1, off, s[0:3], 0 offset:128
	buffer_store_dword v2, off, s[0:3], 0 offset:132
	buffer_store_dword v3, off, s[0:3], 0 offset:136
	s_waitcnt lgkmcnt(0)
	buffer_store_dword v4, off, s[0:3], 0 offset:140
	ds_read_b128 v[0:3], v90 offset:12288
	buffer_store_dword v5, off, s[0:3], 0 offset:144
	buffer_store_dword v6, off, s[0:3], 0 offset:148
	;; [unrolled: 1-line block ×3, first 2 shown]
	ds_read_b64 v[4:5], v89 offset:16384
	s_waitcnt lgkmcnt(1)
	buffer_store_dword v0, off, s[0:3], 0 offset:156
	buffer_store_dword v1, off, s[0:3], 0 offset:160
	buffer_store_dword v2, off, s[0:3], 0 offset:164
	buffer_store_dword v3, off, s[0:3], 0 offset:168
	s_waitcnt lgkmcnt(0)
	;;#ASMSTART
	v_cvt_off_f32_i4 v0, v4
v_cvt_off_f32_i4 v1, v4, src0_sel:BYTE_2
v_cvt_pk_fp8_f32 v3, v0, v1
v_cvt_off_f32_i4 v0, v4, src0_sel:BYTE_1
v_cvt_off_f32_i4 v1, v4, src0_sel:BYTE_3
v_cvt_pk_fp8_f32 v6, v0, v1
v_lshrrev_b32 v2, 4, v4
v_cvt_off_f32_i4 v0, v2
v_cvt_off_f32_i4 v1, v2, src0_sel:BYTE_2
v_cvt_pk_fp8_f32 v3, v0, v1, op_sel:[0, 0, 1]
v_cvt_off_f32_i4 v0, v2, src0_sel:BYTE_1
v_cvt_off_f32_i4 v1, v2, src0_sel:BYTE_3
v_cvt_pk_fp8_f32 v6, v0, v1, op_sel:[0, 0, 1]

	;;#ASMEND
	;;#ASMSTART
	v_cvt_off_f32_i4 v0, v5
v_cvt_off_f32_i4 v1, v5, src0_sel:BYTE_2
v_cvt_pk_fp8_f32 v4, v0, v1
v_cvt_off_f32_i4 v0, v5, src0_sel:BYTE_1
v_cvt_off_f32_i4 v1, v5, src0_sel:BYTE_3
v_cvt_pk_fp8_f32 v7, v0, v1
v_lshrrev_b32 v2, 4, v5
v_cvt_off_f32_i4 v0, v2
v_cvt_off_f32_i4 v1, v2, src0_sel:BYTE_2
v_cvt_pk_fp8_f32 v4, v0, v1, op_sel:[0, 0, 1]
v_cvt_off_f32_i4 v0, v2, src0_sel:BYTE_1
v_cvt_off_f32_i4 v1, v2, src0_sel:BYTE_3
v_cvt_pk_fp8_f32 v7, v0, v1, op_sel:[0, 0, 1]

	;;#ASMEND
	ds_read_b64 v[0:1], v87 offset:16384
	buffer_store_dword v3, off, s[0:3], 0 offset:172
	buffer_store_dword v6, off, s[0:3], 0 offset:176
	buffer_store_dword v4, off, s[0:3], 0 offset:180
	buffer_store_dword v7, off, s[0:3], 0 offset:184
	s_waitcnt lgkmcnt(0)
	;;#ASMSTART
	v_cvt_off_f32_i4 v2, v0
v_cvt_off_f32_i4 v3, v0, src0_sel:BYTE_2
v_cvt_pk_fp8_f32 v5, v2, v3
v_cvt_off_f32_i4 v2, v0, src0_sel:BYTE_1
v_cvt_off_f32_i4 v3, v0, src0_sel:BYTE_3
v_cvt_pk_fp8_f32 v6, v2, v3
v_lshrrev_b32 v4, 4, v0
v_cvt_off_f32_i4 v2, v4
v_cvt_off_f32_i4 v3, v4, src0_sel:BYTE_2
v_cvt_pk_fp8_f32 v5, v2, v3, op_sel:[0, 0, 1]
v_cvt_off_f32_i4 v2, v4, src0_sel:BYTE_1
v_cvt_off_f32_i4 v3, v4, src0_sel:BYTE_3
v_cvt_pk_fp8_f32 v6, v2, v3, op_sel:[0, 0, 1]

	;;#ASMEND
	;;#ASMSTART
	v_cvt_off_f32_i4 v0, v1
v_cvt_off_f32_i4 v2, v1, src0_sel:BYTE_2
v_cvt_pk_fp8_f32 v4, v0, v2
v_cvt_off_f32_i4 v0, v1, src0_sel:BYTE_1
v_cvt_off_f32_i4 v2, v1, src0_sel:BYTE_3
v_cvt_pk_fp8_f32 v7, v0, v2
v_lshrrev_b32 v3, 4, v1
v_cvt_off_f32_i4 v0, v3
v_cvt_off_f32_i4 v2, v3, src0_sel:BYTE_2
v_cvt_pk_fp8_f32 v4, v0, v2, op_sel:[0, 0, 1]
v_cvt_off_f32_i4 v0, v3, src0_sel:BYTE_1
v_cvt_off_f32_i4 v2, v3, src0_sel:BYTE_3
v_cvt_pk_fp8_f32 v7, v0, v2, op_sel:[0, 0, 1]

	;;#ASMEND
	ds_read_b64 v[0:1], v88 offset:16384
	;; [unrolled: 38-line block ×7, first 2 shown]
	buffer_store_dword v5, off, s[0:3], 0 offset:268
	buffer_store_dword v6, off, s[0:3], 0 offset:272
	buffer_store_dword v4, off, s[0:3], 0 offset:276
	buffer_store_dword v7, off, s[0:3], 0 offset:280
	s_waitcnt lgkmcnt(0)
	;;#ASMSTART
	v_cvt_off_f32_i4 v2, v0
v_cvt_off_f32_i4 v3, v0, src0_sel:BYTE_2
v_cvt_pk_fp8_f32 v5, v2, v3
v_cvt_off_f32_i4 v2, v0, src0_sel:BYTE_1
v_cvt_off_f32_i4 v3, v0, src0_sel:BYTE_3
v_cvt_pk_fp8_f32 v6, v2, v3
v_lshrrev_b32 v4, 4, v0
v_cvt_off_f32_i4 v2, v4
v_cvt_off_f32_i4 v3, v4, src0_sel:BYTE_2
v_cvt_pk_fp8_f32 v5, v2, v3, op_sel:[0, 0, 1]
v_cvt_off_f32_i4 v2, v4, src0_sel:BYTE_1
v_cvt_off_f32_i4 v3, v4, src0_sel:BYTE_3
v_cvt_pk_fp8_f32 v6, v2, v3, op_sel:[0, 0, 1]

	;;#ASMEND
	v_add_u32_e32 v37, 0xffffff70, v111
	;;#ASMSTART
	v_cvt_off_f32_i4 v0, v1
v_cvt_off_f32_i4 v2, v1, src0_sel:BYTE_2
v_cvt_pk_fp8_f32 v4, v0, v2
v_cvt_off_f32_i4 v0, v1, src0_sel:BYTE_1
v_cvt_off_f32_i4 v2, v1, src0_sel:BYTE_3
v_cvt_pk_fp8_f32 v7, v0, v2
v_lshrrev_b32 v3, 4, v1
v_cvt_off_f32_i4 v0, v3
v_cvt_off_f32_i4 v2, v3, src0_sel:BYTE_2
v_cvt_pk_fp8_f32 v4, v0, v2, op_sel:[0, 0, 1]
v_cvt_off_f32_i4 v0, v3, src0_sel:BYTE_1
v_cvt_off_f32_i4 v2, v3, src0_sel:BYTE_3
v_cvt_pk_fp8_f32 v7, v0, v2, op_sel:[0, 0, 1]

	;;#ASMEND
	buffer_store_dword v5, off, s[0:3], 0 offset:284
	buffer_store_dword v6, off, s[0:3], 0 offset:288
	;; [unrolled: 1-line block ×4, first 2 shown]
	; sched_barrier mask(0x00000000)
	s_barrier
	; sched_barrier mask(0x00000000)
	v_mov_b32_e32 v0, s45
	v_mov_b32_e32 v1, s46
	buffer_store_dword v99, off, s[0:3], 0 offset:4
	buffer_store_dword v100, off, s[0:3], 0
	buffer_store_dword v101, off, s[0:3], 0 offset:12
	buffer_store_dword v102, off, s[0:3], 0 offset:8
	;; [unrolled: 1-line block ×8, first 2 shown]
	s_getpc_b64 s[4:5]
	s_add_u32 s4, s4, _ZNK2ck6detail7applierIiJLi0ELi1ELi2ELi3ELi4ELi5ELi6ELi7ELi8ELi9ELi10ELi11ELi12ELi13ELi14ELi15EEEclIZNKS_11static_fordINS_8SequenceIJLi4ELi4EEEENS5_IJLi0ELi1EEEEEclIZZZZNKS_31BlockwiseGemmXdlops_pipeline_v2ILNS_26BlockGemmPipelineSchedulerE1ELi256ENS_9f8_fnuz_tENS_7pk_i4_tESC_fNS_16TensorDescriptorINS_5TupleIJNS_5EmbedINSF_IJNS_17integral_constantIiLi8EEENSH_IiLi128EEENSH_IiLi16EEEEEENSF_IJSK_SJ_NSH_IiLi1EEEEEELb0EEENS_3XorINSF_IJSJ_SI_EEELb1EEENS_11PassThroughISK_EENS_7UnMergeINSF_IJSI_SM_EEELb0EEENSS_ISJ_EEST_NSS_ISI_EENS_21Merge_v3_division_modINSF_IJSJ_SM_EEEEEST_EEENSF_IJNS5_IJLi0EEEENS5_IJLi2ELi1EEEENS5_IJLi3EEEENS5_IJLi5EEEENS5_IJLi4EEEENS5_IJLi6EEEENS5_IJLi7EEEENS5_IJLi9ELi8EEEENS5_IJLi10EEEEEEENSF_IJNS5_IJLi1ELi2ELi3EEEENS5_IJLi4ELi5EEEES18_NS5_IJLi7ELi8EEEENS5_IJLi9EEEES1B_NS5_IJLi11EEEENS5_IJLi12EEEENS5_IJLi13EEEEEEENS5_IJLi11ELi12ELi13EEEENSH_IlLl16384EEEEENSE_INSF_IJNSG_INSF_IJSK_NSH_IiLi64EEESK_EEENSF_IJSK_NSH_IiLi256EEESM_EEELb0EEENSP_INSF_IJS1O_SK_EEELb1EEEST_NSU_INSF_IJSI_NSH_IiLi2EEEEEELb0EEENSS_IS1O_EEST_SY_NSZ_INSF_IJS1O_S1V_EEEEEST_EEES1C_S1K_S1L_S1M_EENSE_INSF_IJSO_SR_ST_SW_SX_ST_SY_S11_ST_NSZ_INSF_IJSI_SK_EEEEENSU_INSF_IJNSH_IiLi4EEES1V_SK_EEELb0EEEEEENSF_IJS13_S14_S15_S16_S17_S18_S19_S1A_S1B_NS5_IJLi11ELi13EEEES1I_EEENSF_IJS1D_S1E_S18_S1F_S1G_S1B_S1H_S1I_S1J_NS5_IJLi14EEEENS5_IJLi15ELi16ELi17EEEEEEENS5_IJLi15ELi16ELi17ELi14EEEES1M_EENSE_INSF_IJS1S_S1U_ST_S1X_S1Y_ST_SY_S20_ST_S24_S27_EEES2A_S2D_S2E_S1M_EELi16ELi16ELi128ELi128ELi128ELi16ELi16ELi4ELi4ELi16ELb0EE3RunILb1ELNS_10TailNumberE2ENSE_INSF_IJNSG_INSF_IJiiEEENSF_IJiSM_EEELb0EEENSU_IS2L_Lb0EEENSS_IiEEEEENSF_IJS13_NS5_IJLi2EEEENS5_IJLi1EEEEEEENSF_IJNS5_IJLi1ELi2EEEENS5_IJLi3ELi4EEEES16_EEENS5_IJLi3ELi5ELi4EEEElEES1N_NS_35ThreadGroupTensorSliceTransfer_v4r1INS_15ThisThreadBlockILi256EEENS_16tensor_operation12element_wise11PassThroughES34_LNS_25InMemoryDataOperationEnumE0ENS5_IJLi8ELi128ELi16EEEENS5_IJLi8ELi32ELi1EEEENS5_IJLi1ELi0ELi2EEEESC_SC_RKS2Y_KS1N_S38_NS5_IJLi0ELi1ELi2EEEELi2ELi2ELi16ELi16ELi1ELi1ELb0ELb1ELi2EiEENS_13DynamicBufferILNS_16AddressSpaceEnumE1EKSC_lLb1ELNS_22AmdBufferCoherenceEnumE0EiEENS3E_ILS3F_2ESC_S1M_Lb1ELS3H_0EiEENSF_IJiiiEEENSE_INSF_IJNSU_INSF_IJiiiiEEELb0EEENS_23Merge_v2_magic_divisionIS2L_EENSS_INSF_IJiEEEEES2P_EEENSF_IJS13_NS5_IJLi1ELi3EEEES2R_S17_EEENSF_IJNS5_IJLi1ELi2ELi3ELi4EEEES16_S18_S19_EEENS5_IJLi5ELi6ELi7EEEElEES22_NS2Z_IS31_S34_S34_LS35_0ES36_NS5_IJLi4ELi64ELi1EEEES38_SD_SD_RKS3X_KS22_S38_S3C_Li2ELi2ELi16ELi16ELi1ELi1ELb0ELb1ELi2EiEENS3E_ILS3F_1EKSD_lLb1ELS3H_0EiEENS3E_ILS3F_2ESD_S1M_Lb1ELS3H_0EiEES3K_NS_25StaticBufferTupleOfVectorILS3F_4EfLi16ELi4ELb1ELb0EEEEEvRKT1_RKT2_RT3_RKT4_RT5_RKT6_RKT7_RKT8_RT9_RKT10_RT11_RKT12_RT13_iENKUlT_E0_clINSH_IiLi0EEEEEDaS56_ENKUlS56_E_clIS59_EEDaS56_ENKUlS56_E1_clIS59_EEDaS56_EUlS56_E_EEvS56_EUlS56_E_EEvS56_@rel32@lo+4
	s_addc_u32 s5, s5, _ZNK2ck6detail7applierIiJLi0ELi1ELi2ELi3ELi4ELi5ELi6ELi7ELi8ELi9ELi10ELi11ELi12ELi13ELi14ELi15EEEclIZNKS_11static_fordINS_8SequenceIJLi4ELi4EEEENS5_IJLi0ELi1EEEEEclIZZZZNKS_31BlockwiseGemmXdlops_pipeline_v2ILNS_26BlockGemmPipelineSchedulerE1ELi256ENS_9f8_fnuz_tENS_7pk_i4_tESC_fNS_16TensorDescriptorINS_5TupleIJNS_5EmbedINSF_IJNS_17integral_constantIiLi8EEENSH_IiLi128EEENSH_IiLi16EEEEEENSF_IJSK_SJ_NSH_IiLi1EEEEEELb0EEENS_3XorINSF_IJSJ_SI_EEELb1EEENS_11PassThroughISK_EENS_7UnMergeINSF_IJSI_SM_EEELb0EEENSS_ISJ_EEST_NSS_ISI_EENS_21Merge_v3_division_modINSF_IJSJ_SM_EEEEEST_EEENSF_IJNS5_IJLi0EEEENS5_IJLi2ELi1EEEENS5_IJLi3EEEENS5_IJLi5EEEENS5_IJLi4EEEENS5_IJLi6EEEENS5_IJLi7EEEENS5_IJLi9ELi8EEEENS5_IJLi10EEEEEEENSF_IJNS5_IJLi1ELi2ELi3EEEENS5_IJLi4ELi5EEEES18_NS5_IJLi7ELi8EEEENS5_IJLi9EEEES1B_NS5_IJLi11EEEENS5_IJLi12EEEENS5_IJLi13EEEEEEENS5_IJLi11ELi12ELi13EEEENSH_IlLl16384EEEEENSE_INSF_IJNSG_INSF_IJSK_NSH_IiLi64EEESK_EEENSF_IJSK_NSH_IiLi256EEESM_EEELb0EEENSP_INSF_IJS1O_SK_EEELb1EEEST_NSU_INSF_IJSI_NSH_IiLi2EEEEEELb0EEENSS_IS1O_EEST_SY_NSZ_INSF_IJS1O_S1V_EEEEEST_EEES1C_S1K_S1L_S1M_EENSE_INSF_IJSO_SR_ST_SW_SX_ST_SY_S11_ST_NSZ_INSF_IJSI_SK_EEEEENSU_INSF_IJNSH_IiLi4EEES1V_SK_EEELb0EEEEEENSF_IJS13_S14_S15_S16_S17_S18_S19_S1A_S1B_NS5_IJLi11ELi13EEEES1I_EEENSF_IJS1D_S1E_S18_S1F_S1G_S1B_S1H_S1I_S1J_NS5_IJLi14EEEENS5_IJLi15ELi16ELi17EEEEEEENS5_IJLi15ELi16ELi17ELi14EEEES1M_EENSE_INSF_IJS1S_S1U_ST_S1X_S1Y_ST_SY_S20_ST_S24_S27_EEES2A_S2D_S2E_S1M_EELi16ELi16ELi128ELi128ELi128ELi16ELi16ELi4ELi4ELi16ELb0EE3RunILb1ELNS_10TailNumberE2ENSE_INSF_IJNSG_INSF_IJiiEEENSF_IJiSM_EEELb0EEENSU_IS2L_Lb0EEENSS_IiEEEEENSF_IJS13_NS5_IJLi2EEEENS5_IJLi1EEEEEEENSF_IJNS5_IJLi1ELi2EEEENS5_IJLi3ELi4EEEES16_EEENS5_IJLi3ELi5ELi4EEEElEES1N_NS_35ThreadGroupTensorSliceTransfer_v4r1INS_15ThisThreadBlockILi256EEENS_16tensor_operation12element_wise11PassThroughES34_LNS_25InMemoryDataOperationEnumE0ENS5_IJLi8ELi128ELi16EEEENS5_IJLi8ELi32ELi1EEEENS5_IJLi1ELi0ELi2EEEESC_SC_RKS2Y_KS1N_S38_NS5_IJLi0ELi1ELi2EEEELi2ELi2ELi16ELi16ELi1ELi1ELb0ELb1ELi2EiEENS_13DynamicBufferILNS_16AddressSpaceEnumE1EKSC_lLb1ELNS_22AmdBufferCoherenceEnumE0EiEENS3E_ILS3F_2ESC_S1M_Lb1ELS3H_0EiEENSF_IJiiiEEENSE_INSF_IJNSU_INSF_IJiiiiEEELb0EEENS_23Merge_v2_magic_divisionIS2L_EENSS_INSF_IJiEEEEES2P_EEENSF_IJS13_NS5_IJLi1ELi3EEEES2R_S17_EEENSF_IJNS5_IJLi1ELi2ELi3ELi4EEEES16_S18_S19_EEENS5_IJLi5ELi6ELi7EEEElEES22_NS2Z_IS31_S34_S34_LS35_0ES36_NS5_IJLi4ELi64ELi1EEEES38_SD_SD_RKS3X_KS22_S38_S3C_Li2ELi2ELi16ELi16ELi1ELi1ELb0ELb1ELi2EiEENS3E_ILS3F_1EKSD_lLb1ELS3H_0EiEENS3E_ILS3F_2ESD_S1M_Lb1ELS3H_0EiEES3K_NS_25StaticBufferTupleOfVectorILS3F_4EfLi16ELi4ELb1ELb0EEEEEvRKT1_RKT2_RT3_RKT4_RT5_RKT6_RKT7_RKT8_RT9_RKT10_RT11_RKT12_RT13_iENKUlT_E0_clINSH_IiLi0EEEEEDaS56_ENKUlS56_E_clIS59_EEDaS56_ENKUlS56_E1_clIS59_EEDaS56_EUlS56_E_EEvS56_EUlS56_E_EEvS56_@rel32@hi+12
	s_swappc_b64 s[30:31], s[4:5]
	v_mov_b32_e32 v0, s45
	v_mov_b32_e32 v1, s46
	buffer_store_dword v99, off, s[0:3], 0 offset:4
	buffer_store_dword v100, off, s[0:3], 0
	buffer_store_dword v101, off, s[0:3], 0 offset:12
	buffer_store_dword v102, off, s[0:3], 0 offset:8
	buffer_store_dword v103, off, s[0:3], 0 offset:20
	buffer_store_dword v104, off, s[0:3], 0 offset:16
	buffer_store_dword v105, off, s[0:3], 0 offset:28
	buffer_store_dword v106, off, s[0:3], 0 offset:24
	buffer_store_dword v107, off, s[0:3], 0 offset:36
	buffer_store_dword v108, off, s[0:3], 0 offset:32
	s_getpc_b64 s[4:5]
	s_add_u32 s4, s4, _ZNK2ck6detail7applierIiJLi0ELi1ELi2ELi3ELi4ELi5ELi6ELi7ELi8ELi9ELi10ELi11ELi12ELi13ELi14ELi15EEEclIZNKS_11static_fordINS_8SequenceIJLi4ELi4EEEENS5_IJLi0ELi1EEEEEclIZZZZNKS_31BlockwiseGemmXdlops_pipeline_v2ILNS_26BlockGemmPipelineSchedulerE1ELi256ENS_9f8_fnuz_tENS_7pk_i4_tESC_fNS_16TensorDescriptorINS_5TupleIJNS_5EmbedINSF_IJNS_17integral_constantIiLi8EEENSH_IiLi128EEENSH_IiLi16EEEEEENSF_IJSK_SJ_NSH_IiLi1EEEEEELb0EEENS_3XorINSF_IJSJ_SI_EEELb1EEENS_11PassThroughISK_EENS_7UnMergeINSF_IJSI_SM_EEELb0EEENSS_ISJ_EEST_NSS_ISI_EENS_21Merge_v3_division_modINSF_IJSJ_SM_EEEEEST_EEENSF_IJNS5_IJLi0EEEENS5_IJLi2ELi1EEEENS5_IJLi3EEEENS5_IJLi5EEEENS5_IJLi4EEEENS5_IJLi6EEEENS5_IJLi7EEEENS5_IJLi9ELi8EEEENS5_IJLi10EEEEEEENSF_IJNS5_IJLi1ELi2ELi3EEEENS5_IJLi4ELi5EEEES18_NS5_IJLi7ELi8EEEENS5_IJLi9EEEES1B_NS5_IJLi11EEEENS5_IJLi12EEEENS5_IJLi13EEEEEEENS5_IJLi11ELi12ELi13EEEENSH_IlLl16384EEEEENSE_INSF_IJNSG_INSF_IJSK_NSH_IiLi64EEESK_EEENSF_IJSK_NSH_IiLi256EEESM_EEELb0EEENSP_INSF_IJS1O_SK_EEELb1EEEST_NSU_INSF_IJSI_NSH_IiLi2EEEEEELb0EEENSS_IS1O_EEST_SY_NSZ_INSF_IJS1O_S1V_EEEEEST_EEES1C_S1K_S1L_S1M_EENSE_INSF_IJSO_SR_ST_SW_SX_ST_SY_S11_ST_NSZ_INSF_IJSI_SK_EEEEENSU_INSF_IJNSH_IiLi4EEES1V_SK_EEELb0EEEEEENSF_IJS13_S14_S15_S16_S17_S18_S19_S1A_S1B_NS5_IJLi11ELi13EEEES1I_EEENSF_IJS1D_S1E_S18_S1F_S1G_S1B_S1H_S1I_S1J_NS5_IJLi14EEEENS5_IJLi15ELi16ELi17EEEEEEENS5_IJLi15ELi16ELi17ELi14EEEES1M_EENSE_INSF_IJS1S_S1U_ST_S1X_S1Y_ST_SY_S20_ST_S24_S27_EEES2A_S2D_S2E_S1M_EELi16ELi16ELi128ELi128ELi128ELi16ELi16ELi4ELi4ELi16ELb0EE3RunILb1ELNS_10TailNumberE2ENSE_INSF_IJNSG_INSF_IJiiEEENSF_IJiSM_EEELb0EEENSU_IS2L_Lb0EEENSS_IiEEEEENSF_IJS13_NS5_IJLi2EEEENS5_IJLi1EEEEEEENSF_IJNS5_IJLi1ELi2EEEENS5_IJLi3ELi4EEEES16_EEENS5_IJLi3ELi5ELi4EEEElEES1N_NS_35ThreadGroupTensorSliceTransfer_v4r1INS_15ThisThreadBlockILi256EEENS_16tensor_operation12element_wise11PassThroughES34_LNS_25InMemoryDataOperationEnumE0ENS5_IJLi8ELi128ELi16EEEENS5_IJLi8ELi32ELi1EEEENS5_IJLi1ELi0ELi2EEEESC_SC_RKS2Y_KS1N_S38_NS5_IJLi0ELi1ELi2EEEELi2ELi2ELi16ELi16ELi1ELi1ELb0ELb1ELi2EiEENS_13DynamicBufferILNS_16AddressSpaceEnumE1EKSC_lLb1ELNS_22AmdBufferCoherenceEnumE0EiEENS3E_ILS3F_2ESC_S1M_Lb1ELS3H_0EiEENSF_IJiiiEEENSE_INSF_IJNSU_INSF_IJiiiiEEELb0EEENS_23Merge_v2_magic_divisionIS2L_EENSS_INSF_IJiEEEEES2P_EEENSF_IJS13_NS5_IJLi1ELi3EEEES2R_S17_EEENSF_IJNS5_IJLi1ELi2ELi3ELi4EEEES16_S18_S19_EEENS5_IJLi5ELi6ELi7EEEElEES22_NS2Z_IS31_S34_S34_LS35_0ES36_NS5_IJLi4ELi64ELi1EEEES38_SD_SD_RKS3X_KS22_S38_S3C_Li2ELi2ELi16ELi16ELi1ELi1ELb0ELb1ELi2EiEENS3E_ILS3F_1EKSD_lLb1ELS3H_0EiEENS3E_ILS3F_2ESD_S1M_Lb1ELS3H_0EiEES3K_NS_25StaticBufferTupleOfVectorILS3F_4EfLi16ELi4ELb1ELb0EEEEEvRKT1_RKT2_RT3_RKT4_RT5_RKT6_RKT7_RKT8_RT9_RKT10_RT11_RKT12_RT13_iENKUlT_E0_clINSH_IiLi0EEEEEDaS56_ENKUlS56_E_clIS59_EEDaS56_ENKUlS56_E1_clISK_EEDaS56_EUlS56_E_EEvS56_EUlS56_E_EEvS56_@rel32@lo+4
	s_addc_u32 s5, s5, _ZNK2ck6detail7applierIiJLi0ELi1ELi2ELi3ELi4ELi5ELi6ELi7ELi8ELi9ELi10ELi11ELi12ELi13ELi14ELi15EEEclIZNKS_11static_fordINS_8SequenceIJLi4ELi4EEEENS5_IJLi0ELi1EEEEEclIZZZZNKS_31BlockwiseGemmXdlops_pipeline_v2ILNS_26BlockGemmPipelineSchedulerE1ELi256ENS_9f8_fnuz_tENS_7pk_i4_tESC_fNS_16TensorDescriptorINS_5TupleIJNS_5EmbedINSF_IJNS_17integral_constantIiLi8EEENSH_IiLi128EEENSH_IiLi16EEEEEENSF_IJSK_SJ_NSH_IiLi1EEEEEELb0EEENS_3XorINSF_IJSJ_SI_EEELb1EEENS_11PassThroughISK_EENS_7UnMergeINSF_IJSI_SM_EEELb0EEENSS_ISJ_EEST_NSS_ISI_EENS_21Merge_v3_division_modINSF_IJSJ_SM_EEEEEST_EEENSF_IJNS5_IJLi0EEEENS5_IJLi2ELi1EEEENS5_IJLi3EEEENS5_IJLi5EEEENS5_IJLi4EEEENS5_IJLi6EEEENS5_IJLi7EEEENS5_IJLi9ELi8EEEENS5_IJLi10EEEEEEENSF_IJNS5_IJLi1ELi2ELi3EEEENS5_IJLi4ELi5EEEES18_NS5_IJLi7ELi8EEEENS5_IJLi9EEEES1B_NS5_IJLi11EEEENS5_IJLi12EEEENS5_IJLi13EEEEEEENS5_IJLi11ELi12ELi13EEEENSH_IlLl16384EEEEENSE_INSF_IJNSG_INSF_IJSK_NSH_IiLi64EEESK_EEENSF_IJSK_NSH_IiLi256EEESM_EEELb0EEENSP_INSF_IJS1O_SK_EEELb1EEEST_NSU_INSF_IJSI_NSH_IiLi2EEEEEELb0EEENSS_IS1O_EEST_SY_NSZ_INSF_IJS1O_S1V_EEEEEST_EEES1C_S1K_S1L_S1M_EENSE_INSF_IJSO_SR_ST_SW_SX_ST_SY_S11_ST_NSZ_INSF_IJSI_SK_EEEEENSU_INSF_IJNSH_IiLi4EEES1V_SK_EEELb0EEEEEENSF_IJS13_S14_S15_S16_S17_S18_S19_S1A_S1B_NS5_IJLi11ELi13EEEES1I_EEENSF_IJS1D_S1E_S18_S1F_S1G_S1B_S1H_S1I_S1J_NS5_IJLi14EEEENS5_IJLi15ELi16ELi17EEEEEEENS5_IJLi15ELi16ELi17ELi14EEEES1M_EENSE_INSF_IJS1S_S1U_ST_S1X_S1Y_ST_SY_S20_ST_S24_S27_EEES2A_S2D_S2E_S1M_EELi16ELi16ELi128ELi128ELi128ELi16ELi16ELi4ELi4ELi16ELb0EE3RunILb1ELNS_10TailNumberE2ENSE_INSF_IJNSG_INSF_IJiiEEENSF_IJiSM_EEELb0EEENSU_IS2L_Lb0EEENSS_IiEEEEENSF_IJS13_NS5_IJLi2EEEENS5_IJLi1EEEEEEENSF_IJNS5_IJLi1ELi2EEEENS5_IJLi3ELi4EEEES16_EEENS5_IJLi3ELi5ELi4EEEElEES1N_NS_35ThreadGroupTensorSliceTransfer_v4r1INS_15ThisThreadBlockILi256EEENS_16tensor_operation12element_wise11PassThroughES34_LNS_25InMemoryDataOperationEnumE0ENS5_IJLi8ELi128ELi16EEEENS5_IJLi8ELi32ELi1EEEENS5_IJLi1ELi0ELi2EEEESC_SC_RKS2Y_KS1N_S38_NS5_IJLi0ELi1ELi2EEEELi2ELi2ELi16ELi16ELi1ELi1ELb0ELb1ELi2EiEENS_13DynamicBufferILNS_16AddressSpaceEnumE1EKSC_lLb1ELNS_22AmdBufferCoherenceEnumE0EiEENS3E_ILS3F_2ESC_S1M_Lb1ELS3H_0EiEENSF_IJiiiEEENSE_INSF_IJNSU_INSF_IJiiiiEEELb0EEENS_23Merge_v2_magic_divisionIS2L_EENSS_INSF_IJiEEEEES2P_EEENSF_IJS13_NS5_IJLi1ELi3EEEES2R_S17_EEENSF_IJNS5_IJLi1ELi2ELi3ELi4EEEES16_S18_S19_EEENS5_IJLi5ELi6ELi7EEEElEES22_NS2Z_IS31_S34_S34_LS35_0ES36_NS5_IJLi4ELi64ELi1EEEES38_SD_SD_RKS3X_KS22_S38_S3C_Li2ELi2ELi16ELi16ELi1ELi1ELb0ELb1ELi2EiEENS3E_ILS3F_1EKSD_lLb1ELS3H_0EiEENS3E_ILS3F_2ESD_S1M_Lb1ELS3H_0EiEES3K_NS_25StaticBufferTupleOfVectorILS3F_4EfLi16ELi4ELb1ELb0EEEEEvRKT1_RKT2_RT3_RKT4_RT5_RKT6_RKT7_RKT8_RT9_RKT10_RT11_RKT12_RT13_iENKUlT_E0_clINSH_IiLi0EEEEEDaS56_ENKUlS56_E_clIS59_EEDaS56_ENKUlS56_E1_clISK_EEDaS56_EUlS56_E_EEvS56_EUlS56_E_EEvS56_@rel32@hi+12
	s_swappc_b64 s[30:31], s[4:5]
	; sched_barrier mask(0x00000000)
	s_setprio 0
	; sched_barrier mask(0x00000000)
	v_add_u32_e32 v0, v48, v76
	ds_write_b128 v48, v[20:23]
	ds_write_b128 v0, v[24:27] offset:128
	v_add3_u32 v1, v48, v77, v78
	v_add_u32_e32 v0, v0, v78
	ds_write_b128 v0, v[28:31] offset:128
	v_add_u32_e32 v112, v0, v94
	v_add3_u32 v113, v1, v94, v95
	v_and_b32_e32 v0, 0xff000000, v63
	v_and_b32_e32 v1, 0xff0000, v63
	v_or_b32_e32 v0, v1, v0
	v_and_b32_e32 v1, 0xff00, v63
	v_and_b32_e32 v2, 0xff, v63
	v_or3_b32 v63, v0, v1, v2
	v_lshrrev_b32_e32 v0, 31, v36
	v_add_u32_e32 v0, v36, v0
	v_ashrrev_i32_e32 v0, 1, v0
	v_and_b32_e32 v1, 0xff000000, v61
	v_and_b32_e32 v2, 0xff0000, v61
	ds_write_b128 v112, v[32:35] offset:128
	ds_write_b64 v0, v[62:63] offset:16384
	v_add_u32_e32 v0, v36, v79
	v_or_b32_e32 v1, v2, v1
	v_and_b32_e32 v2, 0xff00, v61
	v_and_b32_e32 v3, 0xff, v61
	v_or3_b32 v61, v1, v2, v3
	v_lshrrev_b32_e32 v1, 31, v0
	v_add_u32_e32 v1, v0, v1
	v_ashrrev_i32_e32 v1, 1, v1
	ds_write_b64 v1, v[60:61] offset:16384
	v_and_b32_e32 v1, 0xff000000, v59
	v_and_b32_e32 v2, 0xff0000, v59
	v_add_u32_e32 v0, v0, v81
	v_or_b32_e32 v1, v2, v1
	v_and_b32_e32 v2, 0xff00, v59
	v_and_b32_e32 v3, 0xff, v59
	v_or3_b32 v59, v1, v2, v3
	v_lshrrev_b32_e32 v1, 31, v0
	v_add_u32_e32 v1, v0, v1
	v_ashrrev_i32_e32 v1, 1, v1
	ds_write_b64 v1, v[58:59] offset:16384
	v_and_b32_e32 v1, 0xff000000, v57
	v_and_b32_e32 v2, 0xff0000, v57
	v_add_u32_e32 v0, v0, v84
	v_or_b32_e32 v1, v2, v1
	v_and_b32_e32 v2, 0xff00, v57
	v_and_b32_e32 v3, 0xff, v57
	v_or3_b32 v57, v1, v2, v3
	v_lshrrev_b32_e32 v1, 31, v0
	v_add_u32_e32 v1, v0, v1
	v_ashrrev_i32_e32 v1, 1, v1
	v_add_u32_e32 v20, s48, v98
	ds_write_b64 v1, v[56:57] offset:16384
	v_add_u32_e32 v114, v0, v96
	v_add_u32_e32 v0, 0xffffff70, v20
	;; [unrolled: 1-line block ×4, first 2 shown]
	buffer_load_dwordx4 v[48:51], v37, s[24:27], 0 offen
	buffer_load_dwordx4 v[40:43], v0, s[24:27], 0 offen
	v_add_u32_e32 v0, 0xffffff70, v21
	v_add_u32_e32 v1, 0xffffff70, v22
	v_add_u32_e64 v4, 2, s23
	buffer_load_dwordx4 v[44:47], v0, s[24:27], 0 offen
	buffer_load_dwordx4 v[36:39], v1, s[24:27], 0 offen
	v_sub_u32_e32 v1, v4, v110
	v_mul_lo_u32 v5, v1, s44
	v_sub_u32_e32 v1, v74, v110
	v_add_u32_e32 v2, s48, v109
	v_mul_lo_u32 v1, s44, v1
	v_sub_u32_e32 v3, v2, v64
	v_add3_u32 v3, v3, v1, s18
	v_add_u32_e32 v1, v2, v1
	v_sub_u32_e32 v1, v1, v64
	v_lshrrev_b32_e32 v2, 31, v1
	v_lshrrev_b32_e32 v0, 31, v109
	;; [unrolled: 1-line block ×3, first 2 shown]
	v_add_u32_e32 v2, v1, v2
	v_add3_u32 v1, s19, v64, v1
	v_add_u32_e32 v0, v109, v0
	v_add_u32_e32 v3, v3, v6
	v_lshrrev_b32_e32 v6, 31, v1
	v_ashrrev_i32_e32 v0, 1, v0
	v_add_u32_e32 v1, v1, v6
	v_ashrrev_i32_e32 v3, 1, v3
	v_ashrrev_i32_e32 v2, 1, v2
	;; [unrolled: 1-line block ×3, first 2 shown]
	buffer_load_dwordx2 v[70:71], v0, s[36:39], 0 offen
	buffer_load_dwordx2 v[64:65], v3, s[36:39], 0 offen
	;; [unrolled: 1-line block ×4, first 2 shown]
	s_waitcnt lgkmcnt(0)
	s_barrier
	ds_read_b128 v[0:3], v75
	v_add_u32_e32 v57, -16, v111
	v_add_u32_e64 v111, 3, s23
	v_sub_u32_e32 v4, v111, v4
	v_mul_lo_u32 v4, v4, s44
	ds_read_b128 v[8:11], v93
	v_add3_u32 v56, v5, v109, v4
	ds_read_b128 v[4:7], v91 offset:8192
	s_waitcnt lgkmcnt(2)
	buffer_store_dword v0, off, s[0:3], 0 offset:44
	buffer_store_dword v1, off, s[0:3], 0 offset:48
	buffer_store_dword v2, off, s[0:3], 0 offset:52
	buffer_store_dword v3, off, s[0:3], 0 offset:56
	ds_read_b128 v[0:3], v55 offset:4096
	s_waitcnt lgkmcnt(2)
	buffer_store_dword v8, off, s[0:3], 0 offset:60
	buffer_store_dword v9, off, s[0:3], 0 offset:64
	buffer_store_dword v10, off, s[0:3], 0 offset:68
	buffer_store_dword v11, off, s[0:3], 0 offset:72
	;; [unrolled: 6-line block ×3, first 2 shown]
	s_waitcnt lgkmcnt(0)
	buffer_store_dword v8, off, s[0:3], 0 offset:92
	buffer_store_dword v9, off, s[0:3], 0 offset:96
	;; [unrolled: 1-line block ×5, first 2 shown]
	ds_read_b128 v[0:3], v90 offset:8192
	buffer_store_dword v5, off, s[0:3], 0 offset:112
	buffer_store_dword v6, off, s[0:3], 0 offset:116
	;; [unrolled: 1-line block ×3, first 2 shown]
	ds_read_b128 v[4:7], v91 offset:12288
	s_waitcnt lgkmcnt(1)
	buffer_store_dword v0, off, s[0:3], 0 offset:124
	buffer_store_dword v1, off, s[0:3], 0 offset:128
	;; [unrolled: 1-line block ×4, first 2 shown]
	s_waitcnt lgkmcnt(0)
	buffer_store_dword v4, off, s[0:3], 0 offset:140
	ds_read_b128 v[0:3], v90 offset:12288
	buffer_store_dword v5, off, s[0:3], 0 offset:144
	buffer_store_dword v6, off, s[0:3], 0 offset:148
	buffer_store_dword v7, off, s[0:3], 0 offset:152
	ds_read_b64 v[4:5], v89 offset:16384
	s_waitcnt lgkmcnt(1)
	buffer_store_dword v0, off, s[0:3], 0 offset:156
	buffer_store_dword v1, off, s[0:3], 0 offset:160
	buffer_store_dword v2, off, s[0:3], 0 offset:164
	buffer_store_dword v3, off, s[0:3], 0 offset:168
	s_waitcnt lgkmcnt(0)
	;;#ASMSTART
	v_cvt_off_f32_i4 v0, v4
v_cvt_off_f32_i4 v1, v4, src0_sel:BYTE_2
v_cvt_pk_fp8_f32 v3, v0, v1
v_cvt_off_f32_i4 v0, v4, src0_sel:BYTE_1
v_cvt_off_f32_i4 v1, v4, src0_sel:BYTE_3
v_cvt_pk_fp8_f32 v6, v0, v1
v_lshrrev_b32 v2, 4, v4
v_cvt_off_f32_i4 v0, v2
v_cvt_off_f32_i4 v1, v2, src0_sel:BYTE_2
v_cvt_pk_fp8_f32 v3, v0, v1, op_sel:[0, 0, 1]
v_cvt_off_f32_i4 v0, v2, src0_sel:BYTE_1
v_cvt_off_f32_i4 v1, v2, src0_sel:BYTE_3
v_cvt_pk_fp8_f32 v6, v0, v1, op_sel:[0, 0, 1]

	;;#ASMEND
	;;#ASMSTART
	v_cvt_off_f32_i4 v0, v5
v_cvt_off_f32_i4 v1, v5, src0_sel:BYTE_2
v_cvt_pk_fp8_f32 v4, v0, v1
v_cvt_off_f32_i4 v0, v5, src0_sel:BYTE_1
v_cvt_off_f32_i4 v1, v5, src0_sel:BYTE_3
v_cvt_pk_fp8_f32 v7, v0, v1
v_lshrrev_b32 v2, 4, v5
v_cvt_off_f32_i4 v0, v2
v_cvt_off_f32_i4 v1, v2, src0_sel:BYTE_2
v_cvt_pk_fp8_f32 v4, v0, v1, op_sel:[0, 0, 1]
v_cvt_off_f32_i4 v0, v2, src0_sel:BYTE_1
v_cvt_off_f32_i4 v1, v2, src0_sel:BYTE_3
v_cvt_pk_fp8_f32 v7, v0, v1, op_sel:[0, 0, 1]

	;;#ASMEND
	ds_read_b64 v[0:1], v87 offset:16384
	buffer_store_dword v3, off, s[0:3], 0 offset:172
	buffer_store_dword v6, off, s[0:3], 0 offset:176
	buffer_store_dword v4, off, s[0:3], 0 offset:180
	buffer_store_dword v7, off, s[0:3], 0 offset:184
	s_waitcnt lgkmcnt(0)
	;;#ASMSTART
	v_cvt_off_f32_i4 v2, v0
v_cvt_off_f32_i4 v3, v0, src0_sel:BYTE_2
v_cvt_pk_fp8_f32 v5, v2, v3
v_cvt_off_f32_i4 v2, v0, src0_sel:BYTE_1
v_cvt_off_f32_i4 v3, v0, src0_sel:BYTE_3
v_cvt_pk_fp8_f32 v6, v2, v3
v_lshrrev_b32 v4, 4, v0
v_cvt_off_f32_i4 v2, v4
v_cvt_off_f32_i4 v3, v4, src0_sel:BYTE_2
v_cvt_pk_fp8_f32 v5, v2, v3, op_sel:[0, 0, 1]
v_cvt_off_f32_i4 v2, v4, src0_sel:BYTE_1
v_cvt_off_f32_i4 v3, v4, src0_sel:BYTE_3
v_cvt_pk_fp8_f32 v6, v2, v3, op_sel:[0, 0, 1]

	;;#ASMEND
	;;#ASMSTART
	v_cvt_off_f32_i4 v0, v1
v_cvt_off_f32_i4 v2, v1, src0_sel:BYTE_2
v_cvt_pk_fp8_f32 v4, v0, v2
v_cvt_off_f32_i4 v0, v1, src0_sel:BYTE_1
v_cvt_off_f32_i4 v2, v1, src0_sel:BYTE_3
v_cvt_pk_fp8_f32 v7, v0, v2
v_lshrrev_b32 v3, 4, v1
v_cvt_off_f32_i4 v0, v3
v_cvt_off_f32_i4 v2, v3, src0_sel:BYTE_2
v_cvt_pk_fp8_f32 v4, v0, v2, op_sel:[0, 0, 1]
v_cvt_off_f32_i4 v0, v3, src0_sel:BYTE_1
v_cvt_off_f32_i4 v2, v3, src0_sel:BYTE_3
v_cvt_pk_fp8_f32 v7, v0, v2, op_sel:[0, 0, 1]

	;;#ASMEND
	ds_read_b64 v[0:1], v88 offset:16384
	buffer_store_dword v5, off, s[0:3], 0 offset:188
	buffer_store_dword v6, off, s[0:3], 0 offset:192
	buffer_store_dword v4, off, s[0:3], 0 offset:196
	buffer_store_dword v7, off, s[0:3], 0 offset:200
	s_waitcnt lgkmcnt(0)
	;;#ASMSTART
	v_cvt_off_f32_i4 v2, v0
v_cvt_off_f32_i4 v3, v0, src0_sel:BYTE_2
v_cvt_pk_fp8_f32 v5, v2, v3
v_cvt_off_f32_i4 v2, v0, src0_sel:BYTE_1
v_cvt_off_f32_i4 v3, v0, src0_sel:BYTE_3
v_cvt_pk_fp8_f32 v6, v2, v3
v_lshrrev_b32 v4, 4, v0
v_cvt_off_f32_i4 v2, v4
v_cvt_off_f32_i4 v3, v4, src0_sel:BYTE_2
v_cvt_pk_fp8_f32 v5, v2, v3, op_sel:[0, 0, 1]
v_cvt_off_f32_i4 v2, v4, src0_sel:BYTE_1
v_cvt_off_f32_i4 v3, v4, src0_sel:BYTE_3
v_cvt_pk_fp8_f32 v6, v2, v3, op_sel:[0, 0, 1]

	;;#ASMEND
	;;#ASMSTART
	v_cvt_off_f32_i4 v0, v1
v_cvt_off_f32_i4 v2, v1, src0_sel:BYTE_2
v_cvt_pk_fp8_f32 v4, v0, v2
v_cvt_off_f32_i4 v0, v1, src0_sel:BYTE_1
v_cvt_off_f32_i4 v2, v1, src0_sel:BYTE_3
v_cvt_pk_fp8_f32 v7, v0, v2
v_lshrrev_b32 v3, 4, v1
v_cvt_off_f32_i4 v0, v3
v_cvt_off_f32_i4 v2, v3, src0_sel:BYTE_2
v_cvt_pk_fp8_f32 v4, v0, v2, op_sel:[0, 0, 1]
v_cvt_off_f32_i4 v0, v3, src0_sel:BYTE_1
v_cvt_off_f32_i4 v2, v3, src0_sel:BYTE_3
v_cvt_pk_fp8_f32 v7, v0, v2, op_sel:[0, 0, 1]

	;;#ASMEND
	ds_read_b64 v[0:1], v86 offset:16384
	buffer_store_dword v5, off, s[0:3], 0 offset:204
	buffer_store_dword v6, off, s[0:3], 0 offset:208
	buffer_store_dword v4, off, s[0:3], 0 offset:212
	buffer_store_dword v7, off, s[0:3], 0 offset:216
	s_waitcnt lgkmcnt(0)
	;;#ASMSTART
	v_cvt_off_f32_i4 v2, v0
v_cvt_off_f32_i4 v3, v0, src0_sel:BYTE_2
v_cvt_pk_fp8_f32 v5, v2, v3
v_cvt_off_f32_i4 v2, v0, src0_sel:BYTE_1
v_cvt_off_f32_i4 v3, v0, src0_sel:BYTE_3
v_cvt_pk_fp8_f32 v6, v2, v3
v_lshrrev_b32 v4, 4, v0
v_cvt_off_f32_i4 v2, v4
v_cvt_off_f32_i4 v3, v4, src0_sel:BYTE_2
v_cvt_pk_fp8_f32 v5, v2, v3, op_sel:[0, 0, 1]
v_cvt_off_f32_i4 v2, v4, src0_sel:BYTE_1
v_cvt_off_f32_i4 v3, v4, src0_sel:BYTE_3
v_cvt_pk_fp8_f32 v6, v2, v3, op_sel:[0, 0, 1]

	;;#ASMEND
	;;#ASMSTART
	v_cvt_off_f32_i4 v0, v1
v_cvt_off_f32_i4 v2, v1, src0_sel:BYTE_2
v_cvt_pk_fp8_f32 v4, v0, v2
v_cvt_off_f32_i4 v0, v1, src0_sel:BYTE_1
v_cvt_off_f32_i4 v2, v1, src0_sel:BYTE_3
v_cvt_pk_fp8_f32 v7, v0, v2
v_lshrrev_b32 v3, 4, v1
v_cvt_off_f32_i4 v0, v3
v_cvt_off_f32_i4 v2, v3, src0_sel:BYTE_2
v_cvt_pk_fp8_f32 v4, v0, v2, op_sel:[0, 0, 1]
v_cvt_off_f32_i4 v0, v3, src0_sel:BYTE_1
v_cvt_off_f32_i4 v2, v3, src0_sel:BYTE_3
v_cvt_pk_fp8_f32 v7, v0, v2, op_sel:[0, 0, 1]

	;;#ASMEND
	ds_read_b64 v[0:1], v85 offset:16384
	buffer_store_dword v5, off, s[0:3], 0 offset:220
	buffer_store_dword v6, off, s[0:3], 0 offset:224
	buffer_store_dword v4, off, s[0:3], 0 offset:228
	buffer_store_dword v7, off, s[0:3], 0 offset:232
	s_waitcnt lgkmcnt(0)
	;;#ASMSTART
	v_cvt_off_f32_i4 v2, v0
v_cvt_off_f32_i4 v3, v0, src0_sel:BYTE_2
v_cvt_pk_fp8_f32 v5, v2, v3
v_cvt_off_f32_i4 v2, v0, src0_sel:BYTE_1
v_cvt_off_f32_i4 v3, v0, src0_sel:BYTE_3
v_cvt_pk_fp8_f32 v6, v2, v3
v_lshrrev_b32 v4, 4, v0
v_cvt_off_f32_i4 v2, v4
v_cvt_off_f32_i4 v3, v4, src0_sel:BYTE_2
v_cvt_pk_fp8_f32 v5, v2, v3, op_sel:[0, 0, 1]
v_cvt_off_f32_i4 v2, v4, src0_sel:BYTE_1
v_cvt_off_f32_i4 v3, v4, src0_sel:BYTE_3
v_cvt_pk_fp8_f32 v6, v2, v3, op_sel:[0, 0, 1]

	;;#ASMEND
	;;#ASMSTART
	v_cvt_off_f32_i4 v0, v1
v_cvt_off_f32_i4 v2, v1, src0_sel:BYTE_2
v_cvt_pk_fp8_f32 v4, v0, v2
v_cvt_off_f32_i4 v0, v1, src0_sel:BYTE_1
v_cvt_off_f32_i4 v2, v1, src0_sel:BYTE_3
v_cvt_pk_fp8_f32 v7, v0, v2
v_lshrrev_b32 v3, 4, v1
v_cvt_off_f32_i4 v0, v3
v_cvt_off_f32_i4 v2, v3, src0_sel:BYTE_2
v_cvt_pk_fp8_f32 v4, v0, v2, op_sel:[0, 0, 1]
v_cvt_off_f32_i4 v0, v3, src0_sel:BYTE_1
v_cvt_off_f32_i4 v2, v3, src0_sel:BYTE_3
v_cvt_pk_fp8_f32 v7, v0, v2, op_sel:[0, 0, 1]

	;;#ASMEND
	ds_read_b64 v[0:1], v83 offset:16384
	buffer_store_dword v5, off, s[0:3], 0 offset:236
	buffer_store_dword v6, off, s[0:3], 0 offset:240
	buffer_store_dword v4, off, s[0:3], 0 offset:244
	buffer_store_dword v7, off, s[0:3], 0 offset:248
	s_waitcnt lgkmcnt(0)
	;;#ASMSTART
	v_cvt_off_f32_i4 v2, v0
v_cvt_off_f32_i4 v3, v0, src0_sel:BYTE_2
v_cvt_pk_fp8_f32 v5, v2, v3
v_cvt_off_f32_i4 v2, v0, src0_sel:BYTE_1
v_cvt_off_f32_i4 v3, v0, src0_sel:BYTE_3
v_cvt_pk_fp8_f32 v6, v2, v3
v_lshrrev_b32 v4, 4, v0
v_cvt_off_f32_i4 v2, v4
v_cvt_off_f32_i4 v3, v4, src0_sel:BYTE_2
v_cvt_pk_fp8_f32 v5, v2, v3, op_sel:[0, 0, 1]
v_cvt_off_f32_i4 v2, v4, src0_sel:BYTE_1
v_cvt_off_f32_i4 v3, v4, src0_sel:BYTE_3
v_cvt_pk_fp8_f32 v6, v2, v3, op_sel:[0, 0, 1]

	;;#ASMEND
	;;#ASMSTART
	v_cvt_off_f32_i4 v0, v1
v_cvt_off_f32_i4 v2, v1, src0_sel:BYTE_2
v_cvt_pk_fp8_f32 v4, v0, v2
v_cvt_off_f32_i4 v0, v1, src0_sel:BYTE_1
v_cvt_off_f32_i4 v2, v1, src0_sel:BYTE_3
v_cvt_pk_fp8_f32 v7, v0, v2
v_lshrrev_b32 v3, 4, v1
v_cvt_off_f32_i4 v0, v3
v_cvt_off_f32_i4 v2, v3, src0_sel:BYTE_2
v_cvt_pk_fp8_f32 v4, v0, v2, op_sel:[0, 0, 1]
v_cvt_off_f32_i4 v0, v3, src0_sel:BYTE_1
v_cvt_off_f32_i4 v2, v3, src0_sel:BYTE_3
v_cvt_pk_fp8_f32 v7, v0, v2, op_sel:[0, 0, 1]

	;;#ASMEND
	ds_read_b64 v[0:1], v82 offset:16384
	buffer_store_dword v5, off, s[0:3], 0 offset:252
	buffer_store_dword v6, off, s[0:3], 0 offset:256
	buffer_store_dword v4, off, s[0:3], 0 offset:260
	buffer_store_dword v7, off, s[0:3], 0 offset:264
	s_waitcnt lgkmcnt(0)
	;;#ASMSTART
	v_cvt_off_f32_i4 v2, v0
v_cvt_off_f32_i4 v3, v0, src0_sel:BYTE_2
v_cvt_pk_fp8_f32 v5, v2, v3
v_cvt_off_f32_i4 v2, v0, src0_sel:BYTE_1
v_cvt_off_f32_i4 v3, v0, src0_sel:BYTE_3
v_cvt_pk_fp8_f32 v6, v2, v3
v_lshrrev_b32 v4, 4, v0
v_cvt_off_f32_i4 v2, v4
v_cvt_off_f32_i4 v3, v4, src0_sel:BYTE_2
v_cvt_pk_fp8_f32 v5, v2, v3, op_sel:[0, 0, 1]
v_cvt_off_f32_i4 v2, v4, src0_sel:BYTE_1
v_cvt_off_f32_i4 v3, v4, src0_sel:BYTE_3
v_cvt_pk_fp8_f32 v6, v2, v3, op_sel:[0, 0, 1]

	;;#ASMEND
	;;#ASMSTART
	v_cvt_off_f32_i4 v0, v1
v_cvt_off_f32_i4 v2, v1, src0_sel:BYTE_2
v_cvt_pk_fp8_f32 v4, v0, v2
v_cvt_off_f32_i4 v0, v1, src0_sel:BYTE_1
v_cvt_off_f32_i4 v2, v1, src0_sel:BYTE_3
v_cvt_pk_fp8_f32 v7, v0, v2
v_lshrrev_b32 v3, 4, v1
v_cvt_off_f32_i4 v0, v3
v_cvt_off_f32_i4 v2, v3, src0_sel:BYTE_2
v_cvt_pk_fp8_f32 v4, v0, v2, op_sel:[0, 0, 1]
v_cvt_off_f32_i4 v0, v3, src0_sel:BYTE_1
v_cvt_off_f32_i4 v2, v3, src0_sel:BYTE_3
v_cvt_pk_fp8_f32 v7, v0, v2, op_sel:[0, 0, 1]

	;;#ASMEND
	ds_read_b64 v[0:1], v80 offset:16384
	buffer_store_dword v5, off, s[0:3], 0 offset:268
	buffer_store_dword v6, off, s[0:3], 0 offset:272
	;; [unrolled: 1-line block ×4, first 2 shown]
	s_waitcnt lgkmcnt(0)
	;;#ASMSTART
	v_cvt_off_f32_i4 v2, v0
v_cvt_off_f32_i4 v3, v0, src0_sel:BYTE_2
v_cvt_pk_fp8_f32 v5, v2, v3
v_cvt_off_f32_i4 v2, v0, src0_sel:BYTE_1
v_cvt_off_f32_i4 v3, v0, src0_sel:BYTE_3
v_cvt_pk_fp8_f32 v6, v2, v3
v_lshrrev_b32 v4, 4, v0
v_cvt_off_f32_i4 v2, v4
v_cvt_off_f32_i4 v3, v4, src0_sel:BYTE_2
v_cvt_pk_fp8_f32 v5, v2, v3, op_sel:[0, 0, 1]
v_cvt_off_f32_i4 v2, v4, src0_sel:BYTE_1
v_cvt_off_f32_i4 v3, v4, src0_sel:BYTE_3
v_cvt_pk_fp8_f32 v6, v2, v3, op_sel:[0, 0, 1]

	;;#ASMEND
	;;#ASMSTART
	v_cvt_off_f32_i4 v0, v1
v_cvt_off_f32_i4 v2, v1, src0_sel:BYTE_2
v_cvt_pk_fp8_f32 v4, v0, v2
v_cvt_off_f32_i4 v0, v1, src0_sel:BYTE_1
v_cvt_off_f32_i4 v2, v1, src0_sel:BYTE_3
v_cvt_pk_fp8_f32 v7, v0, v2
v_lshrrev_b32 v3, 4, v1
v_cvt_off_f32_i4 v0, v3
v_cvt_off_f32_i4 v2, v3, src0_sel:BYTE_2
v_cvt_pk_fp8_f32 v4, v0, v2, op_sel:[0, 0, 1]
v_cvt_off_f32_i4 v0, v3, src0_sel:BYTE_1
v_cvt_off_f32_i4 v2, v3, src0_sel:BYTE_3
v_cvt_pk_fp8_f32 v7, v0, v2, op_sel:[0, 0, 1]

	;;#ASMEND
	buffer_store_dword v5, off, s[0:3], 0 offset:284
	buffer_store_dword v6, off, s[0:3], 0 offset:288
	;; [unrolled: 1-line block ×4, first 2 shown]
	; sched_barrier mask(0x00000000)
	s_barrier
	; sched_barrier mask(0x00000000)
	v_mov_b32_e32 v0, s45
	v_mov_b32_e32 v1, s46
	buffer_store_dword v99, off, s[0:3], 0 offset:4
	buffer_store_dword v100, off, s[0:3], 0
	buffer_store_dword v101, off, s[0:3], 0 offset:12
	buffer_store_dword v102, off, s[0:3], 0 offset:8
	;; [unrolled: 1-line block ×8, first 2 shown]
	s_getpc_b64 s[4:5]
	s_add_u32 s4, s4, _ZNK2ck6detail7applierIiJLi0ELi1ELi2ELi3ELi4ELi5ELi6ELi7ELi8ELi9ELi10ELi11ELi12ELi13ELi14ELi15EEEclIZNKS_11static_fordINS_8SequenceIJLi4ELi4EEEENS5_IJLi0ELi1EEEEEclIZZZZNKS_31BlockwiseGemmXdlops_pipeline_v2ILNS_26BlockGemmPipelineSchedulerE1ELi256ENS_9f8_fnuz_tENS_7pk_i4_tESC_fNS_16TensorDescriptorINS_5TupleIJNS_5EmbedINSF_IJNS_17integral_constantIiLi8EEENSH_IiLi128EEENSH_IiLi16EEEEEENSF_IJSK_SJ_NSH_IiLi1EEEEEELb0EEENS_3XorINSF_IJSJ_SI_EEELb1EEENS_11PassThroughISK_EENS_7UnMergeINSF_IJSI_SM_EEELb0EEENSS_ISJ_EEST_NSS_ISI_EENS_21Merge_v3_division_modINSF_IJSJ_SM_EEEEEST_EEENSF_IJNS5_IJLi0EEEENS5_IJLi2ELi1EEEENS5_IJLi3EEEENS5_IJLi5EEEENS5_IJLi4EEEENS5_IJLi6EEEENS5_IJLi7EEEENS5_IJLi9ELi8EEEENS5_IJLi10EEEEEEENSF_IJNS5_IJLi1ELi2ELi3EEEENS5_IJLi4ELi5EEEES18_NS5_IJLi7ELi8EEEENS5_IJLi9EEEES1B_NS5_IJLi11EEEENS5_IJLi12EEEENS5_IJLi13EEEEEEENS5_IJLi11ELi12ELi13EEEENSH_IlLl16384EEEEENSE_INSF_IJNSG_INSF_IJSK_NSH_IiLi64EEESK_EEENSF_IJSK_NSH_IiLi256EEESM_EEELb0EEENSP_INSF_IJS1O_SK_EEELb1EEEST_NSU_INSF_IJSI_NSH_IiLi2EEEEEELb0EEENSS_IS1O_EEST_SY_NSZ_INSF_IJS1O_S1V_EEEEEST_EEES1C_S1K_S1L_S1M_EENSE_INSF_IJSO_SR_ST_SW_SX_ST_SY_S11_ST_NSZ_INSF_IJSI_SK_EEEEENSU_INSF_IJNSH_IiLi4EEES1V_SK_EEELb0EEEEEENSF_IJS13_S14_S15_S16_S17_S18_S19_S1A_S1B_NS5_IJLi11ELi13EEEES1I_EEENSF_IJS1D_S1E_S18_S1F_S1G_S1B_S1H_S1I_S1J_NS5_IJLi14EEEENS5_IJLi15ELi16ELi17EEEEEEENS5_IJLi15ELi16ELi17ELi14EEEES1M_EENSE_INSF_IJS1S_S1U_ST_S1X_S1Y_ST_SY_S20_ST_S24_S27_EEES2A_S2D_S2E_S1M_EELi16ELi16ELi128ELi128ELi128ELi16ELi16ELi4ELi4ELi16ELb0EE3RunILb1ELNS_10TailNumberE2ENSE_INSF_IJNSG_INSF_IJiiEEENSF_IJiSM_EEELb0EEENSU_IS2L_Lb0EEENSS_IiEEEEENSF_IJS13_NS5_IJLi2EEEENS5_IJLi1EEEEEEENSF_IJNS5_IJLi1ELi2EEEENS5_IJLi3ELi4EEEES16_EEENS5_IJLi3ELi5ELi4EEEElEES1N_NS_35ThreadGroupTensorSliceTransfer_v4r1INS_15ThisThreadBlockILi256EEENS_16tensor_operation12element_wise11PassThroughES34_LNS_25InMemoryDataOperationEnumE0ENS5_IJLi8ELi128ELi16EEEENS5_IJLi8ELi32ELi1EEEENS5_IJLi1ELi0ELi2EEEESC_SC_RKS2Y_KS1N_S38_NS5_IJLi0ELi1ELi2EEEELi2ELi2ELi16ELi16ELi1ELi1ELb0ELb1ELi2EiEENS_13DynamicBufferILNS_16AddressSpaceEnumE1EKSC_lLb1ELNS_22AmdBufferCoherenceEnumE0EiEENS3E_ILS3F_2ESC_S1M_Lb1ELS3H_0EiEENSF_IJiiiEEENSE_INSF_IJNSU_INSF_IJiiiiEEELb0EEENS_23Merge_v2_magic_divisionIS2L_EENSS_INSF_IJiEEEEES2P_EEENSF_IJS13_NS5_IJLi1ELi3EEEES2R_S17_EEENSF_IJNS5_IJLi1ELi2ELi3ELi4EEEES16_S18_S19_EEENS5_IJLi5ELi6ELi7EEEElEES22_NS2Z_IS31_S34_S34_LS35_0ES36_NS5_IJLi4ELi64ELi1EEEES38_SD_SD_RKS3X_KS22_S38_S3C_Li2ELi2ELi16ELi16ELi1ELi1ELb0ELb1ELi2EiEENS3E_ILS3F_1EKSD_lLb1ELS3H_0EiEENS3E_ILS3F_2ESD_S1M_Lb1ELS3H_0EiEES3K_NS_25StaticBufferTupleOfVectorILS3F_4EfLi16ELi4ELb1ELb0EEEEEvRKT1_RKT2_RT3_RKT4_RT5_RKT6_RKT7_RKT8_RT9_RKT10_RT11_RKT12_RT13_iENKUlT_E0_clISM_EEDaS56_ENKUlS56_E_clINSH_IiLi0EEEEEDaS56_ENKUlS56_E1_clIS5B_EEDaS56_EUlS56_E_EEvS56_EUlS56_E_EEvS56_@rel32@lo+4
	s_addc_u32 s5, s5, _ZNK2ck6detail7applierIiJLi0ELi1ELi2ELi3ELi4ELi5ELi6ELi7ELi8ELi9ELi10ELi11ELi12ELi13ELi14ELi15EEEclIZNKS_11static_fordINS_8SequenceIJLi4ELi4EEEENS5_IJLi0ELi1EEEEEclIZZZZNKS_31BlockwiseGemmXdlops_pipeline_v2ILNS_26BlockGemmPipelineSchedulerE1ELi256ENS_9f8_fnuz_tENS_7pk_i4_tESC_fNS_16TensorDescriptorINS_5TupleIJNS_5EmbedINSF_IJNS_17integral_constantIiLi8EEENSH_IiLi128EEENSH_IiLi16EEEEEENSF_IJSK_SJ_NSH_IiLi1EEEEEELb0EEENS_3XorINSF_IJSJ_SI_EEELb1EEENS_11PassThroughISK_EENS_7UnMergeINSF_IJSI_SM_EEELb0EEENSS_ISJ_EEST_NSS_ISI_EENS_21Merge_v3_division_modINSF_IJSJ_SM_EEEEEST_EEENSF_IJNS5_IJLi0EEEENS5_IJLi2ELi1EEEENS5_IJLi3EEEENS5_IJLi5EEEENS5_IJLi4EEEENS5_IJLi6EEEENS5_IJLi7EEEENS5_IJLi9ELi8EEEENS5_IJLi10EEEEEEENSF_IJNS5_IJLi1ELi2ELi3EEEENS5_IJLi4ELi5EEEES18_NS5_IJLi7ELi8EEEENS5_IJLi9EEEES1B_NS5_IJLi11EEEENS5_IJLi12EEEENS5_IJLi13EEEEEEENS5_IJLi11ELi12ELi13EEEENSH_IlLl16384EEEEENSE_INSF_IJNSG_INSF_IJSK_NSH_IiLi64EEESK_EEENSF_IJSK_NSH_IiLi256EEESM_EEELb0EEENSP_INSF_IJS1O_SK_EEELb1EEEST_NSU_INSF_IJSI_NSH_IiLi2EEEEEELb0EEENSS_IS1O_EEST_SY_NSZ_INSF_IJS1O_S1V_EEEEEST_EEES1C_S1K_S1L_S1M_EENSE_INSF_IJSO_SR_ST_SW_SX_ST_SY_S11_ST_NSZ_INSF_IJSI_SK_EEEEENSU_INSF_IJNSH_IiLi4EEES1V_SK_EEELb0EEEEEENSF_IJS13_S14_S15_S16_S17_S18_S19_S1A_S1B_NS5_IJLi11ELi13EEEES1I_EEENSF_IJS1D_S1E_S18_S1F_S1G_S1B_S1H_S1I_S1J_NS5_IJLi14EEEENS5_IJLi15ELi16ELi17EEEEEEENS5_IJLi15ELi16ELi17ELi14EEEES1M_EENSE_INSF_IJS1S_S1U_ST_S1X_S1Y_ST_SY_S20_ST_S24_S27_EEES2A_S2D_S2E_S1M_EELi16ELi16ELi128ELi128ELi128ELi16ELi16ELi4ELi4ELi16ELb0EE3RunILb1ELNS_10TailNumberE2ENSE_INSF_IJNSG_INSF_IJiiEEENSF_IJiSM_EEELb0EEENSU_IS2L_Lb0EEENSS_IiEEEEENSF_IJS13_NS5_IJLi2EEEENS5_IJLi1EEEEEEENSF_IJNS5_IJLi1ELi2EEEENS5_IJLi3ELi4EEEES16_EEENS5_IJLi3ELi5ELi4EEEElEES1N_NS_35ThreadGroupTensorSliceTransfer_v4r1INS_15ThisThreadBlockILi256EEENS_16tensor_operation12element_wise11PassThroughES34_LNS_25InMemoryDataOperationEnumE0ENS5_IJLi8ELi128ELi16EEEENS5_IJLi8ELi32ELi1EEEENS5_IJLi1ELi0ELi2EEEESC_SC_RKS2Y_KS1N_S38_NS5_IJLi0ELi1ELi2EEEELi2ELi2ELi16ELi16ELi1ELi1ELb0ELb1ELi2EiEENS_13DynamicBufferILNS_16AddressSpaceEnumE1EKSC_lLb1ELNS_22AmdBufferCoherenceEnumE0EiEENS3E_ILS3F_2ESC_S1M_Lb1ELS3H_0EiEENSF_IJiiiEEENSE_INSF_IJNSU_INSF_IJiiiiEEELb0EEENS_23Merge_v2_magic_divisionIS2L_EENSS_INSF_IJiEEEEES2P_EEENSF_IJS13_NS5_IJLi1ELi3EEEES2R_S17_EEENSF_IJNS5_IJLi1ELi2ELi3ELi4EEEES16_S18_S19_EEENS5_IJLi5ELi6ELi7EEEElEES22_NS2Z_IS31_S34_S34_LS35_0ES36_NS5_IJLi4ELi64ELi1EEEES38_SD_SD_RKS3X_KS22_S38_S3C_Li2ELi2ELi16ELi16ELi1ELi1ELb0ELb1ELi2EiEENS3E_ILS3F_1EKSD_lLb1ELS3H_0EiEENS3E_ILS3F_2ESD_S1M_Lb1ELS3H_0EiEES3K_NS_25StaticBufferTupleOfVectorILS3F_4EfLi16ELi4ELb1ELb0EEEEEvRKT1_RKT2_RT3_RKT4_RT5_RKT6_RKT7_RKT8_RT9_RKT10_RT11_RKT12_RT13_iENKUlT_E0_clISM_EEDaS56_ENKUlS56_E_clINSH_IiLi0EEEEEDaS56_ENKUlS56_E1_clIS5B_EEDaS56_EUlS56_E_EEvS56_EUlS56_E_EEvS56_@rel32@hi+12
	s_swappc_b64 s[30:31], s[4:5]
	v_mov_b32_e32 v0, s45
	v_mov_b32_e32 v1, s46
	buffer_store_dword v99, off, s[0:3], 0 offset:4
	buffer_store_dword v100, off, s[0:3], 0
	buffer_store_dword v101, off, s[0:3], 0 offset:12
	buffer_store_dword v102, off, s[0:3], 0 offset:8
	;; [unrolled: 1-line block ×8, first 2 shown]
	s_getpc_b64 s[4:5]
	s_add_u32 s4, s4, _ZNK2ck6detail7applierIiJLi0ELi1ELi2ELi3ELi4ELi5ELi6ELi7ELi8ELi9ELi10ELi11ELi12ELi13ELi14ELi15EEEclIZNKS_11static_fordINS_8SequenceIJLi4ELi4EEEENS5_IJLi0ELi1EEEEEclIZZZZNKS_31BlockwiseGemmXdlops_pipeline_v2ILNS_26BlockGemmPipelineSchedulerE1ELi256ENS_9f8_fnuz_tENS_7pk_i4_tESC_fNS_16TensorDescriptorINS_5TupleIJNS_5EmbedINSF_IJNS_17integral_constantIiLi8EEENSH_IiLi128EEENSH_IiLi16EEEEEENSF_IJSK_SJ_NSH_IiLi1EEEEEELb0EEENS_3XorINSF_IJSJ_SI_EEELb1EEENS_11PassThroughISK_EENS_7UnMergeINSF_IJSI_SM_EEELb0EEENSS_ISJ_EEST_NSS_ISI_EENS_21Merge_v3_division_modINSF_IJSJ_SM_EEEEEST_EEENSF_IJNS5_IJLi0EEEENS5_IJLi2ELi1EEEENS5_IJLi3EEEENS5_IJLi5EEEENS5_IJLi4EEEENS5_IJLi6EEEENS5_IJLi7EEEENS5_IJLi9ELi8EEEENS5_IJLi10EEEEEEENSF_IJNS5_IJLi1ELi2ELi3EEEENS5_IJLi4ELi5EEEES18_NS5_IJLi7ELi8EEEENS5_IJLi9EEEES1B_NS5_IJLi11EEEENS5_IJLi12EEEENS5_IJLi13EEEEEEENS5_IJLi11ELi12ELi13EEEENSH_IlLl16384EEEEENSE_INSF_IJNSG_INSF_IJSK_NSH_IiLi64EEESK_EEENSF_IJSK_NSH_IiLi256EEESM_EEELb0EEENSP_INSF_IJS1O_SK_EEELb1EEEST_NSU_INSF_IJSI_NSH_IiLi2EEEEEELb0EEENSS_IS1O_EEST_SY_NSZ_INSF_IJS1O_S1V_EEEEEST_EEES1C_S1K_S1L_S1M_EENSE_INSF_IJSO_SR_ST_SW_SX_ST_SY_S11_ST_NSZ_INSF_IJSI_SK_EEEEENSU_INSF_IJNSH_IiLi4EEES1V_SK_EEELb0EEEEEENSF_IJS13_S14_S15_S16_S17_S18_S19_S1A_S1B_NS5_IJLi11ELi13EEEES1I_EEENSF_IJS1D_S1E_S18_S1F_S1G_S1B_S1H_S1I_S1J_NS5_IJLi14EEEENS5_IJLi15ELi16ELi17EEEEEEENS5_IJLi15ELi16ELi17ELi14EEEES1M_EENSE_INSF_IJS1S_S1U_ST_S1X_S1Y_ST_SY_S20_ST_S24_S27_EEES2A_S2D_S2E_S1M_EELi16ELi16ELi128ELi128ELi128ELi16ELi16ELi4ELi4ELi16ELb0EE3RunILb1ELNS_10TailNumberE2ENSE_INSF_IJNSG_INSF_IJiiEEENSF_IJiSM_EEELb0EEENSU_IS2L_Lb0EEENSS_IiEEEEENSF_IJS13_NS5_IJLi2EEEENS5_IJLi1EEEEEEENSF_IJNS5_IJLi1ELi2EEEENS5_IJLi3ELi4EEEES16_EEENS5_IJLi3ELi5ELi4EEEElEES1N_NS_35ThreadGroupTensorSliceTransfer_v4r1INS_15ThisThreadBlockILi256EEENS_16tensor_operation12element_wise11PassThroughES34_LNS_25InMemoryDataOperationEnumE0ENS5_IJLi8ELi128ELi16EEEENS5_IJLi8ELi32ELi1EEEENS5_IJLi1ELi0ELi2EEEESC_SC_RKS2Y_KS1N_S38_NS5_IJLi0ELi1ELi2EEEELi2ELi2ELi16ELi16ELi1ELi1ELb0ELb1ELi2EiEENS_13DynamicBufferILNS_16AddressSpaceEnumE1EKSC_lLb1ELNS_22AmdBufferCoherenceEnumE0EiEENS3E_ILS3F_2ESC_S1M_Lb1ELS3H_0EiEENSF_IJiiiEEENSE_INSF_IJNSU_INSF_IJiiiiEEELb0EEENS_23Merge_v2_magic_divisionIS2L_EENSS_INSF_IJiEEEEES2P_EEENSF_IJS13_NS5_IJLi1ELi3EEEES2R_S17_EEENSF_IJNS5_IJLi1ELi2ELi3ELi4EEEES16_S18_S19_EEENS5_IJLi5ELi6ELi7EEEElEES22_NS2Z_IS31_S34_S34_LS35_0ES36_NS5_IJLi4ELi64ELi1EEEES38_SD_SD_RKS3X_KS22_S38_S3C_Li2ELi2ELi16ELi16ELi1ELi1ELb0ELb1ELi2EiEENS3E_ILS3F_1EKSD_lLb1ELS3H_0EiEENS3E_ILS3F_2ESD_S1M_Lb1ELS3H_0EiEES3K_NS_25StaticBufferTupleOfVectorILS3F_4EfLi16ELi4ELb1ELb0EEEEEvRKT1_RKT2_RT3_RKT4_RT5_RKT6_RKT7_RKT8_RT9_RKT10_RT11_RKT12_RT13_iENKUlT_E0_clISM_EEDaS56_ENKUlS56_E_clINSH_IiLi0EEEEEDaS56_ENKUlS56_E1_clISK_EEDaS56_EUlS56_E_EEvS56_EUlS56_E_EEvS56_@rel32@lo+4
	s_addc_u32 s5, s5, _ZNK2ck6detail7applierIiJLi0ELi1ELi2ELi3ELi4ELi5ELi6ELi7ELi8ELi9ELi10ELi11ELi12ELi13ELi14ELi15EEEclIZNKS_11static_fordINS_8SequenceIJLi4ELi4EEEENS5_IJLi0ELi1EEEEEclIZZZZNKS_31BlockwiseGemmXdlops_pipeline_v2ILNS_26BlockGemmPipelineSchedulerE1ELi256ENS_9f8_fnuz_tENS_7pk_i4_tESC_fNS_16TensorDescriptorINS_5TupleIJNS_5EmbedINSF_IJNS_17integral_constantIiLi8EEENSH_IiLi128EEENSH_IiLi16EEEEEENSF_IJSK_SJ_NSH_IiLi1EEEEEELb0EEENS_3XorINSF_IJSJ_SI_EEELb1EEENS_11PassThroughISK_EENS_7UnMergeINSF_IJSI_SM_EEELb0EEENSS_ISJ_EEST_NSS_ISI_EENS_21Merge_v3_division_modINSF_IJSJ_SM_EEEEEST_EEENSF_IJNS5_IJLi0EEEENS5_IJLi2ELi1EEEENS5_IJLi3EEEENS5_IJLi5EEEENS5_IJLi4EEEENS5_IJLi6EEEENS5_IJLi7EEEENS5_IJLi9ELi8EEEENS5_IJLi10EEEEEEENSF_IJNS5_IJLi1ELi2ELi3EEEENS5_IJLi4ELi5EEEES18_NS5_IJLi7ELi8EEEENS5_IJLi9EEEES1B_NS5_IJLi11EEEENS5_IJLi12EEEENS5_IJLi13EEEEEEENS5_IJLi11ELi12ELi13EEEENSH_IlLl16384EEEEENSE_INSF_IJNSG_INSF_IJSK_NSH_IiLi64EEESK_EEENSF_IJSK_NSH_IiLi256EEESM_EEELb0EEENSP_INSF_IJS1O_SK_EEELb1EEEST_NSU_INSF_IJSI_NSH_IiLi2EEEEEELb0EEENSS_IS1O_EEST_SY_NSZ_INSF_IJS1O_S1V_EEEEEST_EEES1C_S1K_S1L_S1M_EENSE_INSF_IJSO_SR_ST_SW_SX_ST_SY_S11_ST_NSZ_INSF_IJSI_SK_EEEEENSU_INSF_IJNSH_IiLi4EEES1V_SK_EEELb0EEEEEENSF_IJS13_S14_S15_S16_S17_S18_S19_S1A_S1B_NS5_IJLi11ELi13EEEES1I_EEENSF_IJS1D_S1E_S18_S1F_S1G_S1B_S1H_S1I_S1J_NS5_IJLi14EEEENS5_IJLi15ELi16ELi17EEEEEEENS5_IJLi15ELi16ELi17ELi14EEEES1M_EENSE_INSF_IJS1S_S1U_ST_S1X_S1Y_ST_SY_S20_ST_S24_S27_EEES2A_S2D_S2E_S1M_EELi16ELi16ELi128ELi128ELi128ELi16ELi16ELi4ELi4ELi16ELb0EE3RunILb1ELNS_10TailNumberE2ENSE_INSF_IJNSG_INSF_IJiiEEENSF_IJiSM_EEELb0EEENSU_IS2L_Lb0EEENSS_IiEEEEENSF_IJS13_NS5_IJLi2EEEENS5_IJLi1EEEEEEENSF_IJNS5_IJLi1ELi2EEEENS5_IJLi3ELi4EEEES16_EEENS5_IJLi3ELi5ELi4EEEElEES1N_NS_35ThreadGroupTensorSliceTransfer_v4r1INS_15ThisThreadBlockILi256EEENS_16tensor_operation12element_wise11PassThroughES34_LNS_25InMemoryDataOperationEnumE0ENS5_IJLi8ELi128ELi16EEEENS5_IJLi8ELi32ELi1EEEENS5_IJLi1ELi0ELi2EEEESC_SC_RKS2Y_KS1N_S38_NS5_IJLi0ELi1ELi2EEEELi2ELi2ELi16ELi16ELi1ELi1ELb0ELb1ELi2EiEENS_13DynamicBufferILNS_16AddressSpaceEnumE1EKSC_lLb1ELNS_22AmdBufferCoherenceEnumE0EiEENS3E_ILS3F_2ESC_S1M_Lb1ELS3H_0EiEENSF_IJiiiEEENSE_INSF_IJNSU_INSF_IJiiiiEEELb0EEENS_23Merge_v2_magic_divisionIS2L_EENSS_INSF_IJiEEEEES2P_EEENSF_IJS13_NS5_IJLi1ELi3EEEES2R_S17_EEENSF_IJNS5_IJLi1ELi2ELi3ELi4EEEES16_S18_S19_EEENS5_IJLi5ELi6ELi7EEEElEES22_NS2Z_IS31_S34_S34_LS35_0ES36_NS5_IJLi4ELi64ELi1EEEES38_SD_SD_RKS3X_KS22_S38_S3C_Li2ELi2ELi16ELi16ELi1ELi1ELb0ELb1ELi2EiEENS3E_ILS3F_1EKSD_lLb1ELS3H_0EiEENS3E_ILS3F_2ESD_S1M_Lb1ELS3H_0EiEES3K_NS_25StaticBufferTupleOfVectorILS3F_4EfLi16ELi4ELb1ELb0EEEEEvRKT1_RKT2_RT3_RKT4_RT5_RKT6_RKT7_RKT8_RT9_RKT10_RT11_RKT12_RT13_iENKUlT_E0_clISM_EEDaS56_ENKUlS56_E_clINSH_IiLi0EEEEEDaS56_ENKUlS56_E1_clISK_EEDaS56_EUlS56_E_EEvS56_EUlS56_E_EEvS56_@rel32@hi+12
	s_swappc_b64 s[30:31], s[4:5]
	; sched_barrier mask(0x00000000)
	s_setprio 0
	; sched_barrier mask(0x00000000)
	v_add_u32_e32 v0, -16, v20
	v_add_u32_e32 v1, -16, v21
	v_sub_u32_e32 v4, v111, v111
	v_add_u32_e32 v2, -16, v22
	v_lshrrev_b32_e32 v3, 31, v56
	buffer_load_dwordx4 v[20:23], v57, s[24:27], 0 offen
	buffer_load_dwordx4 v[24:27], v0, s[24:27], 0 offen
	;; [unrolled: 1-line block ×4, first 2 shown]
	v_mad_u64_u32 v[0:1], s[4:5], v4, s44, v[56:57]
	v_add_u32_e32 v2, v56, v3
	v_mul_lo_u32 v1, v4, s44
	v_add_u32_e32 v3, 16, v0
	v_add_u32_e32 v0, 0x90, v0
	v_ashrrev_i32_e32 v2, 1, v2
	v_lshrrev_b32_e32 v4, 31, v3
	v_add3_u32 v1, v1, v0, -16
	v_lshrrev_b32_e32 v5, 31, v0
	buffer_load_dwordx2 v[62:63], v2, s[36:39], 0 offen
	v_add_u32_e32 v2, v3, v4
	v_lshrrev_b32_e32 v3, 31, v1
	v_add_u32_e32 v0, v0, v5
	v_ashrrev_i32_e32 v2, 1, v2
	v_add_u32_e32 v3, v1, v3
	v_ashrrev_i32_e32 v0, 1, v0
	v_ashrrev_i32_e32 v3, 1, v3
	buffer_load_dwordx2 v[56:57], v2, s[36:39], 0 offen
	buffer_load_dwordx2 v[58:59], v0, s[36:39], 0 offen
	;; [unrolled: 1-line block ×3, first 2 shown]
	v_add_u32_e32 v0, v112, v95
	v_add3_u32 v2, v113, v77, v78
	v_and_b32_e32 v3, 0xff000000, v71
	v_and_b32_e32 v4, 0xff0000, v71
	v_lshrrev_b32_e32 v7, 31, v114
	v_add_u32_e32 v8, v114, v79
	v_and_b32_e32 v9, 0xff000000, v69
	v_and_b32_e32 v10, 0xff0000, v69
	;; [unrolled: 1-line block ×8, first 2 shown]
	v_add_u32_e64 v69, 4, s23
	ds_write_b128 v0, v[48:51] offset:128
	v_add_u32_e32 v49, v0, v76
	v_add3_u32 v0, v0, v77, v78
	v_add3_u32 v48, v2, v94, v95
	v_or_b32_e32 v2, v4, v3
	v_add_u32_e32 v3, v114, v7
	v_or_b32_e32 v4, v10, v9
	v_lshrrev_b32_e32 v7, 31, v8
	v_add_u32_e32 v9, v8, v81
	v_or_b32_e32 v10, v14, v13
	v_sub_u32_e32 v14, v69, v111
	ds_write_b128 v49, v[40:43] offset:256
	ds_write_b128 v0, v[44:47] offset:128
	v_add_u32_e32 v0, v0, v94
	v_or3_b32 v71, v2, v5, v6
	v_ashrrev_i32_e32 v2, 1, v3
	v_or3_b32 v69, v4, v11, v12
	v_add_u32_e32 v3, v8, v7
	v_lshrrev_b32_e32 v4, 31, v9
	v_add_u32_e32 v5, v9, v84
	v_and_b32_e32 v15, 0xff00, v67
	v_and_b32_e32 v16, 0xff, v67
	;; [unrolled: 1-line block ×4, first 2 shown]
	ds_write_b128 v0, v[36:39] offset:128
	ds_write_b64 v2, v[70:71] offset:16384
	v_ashrrev_i32_e32 v0, 1, v3
	v_add_u32_e32 v2, v9, v4
	v_lshrrev_b32_e32 v3, 31, v5
	v_and_b32_e32 v109, 0xff00, v65
	v_and_b32_e32 v65, 0xff, v65
	v_add_u32_e32 v92, 16, v92
	s_add_i32 s23, s23, 2
	s_addk_i32 s19, 0xff00
	s_addk_i32 s48, 0x100
	v_or_b32_e32 v13, v67, v17
	v_or3_b32 v67, v10, v15, v16
	v_mul_lo_u32 v6, v14, s44
	ds_write_b64 v0, v[68:69] offset:16384
	v_ashrrev_i32_e32 v0, 1, v2
	v_add_u32_e32 v2, v5, v3
	v_add_u32_e32 v97, 2, v97
	;; [unrolled: 1-line block ×3, first 2 shown]
	v_lshrrev_b32_e32 v110, 3, v92
	s_cmp_lt_i32 s23, s47
	v_or3_b32 v65, v13, v109, v65
	v_add_u32_e32 v36, v5, v96
	v_add3_u32 v109, v6, v1, s18
	ds_write_b64 v0, v[66:67] offset:16384
	v_ashrrev_i32_e32 v0, 1, v2
	ds_write_b64 v0, v[64:65] offset:16384
	s_cbranch_scc1 .LBB7_12
; %bb.13:
	s_waitcnt lgkmcnt(0)
	s_barrier
	ds_read_b128 v[0:3], v75
	ds_read_b128 v[4:7], v91 offset:8192
	ds_read_b128 v[8:11], v93
	s_lshl_b64 s[4:5], s[34:35], 1
	s_add_u32 s24, s28, s4
	s_waitcnt lgkmcnt(2)
	buffer_store_dword v0, off, s[0:3], 0 offset:44
	buffer_store_dword v1, off, s[0:3], 0 offset:48
	;; [unrolled: 1-line block ×4, first 2 shown]
	ds_read_b128 v[0:3], v55 offset:4096
	s_waitcnt lgkmcnt(1)
	buffer_store_dword v8, off, s[0:3], 0 offset:60
	buffer_store_dword v9, off, s[0:3], 0 offset:64
	;; [unrolled: 1-line block ×4, first 2 shown]
	ds_read_b128 v[8:11], v53 offset:4096
	s_waitcnt lgkmcnt(1)
	buffer_store_dword v0, off, s[0:3], 0 offset:76
	buffer_store_dword v1, off, s[0:3], 0 offset:80
	;; [unrolled: 1-line block ×4, first 2 shown]
	s_waitcnt lgkmcnt(0)
	buffer_store_dword v8, off, s[0:3], 0 offset:92
	buffer_store_dword v9, off, s[0:3], 0 offset:96
	;; [unrolled: 1-line block ×5, first 2 shown]
	ds_read_b128 v[0:3], v90 offset:8192
	buffer_store_dword v5, off, s[0:3], 0 offset:112
	buffer_store_dword v6, off, s[0:3], 0 offset:116
	;; [unrolled: 1-line block ×3, first 2 shown]
	ds_read_b128 v[4:7], v91 offset:12288
	s_waitcnt lgkmcnt(1)
	buffer_store_dword v0, off, s[0:3], 0 offset:124
	buffer_store_dword v1, off, s[0:3], 0 offset:128
	;; [unrolled: 1-line block ×4, first 2 shown]
	s_waitcnt lgkmcnt(0)
	buffer_store_dword v4, off, s[0:3], 0 offset:140
	ds_read_b128 v[0:3], v90 offset:12288
	buffer_store_dword v5, off, s[0:3], 0 offset:144
	buffer_store_dword v6, off, s[0:3], 0 offset:148
	;; [unrolled: 1-line block ×3, first 2 shown]
	ds_read_b64 v[4:5], v89 offset:16384
	s_waitcnt lgkmcnt(1)
	buffer_store_dword v0, off, s[0:3], 0 offset:156
	buffer_store_dword v1, off, s[0:3], 0 offset:160
	buffer_store_dword v2, off, s[0:3], 0 offset:164
	buffer_store_dword v3, off, s[0:3], 0 offset:168
	s_waitcnt lgkmcnt(0)
	;;#ASMSTART
	v_cvt_off_f32_i4 v0, v4
v_cvt_off_f32_i4 v1, v4, src0_sel:BYTE_2
v_cvt_pk_fp8_f32 v3, v0, v1
v_cvt_off_f32_i4 v0, v4, src0_sel:BYTE_1
v_cvt_off_f32_i4 v1, v4, src0_sel:BYTE_3
v_cvt_pk_fp8_f32 v6, v0, v1
v_lshrrev_b32 v2, 4, v4
v_cvt_off_f32_i4 v0, v2
v_cvt_off_f32_i4 v1, v2, src0_sel:BYTE_2
v_cvt_pk_fp8_f32 v3, v0, v1, op_sel:[0, 0, 1]
v_cvt_off_f32_i4 v0, v2, src0_sel:BYTE_1
v_cvt_off_f32_i4 v1, v2, src0_sel:BYTE_3
v_cvt_pk_fp8_f32 v6, v0, v1, op_sel:[0, 0, 1]

	;;#ASMEND
	;;#ASMSTART
	v_cvt_off_f32_i4 v0, v5
v_cvt_off_f32_i4 v1, v5, src0_sel:BYTE_2
v_cvt_pk_fp8_f32 v4, v0, v1
v_cvt_off_f32_i4 v0, v5, src0_sel:BYTE_1
v_cvt_off_f32_i4 v1, v5, src0_sel:BYTE_3
v_cvt_pk_fp8_f32 v7, v0, v1
v_lshrrev_b32 v2, 4, v5
v_cvt_off_f32_i4 v0, v2
v_cvt_off_f32_i4 v1, v2, src0_sel:BYTE_2
v_cvt_pk_fp8_f32 v4, v0, v1, op_sel:[0, 0, 1]
v_cvt_off_f32_i4 v0, v2, src0_sel:BYTE_1
v_cvt_off_f32_i4 v1, v2, src0_sel:BYTE_3
v_cvt_pk_fp8_f32 v7, v0, v1, op_sel:[0, 0, 1]

	;;#ASMEND
	ds_read_b64 v[0:1], v87 offset:16384
	buffer_store_dword v3, off, s[0:3], 0 offset:172
	buffer_store_dword v6, off, s[0:3], 0 offset:176
	buffer_store_dword v4, off, s[0:3], 0 offset:180
	buffer_store_dword v7, off, s[0:3], 0 offset:184
	s_waitcnt lgkmcnt(0)
	;;#ASMSTART
	v_cvt_off_f32_i4 v2, v0
v_cvt_off_f32_i4 v3, v0, src0_sel:BYTE_2
v_cvt_pk_fp8_f32 v5, v2, v3
v_cvt_off_f32_i4 v2, v0, src0_sel:BYTE_1
v_cvt_off_f32_i4 v3, v0, src0_sel:BYTE_3
v_cvt_pk_fp8_f32 v6, v2, v3
v_lshrrev_b32 v4, 4, v0
v_cvt_off_f32_i4 v2, v4
v_cvt_off_f32_i4 v3, v4, src0_sel:BYTE_2
v_cvt_pk_fp8_f32 v5, v2, v3, op_sel:[0, 0, 1]
v_cvt_off_f32_i4 v2, v4, src0_sel:BYTE_1
v_cvt_off_f32_i4 v3, v4, src0_sel:BYTE_3
v_cvt_pk_fp8_f32 v6, v2, v3, op_sel:[0, 0, 1]

	;;#ASMEND
	;;#ASMSTART
	v_cvt_off_f32_i4 v0, v1
v_cvt_off_f32_i4 v2, v1, src0_sel:BYTE_2
v_cvt_pk_fp8_f32 v4, v0, v2
v_cvt_off_f32_i4 v0, v1, src0_sel:BYTE_1
v_cvt_off_f32_i4 v2, v1, src0_sel:BYTE_3
v_cvt_pk_fp8_f32 v7, v0, v2
v_lshrrev_b32 v3, 4, v1
v_cvt_off_f32_i4 v0, v3
v_cvt_off_f32_i4 v2, v3, src0_sel:BYTE_2
v_cvt_pk_fp8_f32 v4, v0, v2, op_sel:[0, 0, 1]
v_cvt_off_f32_i4 v0, v3, src0_sel:BYTE_1
v_cvt_off_f32_i4 v2, v3, src0_sel:BYTE_3
v_cvt_pk_fp8_f32 v7, v0, v2, op_sel:[0, 0, 1]

	;;#ASMEND
	ds_read_b64 v[0:1], v88 offset:16384
	;; [unrolled: 38-line block ×7, first 2 shown]
	s_mul_i32 s43, s43, s21
	s_mul_hi_u32 s23, s42, s21
	buffer_store_dword v5, off, s[0:3], 0 offset:268
	buffer_store_dword v6, off, s[0:3], 0 offset:272
	;; [unrolled: 1-line block ×4, first 2 shown]
	s_waitcnt lgkmcnt(0)
	;;#ASMSTART
	v_cvt_off_f32_i4 v2, v0
v_cvt_off_f32_i4 v3, v0, src0_sel:BYTE_2
v_cvt_pk_fp8_f32 v5, v2, v3
v_cvt_off_f32_i4 v2, v0, src0_sel:BYTE_1
v_cvt_off_f32_i4 v3, v0, src0_sel:BYTE_3
v_cvt_pk_fp8_f32 v6, v2, v3
v_lshrrev_b32 v4, 4, v0
v_cvt_off_f32_i4 v2, v4
v_cvt_off_f32_i4 v3, v4, src0_sel:BYTE_2
v_cvt_pk_fp8_f32 v5, v2, v3, op_sel:[0, 0, 1]
v_cvt_off_f32_i4 v2, v4, src0_sel:BYTE_1
v_cvt_off_f32_i4 v3, v4, src0_sel:BYTE_3
v_cvt_pk_fp8_f32 v6, v2, v3, op_sel:[0, 0, 1]

	;;#ASMEND
	s_addc_u32 s25, s29, s5
	s_add_i32 s23, s23, s43
	s_mov_b64 s[18:19], src_private_base
	;;#ASMSTART
	v_cvt_off_f32_i4 v0, v1
v_cvt_off_f32_i4 v2, v1, src0_sel:BYTE_2
v_cvt_pk_fp8_f32 v4, v0, v2
v_cvt_off_f32_i4 v0, v1, src0_sel:BYTE_1
v_cvt_off_f32_i4 v2, v1, src0_sel:BYTE_3
v_cvt_pk_fp8_f32 v7, v0, v2
v_lshrrev_b32 v3, 4, v1
v_cvt_off_f32_i4 v0, v3
v_cvt_off_f32_i4 v2, v3, src0_sel:BYTE_2
v_cvt_pk_fp8_f32 v4, v0, v2, op_sel:[0, 0, 1]
v_cvt_off_f32_i4 v0, v3, src0_sel:BYTE_1
v_cvt_off_f32_i4 v2, v3, src0_sel:BYTE_3
v_cvt_pk_fp8_f32 v7, v0, v2, op_sel:[0, 0, 1]

	;;#ASMEND
	buffer_store_dword v5, off, s[0:3], 0 offset:284
	buffer_store_dword v6, off, s[0:3], 0 offset:288
	;; [unrolled: 1-line block ×4, first 2 shown]
	; sched_barrier mask(0x00000000)
	s_barrier
	; sched_barrier mask(0x00000000)
	s_waitcnt vmcnt(62)
	v_mov_b32_e32 v20, s19
	v_mov_b32_e32 v21, 40
	;; [unrolled: 1-line block ×11, first 2 shown]
	buffer_store_dword v20, off, s[0:3], 0 offset:4
	buffer_store_dword v21, off, s[0:3], 0
	buffer_store_dword v22, off, s[0:3], 0 offset:12
	buffer_store_dword v23, off, s[0:3], 0 offset:8
	;; [unrolled: 1-line block ×8, first 2 shown]
	s_getpc_b64 s[4:5]
	s_add_u32 s4, s4, _ZNK2ck6detail7applierIiJLi0ELi1ELi2ELi3ELi4ELi5ELi6ELi7ELi8ELi9ELi10ELi11ELi12ELi13ELi14ELi15EEEclIZNKS_11static_fordINS_8SequenceIJLi4ELi4EEEENS5_IJLi0ELi1EEEEEclIZZZNKS_31BlockwiseGemmXdlops_pipeline_v2ILNS_26BlockGemmPipelineSchedulerE1ELi256ENS_9f8_fnuz_tENS_7pk_i4_tESC_fNS_16TensorDescriptorINS_5TupleIJNS_5EmbedINSF_IJNS_17integral_constantIiLi8EEENSH_IiLi128EEENSH_IiLi16EEEEEENSF_IJSK_SJ_NSH_IiLi1EEEEEELb0EEENS_3XorINSF_IJSJ_SI_EEELb1EEENS_11PassThroughISK_EENS_7UnMergeINSF_IJSI_SM_EEELb0EEENSS_ISJ_EEST_NSS_ISI_EENS_21Merge_v3_division_modINSF_IJSJ_SM_EEEEEST_EEENSF_IJNS5_IJLi0EEEENS5_IJLi2ELi1EEEENS5_IJLi3EEEENS5_IJLi5EEEENS5_IJLi4EEEENS5_IJLi6EEEENS5_IJLi7EEEENS5_IJLi9ELi8EEEENS5_IJLi10EEEEEEENSF_IJNS5_IJLi1ELi2ELi3EEEENS5_IJLi4ELi5EEEES18_NS5_IJLi7ELi8EEEENS5_IJLi9EEEES1B_NS5_IJLi11EEEENS5_IJLi12EEEENS5_IJLi13EEEEEEENS5_IJLi11ELi12ELi13EEEENSH_IlLl16384EEEEENSE_INSF_IJNSG_INSF_IJSK_NSH_IiLi64EEESK_EEENSF_IJSK_NSH_IiLi256EEESM_EEELb0EEENSP_INSF_IJS1O_SK_EEELb1EEEST_NSU_INSF_IJSI_NSH_IiLi2EEEEEELb0EEENSS_IS1O_EEST_SY_NSZ_INSF_IJS1O_S1V_EEEEEST_EEES1C_S1K_S1L_S1M_EENSE_INSF_IJSO_SR_ST_SW_SX_ST_SY_S11_ST_NSZ_INSF_IJSI_SK_EEEEENSU_INSF_IJNSH_IiLi4EEES1V_SK_EEELb0EEEEEENSF_IJS13_S14_S15_S16_S17_S18_S19_S1A_S1B_NS5_IJLi11ELi13EEEES1I_EEENSF_IJS1D_S1E_S18_S1F_S1G_S1B_S1H_S1I_S1J_NS5_IJLi14EEEENS5_IJLi15ELi16ELi17EEEEEEENS5_IJLi15ELi16ELi17ELi14EEEES1M_EENSE_INSF_IJS1S_S1U_ST_S1X_S1Y_ST_SY_S20_ST_S24_S27_EEES2A_S2D_S2E_S1M_EELi16ELi16ELi128ELi128ELi128ELi16ELi16ELi4ELi4ELi16ELb0EE3RunILb1ELNS_10TailNumberE2ENSE_INSF_IJNSG_INSF_IJiiEEENSF_IJiSM_EEELb0EEENSU_IS2L_Lb0EEENSS_IiEEEEENSF_IJS13_NS5_IJLi2EEEENS5_IJLi1EEEEEEENSF_IJNS5_IJLi1ELi2EEEENS5_IJLi3ELi4EEEES16_EEENS5_IJLi3ELi5ELi4EEEElEES1N_NS_35ThreadGroupTensorSliceTransfer_v4r1INS_15ThisThreadBlockILi256EEENS_16tensor_operation12element_wise11PassThroughES34_LNS_25InMemoryDataOperationEnumE0ENS5_IJLi8ELi128ELi16EEEENS5_IJLi8ELi32ELi1EEEENS5_IJLi1ELi0ELi2EEEESC_SC_RKS2Y_KS1N_S38_NS5_IJLi0ELi1ELi2EEEELi2ELi2ELi16ELi16ELi1ELi1ELb0ELb1ELi2EiEENS_13DynamicBufferILNS_16AddressSpaceEnumE1EKSC_lLb1ELNS_22AmdBufferCoherenceEnumE0EiEENS3E_ILS3F_2ESC_S1M_Lb1ELS3H_0EiEENSF_IJiiiEEENSE_INSF_IJNSU_INSF_IJiiiiEEELb0EEENS_23Merge_v2_magic_divisionIS2L_EENSS_INSF_IJiEEEEES2P_EEENSF_IJS13_NS5_IJLi1ELi3EEEES2R_S17_EEENSF_IJNS5_IJLi1ELi2ELi3ELi4EEEES16_S18_S19_EEENS5_IJLi5ELi6ELi7EEEElEES22_NS2Z_IS31_S34_S34_LS35_0ES36_NS5_IJLi4ELi64ELi1EEEES38_SD_SD_RKS3X_KS22_S38_S3C_Li2ELi2ELi16ELi16ELi1ELi1ELb0ELb1ELi2EiEENS3E_ILS3F_1EKSD_lLb1ELS3H_0EiEENS3E_ILS3F_2ESD_S1M_Lb1ELS3H_0EiEES3K_NS_25StaticBufferTupleOfVectorILS3F_4EfLi16ELi4ELb1ELb0EEEEEvRKT1_RKT2_RT3_RKT4_RT5_RKT6_RKT7_RKT8_RT9_RKT10_RT11_RKT12_RT13_iENKUlT_E2_clINSH_IiLi0EEEEEDaS56_ENKUlS56_E1_clIS59_EEDaS56_EUlS56_E_EEvS56_EUlS56_E_EEvS56_@rel32@lo+4
	s_addc_u32 s5, s5, _ZNK2ck6detail7applierIiJLi0ELi1ELi2ELi3ELi4ELi5ELi6ELi7ELi8ELi9ELi10ELi11ELi12ELi13ELi14ELi15EEEclIZNKS_11static_fordINS_8SequenceIJLi4ELi4EEEENS5_IJLi0ELi1EEEEEclIZZZNKS_31BlockwiseGemmXdlops_pipeline_v2ILNS_26BlockGemmPipelineSchedulerE1ELi256ENS_9f8_fnuz_tENS_7pk_i4_tESC_fNS_16TensorDescriptorINS_5TupleIJNS_5EmbedINSF_IJNS_17integral_constantIiLi8EEENSH_IiLi128EEENSH_IiLi16EEEEEENSF_IJSK_SJ_NSH_IiLi1EEEEEELb0EEENS_3XorINSF_IJSJ_SI_EEELb1EEENS_11PassThroughISK_EENS_7UnMergeINSF_IJSI_SM_EEELb0EEENSS_ISJ_EEST_NSS_ISI_EENS_21Merge_v3_division_modINSF_IJSJ_SM_EEEEEST_EEENSF_IJNS5_IJLi0EEEENS5_IJLi2ELi1EEEENS5_IJLi3EEEENS5_IJLi5EEEENS5_IJLi4EEEENS5_IJLi6EEEENS5_IJLi7EEEENS5_IJLi9ELi8EEEENS5_IJLi10EEEEEEENSF_IJNS5_IJLi1ELi2ELi3EEEENS5_IJLi4ELi5EEEES18_NS5_IJLi7ELi8EEEENS5_IJLi9EEEES1B_NS5_IJLi11EEEENS5_IJLi12EEEENS5_IJLi13EEEEEEENS5_IJLi11ELi12ELi13EEEENSH_IlLl16384EEEEENSE_INSF_IJNSG_INSF_IJSK_NSH_IiLi64EEESK_EEENSF_IJSK_NSH_IiLi256EEESM_EEELb0EEENSP_INSF_IJS1O_SK_EEELb1EEEST_NSU_INSF_IJSI_NSH_IiLi2EEEEEELb0EEENSS_IS1O_EEST_SY_NSZ_INSF_IJS1O_S1V_EEEEEST_EEES1C_S1K_S1L_S1M_EENSE_INSF_IJSO_SR_ST_SW_SX_ST_SY_S11_ST_NSZ_INSF_IJSI_SK_EEEEENSU_INSF_IJNSH_IiLi4EEES1V_SK_EEELb0EEEEEENSF_IJS13_S14_S15_S16_S17_S18_S19_S1A_S1B_NS5_IJLi11ELi13EEEES1I_EEENSF_IJS1D_S1E_S18_S1F_S1G_S1B_S1H_S1I_S1J_NS5_IJLi14EEEENS5_IJLi15ELi16ELi17EEEEEEENS5_IJLi15ELi16ELi17ELi14EEEES1M_EENSE_INSF_IJS1S_S1U_ST_S1X_S1Y_ST_SY_S20_ST_S24_S27_EEES2A_S2D_S2E_S1M_EELi16ELi16ELi128ELi128ELi128ELi16ELi16ELi4ELi4ELi16ELb0EE3RunILb1ELNS_10TailNumberE2ENSE_INSF_IJNSG_INSF_IJiiEEENSF_IJiSM_EEELb0EEENSU_IS2L_Lb0EEENSS_IiEEEEENSF_IJS13_NS5_IJLi2EEEENS5_IJLi1EEEEEEENSF_IJNS5_IJLi1ELi2EEEENS5_IJLi3ELi4EEEES16_EEENS5_IJLi3ELi5ELi4EEEElEES1N_NS_35ThreadGroupTensorSliceTransfer_v4r1INS_15ThisThreadBlockILi256EEENS_16tensor_operation12element_wise11PassThroughES34_LNS_25InMemoryDataOperationEnumE0ENS5_IJLi8ELi128ELi16EEEENS5_IJLi8ELi32ELi1EEEENS5_IJLi1ELi0ELi2EEEESC_SC_RKS2Y_KS1N_S38_NS5_IJLi0ELi1ELi2EEEELi2ELi2ELi16ELi16ELi1ELi1ELb0ELb1ELi2EiEENS_13DynamicBufferILNS_16AddressSpaceEnumE1EKSC_lLb1ELNS_22AmdBufferCoherenceEnumE0EiEENS3E_ILS3F_2ESC_S1M_Lb1ELS3H_0EiEENSF_IJiiiEEENSE_INSF_IJNSU_INSF_IJiiiiEEELb0EEENS_23Merge_v2_magic_divisionIS2L_EENSS_INSF_IJiEEEEES2P_EEENSF_IJS13_NS5_IJLi1ELi3EEEES2R_S17_EEENSF_IJNS5_IJLi1ELi2ELi3ELi4EEEES16_S18_S19_EEENS5_IJLi5ELi6ELi7EEEElEES22_NS2Z_IS31_S34_S34_LS35_0ES36_NS5_IJLi4ELi64ELi1EEEES38_SD_SD_RKS3X_KS22_S38_S3C_Li2ELi2ELi16ELi16ELi1ELi1ELb0ELb1ELi2EiEENS3E_ILS3F_1EKSD_lLb1ELS3H_0EiEENS3E_ILS3F_2ESD_S1M_Lb1ELS3H_0EiEES3K_NS_25StaticBufferTupleOfVectorILS3F_4EfLi16ELi4ELb1ELb0EEEEEvRKT1_RKT2_RT3_RKT4_RT5_RKT6_RKT7_RKT8_RT9_RKT10_RT11_RKT12_RT13_iENKUlT_E2_clINSH_IiLi0EEEEEDaS56_ENKUlS56_E1_clIS59_EEDaS56_EUlS56_E_EEvS56_EUlS56_E_EEvS56_@rel32@hi+12
	s_swappc_b64 s[30:31], s[4:5]
	v_mov_b32_e32 v0, 0
	v_mov_b32_e32 v1, s19
	buffer_store_dword v20, off, s[0:3], 0 offset:4
	buffer_store_dword v21, off, s[0:3], 0
	buffer_store_dword v22, off, s[0:3], 0 offset:12
	buffer_store_dword v23, off, s[0:3], 0 offset:8
	;; [unrolled: 1-line block ×8, first 2 shown]
	s_getpc_b64 s[4:5]
	s_add_u32 s4, s4, _ZNK2ck6detail7applierIiJLi0ELi1ELi2ELi3ELi4ELi5ELi6ELi7ELi8ELi9ELi10ELi11ELi12ELi13ELi14ELi15EEEclIZNKS_11static_fordINS_8SequenceIJLi4ELi4EEEENS5_IJLi0ELi1EEEEEclIZZZNKS_31BlockwiseGemmXdlops_pipeline_v2ILNS_26BlockGemmPipelineSchedulerE1ELi256ENS_9f8_fnuz_tENS_7pk_i4_tESC_fNS_16TensorDescriptorINS_5TupleIJNS_5EmbedINSF_IJNS_17integral_constantIiLi8EEENSH_IiLi128EEENSH_IiLi16EEEEEENSF_IJSK_SJ_NSH_IiLi1EEEEEELb0EEENS_3XorINSF_IJSJ_SI_EEELb1EEENS_11PassThroughISK_EENS_7UnMergeINSF_IJSI_SM_EEELb0EEENSS_ISJ_EEST_NSS_ISI_EENS_21Merge_v3_division_modINSF_IJSJ_SM_EEEEEST_EEENSF_IJNS5_IJLi0EEEENS5_IJLi2ELi1EEEENS5_IJLi3EEEENS5_IJLi5EEEENS5_IJLi4EEEENS5_IJLi6EEEENS5_IJLi7EEEENS5_IJLi9ELi8EEEENS5_IJLi10EEEEEEENSF_IJNS5_IJLi1ELi2ELi3EEEENS5_IJLi4ELi5EEEES18_NS5_IJLi7ELi8EEEENS5_IJLi9EEEES1B_NS5_IJLi11EEEENS5_IJLi12EEEENS5_IJLi13EEEEEEENS5_IJLi11ELi12ELi13EEEENSH_IlLl16384EEEEENSE_INSF_IJNSG_INSF_IJSK_NSH_IiLi64EEESK_EEENSF_IJSK_NSH_IiLi256EEESM_EEELb0EEENSP_INSF_IJS1O_SK_EEELb1EEEST_NSU_INSF_IJSI_NSH_IiLi2EEEEEELb0EEENSS_IS1O_EEST_SY_NSZ_INSF_IJS1O_S1V_EEEEEST_EEES1C_S1K_S1L_S1M_EENSE_INSF_IJSO_SR_ST_SW_SX_ST_SY_S11_ST_NSZ_INSF_IJSI_SK_EEEEENSU_INSF_IJNSH_IiLi4EEES1V_SK_EEELb0EEEEEENSF_IJS13_S14_S15_S16_S17_S18_S19_S1A_S1B_NS5_IJLi11ELi13EEEES1I_EEENSF_IJS1D_S1E_S18_S1F_S1G_S1B_S1H_S1I_S1J_NS5_IJLi14EEEENS5_IJLi15ELi16ELi17EEEEEEENS5_IJLi15ELi16ELi17ELi14EEEES1M_EENSE_INSF_IJS1S_S1U_ST_S1X_S1Y_ST_SY_S20_ST_S24_S27_EEES2A_S2D_S2E_S1M_EELi16ELi16ELi128ELi128ELi128ELi16ELi16ELi4ELi4ELi16ELb0EE3RunILb1ELNS_10TailNumberE2ENSE_INSF_IJNSG_INSF_IJiiEEENSF_IJiSM_EEELb0EEENSU_IS2L_Lb0EEENSS_IiEEEEENSF_IJS13_NS5_IJLi2EEEENS5_IJLi1EEEEEEENSF_IJNS5_IJLi1ELi2EEEENS5_IJLi3ELi4EEEES16_EEENS5_IJLi3ELi5ELi4EEEElEES1N_NS_35ThreadGroupTensorSliceTransfer_v4r1INS_15ThisThreadBlockILi256EEENS_16tensor_operation12element_wise11PassThroughES34_LNS_25InMemoryDataOperationEnumE0ENS5_IJLi8ELi128ELi16EEEENS5_IJLi8ELi32ELi1EEEENS5_IJLi1ELi0ELi2EEEESC_SC_RKS2Y_KS1N_S38_NS5_IJLi0ELi1ELi2EEEELi2ELi2ELi16ELi16ELi1ELi1ELb0ELb1ELi2EiEENS_13DynamicBufferILNS_16AddressSpaceEnumE1EKSC_lLb1ELNS_22AmdBufferCoherenceEnumE0EiEENS3E_ILS3F_2ESC_S1M_Lb1ELS3H_0EiEENSF_IJiiiEEENSE_INSF_IJNSU_INSF_IJiiiiEEELb0EEENS_23Merge_v2_magic_divisionIS2L_EENSS_INSF_IJiEEEEES2P_EEENSF_IJS13_NS5_IJLi1ELi3EEEES2R_S17_EEENSF_IJNS5_IJLi1ELi2ELi3ELi4EEEES16_S18_S19_EEENS5_IJLi5ELi6ELi7EEEElEES22_NS2Z_IS31_S34_S34_LS35_0ES36_NS5_IJLi4ELi64ELi1EEEES38_SD_SD_RKS3X_KS22_S38_S3C_Li2ELi2ELi16ELi16ELi1ELi1ELb0ELb1ELi2EiEENS3E_ILS3F_1EKSD_lLb1ELS3H_0EiEENS3E_ILS3F_2ESD_S1M_Lb1ELS3H_0EiEES3K_NS_25StaticBufferTupleOfVectorILS3F_4EfLi16ELi4ELb1ELb0EEEEEvRKT1_RKT2_RT3_RKT4_RT5_RKT6_RKT7_RKT8_RT9_RKT10_RT11_RKT12_RT13_iENKUlT_E2_clINSH_IiLi0EEEEEDaS56_ENKUlS56_E1_clISK_EEDaS56_EUlS56_E_EEvS56_EUlS56_E_EEvS56_@rel32@lo+4
	s_addc_u32 s5, s5, _ZNK2ck6detail7applierIiJLi0ELi1ELi2ELi3ELi4ELi5ELi6ELi7ELi8ELi9ELi10ELi11ELi12ELi13ELi14ELi15EEEclIZNKS_11static_fordINS_8SequenceIJLi4ELi4EEEENS5_IJLi0ELi1EEEEEclIZZZNKS_31BlockwiseGemmXdlops_pipeline_v2ILNS_26BlockGemmPipelineSchedulerE1ELi256ENS_9f8_fnuz_tENS_7pk_i4_tESC_fNS_16TensorDescriptorINS_5TupleIJNS_5EmbedINSF_IJNS_17integral_constantIiLi8EEENSH_IiLi128EEENSH_IiLi16EEEEEENSF_IJSK_SJ_NSH_IiLi1EEEEEELb0EEENS_3XorINSF_IJSJ_SI_EEELb1EEENS_11PassThroughISK_EENS_7UnMergeINSF_IJSI_SM_EEELb0EEENSS_ISJ_EEST_NSS_ISI_EENS_21Merge_v3_division_modINSF_IJSJ_SM_EEEEEST_EEENSF_IJNS5_IJLi0EEEENS5_IJLi2ELi1EEEENS5_IJLi3EEEENS5_IJLi5EEEENS5_IJLi4EEEENS5_IJLi6EEEENS5_IJLi7EEEENS5_IJLi9ELi8EEEENS5_IJLi10EEEEEEENSF_IJNS5_IJLi1ELi2ELi3EEEENS5_IJLi4ELi5EEEES18_NS5_IJLi7ELi8EEEENS5_IJLi9EEEES1B_NS5_IJLi11EEEENS5_IJLi12EEEENS5_IJLi13EEEEEEENS5_IJLi11ELi12ELi13EEEENSH_IlLl16384EEEEENSE_INSF_IJNSG_INSF_IJSK_NSH_IiLi64EEESK_EEENSF_IJSK_NSH_IiLi256EEESM_EEELb0EEENSP_INSF_IJS1O_SK_EEELb1EEEST_NSU_INSF_IJSI_NSH_IiLi2EEEEEELb0EEENSS_IS1O_EEST_SY_NSZ_INSF_IJS1O_S1V_EEEEEST_EEES1C_S1K_S1L_S1M_EENSE_INSF_IJSO_SR_ST_SW_SX_ST_SY_S11_ST_NSZ_INSF_IJSI_SK_EEEEENSU_INSF_IJNSH_IiLi4EEES1V_SK_EEELb0EEEEEENSF_IJS13_S14_S15_S16_S17_S18_S19_S1A_S1B_NS5_IJLi11ELi13EEEES1I_EEENSF_IJS1D_S1E_S18_S1F_S1G_S1B_S1H_S1I_S1J_NS5_IJLi14EEEENS5_IJLi15ELi16ELi17EEEEEEENS5_IJLi15ELi16ELi17ELi14EEEES1M_EENSE_INSF_IJS1S_S1U_ST_S1X_S1Y_ST_SY_S20_ST_S24_S27_EEES2A_S2D_S2E_S1M_EELi16ELi16ELi128ELi128ELi128ELi16ELi16ELi4ELi4ELi16ELb0EE3RunILb1ELNS_10TailNumberE2ENSE_INSF_IJNSG_INSF_IJiiEEENSF_IJiSM_EEELb0EEENSU_IS2L_Lb0EEENSS_IiEEEEENSF_IJS13_NS5_IJLi2EEEENS5_IJLi1EEEEEEENSF_IJNS5_IJLi1ELi2EEEENS5_IJLi3ELi4EEEES16_EEENS5_IJLi3ELi5ELi4EEEElEES1N_NS_35ThreadGroupTensorSliceTransfer_v4r1INS_15ThisThreadBlockILi256EEENS_16tensor_operation12element_wise11PassThroughES34_LNS_25InMemoryDataOperationEnumE0ENS5_IJLi8ELi128ELi16EEEENS5_IJLi8ELi32ELi1EEEENS5_IJLi1ELi0ELi2EEEESC_SC_RKS2Y_KS1N_S38_NS5_IJLi0ELi1ELi2EEEELi2ELi2ELi16ELi16ELi1ELi1ELb0ELb1ELi2EiEENS_13DynamicBufferILNS_16AddressSpaceEnumE1EKSC_lLb1ELNS_22AmdBufferCoherenceEnumE0EiEENS3E_ILS3F_2ESC_S1M_Lb1ELS3H_0EiEENSF_IJiiiEEENSE_INSF_IJNSU_INSF_IJiiiiEEELb0EEENS_23Merge_v2_magic_divisionIS2L_EENSS_INSF_IJiEEEEES2P_EEENSF_IJS13_NS5_IJLi1ELi3EEEES2R_S17_EEENSF_IJNS5_IJLi1ELi2ELi3ELi4EEEES16_S18_S19_EEENS5_IJLi5ELi6ELi7EEEElEES22_NS2Z_IS31_S34_S34_LS35_0ES36_NS5_IJLi4ELi64ELi1EEEES38_SD_SD_RKS3X_KS22_S38_S3C_Li2ELi2ELi16ELi16ELi1ELi1ELb0ELb1ELi2EiEENS3E_ILS3F_1EKSD_lLb1ELS3H_0EiEENS3E_ILS3F_2ESD_S1M_Lb1ELS3H_0EiEES3K_NS_25StaticBufferTupleOfVectorILS3F_4EfLi16ELi4ELb1ELb0EEEEEvRKT1_RKT2_RT3_RKT4_RT5_RKT6_RKT7_RKT8_RT9_RKT10_RT11_RKT12_RT13_iENKUlT_E2_clINSH_IiLi0EEEEEDaS56_ENKUlS56_E1_clISK_EEDaS56_EUlS56_E_EEvS56_EUlS56_E_EEvS56_@rel32@hi+12
	s_swappc_b64 s[30:31], s[4:5]
	; sched_barrier mask(0x00000000)
	s_setprio 0
	; sched_barrier mask(0x00000000)
	s_waitcnt lgkmcnt(0)
	s_barrier
	buffer_load_dword v1, off, s[0:3], 0 offset:304
	buffer_load_dword v4, off, s[0:3], 0 offset:308
	buffer_load_dword v5, off, s[0:3], 0 offset:312
	buffer_load_dword v6, off, s[0:3], 0 offset:316
	v_and_b32_e32 v0, 15, v18
	v_lshlrev_b32_e32 v2, 2, v18
	v_lshlrev_b32_e32 v3, 3, v18
	s_movk_i32 s4, 0x180
	v_and_b32_e32 v9, 0x200, v2
	v_and_or_b32 v0, v3, s4, v0
	v_and_b32_e32 v2, 28, v2
	v_lshl_or_b32 v7, s11, 7, v19
	s_add_i32 s5, s17, s23
	v_or3_b32 v9, v0, v9, v72
	v_or_b32_e32 v0, s14, v2
	s_lshl_b32 s26, s5, 1
	v_lshlrev_b32_e32 v10, 1, v2
	v_cmp_gt_i32_e64 s[10:11], s16, v7
	v_cmp_gt_i32_e32 vcc, s17, v0
	v_bfrev_b32_e32 v8, 1
	s_mov_b32 s27, 0x20000
	v_or_b32_e32 v11, 32, v0
	s_lshl_b32 s14, s21, 5
	v_mov_b32_e32 v12, 0x7fffff80
	v_or_b32_e32 v13, 64, v7
	v_mov_b32_e32 v14, 0x80000080
	s_waitcnt vmcnt(3)
	v_mad_u64_u32 v[2:3], s[4:5], v7, s21, v[0:1]
	v_cvt_f16_f32_e32 v1, v1
	s_waitcnt vmcnt(2)
	v_cvt_f16_f32_e32 v4, v4
	s_waitcnt vmcnt(1)
	v_cvt_f16_f32_e32 v5, v5
	v_lshlrev_b32_e32 v3, 1, v9
	v_lshl_or_b32 v9, v19, 6, v10
	s_waitcnt vmcnt(0)
	v_cvt_f16_f32_e32 v6, v6
	ds_write_b16 v3, v1
	ds_write_b16 v3, v4 offset:64
	ds_write_b16 v3, v5 offset:128
	;; [unrolled: 1-line block ×3, first 2 shown]
	s_waitcnt lgkmcnt(0)
	s_barrier
	ds_read_b64 v[4:5], v9
	s_and_b64 s[4:5], s[10:11], vcc
	v_lshlrev_b32_e32 v1, 1, v2
	v_cndmask_b32_e64 v6, v8, 0, s[4:5]
	v_add_u32_e32 v6, v6, v1
	s_waitcnt lgkmcnt(0)
	buffer_atomic_pk_add_f16 v4, v6, s[24:27], 0 offen
	buffer_atomic_pk_add_f16 v5, v6, s[24:27], 4 offen
	s_waitcnt lgkmcnt(0)
	s_barrier
	buffer_load_dword v4, off, s[0:3], 0 offset:320
	buffer_load_dword v5, off, s[0:3], 0 offset:324
	;; [unrolled: 1-line block ×4, first 2 shown]
	v_cmp_gt_i32_e64 s[4:5], s17, v11
	s_and_b64 s[6:7], s[10:11], s[4:5]
	v_or_b32_e32 v11, 64, v0
	s_waitcnt vmcnt(3)
	v_cvt_f16_f32_e32 v4, v4
	s_waitcnt vmcnt(2)
	v_cvt_f16_f32_e32 v5, v5
	;; [unrolled: 2-line block ×4, first 2 shown]
	ds_write_b16 v3, v4
	ds_write_b16 v3, v5 offset:64
	ds_write_b16 v3, v6 offset:128
	ds_write_b16 v3, v10 offset:192
	s_waitcnt lgkmcnt(0)
	s_barrier
	ds_read_b64 v[4:5], v9
	v_cndmask_b32_e64 v6, v8, 0, s[6:7]
	v_add_u32_e32 v6, v1, v6
	s_waitcnt lgkmcnt(0)
	buffer_atomic_pk_add_f16 v4, v6, s[24:27], 0 offen offset:64
	buffer_atomic_pk_add_f16 v5, v6, s[24:27], 4 offen offset:64
	s_waitcnt lgkmcnt(0)
	s_barrier
	buffer_load_dword v4, off, s[0:3], 0 offset:336
	buffer_load_dword v5, off, s[0:3], 0 offset:340
	;; [unrolled: 1-line block ×4, first 2 shown]
	v_cmp_gt_i32_e64 s[6:7], s17, v11
	s_and_b64 s[8:9], s[10:11], s[6:7]
	v_add_u32_e32 v11, 0x60, v2
	v_add_u32_e32 v2, s14, v2
	s_waitcnt vmcnt(3)
	v_cvt_f16_f32_e32 v4, v4
	s_waitcnt vmcnt(2)
	v_cvt_f16_f32_e32 v5, v5
	;; [unrolled: 2-line block ×4, first 2 shown]
	ds_write_b16 v3, v4
	ds_write_b16 v3, v5 offset:64
	ds_write_b16 v3, v6 offset:128
	;; [unrolled: 1-line block ×3, first 2 shown]
	s_waitcnt lgkmcnt(0)
	s_barrier
	ds_read_b64 v[4:5], v9
	v_cndmask_b32_e64 v6, v8, 0, s[8:9]
	v_add_u32_e32 v1, v1, v6
	s_waitcnt lgkmcnt(0)
	buffer_atomic_pk_add_f16 v4, v1, s[24:27], 0 offen offset:128
	buffer_atomic_pk_add_f16 v5, v1, s[24:27], 4 offen offset:128
	s_waitcnt lgkmcnt(0)
	s_barrier
	buffer_load_dword v1, off, s[0:3], 0 offset:352
	buffer_load_dword v4, off, s[0:3], 0 offset:356
	;; [unrolled: 1-line block ×4, first 2 shown]
	v_or_b32_e32 v10, 0x60, v0
	v_cmp_gt_i32_e64 s[8:9], s17, v10
	s_and_b64 s[10:11], s[10:11], s[8:9]
	v_mov_b32_e32 v10, 0x7fffffc0
	s_waitcnt vmcnt(3)
	v_cvt_f16_f32_e32 v0, v1
	s_waitcnt vmcnt(2)
	v_cvt_f16_f32_e32 v1, v4
	;; [unrolled: 2-line block ×4, first 2 shown]
	ds_write_b16 v3, v0
	ds_write_b16 v3, v1 offset:64
	ds_write_b16 v3, v4 offset:128
	;; [unrolled: 1-line block ×3, first 2 shown]
	s_waitcnt lgkmcnt(0)
	s_barrier
	ds_read_b64 v[0:1], v9
	v_cndmask_b32_e64 v4, v8, 0, s[10:11]
	v_lshl_add_u32 v4, v11, 1, v4
	s_waitcnt lgkmcnt(0)
	buffer_atomic_pk_add_f16 v0, v4, s[24:27], 0 offen
	buffer_atomic_pk_add_f16 v1, v4, s[24:27], 4 offen
	s_waitcnt lgkmcnt(0)
	s_barrier
	buffer_load_dword v0, off, s[0:3], 0 offset:416
	buffer_load_dword v1, off, s[0:3], 0 offset:420
	;; [unrolled: 1-line block ×4, first 2 shown]
	v_or_b32_e32 v6, 32, v7
	v_cmp_gt_i32_e64 s[10:11], s16, v6
	s_and_b64 s[12:13], s[10:11], s[8:9]
	v_or_b32_e32 v7, 0x60, v7
	s_waitcnt vmcnt(3)
	v_cvt_f16_f32_e32 v0, v0
	s_waitcnt vmcnt(2)
	v_cvt_f16_f32_e32 v1, v1
	;; [unrolled: 2-line block ×4, first 2 shown]
	ds_write_b16 v3, v0
	ds_write_b16 v3, v1 offset:64
	ds_write_b16 v3, v4 offset:128
	;; [unrolled: 1-line block ×3, first 2 shown]
	s_waitcnt lgkmcnt(0)
	s_barrier
	ds_read_b64 v[0:1], v9
	v_add_lshl_u32 v4, v11, s14, 1
	v_cndmask_b32_e64 v5, v8, 0, s[12:13]
	v_add_u32_e32 v5, v4, v5
	s_waitcnt lgkmcnt(0)
	buffer_atomic_pk_add_f16 v0, v5, s[24:27], 0 offen
	buffer_atomic_pk_add_f16 v1, v5, s[24:27], 4 offen
	s_waitcnt lgkmcnt(0)
	s_barrier
	buffer_load_dword v0, off, s[0:3], 0 offset:400
	buffer_load_dword v1, off, s[0:3], 0 offset:404
	;; [unrolled: 1-line block ×4, first 2 shown]
	s_and_b64 s[12:13], s[10:11], s[6:7]
	s_waitcnt vmcnt(3)
	v_cvt_f16_f32_e32 v0, v0
	s_waitcnt vmcnt(2)
	v_cvt_f16_f32_e32 v1, v1
	;; [unrolled: 2-line block ×4, first 2 shown]
	ds_write_b16 v3, v0
	ds_write_b16 v3, v1 offset:64
	ds_write_b16 v3, v5 offset:128
	;; [unrolled: 1-line block ×3, first 2 shown]
	s_waitcnt lgkmcnt(0)
	s_barrier
	ds_read_b64 v[0:1], v9
	v_not_b32_e32 v5, 63
	v_cndmask_b32_e64 v6, v10, v5, s[12:13]
	v_add_u32_e32 v6, v4, v6
	s_waitcnt lgkmcnt(0)
	buffer_atomic_pk_add_f16 v0, v6, s[24:27], 0 offen
	buffer_atomic_pk_add_f16 v1, v6, s[24:27], 4 offen
	s_waitcnt lgkmcnt(0)
	s_barrier
	buffer_load_dword v0, off, s[0:3], 0 offset:384
	buffer_load_dword v1, off, s[0:3], 0 offset:388
	;; [unrolled: 1-line block ×4, first 2 shown]
	s_and_b64 s[12:13], s[10:11], s[4:5]
	s_and_b64 s[10:11], vcc, s[10:11]
	s_waitcnt vmcnt(3)
	v_cvt_f16_f32_e32 v0, v0
	s_waitcnt vmcnt(2)
	v_cvt_f16_f32_e32 v1, v1
	;; [unrolled: 2-line block ×4, first 2 shown]
	ds_write_b16 v3, v0
	ds_write_b16 v3, v1 offset:64
	ds_write_b16 v3, v6 offset:128
	ds_write_b16 v3, v11 offset:192
	s_waitcnt lgkmcnt(0)
	s_barrier
	ds_read_b64 v[0:1], v9
	v_mov_b32_e32 v6, 0xffffff80
	v_cndmask_b32_e64 v11, v12, v6, s[12:13]
	v_add_u32_e32 v4, v4, v11
	s_waitcnt lgkmcnt(0)
	buffer_atomic_pk_add_f16 v0, v4, s[24:27], 0 offen
	buffer_atomic_pk_add_f16 v1, v4, s[24:27], 4 offen
	s_waitcnt lgkmcnt(0)
	s_barrier
	buffer_load_dword v0, off, s[0:3], 0 offset:368
	buffer_load_dword v1, off, s[0:3], 0 offset:372
	;; [unrolled: 1-line block ×4, first 2 shown]
	s_waitcnt vmcnt(3)
	v_cvt_f16_f32_e32 v0, v0
	s_waitcnt vmcnt(2)
	v_cvt_f16_f32_e32 v1, v1
	;; [unrolled: 2-line block ×4, first 2 shown]
	ds_write_b16 v3, v0
	ds_write_b16 v3, v1 offset:64
	ds_write_b16 v3, v4 offset:128
	;; [unrolled: 1-line block ×3, first 2 shown]
	s_waitcnt lgkmcnt(0)
	s_barrier
	ds_read_b64 v[0:1], v9
	v_cndmask_b32_e64 v4, v8, 0, s[10:11]
	v_lshl_add_u32 v4, v2, 1, v4
	s_waitcnt lgkmcnt(0)
	buffer_atomic_pk_add_f16 v0, v4, s[24:27], 0 offen
	buffer_atomic_pk_add_f16 v1, v4, s[24:27], 4 offen
	s_waitcnt lgkmcnt(0)
	s_barrier
	buffer_load_dword v0, off, s[0:3], 0 offset:432
	buffer_load_dword v1, off, s[0:3], 0 offset:436
	;; [unrolled: 1-line block ×4, first 2 shown]
	v_cmp_gt_i32_e64 s[10:11], s16, v13
	s_and_b64 s[12:13], vcc, s[10:11]
	v_add_u32_e32 v2, s14, v2
	s_waitcnt vmcnt(3)
	v_cvt_f16_f32_e32 v0, v0
	s_waitcnt vmcnt(2)
	v_cvt_f16_f32_e32 v1, v1
	;; [unrolled: 2-line block ×4, first 2 shown]
	ds_write_b16 v3, v0
	ds_write_b16 v3, v1 offset:64
	ds_write_b16 v3, v4 offset:128
	;; [unrolled: 1-line block ×3, first 2 shown]
	s_waitcnt lgkmcnt(0)
	s_barrier
	ds_read_b64 v[0:1], v9
	v_cndmask_b32_e64 v4, v8, 0, s[12:13]
	v_lshlrev_b32_e32 v11, 1, v2
	v_add_u32_e32 v4, v11, v4
	s_waitcnt lgkmcnt(0)
	buffer_atomic_pk_add_f16 v0, v4, s[24:27], 0 offen
	buffer_atomic_pk_add_f16 v1, v4, s[24:27], 4 offen
	s_waitcnt lgkmcnt(0)
	s_barrier
	buffer_load_dword v0, off, s[0:3], 0 offset:448
	buffer_load_dword v1, off, s[0:3], 0 offset:452
	;; [unrolled: 1-line block ×4, first 2 shown]
	s_and_b64 s[12:13], s[10:11], s[4:5]
	s_waitcnt vmcnt(3)
	v_cvt_f16_f32_e32 v0, v0
	s_waitcnt vmcnt(2)
	v_cvt_f16_f32_e32 v1, v1
	;; [unrolled: 2-line block ×4, first 2 shown]
	ds_write_b16 v3, v0
	ds_write_b16 v3, v1 offset:64
	ds_write_b16 v3, v4 offset:128
	ds_write_b16 v3, v13 offset:192
	s_waitcnt lgkmcnt(0)
	s_barrier
	ds_read_b64 v[0:1], v9
	v_mov_b32_e32 v4, 0x80000040
	v_cndmask_b32_e64 v4, v4, 64, s[12:13]
	v_add_u32_e32 v4, v11, v4
	s_waitcnt lgkmcnt(0)
	buffer_atomic_pk_add_f16 v0, v4, s[24:27], 0 offen
	buffer_atomic_pk_add_f16 v1, v4, s[24:27], 4 offen
	s_waitcnt lgkmcnt(0)
	s_barrier
	buffer_load_dword v0, off, s[0:3], 0 offset:464
	buffer_load_dword v1, off, s[0:3], 0 offset:468
	buffer_load_dword v4, off, s[0:3], 0 offset:472
	buffer_load_dword v13, off, s[0:3], 0 offset:476
	s_and_b64 s[12:13], s[10:11], s[6:7]
	s_and_b64 s[10:11], s[10:11], s[8:9]
	s_waitcnt vmcnt(3)
	v_cvt_f16_f32_e32 v0, v0
	s_waitcnt vmcnt(2)
	v_cvt_f16_f32_e32 v1, v1
	;; [unrolled: 2-line block ×4, first 2 shown]
	ds_write_b16 v3, v0
	ds_write_b16 v3, v1 offset:64
	ds_write_b16 v3, v4 offset:128
	;; [unrolled: 1-line block ×3, first 2 shown]
	s_waitcnt lgkmcnt(0)
	s_barrier
	ds_read_b64 v[0:1], v9
	v_mov_b32_e32 v4, 0x80
	v_cndmask_b32_e64 v4, v14, v4, s[12:13]
	v_add_u32_e32 v4, v11, v4
	s_waitcnt lgkmcnt(0)
	buffer_atomic_pk_add_f16 v0, v4, s[24:27], 0 offen
	buffer_atomic_pk_add_f16 v1, v4, s[24:27], 4 offen
	s_waitcnt lgkmcnt(0)
	s_barrier
	buffer_load_dword v0, off, s[0:3], 0 offset:480
	buffer_load_dword v1, off, s[0:3], 0 offset:484
	;; [unrolled: 1-line block ×4, first 2 shown]
	s_waitcnt vmcnt(3)
	v_cvt_f16_f32_e32 v0, v0
	s_waitcnt vmcnt(2)
	v_cvt_f16_f32_e32 v1, v1
	;; [unrolled: 2-line block ×4, first 2 shown]
	ds_write_b16 v3, v0
	ds_write_b16 v3, v1 offset:64
	ds_write_b16 v3, v4 offset:128
	;; [unrolled: 1-line block ×3, first 2 shown]
	s_waitcnt lgkmcnt(0)
	s_barrier
	ds_read_b64 v[0:1], v9
	v_cndmask_b32_e64 v4, v8, 0, s[10:11]
	v_add_u32_e32 v11, 0x60, v2
	v_lshl_add_u32 v4, v11, 1, v4
	s_waitcnt lgkmcnt(0)
	buffer_atomic_pk_add_f16 v0, v4, s[24:27], 0 offen
	buffer_atomic_pk_add_f16 v1, v4, s[24:27], 4 offen
	s_waitcnt lgkmcnt(0)
	s_barrier
	buffer_load_dword v0, off, s[0:3], 0 offset:544
	buffer_load_dword v1, off, s[0:3], 0 offset:548
	;; [unrolled: 1-line block ×4, first 2 shown]
	v_cmp_gt_i32_e64 s[10:11], s16, v7
	s_and_b64 s[8:9], s[10:11], s[8:9]
	s_and_b64 s[6:7], s[10:11], s[6:7]
	;; [unrolled: 1-line block ×3, first 2 shown]
	v_add_u32_e32 v2, s14, v2
	s_waitcnt vmcnt(3)
	v_cvt_f16_f32_e32 v0, v0
	s_waitcnt vmcnt(2)
	v_cvt_f16_f32_e32 v1, v1
	;; [unrolled: 2-line block ×4, first 2 shown]
	ds_write_b16 v3, v0
	ds_write_b16 v3, v1 offset:64
	ds_write_b16 v3, v4 offset:128
	;; [unrolled: 1-line block ×3, first 2 shown]
	s_waitcnt lgkmcnt(0)
	s_barrier
	ds_read_b64 v[0:1], v9
	v_cndmask_b32_e64 v4, v8, 0, s[8:9]
	v_add_lshl_u32 v7, v11, s14, 1
	v_add_u32_e32 v4, v7, v4
	s_waitcnt lgkmcnt(0)
	buffer_atomic_pk_add_f16 v0, v4, s[24:27], 0 offen
	buffer_atomic_pk_add_f16 v1, v4, s[24:27], 4 offen
	s_waitcnt lgkmcnt(0)
	s_barrier
	buffer_load_dword v0, off, s[0:3], 0 offset:528
	buffer_load_dword v1, off, s[0:3], 0 offset:532
	;; [unrolled: 1-line block ×4, first 2 shown]
	s_waitcnt vmcnt(3)
	v_cvt_f16_f32_e32 v0, v0
	s_waitcnt vmcnt(2)
	v_cvt_f16_f32_e32 v1, v1
	;; [unrolled: 2-line block ×4, first 2 shown]
	ds_write_b16 v3, v0
	ds_write_b16 v3, v1 offset:64
	ds_write_b16 v3, v4 offset:128
	;; [unrolled: 1-line block ×3, first 2 shown]
	s_waitcnt lgkmcnt(0)
	s_barrier
	ds_read_b64 v[0:1], v9
	v_cndmask_b32_e64 v4, v10, v5, s[6:7]
	v_add_u32_e32 v4, v7, v4
	s_waitcnt lgkmcnt(0)
	buffer_atomic_pk_add_f16 v0, v4, s[24:27], 0 offen
	buffer_atomic_pk_add_f16 v1, v4, s[24:27], 4 offen
	s_waitcnt lgkmcnt(0)
	s_barrier
	buffer_load_dword v0, off, s[0:3], 0 offset:512
	buffer_load_dword v1, off, s[0:3], 0 offset:516
	;; [unrolled: 1-line block ×4, first 2 shown]
	s_waitcnt vmcnt(3)
	v_cvt_f16_f32_e32 v0, v0
	s_waitcnt vmcnt(2)
	v_cvt_f16_f32_e32 v1, v1
	;; [unrolled: 2-line block ×4, first 2 shown]
	ds_write_b16 v3, v0
	ds_write_b16 v3, v1 offset:64
	ds_write_b16 v3, v4 offset:128
	;; [unrolled: 1-line block ×3, first 2 shown]
	s_waitcnt lgkmcnt(0)
	s_barrier
	ds_read_b64 v[0:1], v9
	v_cndmask_b32_e64 v4, v12, v6, s[4:5]
	v_add_u32_e32 v4, v7, v4
	s_waitcnt lgkmcnt(0)
	buffer_atomic_pk_add_f16 v0, v4, s[24:27], 0 offen
	buffer_atomic_pk_add_f16 v1, v4, s[24:27], 4 offen
	s_waitcnt lgkmcnt(0)
	s_barrier
	buffer_load_dword v0, off, s[0:3], 0 offset:496
	buffer_load_dword v1, off, s[0:3], 0 offset:500
	;; [unrolled: 1-line block ×4, first 2 shown]
	s_and_b64 s[4:5], vcc, s[10:11]
	s_waitcnt vmcnt(3)
	v_cvt_f16_f32_e32 v0, v0
	s_waitcnt vmcnt(2)
	v_cvt_f16_f32_e32 v1, v1
	;; [unrolled: 2-line block ×4, first 2 shown]
	ds_write_b16 v3, v0
	ds_write_b16 v3, v1 offset:64
	ds_write_b16 v3, v4 offset:128
	;; [unrolled: 1-line block ×3, first 2 shown]
	s_waitcnt lgkmcnt(0)
	s_barrier
	ds_read_b64 v[0:1], v9
	v_cndmask_b32_e64 v3, v8, 0, s[4:5]
	v_lshl_add_u32 v2, v2, 1, v3
	s_waitcnt lgkmcnt(0)
	buffer_atomic_pk_add_f16 v0, v2, s[24:27], 0 offen
	buffer_atomic_pk_add_f16 v1, v2, s[24:27], 4 offen
	s_endpgm
	.section	.rodata,"a",@progbits
	.p2align	6, 0x0
	.amdhsa_kernel _ZN2ck27kernel_gemm_xdl_cshuffle_v3INS_28GridwiseGemm_xdl_cshuffle_v3INS_13tensor_layout4gemm8RowMajorENS3_11ColumnMajorES4_NS_9f8_fnuz_tENS_7pk_i4_tEfDF16_DF16_NS_16tensor_operation12element_wise11PassThroughESA_SA_LNS8_6device18GemmSpecializationE0ELi256ELi128ELi128ELi128ELi16ELi16ELi16ELi16ELi4ELi4ENS_8SequenceIJLi8ELi32ELi1EEEENSD_IJLi1ELi0ELi2EEEESF_Li2ELi16ELi16ELb0ELi0ENSD_IJLi4ELi64ELi1EEEESF_SF_Li2ELi16ELi16ELb0ELi0ELi1ELi1ENSD_IJLi1ELi32ELi1ELi8EEEELi4ELNS_26BlockGemmPipelineSchedulerE1ELNS_24BlockGemmPipelineVersionE1ES6_S6_Lb0ELb1ELb0ELi0ELb0EEELb1ELNS_25InMemoryDataOperationEnumE1ELi2ELNS_10TailNumberE2EEEvNT_8ArgumentE
		.amdhsa_group_segment_fixed_size 24576
		.amdhsa_private_segment_fixed_size 576
		.amdhsa_kernarg_size 112
		.amdhsa_user_sgpr_count 8
		.amdhsa_user_sgpr_private_segment_buffer 1
		.amdhsa_user_sgpr_dispatch_ptr 0
		.amdhsa_user_sgpr_queue_ptr 0
		.amdhsa_user_sgpr_kernarg_segment_ptr 1
		.amdhsa_user_sgpr_dispatch_id 0
		.amdhsa_user_sgpr_flat_scratch_init 1
		.amdhsa_user_sgpr_kernarg_preload_length 0
		.amdhsa_user_sgpr_kernarg_preload_offset 0
		.amdhsa_user_sgpr_private_segment_size 0
		.amdhsa_uses_dynamic_stack 0
		.amdhsa_system_sgpr_private_segment_wavefront_offset 1
		.amdhsa_system_sgpr_workgroup_id_x 1
		.amdhsa_system_sgpr_workgroup_id_y 0
		.amdhsa_system_sgpr_workgroup_id_z 1
		.amdhsa_system_sgpr_workgroup_info 0
		.amdhsa_system_vgpr_workitem_id 0
		.amdhsa_next_free_vgpr 120
		.amdhsa_next_free_sgpr 49
		.amdhsa_accum_offset 116
		.amdhsa_reserve_vcc 1
		.amdhsa_reserve_flat_scratch 1
		.amdhsa_float_round_mode_32 0
		.amdhsa_float_round_mode_16_64 0
		.amdhsa_float_denorm_mode_32 3
		.amdhsa_float_denorm_mode_16_64 3
		.amdhsa_dx10_clamp 1
		.amdhsa_ieee_mode 1
		.amdhsa_fp16_overflow 0
		.amdhsa_tg_split 0
		.amdhsa_exception_fp_ieee_invalid_op 0
		.amdhsa_exception_fp_denorm_src 0
		.amdhsa_exception_fp_ieee_div_zero 0
		.amdhsa_exception_fp_ieee_overflow 0
		.amdhsa_exception_fp_ieee_underflow 0
		.amdhsa_exception_fp_ieee_inexact 0
		.amdhsa_exception_int_div_zero 0
	.end_amdhsa_kernel
	.section	.text._ZN2ck27kernel_gemm_xdl_cshuffle_v3INS_28GridwiseGemm_xdl_cshuffle_v3INS_13tensor_layout4gemm8RowMajorENS3_11ColumnMajorES4_NS_9f8_fnuz_tENS_7pk_i4_tEfDF16_DF16_NS_16tensor_operation12element_wise11PassThroughESA_SA_LNS8_6device18GemmSpecializationE0ELi256ELi128ELi128ELi128ELi16ELi16ELi16ELi16ELi4ELi4ENS_8SequenceIJLi8ELi32ELi1EEEENSD_IJLi1ELi0ELi2EEEESF_Li2ELi16ELi16ELb0ELi0ENSD_IJLi4ELi64ELi1EEEESF_SF_Li2ELi16ELi16ELb0ELi0ELi1ELi1ENSD_IJLi1ELi32ELi1ELi8EEEELi4ELNS_26BlockGemmPipelineSchedulerE1ELNS_24BlockGemmPipelineVersionE1ES6_S6_Lb0ELb1ELb0ELi0ELb0EEELb1ELNS_25InMemoryDataOperationEnumE1ELi2ELNS_10TailNumberE2EEEvNT_8ArgumentE,"axG",@progbits,_ZN2ck27kernel_gemm_xdl_cshuffle_v3INS_28GridwiseGemm_xdl_cshuffle_v3INS_13tensor_layout4gemm8RowMajorENS3_11ColumnMajorES4_NS_9f8_fnuz_tENS_7pk_i4_tEfDF16_DF16_NS_16tensor_operation12element_wise11PassThroughESA_SA_LNS8_6device18GemmSpecializationE0ELi256ELi128ELi128ELi128ELi16ELi16ELi16ELi16ELi4ELi4ENS_8SequenceIJLi8ELi32ELi1EEEENSD_IJLi1ELi0ELi2EEEESF_Li2ELi16ELi16ELb0ELi0ENSD_IJLi4ELi64ELi1EEEESF_SF_Li2ELi16ELi16ELb0ELi0ELi1ELi1ENSD_IJLi1ELi32ELi1ELi8EEEELi4ELNS_26BlockGemmPipelineSchedulerE1ELNS_24BlockGemmPipelineVersionE1ES6_S6_Lb0ELb1ELb0ELi0ELb0EEELb1ELNS_25InMemoryDataOperationEnumE1ELi2ELNS_10TailNumberE2EEEvNT_8ArgumentE,comdat
.Lfunc_end7:
	.size	_ZN2ck27kernel_gemm_xdl_cshuffle_v3INS_28GridwiseGemm_xdl_cshuffle_v3INS_13tensor_layout4gemm8RowMajorENS3_11ColumnMajorES4_NS_9f8_fnuz_tENS_7pk_i4_tEfDF16_DF16_NS_16tensor_operation12element_wise11PassThroughESA_SA_LNS8_6device18GemmSpecializationE0ELi256ELi128ELi128ELi128ELi16ELi16ELi16ELi16ELi4ELi4ENS_8SequenceIJLi8ELi32ELi1EEEENSD_IJLi1ELi0ELi2EEEESF_Li2ELi16ELi16ELb0ELi0ENSD_IJLi4ELi64ELi1EEEESF_SF_Li2ELi16ELi16ELb0ELi0ELi1ELi1ENSD_IJLi1ELi32ELi1ELi8EEEELi4ELNS_26BlockGemmPipelineSchedulerE1ELNS_24BlockGemmPipelineVersionE1ES6_S6_Lb0ELb1ELb0ELi0ELb0EEELb1ELNS_25InMemoryDataOperationEnumE1ELi2ELNS_10TailNumberE2EEEvNT_8ArgumentE, .Lfunc_end7-_ZN2ck27kernel_gemm_xdl_cshuffle_v3INS_28GridwiseGemm_xdl_cshuffle_v3INS_13tensor_layout4gemm8RowMajorENS3_11ColumnMajorES4_NS_9f8_fnuz_tENS_7pk_i4_tEfDF16_DF16_NS_16tensor_operation12element_wise11PassThroughESA_SA_LNS8_6device18GemmSpecializationE0ELi256ELi128ELi128ELi128ELi16ELi16ELi16ELi16ELi4ELi4ENS_8SequenceIJLi8ELi32ELi1EEEENSD_IJLi1ELi0ELi2EEEESF_Li2ELi16ELi16ELb0ELi0ENSD_IJLi4ELi64ELi1EEEESF_SF_Li2ELi16ELi16ELb0ELi0ELi1ELi1ENSD_IJLi1ELi32ELi1ELi8EEEELi4ELNS_26BlockGemmPipelineSchedulerE1ELNS_24BlockGemmPipelineVersionE1ES6_S6_Lb0ELb1ELb0ELi0ELb0EEELb1ELNS_25InMemoryDataOperationEnumE1ELi2ELNS_10TailNumberE2EEEvNT_8ArgumentE
                                        ; -- End function
	.section	.AMDGPU.csdata,"",@progbits
; Kernel info:
; codeLenInByte = 15840
; NumSgprs: 55
; NumVgprs: 115
; NumAgprs: 4
; TotalNumVgprs: 120
; ScratchSize: 576
; MemoryBound: 0
; FloatMode: 240
; IeeeMode: 1
; LDSByteSize: 24576 bytes/workgroup (compile time only)
; SGPRBlocks: 6
; VGPRBlocks: 14
; NumSGPRsForWavesPerEU: 55
; NumVGPRsForWavesPerEU: 120
; AccumOffset: 116
; Occupancy: 2
; WaveLimiterHint : 1
; COMPUTE_PGM_RSRC2:SCRATCH_EN: 1
; COMPUTE_PGM_RSRC2:USER_SGPR: 8
; COMPUTE_PGM_RSRC2:TRAP_HANDLER: 0
; COMPUTE_PGM_RSRC2:TGID_X_EN: 1
; COMPUTE_PGM_RSRC2:TGID_Y_EN: 0
; COMPUTE_PGM_RSRC2:TGID_Z_EN: 1
; COMPUTE_PGM_RSRC2:TIDIG_COMP_CNT: 0
; COMPUTE_PGM_RSRC3_GFX90A:ACCUM_OFFSET: 28
; COMPUTE_PGM_RSRC3_GFX90A:TG_SPLIT: 0
	.text
	.p2align	2                               ; -- Begin function _ZNK2ck6detail7applierIiJLi0ELi1ELi2ELi3ELi4ELi5ELi6ELi7ELi8ELi9ELi10ELi11ELi12ELi13ELi14ELi15EEEclIZNKS_11static_fordINS_8SequenceIJLi4ELi4EEEENS5_IJLi0ELi1EEEEEclIZZZZNKS_31BlockwiseGemmXdlops_pipeline_v2ILNS_26BlockGemmPipelineSchedulerE1ELi256ENS_9f8_fnuz_tENS_7pk_i4_tESC_fNS_16TensorDescriptorINS_5TupleIJNS_5EmbedINSF_IJNS_17integral_constantIiLi8EEENSH_IiLi128EEENSH_IiLi16EEEEEENSF_IJSK_SJ_NSH_IiLi1EEEEEELb0EEENS_3XorINSF_IJSJ_SI_EEELb1EEENS_11PassThroughISK_EENS_7UnMergeINSF_IJSI_SM_EEELb0EEENSS_ISJ_EEST_NSS_ISI_EENS_21Merge_v3_division_modINSF_IJSJ_SM_EEEEEST_EEENSF_IJNS5_IJLi0EEEENS5_IJLi2ELi1EEEENS5_IJLi3EEEENS5_IJLi5EEEENS5_IJLi4EEEENS5_IJLi6EEEENS5_IJLi7EEEENS5_IJLi9ELi8EEEENS5_IJLi10EEEEEEENSF_IJNS5_IJLi1ELi2ELi3EEEENS5_IJLi4ELi5EEEES18_NS5_IJLi7ELi8EEEENS5_IJLi9EEEES1B_NS5_IJLi11EEEENS5_IJLi12EEEENS5_IJLi13EEEEEEENS5_IJLi11ELi12ELi13EEEENSH_IlLl16384EEEEENSE_INSF_IJNSG_INSF_IJSK_NSH_IiLi64EEESK_EEENSF_IJSK_NSH_IiLi256EEESM_EEELb0EEENSP_INSF_IJS1O_SK_EEELb1EEEST_NSU_INSF_IJSI_NSH_IiLi2EEEEEELb0EEENSS_IS1O_EEST_SY_NSZ_INSF_IJS1O_S1V_EEEEEST_EEES1C_S1K_S1L_S1M_EENSE_INSF_IJSO_SR_ST_SW_SX_ST_SY_S11_ST_NSZ_INSF_IJSI_SK_EEEEENSU_INSF_IJNSH_IiLi4EEES1V_SK_EEELb0EEEEEENSF_IJS13_S14_S15_S16_S17_S18_S19_S1A_S1B_NS5_IJLi11ELi13EEEES1I_EEENSF_IJS1D_S1E_S18_S1F_S1G_S1B_S1H_S1I_S1J_NS5_IJLi14EEEENS5_IJLi15ELi16ELi17EEEEEEENS5_IJLi15ELi16ELi17ELi14EEEES1M_EENSE_INSF_IJS1S_S1U_ST_S1X_S1Y_ST_SY_S20_ST_S24_S27_EEES2A_S2D_S2E_S1M_EELi16ELi16ELi128ELi128ELi128ELi16ELi16ELi4ELi4ELi16ELb0EE3RunILb1ELNS_10TailNumberE10ENSE_INSF_IJNSG_INSF_IJiiEEENSF_IJiSM_EEELb0EEENSU_IS2L_Lb0EEENSS_IiEEEEENSF_IJS13_NS5_IJLi2EEEENS5_IJLi1EEEEEEENSF_IJNS5_IJLi1ELi2EEEENS5_IJLi3ELi4EEEES16_EEENS5_IJLi3ELi5ELi4EEEElEES1N_NS_35ThreadGroupTensorSliceTransfer_v4r1INS_15ThisThreadBlockILi256EEENS_16tensor_operation12element_wise11PassThroughES34_LNS_25InMemoryDataOperationEnumE0ENS5_IJLi8ELi128ELi16EEEENS5_IJLi8ELi32ELi1EEEENS5_IJLi1ELi0ELi2EEEESC_SC_RKS2Y_KS1N_S38_NS5_IJLi0ELi1ELi2EEEELi2ELi2ELi16ELi16ELi1ELi1ELb0ELb1ELi2EiEENS_13DynamicBufferILNS_16AddressSpaceEnumE1EKSC_lLb1ELNS_22AmdBufferCoherenceEnumE0EiEENS3E_ILS3F_2ESC_S1M_Lb1ELS3H_0EiEENSF_IJiiiEEENSE_INSF_IJNSU_INSF_IJiiiiEEELb0EEENS_23Merge_v2_magic_divisionIS2L_EENSS_INSF_IJiEEEEES2P_EEENSF_IJS13_NS5_IJLi1ELi3EEEES2R_S17_EEENSF_IJNS5_IJLi1ELi2ELi3ELi4EEEES16_S18_S19_EEENS5_IJLi5ELi6ELi7EEEElEES22_NS2Z_IS31_S34_S34_LS35_0ES36_NS5_IJLi4ELi64ELi1EEEES38_SD_SD_RKS3X_KS22_S38_S3C_Li2ELi2ELi16ELi16ELi1ELi1ELb0ELb1ELi2EiEENS3E_ILS3F_1EKSD_lLb1ELS3H_0EiEENS3E_ILS3F_2ESD_S1M_Lb1ELS3H_0EiEES3K_NS_25StaticBufferTupleOfVectorILS3F_4EfLi16ELi4ELb1ELb0EEEEEvRKT1_RKT2_RT3_RKT4_RT5_RKT6_RKT7_RKT8_RT9_RKT10_RT11_RKT12_RT13_iENKUlT_E0_clINSH_IiLi0EEEEEDaS56_ENKUlS56_E_clIS59_EEDaS56_ENKUlS56_E1_clIS59_EEDaS56_EUlS56_E_EEvS56_EUlS56_E_EEvS56_
	.type	_ZNK2ck6detail7applierIiJLi0ELi1ELi2ELi3ELi4ELi5ELi6ELi7ELi8ELi9ELi10ELi11ELi12ELi13ELi14ELi15EEEclIZNKS_11static_fordINS_8SequenceIJLi4ELi4EEEENS5_IJLi0ELi1EEEEEclIZZZZNKS_31BlockwiseGemmXdlops_pipeline_v2ILNS_26BlockGemmPipelineSchedulerE1ELi256ENS_9f8_fnuz_tENS_7pk_i4_tESC_fNS_16TensorDescriptorINS_5TupleIJNS_5EmbedINSF_IJNS_17integral_constantIiLi8EEENSH_IiLi128EEENSH_IiLi16EEEEEENSF_IJSK_SJ_NSH_IiLi1EEEEEELb0EEENS_3XorINSF_IJSJ_SI_EEELb1EEENS_11PassThroughISK_EENS_7UnMergeINSF_IJSI_SM_EEELb0EEENSS_ISJ_EEST_NSS_ISI_EENS_21Merge_v3_division_modINSF_IJSJ_SM_EEEEEST_EEENSF_IJNS5_IJLi0EEEENS5_IJLi2ELi1EEEENS5_IJLi3EEEENS5_IJLi5EEEENS5_IJLi4EEEENS5_IJLi6EEEENS5_IJLi7EEEENS5_IJLi9ELi8EEEENS5_IJLi10EEEEEEENSF_IJNS5_IJLi1ELi2ELi3EEEENS5_IJLi4ELi5EEEES18_NS5_IJLi7ELi8EEEENS5_IJLi9EEEES1B_NS5_IJLi11EEEENS5_IJLi12EEEENS5_IJLi13EEEEEEENS5_IJLi11ELi12ELi13EEEENSH_IlLl16384EEEEENSE_INSF_IJNSG_INSF_IJSK_NSH_IiLi64EEESK_EEENSF_IJSK_NSH_IiLi256EEESM_EEELb0EEENSP_INSF_IJS1O_SK_EEELb1EEEST_NSU_INSF_IJSI_NSH_IiLi2EEEEEELb0EEENSS_IS1O_EEST_SY_NSZ_INSF_IJS1O_S1V_EEEEEST_EEES1C_S1K_S1L_S1M_EENSE_INSF_IJSO_SR_ST_SW_SX_ST_SY_S11_ST_NSZ_INSF_IJSI_SK_EEEEENSU_INSF_IJNSH_IiLi4EEES1V_SK_EEELb0EEEEEENSF_IJS13_S14_S15_S16_S17_S18_S19_S1A_S1B_NS5_IJLi11ELi13EEEES1I_EEENSF_IJS1D_S1E_S18_S1F_S1G_S1B_S1H_S1I_S1J_NS5_IJLi14EEEENS5_IJLi15ELi16ELi17EEEEEEENS5_IJLi15ELi16ELi17ELi14EEEES1M_EENSE_INSF_IJS1S_S1U_ST_S1X_S1Y_ST_SY_S20_ST_S24_S27_EEES2A_S2D_S2E_S1M_EELi16ELi16ELi128ELi128ELi128ELi16ELi16ELi4ELi4ELi16ELb0EE3RunILb1ELNS_10TailNumberE10ENSE_INSF_IJNSG_INSF_IJiiEEENSF_IJiSM_EEELb0EEENSU_IS2L_Lb0EEENSS_IiEEEEENSF_IJS13_NS5_IJLi2EEEENS5_IJLi1EEEEEEENSF_IJNS5_IJLi1ELi2EEEENS5_IJLi3ELi4EEEES16_EEENS5_IJLi3ELi5ELi4EEEElEES1N_NS_35ThreadGroupTensorSliceTransfer_v4r1INS_15ThisThreadBlockILi256EEENS_16tensor_operation12element_wise11PassThroughES34_LNS_25InMemoryDataOperationEnumE0ENS5_IJLi8ELi128ELi16EEEENS5_IJLi8ELi32ELi1EEEENS5_IJLi1ELi0ELi2EEEESC_SC_RKS2Y_KS1N_S38_NS5_IJLi0ELi1ELi2EEEELi2ELi2ELi16ELi16ELi1ELi1ELb0ELb1ELi2EiEENS_13DynamicBufferILNS_16AddressSpaceEnumE1EKSC_lLb1ELNS_22AmdBufferCoherenceEnumE0EiEENS3E_ILS3F_2ESC_S1M_Lb1ELS3H_0EiEENSF_IJiiiEEENSE_INSF_IJNSU_INSF_IJiiiiEEELb0EEENS_23Merge_v2_magic_divisionIS2L_EENSS_INSF_IJiEEEEES2P_EEENSF_IJS13_NS5_IJLi1ELi3EEEES2R_S17_EEENSF_IJNS5_IJLi1ELi2ELi3ELi4EEEES16_S18_S19_EEENS5_IJLi5ELi6ELi7EEEElEES22_NS2Z_IS31_S34_S34_LS35_0ES36_NS5_IJLi4ELi64ELi1EEEES38_SD_SD_RKS3X_KS22_S38_S3C_Li2ELi2ELi16ELi16ELi1ELi1ELb0ELb1ELi2EiEENS3E_ILS3F_1EKSD_lLb1ELS3H_0EiEENS3E_ILS3F_2ESD_S1M_Lb1ELS3H_0EiEES3K_NS_25StaticBufferTupleOfVectorILS3F_4EfLi16ELi4ELb1ELb0EEEEEvRKT1_RKT2_RT3_RKT4_RT5_RKT6_RKT7_RKT8_RT9_RKT10_RT11_RKT12_RT13_iENKUlT_E0_clINSH_IiLi0EEEEEDaS56_ENKUlS56_E_clIS59_EEDaS56_ENKUlS56_E1_clIS59_EEDaS56_EUlS56_E_EEvS56_EUlS56_E_EEvS56_,@function
_ZNK2ck6detail7applierIiJLi0ELi1ELi2ELi3ELi4ELi5ELi6ELi7ELi8ELi9ELi10ELi11ELi12ELi13ELi14ELi15EEEclIZNKS_11static_fordINS_8SequenceIJLi4ELi4EEEENS5_IJLi0ELi1EEEEEclIZZZZNKS_31BlockwiseGemmXdlops_pipeline_v2ILNS_26BlockGemmPipelineSchedulerE1ELi256ENS_9f8_fnuz_tENS_7pk_i4_tESC_fNS_16TensorDescriptorINS_5TupleIJNS_5EmbedINSF_IJNS_17integral_constantIiLi8EEENSH_IiLi128EEENSH_IiLi16EEEEEENSF_IJSK_SJ_NSH_IiLi1EEEEEELb0EEENS_3XorINSF_IJSJ_SI_EEELb1EEENS_11PassThroughISK_EENS_7UnMergeINSF_IJSI_SM_EEELb0EEENSS_ISJ_EEST_NSS_ISI_EENS_21Merge_v3_division_modINSF_IJSJ_SM_EEEEEST_EEENSF_IJNS5_IJLi0EEEENS5_IJLi2ELi1EEEENS5_IJLi3EEEENS5_IJLi5EEEENS5_IJLi4EEEENS5_IJLi6EEEENS5_IJLi7EEEENS5_IJLi9ELi8EEEENS5_IJLi10EEEEEEENSF_IJNS5_IJLi1ELi2ELi3EEEENS5_IJLi4ELi5EEEES18_NS5_IJLi7ELi8EEEENS5_IJLi9EEEES1B_NS5_IJLi11EEEENS5_IJLi12EEEENS5_IJLi13EEEEEEENS5_IJLi11ELi12ELi13EEEENSH_IlLl16384EEEEENSE_INSF_IJNSG_INSF_IJSK_NSH_IiLi64EEESK_EEENSF_IJSK_NSH_IiLi256EEESM_EEELb0EEENSP_INSF_IJS1O_SK_EEELb1EEEST_NSU_INSF_IJSI_NSH_IiLi2EEEEEELb0EEENSS_IS1O_EEST_SY_NSZ_INSF_IJS1O_S1V_EEEEEST_EEES1C_S1K_S1L_S1M_EENSE_INSF_IJSO_SR_ST_SW_SX_ST_SY_S11_ST_NSZ_INSF_IJSI_SK_EEEEENSU_INSF_IJNSH_IiLi4EEES1V_SK_EEELb0EEEEEENSF_IJS13_S14_S15_S16_S17_S18_S19_S1A_S1B_NS5_IJLi11ELi13EEEES1I_EEENSF_IJS1D_S1E_S18_S1F_S1G_S1B_S1H_S1I_S1J_NS5_IJLi14EEEENS5_IJLi15ELi16ELi17EEEEEEENS5_IJLi15ELi16ELi17ELi14EEEES1M_EENSE_INSF_IJS1S_S1U_ST_S1X_S1Y_ST_SY_S20_ST_S24_S27_EEES2A_S2D_S2E_S1M_EELi16ELi16ELi128ELi128ELi128ELi16ELi16ELi4ELi4ELi16ELb0EE3RunILb1ELNS_10TailNumberE10ENSE_INSF_IJNSG_INSF_IJiiEEENSF_IJiSM_EEELb0EEENSU_IS2L_Lb0EEENSS_IiEEEEENSF_IJS13_NS5_IJLi2EEEENS5_IJLi1EEEEEEENSF_IJNS5_IJLi1ELi2EEEENS5_IJLi3ELi4EEEES16_EEENS5_IJLi3ELi5ELi4EEEElEES1N_NS_35ThreadGroupTensorSliceTransfer_v4r1INS_15ThisThreadBlockILi256EEENS_16tensor_operation12element_wise11PassThroughES34_LNS_25InMemoryDataOperationEnumE0ENS5_IJLi8ELi128ELi16EEEENS5_IJLi8ELi32ELi1EEEENS5_IJLi1ELi0ELi2EEEESC_SC_RKS2Y_KS1N_S38_NS5_IJLi0ELi1ELi2EEEELi2ELi2ELi16ELi16ELi1ELi1ELb0ELb1ELi2EiEENS_13DynamicBufferILNS_16AddressSpaceEnumE1EKSC_lLb1ELNS_22AmdBufferCoherenceEnumE0EiEENS3E_ILS3F_2ESC_S1M_Lb1ELS3H_0EiEENSF_IJiiiEEENSE_INSF_IJNSU_INSF_IJiiiiEEELb0EEENS_23Merge_v2_magic_divisionIS2L_EENSS_INSF_IJiEEEEES2P_EEENSF_IJS13_NS5_IJLi1ELi3EEEES2R_S17_EEENSF_IJNS5_IJLi1ELi2ELi3ELi4EEEES16_S18_S19_EEENS5_IJLi5ELi6ELi7EEEElEES22_NS2Z_IS31_S34_S34_LS35_0ES36_NS5_IJLi4ELi64ELi1EEEES38_SD_SD_RKS3X_KS22_S38_S3C_Li2ELi2ELi16ELi16ELi1ELi1ELb0ELb1ELi2EiEENS3E_ILS3F_1EKSD_lLb1ELS3H_0EiEENS3E_ILS3F_2ESD_S1M_Lb1ELS3H_0EiEES3K_NS_25StaticBufferTupleOfVectorILS3F_4EfLi16ELi4ELb1ELb0EEEEEvRKT1_RKT2_RT3_RKT4_RT5_RKT6_RKT7_RKT8_RT9_RKT10_RT11_RKT12_RT13_iENKUlT_E0_clINSH_IiLi0EEEEEDaS56_ENKUlS56_E_clIS59_EEDaS56_ENKUlS56_E1_clIS59_EEDaS56_EUlS56_E_EEvS56_EUlS56_E_EEvS56_: ; @_ZNK2ck6detail7applierIiJLi0ELi1ELi2ELi3ELi4ELi5ELi6ELi7ELi8ELi9ELi10ELi11ELi12ELi13ELi14ELi15EEEclIZNKS_11static_fordINS_8SequenceIJLi4ELi4EEEENS5_IJLi0ELi1EEEEEclIZZZZNKS_31BlockwiseGemmXdlops_pipeline_v2ILNS_26BlockGemmPipelineSchedulerE1ELi256ENS_9f8_fnuz_tENS_7pk_i4_tESC_fNS_16TensorDescriptorINS_5TupleIJNS_5EmbedINSF_IJNS_17integral_constantIiLi8EEENSH_IiLi128EEENSH_IiLi16EEEEEENSF_IJSK_SJ_NSH_IiLi1EEEEEELb0EEENS_3XorINSF_IJSJ_SI_EEELb1EEENS_11PassThroughISK_EENS_7UnMergeINSF_IJSI_SM_EEELb0EEENSS_ISJ_EEST_NSS_ISI_EENS_21Merge_v3_division_modINSF_IJSJ_SM_EEEEEST_EEENSF_IJNS5_IJLi0EEEENS5_IJLi2ELi1EEEENS5_IJLi3EEEENS5_IJLi5EEEENS5_IJLi4EEEENS5_IJLi6EEEENS5_IJLi7EEEENS5_IJLi9ELi8EEEENS5_IJLi10EEEEEEENSF_IJNS5_IJLi1ELi2ELi3EEEENS5_IJLi4ELi5EEEES18_NS5_IJLi7ELi8EEEENS5_IJLi9EEEES1B_NS5_IJLi11EEEENS5_IJLi12EEEENS5_IJLi13EEEEEEENS5_IJLi11ELi12ELi13EEEENSH_IlLl16384EEEEENSE_INSF_IJNSG_INSF_IJSK_NSH_IiLi64EEESK_EEENSF_IJSK_NSH_IiLi256EEESM_EEELb0EEENSP_INSF_IJS1O_SK_EEELb1EEEST_NSU_INSF_IJSI_NSH_IiLi2EEEEEELb0EEENSS_IS1O_EEST_SY_NSZ_INSF_IJS1O_S1V_EEEEEST_EEES1C_S1K_S1L_S1M_EENSE_INSF_IJSO_SR_ST_SW_SX_ST_SY_S11_ST_NSZ_INSF_IJSI_SK_EEEEENSU_INSF_IJNSH_IiLi4EEES1V_SK_EEELb0EEEEEENSF_IJS13_S14_S15_S16_S17_S18_S19_S1A_S1B_NS5_IJLi11ELi13EEEES1I_EEENSF_IJS1D_S1E_S18_S1F_S1G_S1B_S1H_S1I_S1J_NS5_IJLi14EEEENS5_IJLi15ELi16ELi17EEEEEEENS5_IJLi15ELi16ELi17ELi14EEEES1M_EENSE_INSF_IJS1S_S1U_ST_S1X_S1Y_ST_SY_S20_ST_S24_S27_EEES2A_S2D_S2E_S1M_EELi16ELi16ELi128ELi128ELi128ELi16ELi16ELi4ELi4ELi16ELb0EE3RunILb1ELNS_10TailNumberE10ENSE_INSF_IJNSG_INSF_IJiiEEENSF_IJiSM_EEELb0EEENSU_IS2L_Lb0EEENSS_IiEEEEENSF_IJS13_NS5_IJLi2EEEENS5_IJLi1EEEEEEENSF_IJNS5_IJLi1ELi2EEEENS5_IJLi3ELi4EEEES16_EEENS5_IJLi3ELi5ELi4EEEElEES1N_NS_35ThreadGroupTensorSliceTransfer_v4r1INS_15ThisThreadBlockILi256EEENS_16tensor_operation12element_wise11PassThroughES34_LNS_25InMemoryDataOperationEnumE0ENS5_IJLi8ELi128ELi16EEEENS5_IJLi8ELi32ELi1EEEENS5_IJLi1ELi0ELi2EEEESC_SC_RKS2Y_KS1N_S38_NS5_IJLi0ELi1ELi2EEEELi2ELi2ELi16ELi16ELi1ELi1ELb0ELb1ELi2EiEENS_13DynamicBufferILNS_16AddressSpaceEnumE1EKSC_lLb1ELNS_22AmdBufferCoherenceEnumE0EiEENS3E_ILS3F_2ESC_S1M_Lb1ELS3H_0EiEENSF_IJiiiEEENSE_INSF_IJNSU_INSF_IJiiiiEEELb0EEENS_23Merge_v2_magic_divisionIS2L_EENSS_INSF_IJiEEEEES2P_EEENSF_IJS13_NS5_IJLi1ELi3EEEES2R_S17_EEENSF_IJNS5_IJLi1ELi2ELi3ELi4EEEES16_S18_S19_EEENS5_IJLi5ELi6ELi7EEEElEES22_NS2Z_IS31_S34_S34_LS35_0ES36_NS5_IJLi4ELi64ELi1EEEES38_SD_SD_RKS3X_KS22_S38_S3C_Li2ELi2ELi16ELi16ELi1ELi1ELb0ELb1ELi2EiEENS3E_ILS3F_1EKSD_lLb1ELS3H_0EiEENS3E_ILS3F_2ESD_S1M_Lb1ELS3H_0EiEES3K_NS_25StaticBufferTupleOfVectorILS3F_4EfLi16ELi4ELb1ELb0EEEEEvRKT1_RKT2_RT3_RKT4_RT5_RKT6_RKT7_RKT8_RT9_RKT10_RT11_RKT12_RT13_iENKUlT_E0_clINSH_IiLi0EEEEEDaS56_ENKUlS56_E_clIS59_EEDaS56_ENKUlS56_E1_clIS59_EEDaS56_EUlS56_E_EEvS56_EUlS56_E_EEvS56_
; %bb.0:
	s_waitcnt vmcnt(0) expcnt(0) lgkmcnt(0)
	flat_load_dwordx4 v[12:15], v[0:1] offset:8
	flat_load_dwordx2 v[10:11], v[0:1] offset:32
	s_movk_i32 s4, 0x7f
                                        ; implicit-def: $sgpr10
	s_waitcnt vmcnt(0) lgkmcnt(0)
	flat_load_dwordx4 v[6:9], v[12:13]
	flat_load_dwordx4 v[2:5], v[14:15]
	s_waitcnt vmcnt(0) lgkmcnt(0)
	v_cmp_gt_i16_sdwa s[6:7], v6, s4 src0_sel:BYTE_0 src1_sel:DWORD
	s_mov_b64 s[4:5], 0
	s_and_saveexec_b64 s[8:9], s[6:7]
	s_xor_b64 s[6:7], exec, s[8:9]
	s_cbranch_execnz .LBB8_2049
; %bb.1:
	s_or_saveexec_b64 s[6:7], s[6:7]
	v_mov_b32_e32 v12, s10
	s_xor_b64 exec, exec, s[6:7]
	s_cbranch_execnz .LBB8_2052
.LBB8_2:
	s_or_b64 exec, exec, s[6:7]
	s_and_saveexec_b64 s[6:7], s[4:5]
	s_cbranch_execz .LBB8_4
.LBB8_3:
	v_and_b32_e32 v12, 7, v6
	v_ffbh_u32_e32 v14, v12
	v_min_u32_e32 v14, 32, v14
	v_lshrrev_b16_e32 v13, 3, v6
	v_subrev_u32_e32 v15, 28, v14
	v_and_b32_e32 v13, 15, v13
	v_lshlrev_b32_e32 v15, v15, v6
	v_sub_u32_e32 v14, 29, v14
	v_and_b32_e32 v15, 7, v15
	v_cmp_eq_u16_e32 vcc, 0, v13
	v_cndmask_b32_e32 v12, v12, v15, vcc
	v_cndmask_b32_e32 v13, v13, v14, vcc
	v_lshlrev_b32_e32 v14, 24, v6
	v_mov_b32_e32 v15, 0x3b800000
	v_lshlrev_b32_e32 v12, 20, v12
	v_and_b32_e32 v14, 0x80000000, v14
	v_lshl_add_u32 v13, v13, 23, v15
	v_or3_b32 v12, v14, v13, v12
.LBB8_4:
	s_or_b64 exec, exec, s[6:7]
	s_movk_i32 s4, 0x7f
	v_cmp_gt_i16_sdwa s[6:7], v2, s4 src0_sel:BYTE_0 src1_sel:DWORD
	s_mov_b64 s[4:5], 0
                                        ; implicit-def: $sgpr10
	s_and_saveexec_b64 s[8:9], s[6:7]
	s_xor_b64 s[6:7], exec, s[8:9]
	s_cbranch_execnz .LBB8_2053
; %bb.5:
	s_or_saveexec_b64 s[6:7], s[6:7]
	v_mov_b32_e32 v13, s10
	s_xor_b64 exec, exec, s[6:7]
	s_cbranch_execnz .LBB8_2056
.LBB8_6:
	s_or_b64 exec, exec, s[6:7]
	s_and_saveexec_b64 s[6:7], s[4:5]
	s_cbranch_execz .LBB8_8
.LBB8_7:
	v_and_b32_e32 v13, 7, v2
	v_ffbh_u32_e32 v15, v13
	v_min_u32_e32 v15, 32, v15
	v_lshrrev_b16_e32 v14, 3, v2
	v_subrev_u32_e32 v16, 28, v15
	v_and_b32_e32 v14, 15, v14
	v_lshlrev_b32_e32 v16, v16, v2
	v_sub_u32_e32 v15, 29, v15
	v_and_b32_e32 v16, 7, v16
	v_cmp_eq_u16_e32 vcc, 0, v14
	v_cndmask_b32_e32 v13, v13, v16, vcc
	v_cndmask_b32_e32 v14, v14, v15, vcc
	v_lshlrev_b32_e32 v15, 24, v2
	v_mov_b32_e32 v16, 0x3b800000
	v_lshlrev_b32_e32 v13, 20, v13
	v_and_b32_e32 v15, 0x80000000, v15
	v_lshl_add_u32 v14, v14, 23, v16
	v_or3_b32 v13, v15, v14, v13
.LBB8_8:
	s_or_b64 exec, exec, s[6:7]
	flat_load_dwordx4 a[0:3], v[10:11]
	s_movk_i32 s4, 0x7f
                                        ; implicit-def: $sgpr10
	s_waitcnt vmcnt(0) lgkmcnt(0)
	v_mfma_f32_16x16x4f32 a[0:3], v12, v13, a[0:3]
	v_lshrrev_b32_e32 v13, 8, v6
	v_cmp_gt_i16_sdwa s[6:7], v13, s4 src0_sel:BYTE_0 src1_sel:DWORD
	s_mov_b64 s[4:5], 0
	s_and_saveexec_b64 s[8:9], s[6:7]
	s_xor_b64 s[6:7], exec, s[8:9]
	s_cbranch_execnz .LBB8_2057
; %bb.9:
	s_or_saveexec_b64 s[6:7], s[6:7]
	v_mov_b32_e32 v12, s10
	s_xor_b64 exec, exec, s[6:7]
	s_cbranch_execnz .LBB8_2060
.LBB8_10:
	s_or_b64 exec, exec, s[6:7]
	s_and_saveexec_b64 s[6:7], s[4:5]
	s_cbranch_execz .LBB8_12
.LBB8_11:
	v_bfe_u32 v12, v6, 8, 3
	v_ffbh_u32_e32 v15, v12
	v_min_u32_e32 v15, 32, v15
	v_lshrrev_b16_e32 v14, 3, v13
	v_subrev_u32_e32 v16, 28, v15
	v_and_b32_e32 v14, 15, v14
	v_lshlrev_b32_e32 v13, v16, v13
	v_sub_u32_e32 v15, 29, v15
	v_and_b32_e32 v13, 7, v13
	v_cmp_eq_u16_e32 vcc, 0, v14
	v_cndmask_b32_e32 v12, v12, v13, vcc
	v_cndmask_b32_e32 v13, v14, v15, vcc
	v_lshlrev_b32_e32 v14, 16, v6
	v_mov_b32_e32 v15, 0x3b800000
	v_lshlrev_b32_e32 v12, 20, v12
	v_and_b32_e32 v14, 0x80000000, v14
	v_lshl_add_u32 v13, v13, 23, v15
	v_or3_b32 v12, v14, v13, v12
.LBB8_12:
	s_or_b64 exec, exec, s[6:7]
	v_lshrrev_b32_e32 v13, 8, v2
	s_movk_i32 s4, 0x7f
	v_cmp_gt_i16_sdwa s[6:7], v13, s4 src0_sel:BYTE_0 src1_sel:DWORD
	s_mov_b64 s[4:5], 0
                                        ; implicit-def: $sgpr10
	s_and_saveexec_b64 s[8:9], s[6:7]
	s_xor_b64 s[6:7], exec, s[8:9]
	s_cbranch_execnz .LBB8_2061
; %bb.13:
	s_or_saveexec_b64 s[6:7], s[6:7]
	v_mov_b32_e32 v14, s10
	s_xor_b64 exec, exec, s[6:7]
	s_cbranch_execnz .LBB8_2064
.LBB8_14:
	s_or_b64 exec, exec, s[6:7]
	s_and_saveexec_b64 s[6:7], s[4:5]
	s_cbranch_execz .LBB8_16
.LBB8_15:
	v_bfe_u32 v14, v2, 8, 3
	v_ffbh_u32_e32 v16, v14
	v_min_u32_e32 v16, 32, v16
	v_lshrrev_b16_e32 v15, 3, v13
	v_subrev_u32_e32 v17, 28, v16
	v_and_b32_e32 v15, 15, v15
	v_lshlrev_b32_e32 v13, v17, v13
	v_sub_u32_e32 v16, 29, v16
	v_and_b32_e32 v13, 7, v13
	v_cmp_eq_u16_e32 vcc, 0, v15
	v_cndmask_b32_e32 v13, v14, v13, vcc
	v_cndmask_b32_e32 v14, v15, v16, vcc
	v_lshlrev_b32_e32 v15, 16, v2
	v_mov_b32_e32 v16, 0x3b800000
	v_lshlrev_b32_e32 v13, 20, v13
	v_and_b32_e32 v15, 0x80000000, v15
	v_lshl_add_u32 v14, v14, 23, v16
	v_or3_b32 v14, v15, v14, v13
.LBB8_16:
	s_or_b64 exec, exec, s[6:7]
	s_nop 0
	v_mfma_f32_16x16x4f32 a[0:3], v12, v14, a[0:3]
	s_movk_i32 s4, 0xff
	v_and_b32_sdwa v13, v6, s4 dst_sel:DWORD dst_unused:UNUSED_PAD src0_sel:WORD_1 src1_sel:DWORD
	s_movk_i32 s4, 0x7f
	v_cmp_lt_i16_e32 vcc, s4, v13
	s_mov_b64 s[4:5], 0
                                        ; implicit-def: $sgpr10
	s_and_saveexec_b64 s[6:7], vcc
	s_xor_b64 s[6:7], exec, s[6:7]
	s_cbranch_execnz .LBB8_2065
; %bb.17:
	s_or_saveexec_b64 s[6:7], s[6:7]
	v_mov_b32_e32 v12, s10
	s_xor_b64 exec, exec, s[6:7]
	s_cbranch_execnz .LBB8_2068
.LBB8_18:
	s_or_b64 exec, exec, s[6:7]
	s_and_saveexec_b64 s[6:7], s[4:5]
	s_cbranch_execz .LBB8_20
.LBB8_19:
	v_bfe_u32 v12, v6, 16, 3
	v_ffbh_u32_e32 v15, v12
	v_min_u32_e32 v15, 32, v15
	v_lshrrev_b32_e32 v13, 19, v6
	v_subrev_u32_e32 v16, 28, v15
	v_and_b32_e32 v13, 15, v13
	v_lshlrev_b32_sdwa v16, v16, v6 dst_sel:DWORD dst_unused:UNUSED_PAD src0_sel:DWORD src1_sel:WORD_1
	v_bfe_u32 v14, v6, 19, 4
	v_sub_u32_e32 v15, 29, v15
	v_and_b32_e32 v16, 7, v16
	v_cmp_eq_u16_e32 vcc, 0, v13
	v_cndmask_b32_e32 v12, v12, v16, vcc
	v_cndmask_b32_e32 v13, v14, v15, vcc
	v_lshlrev_b32_e32 v14, 8, v6
	v_mov_b32_e32 v15, 0x3b800000
	v_lshlrev_b32_e32 v12, 20, v12
	v_and_b32_e32 v14, 0x80000000, v14
	v_lshl_add_u32 v13, v13, 23, v15
	v_or3_b32 v12, v14, v13, v12
.LBB8_20:
	s_or_b64 exec, exec, s[6:7]
	s_movk_i32 s4, 0xff
	v_and_b32_sdwa v13, v2, s4 dst_sel:DWORD dst_unused:UNUSED_PAD src0_sel:WORD_1 src1_sel:DWORD
	s_movk_i32 s4, 0x7f
	v_cmp_lt_i16_e32 vcc, s4, v13
	s_mov_b64 s[4:5], 0
                                        ; implicit-def: $sgpr10
	s_and_saveexec_b64 s[6:7], vcc
	s_xor_b64 s[6:7], exec, s[6:7]
	s_cbranch_execnz .LBB8_2069
; %bb.21:
	s_or_saveexec_b64 s[6:7], s[6:7]
	v_mov_b32_e32 v14, s10
	s_xor_b64 exec, exec, s[6:7]
	s_cbranch_execnz .LBB8_2072
.LBB8_22:
	s_or_b64 exec, exec, s[6:7]
	s_and_saveexec_b64 s[6:7], s[4:5]
	s_cbranch_execz .LBB8_24
.LBB8_23:
	v_bfe_u32 v13, v2, 16, 3
	v_ffbh_u32_e32 v16, v13
	v_min_u32_e32 v16, 32, v16
	v_lshrrev_b32_e32 v14, 19, v2
	v_subrev_u32_e32 v17, 28, v16
	v_and_b32_e32 v14, 15, v14
	v_lshlrev_b32_sdwa v17, v17, v2 dst_sel:DWORD dst_unused:UNUSED_PAD src0_sel:DWORD src1_sel:WORD_1
	v_bfe_u32 v15, v2, 19, 4
	v_sub_u32_e32 v16, 29, v16
	v_and_b32_e32 v17, 7, v17
	v_cmp_eq_u16_e32 vcc, 0, v14
	v_cndmask_b32_e32 v13, v13, v17, vcc
	v_cndmask_b32_e32 v14, v15, v16, vcc
	v_lshlrev_b32_e32 v15, 8, v2
	v_mov_b32_e32 v16, 0x3b800000
	v_lshlrev_b32_e32 v13, 20, v13
	v_and_b32_e32 v15, 0x80000000, v15
	v_lshl_add_u32 v14, v14, 23, v16
	v_or3_b32 v14, v15, v14, v13
.LBB8_24:
	s_or_b64 exec, exec, s[6:7]
	s_nop 0
	v_mfma_f32_16x16x4f32 a[0:3], v12, v14, a[0:3]
	s_movk_i32 s4, 0x7f
	v_cmp_gt_i16_sdwa s[6:7], v6, s4 src0_sel:BYTE_3 src1_sel:DWORD
	s_mov_b64 s[4:5], 0
                                        ; implicit-def: $sgpr10
	s_and_saveexec_b64 s[8:9], s[6:7]
	s_xor_b64 s[6:7], exec, s[8:9]
	s_cbranch_execnz .LBB8_2073
; %bb.25:
	s_or_saveexec_b64 s[6:7], s[6:7]
	v_mov_b32_e32 v12, s10
	s_xor_b64 exec, exec, s[6:7]
	s_cbranch_execnz .LBB8_2076
.LBB8_26:
	s_or_b64 exec, exec, s[6:7]
	s_and_saveexec_b64 s[6:7], s[4:5]
	s_cbranch_execz .LBB8_28
.LBB8_27:
	v_bfe_u32 v12, v6, 24, 3
	v_ffbh_u32_e32 v16, v12
	v_min_u32_e32 v16, 32, v16
	v_lshrrev_b32_e32 v14, 27, v6
	v_subrev_u32_e32 v17, 28, v16
	v_and_b32_e32 v13, 0x80000000, v6
	v_and_b32_e32 v14, 15, v14
	v_bfe_u32 v15, v6, 27, 4
	v_lshlrev_b32_sdwa v6, v17, v6 dst_sel:DWORD dst_unused:UNUSED_PAD src0_sel:DWORD src1_sel:BYTE_3
	v_sub_u32_e32 v16, 29, v16
	v_and_b32_e32 v6, 7, v6
	v_cmp_eq_u16_e32 vcc, 0, v14
	v_cndmask_b32_e32 v6, v12, v6, vcc
	v_cndmask_b32_e32 v12, v15, v16, vcc
	v_mov_b32_e32 v14, 0x3b800000
	v_lshlrev_b32_e32 v6, 20, v6
	v_lshl_add_u32 v12, v12, 23, v14
	v_or3_b32 v12, v13, v12, v6
.LBB8_28:
	s_or_b64 exec, exec, s[6:7]
	s_movk_i32 s4, 0x7f
	v_cmp_gt_i16_sdwa s[6:7], v2, s4 src0_sel:BYTE_3 src1_sel:DWORD
	s_mov_b64 s[4:5], 0
                                        ; implicit-def: $sgpr10
	s_and_saveexec_b64 s[8:9], s[6:7]
	s_xor_b64 s[6:7], exec, s[8:9]
	s_cbranch_execnz .LBB8_2077
; %bb.29:
	s_or_saveexec_b64 s[6:7], s[6:7]
	v_mov_b32_e32 v6, s10
	s_xor_b64 exec, exec, s[6:7]
	s_cbranch_execnz .LBB8_2080
.LBB8_30:
	s_or_b64 exec, exec, s[6:7]
	s_and_saveexec_b64 s[6:7], s[4:5]
	s_cbranch_execz .LBB8_32
.LBB8_31:
	v_bfe_u32 v6, v2, 24, 3
	v_ffbh_u32_e32 v16, v6
	v_min_u32_e32 v16, 32, v16
	v_lshrrev_b32_e32 v14, 27, v2
	v_subrev_u32_e32 v17, 28, v16
	v_and_b32_e32 v13, 0x80000000, v2
	v_and_b32_e32 v14, 15, v14
	v_bfe_u32 v15, v2, 27, 4
	v_lshlrev_b32_sdwa v2, v17, v2 dst_sel:DWORD dst_unused:UNUSED_PAD src0_sel:DWORD src1_sel:BYTE_3
	v_sub_u32_e32 v16, 29, v16
	v_and_b32_e32 v2, 7, v2
	v_cmp_eq_u16_e32 vcc, 0, v14
	v_cndmask_b32_e32 v2, v6, v2, vcc
	v_cndmask_b32_e32 v6, v15, v16, vcc
	v_mov_b32_e32 v14, 0x3b800000
	v_lshlrev_b32_e32 v2, 20, v2
	v_lshl_add_u32 v6, v6, 23, v14
	v_or3_b32 v6, v13, v6, v2
.LBB8_32:
	s_or_b64 exec, exec, s[6:7]
	s_nop 0
	v_mfma_f32_16x16x4f32 a[0:3], v12, v6, a[0:3]
	s_movk_i32 s4, 0x7f
	v_cmp_gt_i16_sdwa s[6:7], v7, s4 src0_sel:BYTE_0 src1_sel:DWORD
	s_mov_b64 s[4:5], 0
                                        ; implicit-def: $sgpr10
	s_and_saveexec_b64 s[8:9], s[6:7]
	s_xor_b64 s[6:7], exec, s[8:9]
	s_cbranch_execnz .LBB8_2081
; %bb.33:
	s_or_saveexec_b64 s[6:7], s[6:7]
	v_mov_b32_e32 v2, s10
	s_xor_b64 exec, exec, s[6:7]
	s_cbranch_execnz .LBB8_2084
.LBB8_34:
	s_or_b64 exec, exec, s[6:7]
	s_and_saveexec_b64 s[6:7], s[4:5]
	s_cbranch_execz .LBB8_36
.LBB8_35:
	v_and_b32_e32 v2, 7, v7
	v_ffbh_u32_e32 v12, v2
	v_min_u32_e32 v12, 32, v12
	v_lshrrev_b16_e32 v6, 3, v7
	v_subrev_u32_e32 v13, 28, v12
	v_and_b32_e32 v6, 15, v6
	v_lshlrev_b32_e32 v13, v13, v7
	v_sub_u32_e32 v12, 29, v12
	v_and_b32_e32 v13, 7, v13
	v_cmp_eq_u16_e32 vcc, 0, v6
	v_cndmask_b32_e32 v2, v2, v13, vcc
	v_cndmask_b32_e32 v6, v6, v12, vcc
	v_lshlrev_b32_e32 v12, 24, v7
	v_mov_b32_e32 v13, 0x3b800000
	v_lshlrev_b32_e32 v2, 20, v2
	v_and_b32_e32 v12, 0x80000000, v12
	v_lshl_add_u32 v6, v6, 23, v13
	v_or3_b32 v2, v12, v6, v2
.LBB8_36:
	s_or_b64 exec, exec, s[6:7]
	s_movk_i32 s4, 0x7f
	v_cmp_gt_i16_sdwa s[6:7], v3, s4 src0_sel:BYTE_0 src1_sel:DWORD
	s_mov_b64 s[4:5], 0
                                        ; implicit-def: $sgpr10
	s_and_saveexec_b64 s[8:9], s[6:7]
	s_xor_b64 s[6:7], exec, s[8:9]
	s_cbranch_execnz .LBB8_2085
; %bb.37:
	s_or_saveexec_b64 s[6:7], s[6:7]
	v_mov_b32_e32 v6, s10
	s_xor_b64 exec, exec, s[6:7]
	s_cbranch_execnz .LBB8_2088
.LBB8_38:
	s_or_b64 exec, exec, s[6:7]
	s_and_saveexec_b64 s[6:7], s[4:5]
	s_cbranch_execz .LBB8_40
.LBB8_39:
	v_and_b32_e32 v6, 7, v3
	v_ffbh_u32_e32 v13, v6
	v_min_u32_e32 v13, 32, v13
	v_lshrrev_b16_e32 v12, 3, v3
	v_subrev_u32_e32 v14, 28, v13
	v_and_b32_e32 v12, 15, v12
	v_lshlrev_b32_e32 v14, v14, v3
	v_sub_u32_e32 v13, 29, v13
	v_and_b32_e32 v14, 7, v14
	v_cmp_eq_u16_e32 vcc, 0, v12
	v_cndmask_b32_e32 v6, v6, v14, vcc
	v_cndmask_b32_e32 v12, v12, v13, vcc
	v_lshlrev_b32_e32 v13, 24, v3
	v_mov_b32_e32 v14, 0x3b800000
	v_lshlrev_b32_e32 v6, 20, v6
	v_and_b32_e32 v13, 0x80000000, v13
	v_lshl_add_u32 v12, v12, 23, v14
	v_or3_b32 v6, v13, v12, v6
.LBB8_40:
	s_or_b64 exec, exec, s[6:7]
	s_nop 0
	v_mfma_f32_16x16x4f32 a[0:3], v2, v6, a[0:3]
	v_lshrrev_b32_e32 v6, 8, v7
	s_movk_i32 s4, 0x7f
	v_cmp_gt_i16_sdwa s[6:7], v6, s4 src0_sel:BYTE_0 src1_sel:DWORD
	s_mov_b64 s[4:5], 0
                                        ; implicit-def: $sgpr10
	s_and_saveexec_b64 s[8:9], s[6:7]
	s_xor_b64 s[6:7], exec, s[8:9]
	s_cbranch_execnz .LBB8_2089
; %bb.41:
	s_or_saveexec_b64 s[6:7], s[6:7]
	v_mov_b32_e32 v2, s10
	s_xor_b64 exec, exec, s[6:7]
	s_cbranch_execnz .LBB8_2092
.LBB8_42:
	s_or_b64 exec, exec, s[6:7]
	s_and_saveexec_b64 s[6:7], s[4:5]
	s_cbranch_execz .LBB8_44
.LBB8_43:
	v_bfe_u32 v2, v7, 8, 3
	v_ffbh_u32_e32 v13, v2
	v_min_u32_e32 v13, 32, v13
	v_lshrrev_b16_e32 v12, 3, v6
	v_subrev_u32_e32 v14, 28, v13
	v_and_b32_e32 v12, 15, v12
	v_lshlrev_b32_e32 v6, v14, v6
	v_sub_u32_e32 v13, 29, v13
	v_and_b32_e32 v6, 7, v6
	v_cmp_eq_u16_e32 vcc, 0, v12
	v_cndmask_b32_e32 v2, v2, v6, vcc
	v_cndmask_b32_e32 v6, v12, v13, vcc
	v_lshlrev_b32_e32 v12, 16, v7
	v_mov_b32_e32 v13, 0x3b800000
	v_lshlrev_b32_e32 v2, 20, v2
	v_and_b32_e32 v12, 0x80000000, v12
	v_lshl_add_u32 v6, v6, 23, v13
	v_or3_b32 v2, v12, v6, v2
.LBB8_44:
	s_or_b64 exec, exec, s[6:7]
	v_lshrrev_b32_e32 v6, 8, v3
	s_movk_i32 s4, 0x7f
	v_cmp_gt_i16_sdwa s[6:7], v6, s4 src0_sel:BYTE_0 src1_sel:DWORD
	s_mov_b64 s[4:5], 0
                                        ; implicit-def: $sgpr10
	s_and_saveexec_b64 s[8:9], s[6:7]
	s_xor_b64 s[6:7], exec, s[8:9]
	s_cbranch_execnz .LBB8_2093
; %bb.45:
	s_or_saveexec_b64 s[6:7], s[6:7]
	v_mov_b32_e32 v12, s10
	s_xor_b64 exec, exec, s[6:7]
	s_cbranch_execnz .LBB8_2096
.LBB8_46:
	s_or_b64 exec, exec, s[6:7]
	s_and_saveexec_b64 s[6:7], s[4:5]
	s_cbranch_execz .LBB8_48
.LBB8_47:
	v_bfe_u32 v12, v3, 8, 3
	v_ffbh_u32_e32 v14, v12
	v_min_u32_e32 v14, 32, v14
	v_lshrrev_b16_e32 v13, 3, v6
	v_subrev_u32_e32 v15, 28, v14
	v_and_b32_e32 v13, 15, v13
	v_lshlrev_b32_e32 v6, v15, v6
	v_sub_u32_e32 v14, 29, v14
	v_and_b32_e32 v6, 7, v6
	v_cmp_eq_u16_e32 vcc, 0, v13
	v_cndmask_b32_e32 v6, v12, v6, vcc
	v_cndmask_b32_e32 v12, v13, v14, vcc
	v_lshlrev_b32_e32 v13, 16, v3
	v_mov_b32_e32 v14, 0x3b800000
	v_lshlrev_b32_e32 v6, 20, v6
	v_and_b32_e32 v13, 0x80000000, v13
	v_lshl_add_u32 v12, v12, 23, v14
	v_or3_b32 v12, v13, v12, v6
.LBB8_48:
	s_or_b64 exec, exec, s[6:7]
	s_nop 0
	v_mfma_f32_16x16x4f32 a[0:3], v2, v12, a[0:3]
	s_movk_i32 s4, 0xff
	v_and_b32_sdwa v6, v7, s4 dst_sel:DWORD dst_unused:UNUSED_PAD src0_sel:WORD_1 src1_sel:DWORD
	s_movk_i32 s4, 0x7f
	v_cmp_lt_i16_e32 vcc, s4, v6
	s_mov_b64 s[4:5], 0
                                        ; implicit-def: $sgpr10
	s_and_saveexec_b64 s[6:7], vcc
	s_xor_b64 s[6:7], exec, s[6:7]
	s_cbranch_execnz .LBB8_2097
; %bb.49:
	s_or_saveexec_b64 s[6:7], s[6:7]
	v_mov_b32_e32 v2, s10
	s_xor_b64 exec, exec, s[6:7]
	s_cbranch_execnz .LBB8_2100
.LBB8_50:
	s_or_b64 exec, exec, s[6:7]
	s_and_saveexec_b64 s[6:7], s[4:5]
	s_cbranch_execz .LBB8_52
.LBB8_51:
	v_bfe_u32 v2, v7, 16, 3
	v_ffbh_u32_e32 v13, v2
	v_min_u32_e32 v13, 32, v13
	v_lshrrev_b32_e32 v6, 19, v7
	v_subrev_u32_e32 v14, 28, v13
	v_and_b32_e32 v6, 15, v6
	v_lshlrev_b32_sdwa v14, v14, v7 dst_sel:DWORD dst_unused:UNUSED_PAD src0_sel:DWORD src1_sel:WORD_1
	v_bfe_u32 v12, v7, 19, 4
	v_sub_u32_e32 v13, 29, v13
	v_and_b32_e32 v14, 7, v14
	v_cmp_eq_u16_e32 vcc, 0, v6
	v_cndmask_b32_e32 v2, v2, v14, vcc
	v_cndmask_b32_e32 v6, v12, v13, vcc
	v_lshlrev_b32_e32 v12, 8, v7
	v_mov_b32_e32 v13, 0x3b800000
	v_lshlrev_b32_e32 v2, 20, v2
	v_and_b32_e32 v12, 0x80000000, v12
	v_lshl_add_u32 v6, v6, 23, v13
	v_or3_b32 v2, v12, v6, v2
.LBB8_52:
	s_or_b64 exec, exec, s[6:7]
	s_movk_i32 s4, 0xff
	v_and_b32_sdwa v6, v3, s4 dst_sel:DWORD dst_unused:UNUSED_PAD src0_sel:WORD_1 src1_sel:DWORD
	s_movk_i32 s4, 0x7f
	v_cmp_lt_i16_e32 vcc, s4, v6
	s_mov_b64 s[4:5], 0
                                        ; implicit-def: $sgpr10
	s_and_saveexec_b64 s[6:7], vcc
	s_xor_b64 s[6:7], exec, s[6:7]
	s_cbranch_execnz .LBB8_2101
; %bb.53:
	s_or_saveexec_b64 s[6:7], s[6:7]
	v_mov_b32_e32 v12, s10
	s_xor_b64 exec, exec, s[6:7]
	s_cbranch_execnz .LBB8_2104
.LBB8_54:
	s_or_b64 exec, exec, s[6:7]
	s_and_saveexec_b64 s[6:7], s[4:5]
	s_cbranch_execz .LBB8_56
.LBB8_55:
	v_bfe_u32 v6, v3, 16, 3
	v_ffbh_u32_e32 v14, v6
	v_min_u32_e32 v14, 32, v14
	v_lshrrev_b32_e32 v12, 19, v3
	v_subrev_u32_e32 v15, 28, v14
	v_and_b32_e32 v12, 15, v12
	v_lshlrev_b32_sdwa v15, v15, v3 dst_sel:DWORD dst_unused:UNUSED_PAD src0_sel:DWORD src1_sel:WORD_1
	v_bfe_u32 v13, v3, 19, 4
	v_sub_u32_e32 v14, 29, v14
	v_and_b32_e32 v15, 7, v15
	v_cmp_eq_u16_e32 vcc, 0, v12
	v_cndmask_b32_e32 v6, v6, v15, vcc
	v_cndmask_b32_e32 v12, v13, v14, vcc
	v_lshlrev_b32_e32 v13, 8, v3
	v_mov_b32_e32 v14, 0x3b800000
	v_lshlrev_b32_e32 v6, 20, v6
	v_and_b32_e32 v13, 0x80000000, v13
	v_lshl_add_u32 v12, v12, 23, v14
	v_or3_b32 v12, v13, v12, v6
.LBB8_56:
	s_or_b64 exec, exec, s[6:7]
	s_nop 0
	v_mfma_f32_16x16x4f32 a[0:3], v2, v12, a[0:3]
	s_movk_i32 s4, 0x7f
	v_cmp_gt_i16_sdwa s[6:7], v7, s4 src0_sel:BYTE_3 src1_sel:DWORD
	s_mov_b64 s[4:5], 0
                                        ; implicit-def: $sgpr10
	s_and_saveexec_b64 s[8:9], s[6:7]
	s_xor_b64 s[6:7], exec, s[8:9]
	s_cbranch_execnz .LBB8_2105
; %bb.57:
	s_or_saveexec_b64 s[6:7], s[6:7]
	v_mov_b32_e32 v2, s10
	s_xor_b64 exec, exec, s[6:7]
	s_cbranch_execnz .LBB8_2108
.LBB8_58:
	s_or_b64 exec, exec, s[6:7]
	s_and_saveexec_b64 s[6:7], s[4:5]
	s_cbranch_execz .LBB8_60
.LBB8_59:
	v_bfe_u32 v2, v7, 24, 3
	v_ffbh_u32_e32 v14, v2
	v_min_u32_e32 v14, 32, v14
	v_lshrrev_b32_e32 v12, 27, v7
	v_subrev_u32_e32 v15, 28, v14
	v_and_b32_e32 v6, 0x80000000, v7
	v_and_b32_e32 v12, 15, v12
	v_bfe_u32 v13, v7, 27, 4
	v_lshlrev_b32_sdwa v7, v15, v7 dst_sel:DWORD dst_unused:UNUSED_PAD src0_sel:DWORD src1_sel:BYTE_3
	v_sub_u32_e32 v14, 29, v14
	v_and_b32_e32 v7, 7, v7
	v_cmp_eq_u16_e32 vcc, 0, v12
	v_cndmask_b32_e32 v2, v2, v7, vcc
	v_cndmask_b32_e32 v7, v13, v14, vcc
	v_mov_b32_e32 v12, 0x3b800000
	v_lshlrev_b32_e32 v2, 20, v2
	v_lshl_add_u32 v7, v7, 23, v12
	v_or3_b32 v2, v6, v7, v2
.LBB8_60:
	s_or_b64 exec, exec, s[6:7]
	s_movk_i32 s4, 0x7f
	v_cmp_gt_i16_sdwa s[6:7], v3, s4 src0_sel:BYTE_3 src1_sel:DWORD
	s_mov_b64 s[4:5], 0
                                        ; implicit-def: $sgpr10
	s_and_saveexec_b64 s[8:9], s[6:7]
	s_xor_b64 s[6:7], exec, s[8:9]
	s_cbranch_execnz .LBB8_2109
; %bb.61:
	s_or_saveexec_b64 s[6:7], s[6:7]
	v_mov_b32_e32 v6, s10
	s_xor_b64 exec, exec, s[6:7]
	s_cbranch_execnz .LBB8_2112
.LBB8_62:
	s_or_b64 exec, exec, s[6:7]
	s_and_saveexec_b64 s[6:7], s[4:5]
	s_cbranch_execz .LBB8_64
.LBB8_63:
	v_bfe_u32 v6, v3, 24, 3
	v_ffbh_u32_e32 v14, v6
	v_min_u32_e32 v14, 32, v14
	v_lshrrev_b32_e32 v12, 27, v3
	v_subrev_u32_e32 v15, 28, v14
	v_and_b32_e32 v7, 0x80000000, v3
	v_and_b32_e32 v12, 15, v12
	v_bfe_u32 v13, v3, 27, 4
	v_lshlrev_b32_sdwa v3, v15, v3 dst_sel:DWORD dst_unused:UNUSED_PAD src0_sel:DWORD src1_sel:BYTE_3
	v_sub_u32_e32 v14, 29, v14
	v_and_b32_e32 v3, 7, v3
	v_cmp_eq_u16_e32 vcc, 0, v12
	v_cndmask_b32_e32 v3, v6, v3, vcc
	v_cndmask_b32_e32 v6, v13, v14, vcc
	v_mov_b32_e32 v12, 0x3b800000
	v_lshlrev_b32_e32 v3, 20, v3
	v_lshl_add_u32 v6, v6, 23, v12
	v_or3_b32 v6, v7, v6, v3
.LBB8_64:
	s_or_b64 exec, exec, s[6:7]
	s_nop 0
	v_mfma_f32_16x16x4f32 a[0:3], v2, v6, a[0:3]
	s_movk_i32 s4, 0x7f
	v_cmp_gt_i16_sdwa s[6:7], v8, s4 src0_sel:BYTE_0 src1_sel:DWORD
	s_mov_b64 s[4:5], 0
                                        ; implicit-def: $sgpr10
	s_and_saveexec_b64 s[8:9], s[6:7]
	s_xor_b64 s[6:7], exec, s[8:9]
	s_cbranch_execnz .LBB8_2113
; %bb.65:
	s_or_saveexec_b64 s[6:7], s[6:7]
	v_mov_b32_e32 v2, s10
	s_xor_b64 exec, exec, s[6:7]
	s_cbranch_execnz .LBB8_2116
.LBB8_66:
	s_or_b64 exec, exec, s[6:7]
	s_and_saveexec_b64 s[6:7], s[4:5]
	s_cbranch_execz .LBB8_68
.LBB8_67:
	v_and_b32_e32 v2, 7, v8
	v_ffbh_u32_e32 v6, v2
	v_min_u32_e32 v6, 32, v6
	v_lshrrev_b16_e32 v3, 3, v8
	v_subrev_u32_e32 v7, 28, v6
	v_and_b32_e32 v3, 15, v3
	v_lshlrev_b32_e32 v7, v7, v8
	v_sub_u32_e32 v6, 29, v6
	v_and_b32_e32 v7, 7, v7
	v_cmp_eq_u16_e32 vcc, 0, v3
	v_cndmask_b32_e32 v2, v2, v7, vcc
	v_cndmask_b32_e32 v3, v3, v6, vcc
	v_lshlrev_b32_e32 v6, 24, v8
	v_mov_b32_e32 v7, 0x3b800000
	v_lshlrev_b32_e32 v2, 20, v2
	v_and_b32_e32 v6, 0x80000000, v6
	v_lshl_add_u32 v3, v3, 23, v7
	v_or3_b32 v2, v6, v3, v2
.LBB8_68:
	s_or_b64 exec, exec, s[6:7]
	s_movk_i32 s4, 0x7f
	v_cmp_gt_i16_sdwa s[6:7], v4, s4 src0_sel:BYTE_0 src1_sel:DWORD
	s_mov_b64 s[4:5], 0
                                        ; implicit-def: $sgpr10
	s_and_saveexec_b64 s[8:9], s[6:7]
	s_xor_b64 s[6:7], exec, s[8:9]
	s_cbranch_execnz .LBB8_2117
; %bb.69:
	s_or_saveexec_b64 s[6:7], s[6:7]
	v_mov_b32_e32 v3, s10
	s_xor_b64 exec, exec, s[6:7]
	s_cbranch_execnz .LBB8_2120
.LBB8_70:
	s_or_b64 exec, exec, s[6:7]
	s_and_saveexec_b64 s[6:7], s[4:5]
	s_cbranch_execz .LBB8_72
.LBB8_71:
	v_and_b32_e32 v3, 7, v4
	v_ffbh_u32_e32 v7, v3
	v_min_u32_e32 v7, 32, v7
	v_lshrrev_b16_e32 v6, 3, v4
	v_subrev_u32_e32 v12, 28, v7
	v_and_b32_e32 v6, 15, v6
	v_lshlrev_b32_e32 v12, v12, v4
	v_sub_u32_e32 v7, 29, v7
	v_and_b32_e32 v12, 7, v12
	v_cmp_eq_u16_e32 vcc, 0, v6
	v_cndmask_b32_e32 v3, v3, v12, vcc
	v_cndmask_b32_e32 v6, v6, v7, vcc
	v_lshlrev_b32_e32 v7, 24, v4
	v_mov_b32_e32 v12, 0x3b800000
	v_lshlrev_b32_e32 v3, 20, v3
	v_and_b32_e32 v7, 0x80000000, v7
	v_lshl_add_u32 v6, v6, 23, v12
	v_or3_b32 v3, v7, v6, v3
.LBB8_72:
	s_or_b64 exec, exec, s[6:7]
	s_nop 0
	v_mfma_f32_16x16x4f32 a[0:3], v2, v3, a[0:3]
	v_lshrrev_b32_e32 v3, 8, v8
	s_movk_i32 s4, 0x7f
	v_cmp_gt_i16_sdwa s[6:7], v3, s4 src0_sel:BYTE_0 src1_sel:DWORD
	s_mov_b64 s[4:5], 0
                                        ; implicit-def: $sgpr10
	s_and_saveexec_b64 s[8:9], s[6:7]
	s_xor_b64 s[6:7], exec, s[8:9]
	s_cbranch_execnz .LBB8_2121
; %bb.73:
	s_or_saveexec_b64 s[6:7], s[6:7]
	v_mov_b32_e32 v2, s10
	s_xor_b64 exec, exec, s[6:7]
	s_cbranch_execnz .LBB8_2124
.LBB8_74:
	s_or_b64 exec, exec, s[6:7]
	s_and_saveexec_b64 s[6:7], s[4:5]
	s_cbranch_execz .LBB8_76
.LBB8_75:
	v_bfe_u32 v2, v8, 8, 3
	v_ffbh_u32_e32 v7, v2
	v_min_u32_e32 v7, 32, v7
	v_lshrrev_b16_e32 v6, 3, v3
	v_subrev_u32_e32 v12, 28, v7
	v_and_b32_e32 v6, 15, v6
	v_lshlrev_b32_e32 v3, v12, v3
	v_sub_u32_e32 v7, 29, v7
	v_and_b32_e32 v3, 7, v3
	v_cmp_eq_u16_e32 vcc, 0, v6
	v_cndmask_b32_e32 v2, v2, v3, vcc
	v_cndmask_b32_e32 v3, v6, v7, vcc
	v_lshlrev_b32_e32 v6, 16, v8
	v_mov_b32_e32 v7, 0x3b800000
	v_lshlrev_b32_e32 v2, 20, v2
	v_and_b32_e32 v6, 0x80000000, v6
	v_lshl_add_u32 v3, v3, 23, v7
	v_or3_b32 v2, v6, v3, v2
.LBB8_76:
	s_or_b64 exec, exec, s[6:7]
	v_lshrrev_b32_e32 v3, 8, v4
	s_movk_i32 s4, 0x7f
	v_cmp_gt_i16_sdwa s[6:7], v3, s4 src0_sel:BYTE_0 src1_sel:DWORD
	s_mov_b64 s[4:5], 0
                                        ; implicit-def: $sgpr10
	s_and_saveexec_b64 s[8:9], s[6:7]
	s_xor_b64 s[6:7], exec, s[8:9]
	s_cbranch_execnz .LBB8_2125
; %bb.77:
	s_or_saveexec_b64 s[6:7], s[6:7]
	v_mov_b32_e32 v6, s10
	s_xor_b64 exec, exec, s[6:7]
	s_cbranch_execnz .LBB8_2128
.LBB8_78:
	s_or_b64 exec, exec, s[6:7]
	s_and_saveexec_b64 s[6:7], s[4:5]
	s_cbranch_execz .LBB8_80
.LBB8_79:
	v_bfe_u32 v6, v4, 8, 3
	v_ffbh_u32_e32 v12, v6
	v_min_u32_e32 v12, 32, v12
	v_lshrrev_b16_e32 v7, 3, v3
	v_subrev_u32_e32 v13, 28, v12
	v_and_b32_e32 v7, 15, v7
	v_lshlrev_b32_e32 v3, v13, v3
	v_sub_u32_e32 v12, 29, v12
	v_and_b32_e32 v3, 7, v3
	v_cmp_eq_u16_e32 vcc, 0, v7
	v_cndmask_b32_e32 v3, v6, v3, vcc
	v_cndmask_b32_e32 v6, v7, v12, vcc
	v_lshlrev_b32_e32 v7, 16, v4
	v_mov_b32_e32 v12, 0x3b800000
	v_lshlrev_b32_e32 v3, 20, v3
	v_and_b32_e32 v7, 0x80000000, v7
	v_lshl_add_u32 v6, v6, 23, v12
	v_or3_b32 v6, v7, v6, v3
.LBB8_80:
	s_or_b64 exec, exec, s[6:7]
	s_nop 0
	v_mfma_f32_16x16x4f32 a[0:3], v2, v6, a[0:3]
	s_movk_i32 s4, 0xff
	v_and_b32_sdwa v3, v8, s4 dst_sel:DWORD dst_unused:UNUSED_PAD src0_sel:WORD_1 src1_sel:DWORD
	s_movk_i32 s4, 0x7f
	v_cmp_lt_i16_e32 vcc, s4, v3
	s_mov_b64 s[4:5], 0
                                        ; implicit-def: $sgpr10
	s_and_saveexec_b64 s[6:7], vcc
	s_xor_b64 s[6:7], exec, s[6:7]
	s_cbranch_execnz .LBB8_2129
; %bb.81:
	s_or_saveexec_b64 s[6:7], s[6:7]
	v_mov_b32_e32 v2, s10
	s_xor_b64 exec, exec, s[6:7]
	s_cbranch_execnz .LBB8_2132
.LBB8_82:
	s_or_b64 exec, exec, s[6:7]
	s_and_saveexec_b64 s[6:7], s[4:5]
	s_cbranch_execz .LBB8_84
.LBB8_83:
	v_bfe_u32 v2, v8, 16, 3
	v_ffbh_u32_e32 v7, v2
	v_min_u32_e32 v7, 32, v7
	v_lshrrev_b32_e32 v3, 19, v8
	v_subrev_u32_e32 v12, 28, v7
	v_and_b32_e32 v3, 15, v3
	v_lshlrev_b32_sdwa v12, v12, v8 dst_sel:DWORD dst_unused:UNUSED_PAD src0_sel:DWORD src1_sel:WORD_1
	v_bfe_u32 v6, v8, 19, 4
	v_sub_u32_e32 v7, 29, v7
	v_and_b32_e32 v12, 7, v12
	v_cmp_eq_u16_e32 vcc, 0, v3
	v_cndmask_b32_e32 v2, v2, v12, vcc
	v_cndmask_b32_e32 v3, v6, v7, vcc
	v_lshlrev_b32_e32 v6, 8, v8
	v_mov_b32_e32 v7, 0x3b800000
	v_lshlrev_b32_e32 v2, 20, v2
	v_and_b32_e32 v6, 0x80000000, v6
	v_lshl_add_u32 v3, v3, 23, v7
	v_or3_b32 v2, v6, v3, v2
.LBB8_84:
	s_or_b64 exec, exec, s[6:7]
	s_movk_i32 s4, 0xff
	v_and_b32_sdwa v3, v4, s4 dst_sel:DWORD dst_unused:UNUSED_PAD src0_sel:WORD_1 src1_sel:DWORD
	s_movk_i32 s4, 0x7f
	v_cmp_lt_i16_e32 vcc, s4, v3
	s_mov_b64 s[4:5], 0
                                        ; implicit-def: $sgpr10
	s_and_saveexec_b64 s[6:7], vcc
	s_xor_b64 s[6:7], exec, s[6:7]
	s_cbranch_execnz .LBB8_2133
; %bb.85:
	s_or_saveexec_b64 s[6:7], s[6:7]
	v_mov_b32_e32 v6, s10
	s_xor_b64 exec, exec, s[6:7]
	s_cbranch_execnz .LBB8_2136
.LBB8_86:
	s_or_b64 exec, exec, s[6:7]
	s_and_saveexec_b64 s[6:7], s[4:5]
	s_cbranch_execz .LBB8_88
.LBB8_87:
	v_bfe_u32 v3, v4, 16, 3
	v_ffbh_u32_e32 v12, v3
	v_min_u32_e32 v12, 32, v12
	v_lshrrev_b32_e32 v6, 19, v4
	v_subrev_u32_e32 v13, 28, v12
	v_and_b32_e32 v6, 15, v6
	v_lshlrev_b32_sdwa v13, v13, v4 dst_sel:DWORD dst_unused:UNUSED_PAD src0_sel:DWORD src1_sel:WORD_1
	v_bfe_u32 v7, v4, 19, 4
	v_sub_u32_e32 v12, 29, v12
	v_and_b32_e32 v13, 7, v13
	v_cmp_eq_u16_e32 vcc, 0, v6
	v_cndmask_b32_e32 v3, v3, v13, vcc
	v_cndmask_b32_e32 v6, v7, v12, vcc
	v_lshlrev_b32_e32 v7, 8, v4
	v_mov_b32_e32 v12, 0x3b800000
	v_lshlrev_b32_e32 v3, 20, v3
	v_and_b32_e32 v7, 0x80000000, v7
	v_lshl_add_u32 v6, v6, 23, v12
	v_or3_b32 v6, v7, v6, v3
.LBB8_88:
	s_or_b64 exec, exec, s[6:7]
	s_nop 0
	v_mfma_f32_16x16x4f32 a[0:3], v2, v6, a[0:3]
	s_movk_i32 s4, 0x7f
	v_cmp_gt_i16_sdwa s[6:7], v8, s4 src0_sel:BYTE_3 src1_sel:DWORD
	s_mov_b64 s[4:5], 0
                                        ; implicit-def: $sgpr10
	s_and_saveexec_b64 s[8:9], s[6:7]
	s_xor_b64 s[6:7], exec, s[8:9]
	s_cbranch_execnz .LBB8_2137
; %bb.89:
	s_or_saveexec_b64 s[6:7], s[6:7]
	v_mov_b32_e32 v2, s10
	s_xor_b64 exec, exec, s[6:7]
	s_cbranch_execnz .LBB8_2140
.LBB8_90:
	s_or_b64 exec, exec, s[6:7]
	s_and_saveexec_b64 s[6:7], s[4:5]
	s_cbranch_execz .LBB8_92
.LBB8_91:
	v_bfe_u32 v2, v8, 24, 3
	v_ffbh_u32_e32 v12, v2
	v_min_u32_e32 v12, 32, v12
	v_lshrrev_b32_e32 v6, 27, v8
	v_subrev_u32_e32 v13, 28, v12
	v_and_b32_e32 v3, 0x80000000, v8
	v_and_b32_e32 v6, 15, v6
	v_bfe_u32 v7, v8, 27, 4
	v_lshlrev_b32_sdwa v8, v13, v8 dst_sel:DWORD dst_unused:UNUSED_PAD src0_sel:DWORD src1_sel:BYTE_3
	v_sub_u32_e32 v12, 29, v12
	v_and_b32_e32 v8, 7, v8
	v_cmp_eq_u16_e32 vcc, 0, v6
	v_cndmask_b32_e32 v2, v2, v8, vcc
	v_cndmask_b32_e32 v6, v7, v12, vcc
	v_mov_b32_e32 v7, 0x3b800000
	v_lshlrev_b32_e32 v2, 20, v2
	v_lshl_add_u32 v6, v6, 23, v7
	v_or3_b32 v2, v3, v6, v2
.LBB8_92:
	s_or_b64 exec, exec, s[6:7]
	s_movk_i32 s4, 0x7f
	v_cmp_gt_i16_sdwa s[6:7], v4, s4 src0_sel:BYTE_3 src1_sel:DWORD
	s_mov_b64 s[4:5], 0
                                        ; implicit-def: $sgpr10
	s_and_saveexec_b64 s[8:9], s[6:7]
	s_xor_b64 s[6:7], exec, s[8:9]
	s_cbranch_execnz .LBB8_2141
; %bb.93:
	s_or_saveexec_b64 s[6:7], s[6:7]
	v_mov_b32_e32 v3, s10
	s_xor_b64 exec, exec, s[6:7]
	s_cbranch_execnz .LBB8_2144
.LBB8_94:
	s_or_b64 exec, exec, s[6:7]
	s_and_saveexec_b64 s[6:7], s[4:5]
	s_cbranch_execz .LBB8_96
.LBB8_95:
	v_bfe_u32 v3, v4, 24, 3
	v_ffbh_u32_e32 v12, v3
	v_min_u32_e32 v12, 32, v12
	v_lshrrev_b32_e32 v7, 27, v4
	v_subrev_u32_e32 v13, 28, v12
	v_and_b32_e32 v6, 0x80000000, v4
	v_and_b32_e32 v7, 15, v7
	v_bfe_u32 v8, v4, 27, 4
	v_lshlrev_b32_sdwa v4, v13, v4 dst_sel:DWORD dst_unused:UNUSED_PAD src0_sel:DWORD src1_sel:BYTE_3
	v_sub_u32_e32 v12, 29, v12
	v_and_b32_e32 v4, 7, v4
	v_cmp_eq_u16_e32 vcc, 0, v7
	v_cndmask_b32_e32 v3, v3, v4, vcc
	v_cndmask_b32_e32 v4, v8, v12, vcc
	v_mov_b32_e32 v7, 0x3b800000
	v_lshlrev_b32_e32 v3, 20, v3
	v_lshl_add_u32 v4, v4, 23, v7
	v_or3_b32 v3, v6, v4, v3
.LBB8_96:
	s_or_b64 exec, exec, s[6:7]
	s_nop 0
	v_mfma_f32_16x16x4f32 a[0:3], v2, v3, a[0:3]
	s_movk_i32 s4, 0x7f
	v_cmp_gt_i16_sdwa s[6:7], v9, s4 src0_sel:BYTE_0 src1_sel:DWORD
	s_mov_b64 s[4:5], 0
                                        ; implicit-def: $sgpr10
	s_and_saveexec_b64 s[8:9], s[6:7]
	s_xor_b64 s[6:7], exec, s[8:9]
	s_cbranch_execnz .LBB8_2145
; %bb.97:
	s_or_saveexec_b64 s[6:7], s[6:7]
	v_mov_b32_e32 v2, s10
	s_xor_b64 exec, exec, s[6:7]
	s_cbranch_execnz .LBB8_2148
.LBB8_98:
	s_or_b64 exec, exec, s[6:7]
	s_and_saveexec_b64 s[6:7], s[4:5]
	s_cbranch_execz .LBB8_100
.LBB8_99:
	v_mov_b32_e32 v2, 8
	v_and_b32_e32 v3, 7, v9
	v_lshrrev_b32_sdwa v2, v2, v9 dst_sel:BYTE_1 dst_unused:UNUSED_PAD src0_sel:DWORD src1_sel:DWORD
	v_ffbh_u32_e32 v4, v3
	v_or_b32_sdwa v2, v9, v2 dst_sel:DWORD dst_unused:UNUSED_PAD src0_sel:BYTE_0 src1_sel:DWORD
	v_min_u32_e32 v4, 32, v4
	v_lshrrev_b16_e32 v2, 3, v2
	v_subrev_u32_e32 v6, 28, v4
	v_and_b32_e32 v2, 15, v2
	v_lshlrev_b32_e32 v6, v6, v9
	v_sub_u32_e32 v4, 29, v4
	v_and_b32_e32 v6, 7, v6
	v_cmp_eq_u16_e32 vcc, 0, v2
	v_cndmask_b32_e32 v3, v3, v6, vcc
	v_cndmask_b32_e32 v2, v2, v4, vcc
	v_lshlrev_b32_e32 v4, 24, v9
	v_mov_b32_e32 v6, 0x3b800000
	v_lshlrev_b32_e32 v3, 20, v3
	v_and_b32_e32 v4, 0x80000000, v4
	v_lshl_add_u32 v2, v2, 23, v6
	v_or3_b32 v2, v4, v2, v3
.LBB8_100:
	s_or_b64 exec, exec, s[6:7]
	s_movk_i32 s4, 0x7f
	v_cmp_gt_i16_sdwa s[6:7], v5, s4 src0_sel:BYTE_0 src1_sel:DWORD
	s_mov_b64 s[4:5], 0
                                        ; implicit-def: $sgpr10
	s_and_saveexec_b64 s[8:9], s[6:7]
	s_xor_b64 s[6:7], exec, s[8:9]
	s_cbranch_execnz .LBB8_2149
; %bb.101:
	s_or_saveexec_b64 s[6:7], s[6:7]
	v_mov_b32_e32 v3, s10
	s_xor_b64 exec, exec, s[6:7]
	s_cbranch_execnz .LBB8_2152
.LBB8_102:
	s_or_b64 exec, exec, s[6:7]
	s_and_saveexec_b64 s[6:7], s[4:5]
	s_cbranch_execz .LBB8_104
.LBB8_103:
	v_mov_b32_e32 v3, 8
	v_and_b32_e32 v4, 7, v5
	v_lshrrev_b32_sdwa v3, v3, v5 dst_sel:BYTE_1 dst_unused:UNUSED_PAD src0_sel:DWORD src1_sel:DWORD
	v_ffbh_u32_e32 v6, v4
	v_or_b32_sdwa v3, v5, v3 dst_sel:DWORD dst_unused:UNUSED_PAD src0_sel:BYTE_0 src1_sel:DWORD
	v_min_u32_e32 v6, 32, v6
	v_lshrrev_b16_e32 v3, 3, v3
	v_subrev_u32_e32 v7, 28, v6
	v_and_b32_e32 v3, 15, v3
	v_lshlrev_b32_e32 v7, v7, v5
	v_sub_u32_e32 v6, 29, v6
	v_and_b32_e32 v7, 7, v7
	v_cmp_eq_u16_e32 vcc, 0, v3
	v_cndmask_b32_e32 v4, v4, v7, vcc
	v_cndmask_b32_e32 v3, v3, v6, vcc
	v_lshlrev_b32_e32 v6, 24, v5
	v_mov_b32_e32 v7, 0x3b800000
	v_lshlrev_b32_e32 v4, 20, v4
	v_and_b32_e32 v6, 0x80000000, v6
	v_lshl_add_u32 v3, v3, 23, v7
	v_or3_b32 v3, v6, v3, v4
.LBB8_104:
	s_or_b64 exec, exec, s[6:7]
	s_nop 0
	v_mfma_f32_16x16x4f32 a[0:3], v2, v3, a[0:3]
	v_lshrrev_b32_e32 v3, 8, v9
	s_movk_i32 s4, 0x7f
	v_cmp_gt_i16_sdwa s[6:7], v3, s4 src0_sel:BYTE_0 src1_sel:DWORD
	s_mov_b64 s[4:5], 0
                                        ; implicit-def: $sgpr10
	s_and_saveexec_b64 s[8:9], s[6:7]
	s_xor_b64 s[6:7], exec, s[8:9]
	s_cbranch_execnz .LBB8_2153
; %bb.105:
	s_or_saveexec_b64 s[6:7], s[6:7]
	v_mov_b32_e32 v2, s10
	s_xor_b64 exec, exec, s[6:7]
	s_cbranch_execnz .LBB8_2156
.LBB8_106:
	s_or_b64 exec, exec, s[6:7]
	s_and_saveexec_b64 s[6:7], s[4:5]
	s_cbranch_execz .LBB8_108
.LBB8_107:
	v_bfe_u32 v2, v9, 8, 3
	v_ffbh_u32_e32 v6, v2
	v_min_u32_e32 v6, 32, v6
	v_lshrrev_b16_e32 v4, 3, v3
	v_subrev_u32_e32 v7, 28, v6
	v_and_b32_e32 v4, 15, v4
	v_lshlrev_b32_e32 v3, v7, v3
	v_sub_u32_e32 v6, 29, v6
	v_and_b32_e32 v3, 7, v3
	v_cmp_eq_u16_e32 vcc, 0, v4
	v_cndmask_b32_e32 v2, v2, v3, vcc
	v_cndmask_b32_e32 v3, v4, v6, vcc
	v_lshlrev_b32_e32 v4, 16, v9
	v_mov_b32_e32 v6, 0x3b800000
	v_lshlrev_b32_e32 v2, 20, v2
	v_and_b32_e32 v4, 0x80000000, v4
	v_lshl_add_u32 v3, v3, 23, v6
	v_or3_b32 v2, v4, v3, v2
.LBB8_108:
	s_or_b64 exec, exec, s[6:7]
	v_lshrrev_b32_e32 v3, 8, v5
	s_movk_i32 s4, 0x7f
	v_cmp_gt_i16_sdwa s[6:7], v3, s4 src0_sel:BYTE_0 src1_sel:DWORD
	s_mov_b64 s[4:5], 0
                                        ; implicit-def: $sgpr10
	s_and_saveexec_b64 s[8:9], s[6:7]
	s_xor_b64 s[6:7], exec, s[8:9]
	s_cbranch_execnz .LBB8_2157
; %bb.109:
	s_or_saveexec_b64 s[6:7], s[6:7]
	v_mov_b32_e32 v4, s10
	s_xor_b64 exec, exec, s[6:7]
	s_cbranch_execnz .LBB8_2160
.LBB8_110:
	s_or_b64 exec, exec, s[6:7]
	s_and_saveexec_b64 s[6:7], s[4:5]
	s_cbranch_execz .LBB8_112
.LBB8_111:
	v_bfe_u32 v4, v5, 8, 3
	v_ffbh_u32_e32 v7, v4
	v_min_u32_e32 v7, 32, v7
	v_lshrrev_b16_e32 v6, 3, v3
	v_subrev_u32_e32 v8, 28, v7
	v_and_b32_e32 v6, 15, v6
	v_lshlrev_b32_e32 v3, v8, v3
	v_sub_u32_e32 v7, 29, v7
	v_and_b32_e32 v3, 7, v3
	v_cmp_eq_u16_e32 vcc, 0, v6
	v_cndmask_b32_e32 v3, v4, v3, vcc
	v_cndmask_b32_e32 v4, v6, v7, vcc
	v_lshlrev_b32_e32 v6, 16, v5
	v_mov_b32_e32 v7, 0x3b800000
	v_lshlrev_b32_e32 v3, 20, v3
	v_and_b32_e32 v6, 0x80000000, v6
	v_lshl_add_u32 v4, v4, 23, v7
	v_or3_b32 v4, v6, v4, v3
.LBB8_112:
	s_or_b64 exec, exec, s[6:7]
	s_nop 0
	v_mfma_f32_16x16x4f32 a[0:3], v2, v4, a[0:3]
	s_movk_i32 s4, 0xff
	v_and_b32_sdwa v3, v9, s4 dst_sel:DWORD dst_unused:UNUSED_PAD src0_sel:WORD_1 src1_sel:DWORD
	s_movk_i32 s4, 0x7f
	v_cmp_lt_i16_e32 vcc, s4, v3
	s_mov_b64 s[4:5], 0
                                        ; implicit-def: $sgpr10
	s_and_saveexec_b64 s[6:7], vcc
	s_xor_b64 s[6:7], exec, s[6:7]
	s_cbranch_execnz .LBB8_2161
; %bb.113:
	s_or_saveexec_b64 s[6:7], s[6:7]
	v_mov_b32_e32 v2, s10
	s_xor_b64 exec, exec, s[6:7]
	s_cbranch_execnz .LBB8_2164
.LBB8_114:
	s_or_b64 exec, exec, s[6:7]
	s_and_saveexec_b64 s[6:7], s[4:5]
	s_cbranch_execz .LBB8_116
.LBB8_115:
	v_bfe_u32 v2, v9, 16, 3
	v_ffbh_u32_e32 v6, v2
	v_min_u32_e32 v6, 32, v6
	v_lshrrev_b32_e32 v3, 19, v9
	v_subrev_u32_e32 v7, 28, v6
	v_and_b32_e32 v3, 15, v3
	v_lshlrev_b32_sdwa v7, v7, v9 dst_sel:DWORD dst_unused:UNUSED_PAD src0_sel:DWORD src1_sel:WORD_1
	v_bfe_u32 v4, v9, 19, 4
	v_sub_u32_e32 v6, 29, v6
	v_and_b32_e32 v7, 7, v7
	v_cmp_eq_u16_e32 vcc, 0, v3
	v_cndmask_b32_e32 v2, v2, v7, vcc
	v_cndmask_b32_e32 v3, v4, v6, vcc
	v_lshlrev_b32_e32 v4, 8, v9
	v_mov_b32_e32 v6, 0x3b800000
	v_lshlrev_b32_e32 v2, 20, v2
	v_and_b32_e32 v4, 0x80000000, v4
	v_lshl_add_u32 v3, v3, 23, v6
	v_or3_b32 v2, v4, v3, v2
.LBB8_116:
	s_or_b64 exec, exec, s[6:7]
	s_movk_i32 s4, 0xff
	v_and_b32_sdwa v3, v5, s4 dst_sel:DWORD dst_unused:UNUSED_PAD src0_sel:WORD_1 src1_sel:DWORD
	s_movk_i32 s4, 0x7f
	v_cmp_lt_i16_e32 vcc, s4, v3
	s_mov_b64 s[4:5], 0
                                        ; implicit-def: $sgpr10
	s_and_saveexec_b64 s[6:7], vcc
	s_xor_b64 s[6:7], exec, s[6:7]
	s_cbranch_execnz .LBB8_2165
; %bb.117:
	s_or_saveexec_b64 s[6:7], s[6:7]
	v_mov_b32_e32 v4, s10
	s_xor_b64 exec, exec, s[6:7]
	s_cbranch_execnz .LBB8_2168
.LBB8_118:
	s_or_b64 exec, exec, s[6:7]
	s_and_saveexec_b64 s[6:7], s[4:5]
	s_cbranch_execz .LBB8_120
.LBB8_119:
	v_bfe_u32 v3, v5, 16, 3
	v_ffbh_u32_e32 v7, v3
	v_min_u32_e32 v7, 32, v7
	v_lshrrev_b32_e32 v4, 19, v5
	v_subrev_u32_e32 v8, 28, v7
	v_and_b32_e32 v4, 15, v4
	v_lshlrev_b32_sdwa v8, v8, v5 dst_sel:DWORD dst_unused:UNUSED_PAD src0_sel:DWORD src1_sel:WORD_1
	v_bfe_u32 v6, v5, 19, 4
	v_sub_u32_e32 v7, 29, v7
	v_and_b32_e32 v8, 7, v8
	v_cmp_eq_u16_e32 vcc, 0, v4
	v_cndmask_b32_e32 v3, v3, v8, vcc
	v_cndmask_b32_e32 v4, v6, v7, vcc
	v_lshlrev_b32_e32 v6, 8, v5
	v_mov_b32_e32 v7, 0x3b800000
	v_lshlrev_b32_e32 v3, 20, v3
	v_and_b32_e32 v6, 0x80000000, v6
	v_lshl_add_u32 v4, v4, 23, v7
	v_or3_b32 v4, v6, v4, v3
.LBB8_120:
	s_or_b64 exec, exec, s[6:7]
	s_nop 0
	v_mfma_f32_16x16x4f32 a[0:3], v2, v4, a[0:3]
	s_movk_i32 s4, 0x7f
	v_cmp_gt_i16_sdwa s[6:7], v9, s4 src0_sel:BYTE_3 src1_sel:DWORD
	s_mov_b64 s[4:5], 0
                                        ; implicit-def: $sgpr10
	s_and_saveexec_b64 s[8:9], s[6:7]
	s_xor_b64 s[6:7], exec, s[8:9]
	s_cbranch_execnz .LBB8_2169
; %bb.121:
	s_or_saveexec_b64 s[6:7], s[6:7]
	v_mov_b32_e32 v2, s10
	s_xor_b64 exec, exec, s[6:7]
	s_cbranch_execnz .LBB8_2172
.LBB8_122:
	s_or_b64 exec, exec, s[6:7]
	s_and_saveexec_b64 s[6:7], s[4:5]
	s_cbranch_execz .LBB8_124
.LBB8_123:
	v_bfe_u32 v2, v9, 24, 3
	v_ffbh_u32_e32 v7, v2
	v_min_u32_e32 v7, 32, v7
	v_lshrrev_b32_e32 v4, 27, v9
	v_subrev_u32_e32 v8, 28, v7
	v_and_b32_e32 v4, 15, v4
	v_lshlrev_b32_sdwa v8, v8, v9 dst_sel:DWORD dst_unused:UNUSED_PAD src0_sel:DWORD src1_sel:BYTE_3
	v_bfe_u32 v6, v9, 27, 4
	v_sub_u32_e32 v7, 29, v7
	v_and_b32_e32 v8, 7, v8
	v_cmp_eq_u16_e32 vcc, 0, v4
	v_cndmask_b32_e32 v2, v2, v8, vcc
	v_cndmask_b32_e32 v4, v6, v7, vcc
	v_mov_b32_e32 v6, 0x3b800000
	v_and_b32_e32 v3, 0x80000000, v9
	v_lshlrev_b32_e32 v2, 20, v2
	v_lshl_add_u32 v4, v4, 23, v6
	v_or3_b32 v2, v3, v4, v2
.LBB8_124:
	s_or_b64 exec, exec, s[6:7]
	s_movk_i32 s4, 0x7f
	v_cmp_gt_i16_sdwa s[6:7], v5, s4 src0_sel:BYTE_3 src1_sel:DWORD
	s_mov_b64 s[4:5], 0
                                        ; implicit-def: $sgpr10
	s_and_saveexec_b64 s[8:9], s[6:7]
	s_xor_b64 s[6:7], exec, s[8:9]
	s_cbranch_execnz .LBB8_2173
; %bb.125:
	s_or_saveexec_b64 s[6:7], s[6:7]
	v_mov_b32_e32 v3, s10
	s_xor_b64 exec, exec, s[6:7]
	s_cbranch_execnz .LBB8_2176
.LBB8_126:
	s_or_b64 exec, exec, s[6:7]
	s_and_saveexec_b64 s[6:7], s[4:5]
	s_cbranch_execz .LBB8_128
.LBB8_127:
	v_bfe_u32 v3, v5, 24, 3
	v_ffbh_u32_e32 v8, v3
	v_min_u32_e32 v8, 32, v8
	v_lshrrev_b32_e32 v6, 27, v5
	v_subrev_u32_e32 v9, 28, v8
	v_and_b32_e32 v4, 0x80000000, v5
	v_and_b32_e32 v6, 15, v6
	v_bfe_u32 v7, v5, 27, 4
	v_lshlrev_b32_sdwa v5, v9, v5 dst_sel:DWORD dst_unused:UNUSED_PAD src0_sel:DWORD src1_sel:BYTE_3
	v_sub_u32_e32 v8, 29, v8
	v_and_b32_e32 v5, 7, v5
	v_cmp_eq_u16_e32 vcc, 0, v6
	v_cndmask_b32_e32 v3, v3, v5, vcc
	v_cndmask_b32_e32 v5, v7, v8, vcc
	v_mov_b32_e32 v6, 0x3b800000
	v_lshlrev_b32_e32 v3, 20, v3
	v_lshl_add_u32 v5, v5, 23, v6
	v_or3_b32 v3, v4, v5, v3
.LBB8_128:
	s_or_b64 exec, exec, s[6:7]
	s_nop 0
	v_mfma_f32_16x16x4f32 a[0:3], v2, v3, a[0:3]
	s_nop 7
	s_nop 2
	flat_store_dwordx4 v[10:11], a[0:3]
	; sched_barrier mask(0x00000000)
	s_setprio 1
	; sched_barrier mask(0x00000000)
	flat_load_dwordx4 v[12:15], v[0:1] offset:8
	flat_load_dwordx2 v[10:11], v[0:1] offset:32
	s_movk_i32 s4, 0x7f
                                        ; implicit-def: $sgpr10
	s_waitcnt vmcnt(0) lgkmcnt(0)
	flat_load_dwordx4 v[6:9], v[12:13]
	flat_load_dwordx4 v[2:5], v[14:15] offset:32
	s_waitcnt vmcnt(0) lgkmcnt(0)
	v_cmp_gt_i16_sdwa s[6:7], v6, s4 src0_sel:BYTE_0 src1_sel:DWORD
	s_mov_b64 s[4:5], 0
	s_and_saveexec_b64 s[8:9], s[6:7]
	s_xor_b64 s[6:7], exec, s[8:9]
	s_cbranch_execnz .LBB8_2177
; %bb.129:
	s_or_saveexec_b64 s[6:7], s[6:7]
	v_mov_b32_e32 v12, s10
	s_xor_b64 exec, exec, s[6:7]
	s_cbranch_execnz .LBB8_2180
.LBB8_130:
	s_or_b64 exec, exec, s[6:7]
	s_and_saveexec_b64 s[6:7], s[4:5]
	s_cbranch_execz .LBB8_132
.LBB8_131:
	v_and_b32_e32 v12, 7, v6
	v_ffbh_u32_e32 v14, v12
	v_min_u32_e32 v14, 32, v14
	v_lshrrev_b16_e32 v13, 3, v6
	v_subrev_u32_e32 v15, 28, v14
	v_and_b32_e32 v13, 15, v13
	v_lshlrev_b32_e32 v15, v15, v6
	v_sub_u32_e32 v14, 29, v14
	v_and_b32_e32 v15, 7, v15
	v_cmp_eq_u16_e32 vcc, 0, v13
	v_cndmask_b32_e32 v12, v12, v15, vcc
	v_cndmask_b32_e32 v13, v13, v14, vcc
	v_lshlrev_b32_e32 v14, 24, v6
	v_mov_b32_e32 v15, 0x3b800000
	v_lshlrev_b32_e32 v12, 20, v12
	v_and_b32_e32 v14, 0x80000000, v14
	v_lshl_add_u32 v13, v13, 23, v15
	v_or3_b32 v12, v14, v13, v12
.LBB8_132:
	s_or_b64 exec, exec, s[6:7]
	s_movk_i32 s4, 0x7f
	v_cmp_gt_i16_sdwa s[6:7], v2, s4 src0_sel:BYTE_0 src1_sel:DWORD
	s_mov_b64 s[4:5], 0
                                        ; implicit-def: $sgpr10
	s_and_saveexec_b64 s[8:9], s[6:7]
	s_xor_b64 s[6:7], exec, s[8:9]
	s_cbranch_execnz .LBB8_2181
; %bb.133:
	s_or_saveexec_b64 s[6:7], s[6:7]
	v_mov_b32_e32 v13, s10
	s_xor_b64 exec, exec, s[6:7]
	s_cbranch_execnz .LBB8_2184
.LBB8_134:
	s_or_b64 exec, exec, s[6:7]
	s_and_saveexec_b64 s[6:7], s[4:5]
	s_cbranch_execz .LBB8_136
.LBB8_135:
	v_and_b32_e32 v13, 7, v2
	v_ffbh_u32_e32 v15, v13
	v_min_u32_e32 v15, 32, v15
	v_lshrrev_b16_e32 v14, 3, v2
	v_subrev_u32_e32 v16, 28, v15
	v_and_b32_e32 v14, 15, v14
	v_lshlrev_b32_e32 v16, v16, v2
	v_sub_u32_e32 v15, 29, v15
	v_and_b32_e32 v16, 7, v16
	v_cmp_eq_u16_e32 vcc, 0, v14
	v_cndmask_b32_e32 v13, v13, v16, vcc
	v_cndmask_b32_e32 v14, v14, v15, vcc
	v_lshlrev_b32_e32 v15, 24, v2
	v_mov_b32_e32 v16, 0x3b800000
	v_lshlrev_b32_e32 v13, 20, v13
	v_and_b32_e32 v15, 0x80000000, v15
	v_lshl_add_u32 v14, v14, 23, v16
	v_or3_b32 v13, v15, v14, v13
.LBB8_136:
	s_or_b64 exec, exec, s[6:7]
	flat_load_dwordx4 a[0:3], v[10:11] offset:16
	s_movk_i32 s4, 0x7f
                                        ; implicit-def: $sgpr10
	s_waitcnt vmcnt(0) lgkmcnt(0)
	v_mfma_f32_16x16x4f32 a[0:3], v12, v13, a[0:3]
	v_lshrrev_b32_e32 v13, 8, v6
	v_cmp_gt_i16_sdwa s[6:7], v13, s4 src0_sel:BYTE_0 src1_sel:DWORD
	s_mov_b64 s[4:5], 0
	s_and_saveexec_b64 s[8:9], s[6:7]
	s_xor_b64 s[6:7], exec, s[8:9]
	s_cbranch_execnz .LBB8_2185
; %bb.137:
	s_or_saveexec_b64 s[6:7], s[6:7]
	v_mov_b32_e32 v12, s10
	s_xor_b64 exec, exec, s[6:7]
	s_cbranch_execnz .LBB8_2188
.LBB8_138:
	s_or_b64 exec, exec, s[6:7]
	s_and_saveexec_b64 s[6:7], s[4:5]
	s_cbranch_execz .LBB8_140
.LBB8_139:
	v_bfe_u32 v12, v6, 8, 3
	v_ffbh_u32_e32 v15, v12
	v_min_u32_e32 v15, 32, v15
	v_lshrrev_b16_e32 v14, 3, v13
	v_subrev_u32_e32 v16, 28, v15
	v_and_b32_e32 v14, 15, v14
	v_lshlrev_b32_e32 v13, v16, v13
	v_sub_u32_e32 v15, 29, v15
	v_and_b32_e32 v13, 7, v13
	v_cmp_eq_u16_e32 vcc, 0, v14
	v_cndmask_b32_e32 v12, v12, v13, vcc
	v_cndmask_b32_e32 v13, v14, v15, vcc
	v_lshlrev_b32_e32 v14, 16, v6
	v_mov_b32_e32 v15, 0x3b800000
	v_lshlrev_b32_e32 v12, 20, v12
	v_and_b32_e32 v14, 0x80000000, v14
	v_lshl_add_u32 v13, v13, 23, v15
	v_or3_b32 v12, v14, v13, v12
.LBB8_140:
	s_or_b64 exec, exec, s[6:7]
	v_lshrrev_b32_e32 v13, 8, v2
	s_movk_i32 s4, 0x7f
	v_cmp_gt_i16_sdwa s[6:7], v13, s4 src0_sel:BYTE_0 src1_sel:DWORD
	s_mov_b64 s[4:5], 0
                                        ; implicit-def: $sgpr10
	s_and_saveexec_b64 s[8:9], s[6:7]
	s_xor_b64 s[6:7], exec, s[8:9]
	s_cbranch_execnz .LBB8_2189
; %bb.141:
	s_or_saveexec_b64 s[6:7], s[6:7]
	v_mov_b32_e32 v14, s10
	s_xor_b64 exec, exec, s[6:7]
	s_cbranch_execnz .LBB8_2192
.LBB8_142:
	s_or_b64 exec, exec, s[6:7]
	s_and_saveexec_b64 s[6:7], s[4:5]
	s_cbranch_execz .LBB8_144
.LBB8_143:
	v_bfe_u32 v14, v2, 8, 3
	v_ffbh_u32_e32 v16, v14
	v_min_u32_e32 v16, 32, v16
	v_lshrrev_b16_e32 v15, 3, v13
	v_subrev_u32_e32 v17, 28, v16
	v_and_b32_e32 v15, 15, v15
	v_lshlrev_b32_e32 v13, v17, v13
	v_sub_u32_e32 v16, 29, v16
	v_and_b32_e32 v13, 7, v13
	v_cmp_eq_u16_e32 vcc, 0, v15
	v_cndmask_b32_e32 v13, v14, v13, vcc
	v_cndmask_b32_e32 v14, v15, v16, vcc
	v_lshlrev_b32_e32 v15, 16, v2
	v_mov_b32_e32 v16, 0x3b800000
	v_lshlrev_b32_e32 v13, 20, v13
	v_and_b32_e32 v15, 0x80000000, v15
	v_lshl_add_u32 v14, v14, 23, v16
	v_or3_b32 v14, v15, v14, v13
.LBB8_144:
	s_or_b64 exec, exec, s[6:7]
	s_nop 0
	v_mfma_f32_16x16x4f32 a[0:3], v12, v14, a[0:3]
	s_movk_i32 s4, 0xff
	v_and_b32_sdwa v13, v6, s4 dst_sel:DWORD dst_unused:UNUSED_PAD src0_sel:WORD_1 src1_sel:DWORD
	s_movk_i32 s4, 0x7f
	v_cmp_lt_i16_e32 vcc, s4, v13
	s_mov_b64 s[4:5], 0
                                        ; implicit-def: $sgpr10
	s_and_saveexec_b64 s[6:7], vcc
	s_xor_b64 s[6:7], exec, s[6:7]
	s_cbranch_execnz .LBB8_2193
; %bb.145:
	s_or_saveexec_b64 s[6:7], s[6:7]
	v_mov_b32_e32 v12, s10
	s_xor_b64 exec, exec, s[6:7]
	s_cbranch_execnz .LBB8_2196
.LBB8_146:
	s_or_b64 exec, exec, s[6:7]
	s_and_saveexec_b64 s[6:7], s[4:5]
	s_cbranch_execz .LBB8_148
.LBB8_147:
	v_bfe_u32 v12, v6, 16, 3
	v_ffbh_u32_e32 v15, v12
	v_min_u32_e32 v15, 32, v15
	v_lshrrev_b32_e32 v13, 19, v6
	v_subrev_u32_e32 v16, 28, v15
	v_and_b32_e32 v13, 15, v13
	v_lshlrev_b32_sdwa v16, v16, v6 dst_sel:DWORD dst_unused:UNUSED_PAD src0_sel:DWORD src1_sel:WORD_1
	v_bfe_u32 v14, v6, 19, 4
	v_sub_u32_e32 v15, 29, v15
	v_and_b32_e32 v16, 7, v16
	v_cmp_eq_u16_e32 vcc, 0, v13
	v_cndmask_b32_e32 v12, v12, v16, vcc
	v_cndmask_b32_e32 v13, v14, v15, vcc
	v_lshlrev_b32_e32 v14, 8, v6
	v_mov_b32_e32 v15, 0x3b800000
	v_lshlrev_b32_e32 v12, 20, v12
	v_and_b32_e32 v14, 0x80000000, v14
	v_lshl_add_u32 v13, v13, 23, v15
	v_or3_b32 v12, v14, v13, v12
.LBB8_148:
	s_or_b64 exec, exec, s[6:7]
	s_movk_i32 s4, 0xff
	v_and_b32_sdwa v13, v2, s4 dst_sel:DWORD dst_unused:UNUSED_PAD src0_sel:WORD_1 src1_sel:DWORD
	s_movk_i32 s4, 0x7f
	v_cmp_lt_i16_e32 vcc, s4, v13
	s_mov_b64 s[4:5], 0
                                        ; implicit-def: $sgpr10
	s_and_saveexec_b64 s[6:7], vcc
	s_xor_b64 s[6:7], exec, s[6:7]
	s_cbranch_execnz .LBB8_2197
; %bb.149:
	s_or_saveexec_b64 s[6:7], s[6:7]
	v_mov_b32_e32 v14, s10
	s_xor_b64 exec, exec, s[6:7]
	s_cbranch_execnz .LBB8_2200
.LBB8_150:
	s_or_b64 exec, exec, s[6:7]
	s_and_saveexec_b64 s[6:7], s[4:5]
	s_cbranch_execz .LBB8_152
.LBB8_151:
	v_bfe_u32 v13, v2, 16, 3
	v_ffbh_u32_e32 v16, v13
	v_min_u32_e32 v16, 32, v16
	v_lshrrev_b32_e32 v14, 19, v2
	v_subrev_u32_e32 v17, 28, v16
	v_and_b32_e32 v14, 15, v14
	v_lshlrev_b32_sdwa v17, v17, v2 dst_sel:DWORD dst_unused:UNUSED_PAD src0_sel:DWORD src1_sel:WORD_1
	v_bfe_u32 v15, v2, 19, 4
	v_sub_u32_e32 v16, 29, v16
	v_and_b32_e32 v17, 7, v17
	v_cmp_eq_u16_e32 vcc, 0, v14
	v_cndmask_b32_e32 v13, v13, v17, vcc
	v_cndmask_b32_e32 v14, v15, v16, vcc
	v_lshlrev_b32_e32 v15, 8, v2
	v_mov_b32_e32 v16, 0x3b800000
	v_lshlrev_b32_e32 v13, 20, v13
	v_and_b32_e32 v15, 0x80000000, v15
	v_lshl_add_u32 v14, v14, 23, v16
	v_or3_b32 v14, v15, v14, v13
.LBB8_152:
	s_or_b64 exec, exec, s[6:7]
	s_nop 0
	v_mfma_f32_16x16x4f32 a[0:3], v12, v14, a[0:3]
	s_movk_i32 s4, 0x7f
	v_cmp_gt_i16_sdwa s[6:7], v6, s4 src0_sel:BYTE_3 src1_sel:DWORD
	s_mov_b64 s[4:5], 0
                                        ; implicit-def: $sgpr10
	s_and_saveexec_b64 s[8:9], s[6:7]
	s_xor_b64 s[6:7], exec, s[8:9]
	s_cbranch_execnz .LBB8_2201
; %bb.153:
	s_or_saveexec_b64 s[6:7], s[6:7]
	v_mov_b32_e32 v12, s10
	s_xor_b64 exec, exec, s[6:7]
	s_cbranch_execnz .LBB8_2204
.LBB8_154:
	s_or_b64 exec, exec, s[6:7]
	s_and_saveexec_b64 s[6:7], s[4:5]
	s_cbranch_execz .LBB8_156
.LBB8_155:
	v_bfe_u32 v12, v6, 24, 3
	v_ffbh_u32_e32 v16, v12
	v_min_u32_e32 v16, 32, v16
	v_lshrrev_b32_e32 v14, 27, v6
	v_subrev_u32_e32 v17, 28, v16
	v_and_b32_e32 v13, 0x80000000, v6
	v_and_b32_e32 v14, 15, v14
	v_bfe_u32 v15, v6, 27, 4
	v_lshlrev_b32_sdwa v6, v17, v6 dst_sel:DWORD dst_unused:UNUSED_PAD src0_sel:DWORD src1_sel:BYTE_3
	v_sub_u32_e32 v16, 29, v16
	v_and_b32_e32 v6, 7, v6
	v_cmp_eq_u16_e32 vcc, 0, v14
	v_cndmask_b32_e32 v6, v12, v6, vcc
	v_cndmask_b32_e32 v12, v15, v16, vcc
	v_mov_b32_e32 v14, 0x3b800000
	v_lshlrev_b32_e32 v6, 20, v6
	v_lshl_add_u32 v12, v12, 23, v14
	v_or3_b32 v12, v13, v12, v6
.LBB8_156:
	s_or_b64 exec, exec, s[6:7]
	s_movk_i32 s4, 0x7f
	v_cmp_gt_i16_sdwa s[6:7], v2, s4 src0_sel:BYTE_3 src1_sel:DWORD
	s_mov_b64 s[4:5], 0
                                        ; implicit-def: $sgpr10
	s_and_saveexec_b64 s[8:9], s[6:7]
	s_xor_b64 s[6:7], exec, s[8:9]
	s_cbranch_execnz .LBB8_2205
; %bb.157:
	s_or_saveexec_b64 s[6:7], s[6:7]
	v_mov_b32_e32 v6, s10
	s_xor_b64 exec, exec, s[6:7]
	s_cbranch_execnz .LBB8_2208
.LBB8_158:
	s_or_b64 exec, exec, s[6:7]
	s_and_saveexec_b64 s[6:7], s[4:5]
	s_cbranch_execz .LBB8_160
.LBB8_159:
	v_bfe_u32 v6, v2, 24, 3
	v_ffbh_u32_e32 v16, v6
	v_min_u32_e32 v16, 32, v16
	v_lshrrev_b32_e32 v14, 27, v2
	v_subrev_u32_e32 v17, 28, v16
	v_and_b32_e32 v13, 0x80000000, v2
	v_and_b32_e32 v14, 15, v14
	v_bfe_u32 v15, v2, 27, 4
	v_lshlrev_b32_sdwa v2, v17, v2 dst_sel:DWORD dst_unused:UNUSED_PAD src0_sel:DWORD src1_sel:BYTE_3
	v_sub_u32_e32 v16, 29, v16
	v_and_b32_e32 v2, 7, v2
	v_cmp_eq_u16_e32 vcc, 0, v14
	v_cndmask_b32_e32 v2, v6, v2, vcc
	v_cndmask_b32_e32 v6, v15, v16, vcc
	v_mov_b32_e32 v14, 0x3b800000
	v_lshlrev_b32_e32 v2, 20, v2
	v_lshl_add_u32 v6, v6, 23, v14
	v_or3_b32 v6, v13, v6, v2
.LBB8_160:
	s_or_b64 exec, exec, s[6:7]
	s_nop 0
	v_mfma_f32_16x16x4f32 a[0:3], v12, v6, a[0:3]
	s_movk_i32 s4, 0x7f
	v_cmp_gt_i16_sdwa s[6:7], v7, s4 src0_sel:BYTE_0 src1_sel:DWORD
	s_mov_b64 s[4:5], 0
                                        ; implicit-def: $sgpr10
	s_and_saveexec_b64 s[8:9], s[6:7]
	s_xor_b64 s[6:7], exec, s[8:9]
	s_cbranch_execnz .LBB8_2209
; %bb.161:
	s_or_saveexec_b64 s[6:7], s[6:7]
	v_mov_b32_e32 v2, s10
	s_xor_b64 exec, exec, s[6:7]
	s_cbranch_execnz .LBB8_2212
.LBB8_162:
	s_or_b64 exec, exec, s[6:7]
	s_and_saveexec_b64 s[6:7], s[4:5]
	s_cbranch_execz .LBB8_164
.LBB8_163:
	v_and_b32_e32 v2, 7, v7
	v_ffbh_u32_e32 v12, v2
	v_min_u32_e32 v12, 32, v12
	v_lshrrev_b16_e32 v6, 3, v7
	v_subrev_u32_e32 v13, 28, v12
	v_and_b32_e32 v6, 15, v6
	v_lshlrev_b32_e32 v13, v13, v7
	v_sub_u32_e32 v12, 29, v12
	v_and_b32_e32 v13, 7, v13
	v_cmp_eq_u16_e32 vcc, 0, v6
	v_cndmask_b32_e32 v2, v2, v13, vcc
	v_cndmask_b32_e32 v6, v6, v12, vcc
	v_lshlrev_b32_e32 v12, 24, v7
	v_mov_b32_e32 v13, 0x3b800000
	v_lshlrev_b32_e32 v2, 20, v2
	v_and_b32_e32 v12, 0x80000000, v12
	v_lshl_add_u32 v6, v6, 23, v13
	v_or3_b32 v2, v12, v6, v2
.LBB8_164:
	s_or_b64 exec, exec, s[6:7]
	s_movk_i32 s4, 0x7f
	v_cmp_gt_i16_sdwa s[6:7], v3, s4 src0_sel:BYTE_0 src1_sel:DWORD
	s_mov_b64 s[4:5], 0
                                        ; implicit-def: $sgpr10
	s_and_saveexec_b64 s[8:9], s[6:7]
	s_xor_b64 s[6:7], exec, s[8:9]
	s_cbranch_execnz .LBB8_2213
; %bb.165:
	s_or_saveexec_b64 s[6:7], s[6:7]
	v_mov_b32_e32 v6, s10
	s_xor_b64 exec, exec, s[6:7]
	s_cbranch_execnz .LBB8_2216
.LBB8_166:
	s_or_b64 exec, exec, s[6:7]
	s_and_saveexec_b64 s[6:7], s[4:5]
	s_cbranch_execz .LBB8_168
.LBB8_167:
	v_and_b32_e32 v6, 7, v3
	v_ffbh_u32_e32 v13, v6
	v_min_u32_e32 v13, 32, v13
	v_lshrrev_b16_e32 v12, 3, v3
	v_subrev_u32_e32 v14, 28, v13
	v_and_b32_e32 v12, 15, v12
	v_lshlrev_b32_e32 v14, v14, v3
	v_sub_u32_e32 v13, 29, v13
	v_and_b32_e32 v14, 7, v14
	v_cmp_eq_u16_e32 vcc, 0, v12
	v_cndmask_b32_e32 v6, v6, v14, vcc
	v_cndmask_b32_e32 v12, v12, v13, vcc
	v_lshlrev_b32_e32 v13, 24, v3
	v_mov_b32_e32 v14, 0x3b800000
	v_lshlrev_b32_e32 v6, 20, v6
	v_and_b32_e32 v13, 0x80000000, v13
	v_lshl_add_u32 v12, v12, 23, v14
	v_or3_b32 v6, v13, v12, v6
.LBB8_168:
	s_or_b64 exec, exec, s[6:7]
	s_nop 0
	v_mfma_f32_16x16x4f32 a[0:3], v2, v6, a[0:3]
	v_lshrrev_b32_e32 v6, 8, v7
	s_movk_i32 s4, 0x7f
	v_cmp_gt_i16_sdwa s[6:7], v6, s4 src0_sel:BYTE_0 src1_sel:DWORD
	s_mov_b64 s[4:5], 0
                                        ; implicit-def: $sgpr10
	s_and_saveexec_b64 s[8:9], s[6:7]
	s_xor_b64 s[6:7], exec, s[8:9]
	s_cbranch_execnz .LBB8_2217
; %bb.169:
	s_or_saveexec_b64 s[6:7], s[6:7]
	v_mov_b32_e32 v2, s10
	s_xor_b64 exec, exec, s[6:7]
	s_cbranch_execnz .LBB8_2220
.LBB8_170:
	s_or_b64 exec, exec, s[6:7]
	s_and_saveexec_b64 s[6:7], s[4:5]
	s_cbranch_execz .LBB8_172
.LBB8_171:
	v_bfe_u32 v2, v7, 8, 3
	v_ffbh_u32_e32 v13, v2
	v_min_u32_e32 v13, 32, v13
	v_lshrrev_b16_e32 v12, 3, v6
	v_subrev_u32_e32 v14, 28, v13
	v_and_b32_e32 v12, 15, v12
	v_lshlrev_b32_e32 v6, v14, v6
	v_sub_u32_e32 v13, 29, v13
	v_and_b32_e32 v6, 7, v6
	v_cmp_eq_u16_e32 vcc, 0, v12
	v_cndmask_b32_e32 v2, v2, v6, vcc
	v_cndmask_b32_e32 v6, v12, v13, vcc
	v_lshlrev_b32_e32 v12, 16, v7
	v_mov_b32_e32 v13, 0x3b800000
	v_lshlrev_b32_e32 v2, 20, v2
	v_and_b32_e32 v12, 0x80000000, v12
	v_lshl_add_u32 v6, v6, 23, v13
	v_or3_b32 v2, v12, v6, v2
.LBB8_172:
	s_or_b64 exec, exec, s[6:7]
	v_lshrrev_b32_e32 v6, 8, v3
	s_movk_i32 s4, 0x7f
	v_cmp_gt_i16_sdwa s[6:7], v6, s4 src0_sel:BYTE_0 src1_sel:DWORD
	s_mov_b64 s[4:5], 0
                                        ; implicit-def: $sgpr10
	s_and_saveexec_b64 s[8:9], s[6:7]
	s_xor_b64 s[6:7], exec, s[8:9]
	s_cbranch_execnz .LBB8_2221
; %bb.173:
	s_or_saveexec_b64 s[6:7], s[6:7]
	v_mov_b32_e32 v12, s10
	s_xor_b64 exec, exec, s[6:7]
	s_cbranch_execnz .LBB8_2224
.LBB8_174:
	s_or_b64 exec, exec, s[6:7]
	s_and_saveexec_b64 s[6:7], s[4:5]
	s_cbranch_execz .LBB8_176
.LBB8_175:
	v_bfe_u32 v12, v3, 8, 3
	v_ffbh_u32_e32 v14, v12
	v_min_u32_e32 v14, 32, v14
	v_lshrrev_b16_e32 v13, 3, v6
	v_subrev_u32_e32 v15, 28, v14
	v_and_b32_e32 v13, 15, v13
	v_lshlrev_b32_e32 v6, v15, v6
	v_sub_u32_e32 v14, 29, v14
	v_and_b32_e32 v6, 7, v6
	v_cmp_eq_u16_e32 vcc, 0, v13
	v_cndmask_b32_e32 v6, v12, v6, vcc
	v_cndmask_b32_e32 v12, v13, v14, vcc
	v_lshlrev_b32_e32 v13, 16, v3
	v_mov_b32_e32 v14, 0x3b800000
	v_lshlrev_b32_e32 v6, 20, v6
	v_and_b32_e32 v13, 0x80000000, v13
	v_lshl_add_u32 v12, v12, 23, v14
	v_or3_b32 v12, v13, v12, v6
.LBB8_176:
	s_or_b64 exec, exec, s[6:7]
	s_nop 0
	v_mfma_f32_16x16x4f32 a[0:3], v2, v12, a[0:3]
	s_movk_i32 s4, 0xff
	v_and_b32_sdwa v6, v7, s4 dst_sel:DWORD dst_unused:UNUSED_PAD src0_sel:WORD_1 src1_sel:DWORD
	s_movk_i32 s4, 0x7f
	v_cmp_lt_i16_e32 vcc, s4, v6
	s_mov_b64 s[4:5], 0
                                        ; implicit-def: $sgpr10
	s_and_saveexec_b64 s[6:7], vcc
	s_xor_b64 s[6:7], exec, s[6:7]
	s_cbranch_execnz .LBB8_2225
; %bb.177:
	s_or_saveexec_b64 s[6:7], s[6:7]
	v_mov_b32_e32 v2, s10
	s_xor_b64 exec, exec, s[6:7]
	s_cbranch_execnz .LBB8_2228
.LBB8_178:
	s_or_b64 exec, exec, s[6:7]
	s_and_saveexec_b64 s[6:7], s[4:5]
	s_cbranch_execz .LBB8_180
.LBB8_179:
	v_bfe_u32 v2, v7, 16, 3
	v_ffbh_u32_e32 v13, v2
	v_min_u32_e32 v13, 32, v13
	v_lshrrev_b32_e32 v6, 19, v7
	v_subrev_u32_e32 v14, 28, v13
	v_and_b32_e32 v6, 15, v6
	v_lshlrev_b32_sdwa v14, v14, v7 dst_sel:DWORD dst_unused:UNUSED_PAD src0_sel:DWORD src1_sel:WORD_1
	v_bfe_u32 v12, v7, 19, 4
	v_sub_u32_e32 v13, 29, v13
	v_and_b32_e32 v14, 7, v14
	v_cmp_eq_u16_e32 vcc, 0, v6
	v_cndmask_b32_e32 v2, v2, v14, vcc
	v_cndmask_b32_e32 v6, v12, v13, vcc
	v_lshlrev_b32_e32 v12, 8, v7
	v_mov_b32_e32 v13, 0x3b800000
	v_lshlrev_b32_e32 v2, 20, v2
	v_and_b32_e32 v12, 0x80000000, v12
	v_lshl_add_u32 v6, v6, 23, v13
	v_or3_b32 v2, v12, v6, v2
.LBB8_180:
	s_or_b64 exec, exec, s[6:7]
	s_movk_i32 s4, 0xff
	v_and_b32_sdwa v6, v3, s4 dst_sel:DWORD dst_unused:UNUSED_PAD src0_sel:WORD_1 src1_sel:DWORD
	s_movk_i32 s4, 0x7f
	v_cmp_lt_i16_e32 vcc, s4, v6
	s_mov_b64 s[4:5], 0
                                        ; implicit-def: $sgpr10
	s_and_saveexec_b64 s[6:7], vcc
	s_xor_b64 s[6:7], exec, s[6:7]
	s_cbranch_execnz .LBB8_2229
; %bb.181:
	s_or_saveexec_b64 s[6:7], s[6:7]
	v_mov_b32_e32 v12, s10
	s_xor_b64 exec, exec, s[6:7]
	s_cbranch_execnz .LBB8_2232
.LBB8_182:
	s_or_b64 exec, exec, s[6:7]
	s_and_saveexec_b64 s[6:7], s[4:5]
	s_cbranch_execz .LBB8_184
.LBB8_183:
	v_bfe_u32 v6, v3, 16, 3
	v_ffbh_u32_e32 v14, v6
	v_min_u32_e32 v14, 32, v14
	v_lshrrev_b32_e32 v12, 19, v3
	v_subrev_u32_e32 v15, 28, v14
	v_and_b32_e32 v12, 15, v12
	v_lshlrev_b32_sdwa v15, v15, v3 dst_sel:DWORD dst_unused:UNUSED_PAD src0_sel:DWORD src1_sel:WORD_1
	v_bfe_u32 v13, v3, 19, 4
	v_sub_u32_e32 v14, 29, v14
	v_and_b32_e32 v15, 7, v15
	v_cmp_eq_u16_e32 vcc, 0, v12
	v_cndmask_b32_e32 v6, v6, v15, vcc
	v_cndmask_b32_e32 v12, v13, v14, vcc
	v_lshlrev_b32_e32 v13, 8, v3
	v_mov_b32_e32 v14, 0x3b800000
	v_lshlrev_b32_e32 v6, 20, v6
	v_and_b32_e32 v13, 0x80000000, v13
	v_lshl_add_u32 v12, v12, 23, v14
	v_or3_b32 v12, v13, v12, v6
.LBB8_184:
	s_or_b64 exec, exec, s[6:7]
	s_nop 0
	v_mfma_f32_16x16x4f32 a[0:3], v2, v12, a[0:3]
	s_movk_i32 s4, 0x7f
	v_cmp_gt_i16_sdwa s[6:7], v7, s4 src0_sel:BYTE_3 src1_sel:DWORD
	s_mov_b64 s[4:5], 0
                                        ; implicit-def: $sgpr10
	s_and_saveexec_b64 s[8:9], s[6:7]
	s_xor_b64 s[6:7], exec, s[8:9]
	s_cbranch_execnz .LBB8_2233
; %bb.185:
	s_or_saveexec_b64 s[6:7], s[6:7]
	v_mov_b32_e32 v2, s10
	s_xor_b64 exec, exec, s[6:7]
	s_cbranch_execnz .LBB8_2236
.LBB8_186:
	s_or_b64 exec, exec, s[6:7]
	s_and_saveexec_b64 s[6:7], s[4:5]
	s_cbranch_execz .LBB8_188
.LBB8_187:
	v_bfe_u32 v2, v7, 24, 3
	v_ffbh_u32_e32 v14, v2
	v_min_u32_e32 v14, 32, v14
	v_lshrrev_b32_e32 v12, 27, v7
	v_subrev_u32_e32 v15, 28, v14
	v_and_b32_e32 v6, 0x80000000, v7
	v_and_b32_e32 v12, 15, v12
	v_bfe_u32 v13, v7, 27, 4
	v_lshlrev_b32_sdwa v7, v15, v7 dst_sel:DWORD dst_unused:UNUSED_PAD src0_sel:DWORD src1_sel:BYTE_3
	v_sub_u32_e32 v14, 29, v14
	v_and_b32_e32 v7, 7, v7
	v_cmp_eq_u16_e32 vcc, 0, v12
	v_cndmask_b32_e32 v2, v2, v7, vcc
	v_cndmask_b32_e32 v7, v13, v14, vcc
	v_mov_b32_e32 v12, 0x3b800000
	v_lshlrev_b32_e32 v2, 20, v2
	v_lshl_add_u32 v7, v7, 23, v12
	v_or3_b32 v2, v6, v7, v2
.LBB8_188:
	s_or_b64 exec, exec, s[6:7]
	s_movk_i32 s4, 0x7f
	v_cmp_gt_i16_sdwa s[6:7], v3, s4 src0_sel:BYTE_3 src1_sel:DWORD
	s_mov_b64 s[4:5], 0
                                        ; implicit-def: $sgpr10
	s_and_saveexec_b64 s[8:9], s[6:7]
	s_xor_b64 s[6:7], exec, s[8:9]
	s_cbranch_execnz .LBB8_2237
; %bb.189:
	s_or_saveexec_b64 s[6:7], s[6:7]
	v_mov_b32_e32 v6, s10
	s_xor_b64 exec, exec, s[6:7]
	s_cbranch_execnz .LBB8_2240
.LBB8_190:
	s_or_b64 exec, exec, s[6:7]
	s_and_saveexec_b64 s[6:7], s[4:5]
	s_cbranch_execz .LBB8_192
.LBB8_191:
	v_bfe_u32 v6, v3, 24, 3
	v_ffbh_u32_e32 v14, v6
	v_min_u32_e32 v14, 32, v14
	v_lshrrev_b32_e32 v12, 27, v3
	v_subrev_u32_e32 v15, 28, v14
	v_and_b32_e32 v7, 0x80000000, v3
	v_and_b32_e32 v12, 15, v12
	v_bfe_u32 v13, v3, 27, 4
	v_lshlrev_b32_sdwa v3, v15, v3 dst_sel:DWORD dst_unused:UNUSED_PAD src0_sel:DWORD src1_sel:BYTE_3
	v_sub_u32_e32 v14, 29, v14
	v_and_b32_e32 v3, 7, v3
	v_cmp_eq_u16_e32 vcc, 0, v12
	v_cndmask_b32_e32 v3, v6, v3, vcc
	v_cndmask_b32_e32 v6, v13, v14, vcc
	v_mov_b32_e32 v12, 0x3b800000
	v_lshlrev_b32_e32 v3, 20, v3
	v_lshl_add_u32 v6, v6, 23, v12
	v_or3_b32 v6, v7, v6, v3
.LBB8_192:
	s_or_b64 exec, exec, s[6:7]
	s_nop 0
	v_mfma_f32_16x16x4f32 a[0:3], v2, v6, a[0:3]
	s_movk_i32 s4, 0x7f
	v_cmp_gt_i16_sdwa s[6:7], v8, s4 src0_sel:BYTE_0 src1_sel:DWORD
	s_mov_b64 s[4:5], 0
                                        ; implicit-def: $sgpr10
	s_and_saveexec_b64 s[8:9], s[6:7]
	s_xor_b64 s[6:7], exec, s[8:9]
	s_cbranch_execnz .LBB8_2241
; %bb.193:
	s_or_saveexec_b64 s[6:7], s[6:7]
	v_mov_b32_e32 v2, s10
	s_xor_b64 exec, exec, s[6:7]
	s_cbranch_execnz .LBB8_2244
.LBB8_194:
	s_or_b64 exec, exec, s[6:7]
	s_and_saveexec_b64 s[6:7], s[4:5]
	s_cbranch_execz .LBB8_196
.LBB8_195:
	v_and_b32_e32 v2, 7, v8
	v_ffbh_u32_e32 v6, v2
	v_min_u32_e32 v6, 32, v6
	v_lshrrev_b16_e32 v3, 3, v8
	v_subrev_u32_e32 v7, 28, v6
	v_and_b32_e32 v3, 15, v3
	v_lshlrev_b32_e32 v7, v7, v8
	v_sub_u32_e32 v6, 29, v6
	v_and_b32_e32 v7, 7, v7
	v_cmp_eq_u16_e32 vcc, 0, v3
	v_cndmask_b32_e32 v2, v2, v7, vcc
	v_cndmask_b32_e32 v3, v3, v6, vcc
	v_lshlrev_b32_e32 v6, 24, v8
	v_mov_b32_e32 v7, 0x3b800000
	v_lshlrev_b32_e32 v2, 20, v2
	v_and_b32_e32 v6, 0x80000000, v6
	v_lshl_add_u32 v3, v3, 23, v7
	v_or3_b32 v2, v6, v3, v2
.LBB8_196:
	s_or_b64 exec, exec, s[6:7]
	s_movk_i32 s4, 0x7f
	v_cmp_gt_i16_sdwa s[6:7], v4, s4 src0_sel:BYTE_0 src1_sel:DWORD
	s_mov_b64 s[4:5], 0
                                        ; implicit-def: $sgpr10
	s_and_saveexec_b64 s[8:9], s[6:7]
	s_xor_b64 s[6:7], exec, s[8:9]
	s_cbranch_execnz .LBB8_2245
; %bb.197:
	s_or_saveexec_b64 s[6:7], s[6:7]
	v_mov_b32_e32 v3, s10
	s_xor_b64 exec, exec, s[6:7]
	s_cbranch_execnz .LBB8_2248
.LBB8_198:
	s_or_b64 exec, exec, s[6:7]
	s_and_saveexec_b64 s[6:7], s[4:5]
	s_cbranch_execz .LBB8_200
.LBB8_199:
	v_and_b32_e32 v3, 7, v4
	v_ffbh_u32_e32 v7, v3
	v_min_u32_e32 v7, 32, v7
	v_lshrrev_b16_e32 v6, 3, v4
	v_subrev_u32_e32 v12, 28, v7
	v_and_b32_e32 v6, 15, v6
	v_lshlrev_b32_e32 v12, v12, v4
	v_sub_u32_e32 v7, 29, v7
	v_and_b32_e32 v12, 7, v12
	v_cmp_eq_u16_e32 vcc, 0, v6
	v_cndmask_b32_e32 v3, v3, v12, vcc
	v_cndmask_b32_e32 v6, v6, v7, vcc
	v_lshlrev_b32_e32 v7, 24, v4
	v_mov_b32_e32 v12, 0x3b800000
	v_lshlrev_b32_e32 v3, 20, v3
	v_and_b32_e32 v7, 0x80000000, v7
	v_lshl_add_u32 v6, v6, 23, v12
	v_or3_b32 v3, v7, v6, v3
.LBB8_200:
	s_or_b64 exec, exec, s[6:7]
	s_nop 0
	v_mfma_f32_16x16x4f32 a[0:3], v2, v3, a[0:3]
	v_lshrrev_b32_e32 v3, 8, v8
	s_movk_i32 s4, 0x7f
	v_cmp_gt_i16_sdwa s[6:7], v3, s4 src0_sel:BYTE_0 src1_sel:DWORD
	s_mov_b64 s[4:5], 0
                                        ; implicit-def: $sgpr10
	s_and_saveexec_b64 s[8:9], s[6:7]
	s_xor_b64 s[6:7], exec, s[8:9]
	s_cbranch_execnz .LBB8_2249
; %bb.201:
	s_or_saveexec_b64 s[6:7], s[6:7]
	v_mov_b32_e32 v2, s10
	s_xor_b64 exec, exec, s[6:7]
	s_cbranch_execnz .LBB8_2252
.LBB8_202:
	s_or_b64 exec, exec, s[6:7]
	s_and_saveexec_b64 s[6:7], s[4:5]
	s_cbranch_execz .LBB8_204
.LBB8_203:
	v_bfe_u32 v2, v8, 8, 3
	v_ffbh_u32_e32 v7, v2
	v_min_u32_e32 v7, 32, v7
	v_lshrrev_b16_e32 v6, 3, v3
	v_subrev_u32_e32 v12, 28, v7
	v_and_b32_e32 v6, 15, v6
	v_lshlrev_b32_e32 v3, v12, v3
	v_sub_u32_e32 v7, 29, v7
	v_and_b32_e32 v3, 7, v3
	v_cmp_eq_u16_e32 vcc, 0, v6
	v_cndmask_b32_e32 v2, v2, v3, vcc
	v_cndmask_b32_e32 v3, v6, v7, vcc
	v_lshlrev_b32_e32 v6, 16, v8
	v_mov_b32_e32 v7, 0x3b800000
	v_lshlrev_b32_e32 v2, 20, v2
	v_and_b32_e32 v6, 0x80000000, v6
	v_lshl_add_u32 v3, v3, 23, v7
	v_or3_b32 v2, v6, v3, v2
.LBB8_204:
	s_or_b64 exec, exec, s[6:7]
	v_lshrrev_b32_e32 v3, 8, v4
	s_movk_i32 s4, 0x7f
	v_cmp_gt_i16_sdwa s[6:7], v3, s4 src0_sel:BYTE_0 src1_sel:DWORD
	s_mov_b64 s[4:5], 0
                                        ; implicit-def: $sgpr10
	s_and_saveexec_b64 s[8:9], s[6:7]
	s_xor_b64 s[6:7], exec, s[8:9]
	s_cbranch_execnz .LBB8_2253
; %bb.205:
	s_or_saveexec_b64 s[6:7], s[6:7]
	v_mov_b32_e32 v6, s10
	s_xor_b64 exec, exec, s[6:7]
	s_cbranch_execnz .LBB8_2256
.LBB8_206:
	s_or_b64 exec, exec, s[6:7]
	s_and_saveexec_b64 s[6:7], s[4:5]
	s_cbranch_execz .LBB8_208
.LBB8_207:
	v_bfe_u32 v6, v4, 8, 3
	v_ffbh_u32_e32 v12, v6
	v_min_u32_e32 v12, 32, v12
	v_lshrrev_b16_e32 v7, 3, v3
	v_subrev_u32_e32 v13, 28, v12
	v_and_b32_e32 v7, 15, v7
	v_lshlrev_b32_e32 v3, v13, v3
	v_sub_u32_e32 v12, 29, v12
	v_and_b32_e32 v3, 7, v3
	v_cmp_eq_u16_e32 vcc, 0, v7
	v_cndmask_b32_e32 v3, v6, v3, vcc
	v_cndmask_b32_e32 v6, v7, v12, vcc
	v_lshlrev_b32_e32 v7, 16, v4
	v_mov_b32_e32 v12, 0x3b800000
	v_lshlrev_b32_e32 v3, 20, v3
	v_and_b32_e32 v7, 0x80000000, v7
	v_lshl_add_u32 v6, v6, 23, v12
	v_or3_b32 v6, v7, v6, v3
.LBB8_208:
	s_or_b64 exec, exec, s[6:7]
	s_nop 0
	v_mfma_f32_16x16x4f32 a[0:3], v2, v6, a[0:3]
	s_movk_i32 s4, 0xff
	v_and_b32_sdwa v3, v8, s4 dst_sel:DWORD dst_unused:UNUSED_PAD src0_sel:WORD_1 src1_sel:DWORD
	s_movk_i32 s4, 0x7f
	v_cmp_lt_i16_e32 vcc, s4, v3
	s_mov_b64 s[4:5], 0
                                        ; implicit-def: $sgpr10
	s_and_saveexec_b64 s[6:7], vcc
	s_xor_b64 s[6:7], exec, s[6:7]
	s_cbranch_execnz .LBB8_2257
; %bb.209:
	s_or_saveexec_b64 s[6:7], s[6:7]
	v_mov_b32_e32 v2, s10
	s_xor_b64 exec, exec, s[6:7]
	s_cbranch_execnz .LBB8_2260
.LBB8_210:
	s_or_b64 exec, exec, s[6:7]
	s_and_saveexec_b64 s[6:7], s[4:5]
	s_cbranch_execz .LBB8_212
.LBB8_211:
	v_bfe_u32 v2, v8, 16, 3
	v_ffbh_u32_e32 v7, v2
	v_min_u32_e32 v7, 32, v7
	v_lshrrev_b32_e32 v3, 19, v8
	v_subrev_u32_e32 v12, 28, v7
	v_and_b32_e32 v3, 15, v3
	v_lshlrev_b32_sdwa v12, v12, v8 dst_sel:DWORD dst_unused:UNUSED_PAD src0_sel:DWORD src1_sel:WORD_1
	v_bfe_u32 v6, v8, 19, 4
	v_sub_u32_e32 v7, 29, v7
	v_and_b32_e32 v12, 7, v12
	v_cmp_eq_u16_e32 vcc, 0, v3
	v_cndmask_b32_e32 v2, v2, v12, vcc
	v_cndmask_b32_e32 v3, v6, v7, vcc
	v_lshlrev_b32_e32 v6, 8, v8
	v_mov_b32_e32 v7, 0x3b800000
	v_lshlrev_b32_e32 v2, 20, v2
	v_and_b32_e32 v6, 0x80000000, v6
	v_lshl_add_u32 v3, v3, 23, v7
	v_or3_b32 v2, v6, v3, v2
.LBB8_212:
	s_or_b64 exec, exec, s[6:7]
	s_movk_i32 s4, 0xff
	v_and_b32_sdwa v3, v4, s4 dst_sel:DWORD dst_unused:UNUSED_PAD src0_sel:WORD_1 src1_sel:DWORD
	s_movk_i32 s4, 0x7f
	v_cmp_lt_i16_e32 vcc, s4, v3
	s_mov_b64 s[4:5], 0
                                        ; implicit-def: $sgpr10
	s_and_saveexec_b64 s[6:7], vcc
	s_xor_b64 s[6:7], exec, s[6:7]
	s_cbranch_execnz .LBB8_2261
; %bb.213:
	s_or_saveexec_b64 s[6:7], s[6:7]
	v_mov_b32_e32 v6, s10
	s_xor_b64 exec, exec, s[6:7]
	s_cbranch_execnz .LBB8_2264
.LBB8_214:
	s_or_b64 exec, exec, s[6:7]
	s_and_saveexec_b64 s[6:7], s[4:5]
	s_cbranch_execz .LBB8_216
.LBB8_215:
	v_bfe_u32 v3, v4, 16, 3
	v_ffbh_u32_e32 v12, v3
	v_min_u32_e32 v12, 32, v12
	v_lshrrev_b32_e32 v6, 19, v4
	v_subrev_u32_e32 v13, 28, v12
	v_and_b32_e32 v6, 15, v6
	v_lshlrev_b32_sdwa v13, v13, v4 dst_sel:DWORD dst_unused:UNUSED_PAD src0_sel:DWORD src1_sel:WORD_1
	v_bfe_u32 v7, v4, 19, 4
	v_sub_u32_e32 v12, 29, v12
	v_and_b32_e32 v13, 7, v13
	v_cmp_eq_u16_e32 vcc, 0, v6
	v_cndmask_b32_e32 v3, v3, v13, vcc
	v_cndmask_b32_e32 v6, v7, v12, vcc
	v_lshlrev_b32_e32 v7, 8, v4
	v_mov_b32_e32 v12, 0x3b800000
	v_lshlrev_b32_e32 v3, 20, v3
	v_and_b32_e32 v7, 0x80000000, v7
	v_lshl_add_u32 v6, v6, 23, v12
	v_or3_b32 v6, v7, v6, v3
.LBB8_216:
	s_or_b64 exec, exec, s[6:7]
	s_nop 0
	v_mfma_f32_16x16x4f32 a[0:3], v2, v6, a[0:3]
	s_movk_i32 s4, 0x7f
	v_cmp_gt_i16_sdwa s[6:7], v8, s4 src0_sel:BYTE_3 src1_sel:DWORD
	s_mov_b64 s[4:5], 0
                                        ; implicit-def: $sgpr10
	s_and_saveexec_b64 s[8:9], s[6:7]
	s_xor_b64 s[6:7], exec, s[8:9]
	s_cbranch_execnz .LBB8_2265
; %bb.217:
	s_or_saveexec_b64 s[6:7], s[6:7]
	v_mov_b32_e32 v2, s10
	s_xor_b64 exec, exec, s[6:7]
	s_cbranch_execnz .LBB8_2268
.LBB8_218:
	s_or_b64 exec, exec, s[6:7]
	s_and_saveexec_b64 s[6:7], s[4:5]
	s_cbranch_execz .LBB8_220
.LBB8_219:
	v_bfe_u32 v2, v8, 24, 3
	v_ffbh_u32_e32 v12, v2
	v_min_u32_e32 v12, 32, v12
	v_lshrrev_b32_e32 v6, 27, v8
	v_subrev_u32_e32 v13, 28, v12
	v_and_b32_e32 v3, 0x80000000, v8
	v_and_b32_e32 v6, 15, v6
	v_bfe_u32 v7, v8, 27, 4
	v_lshlrev_b32_sdwa v8, v13, v8 dst_sel:DWORD dst_unused:UNUSED_PAD src0_sel:DWORD src1_sel:BYTE_3
	v_sub_u32_e32 v12, 29, v12
	v_and_b32_e32 v8, 7, v8
	v_cmp_eq_u16_e32 vcc, 0, v6
	v_cndmask_b32_e32 v2, v2, v8, vcc
	v_cndmask_b32_e32 v6, v7, v12, vcc
	v_mov_b32_e32 v7, 0x3b800000
	v_lshlrev_b32_e32 v2, 20, v2
	v_lshl_add_u32 v6, v6, 23, v7
	v_or3_b32 v2, v3, v6, v2
.LBB8_220:
	s_or_b64 exec, exec, s[6:7]
	s_movk_i32 s4, 0x7f
	v_cmp_gt_i16_sdwa s[6:7], v4, s4 src0_sel:BYTE_3 src1_sel:DWORD
	s_mov_b64 s[4:5], 0
                                        ; implicit-def: $sgpr10
	s_and_saveexec_b64 s[8:9], s[6:7]
	s_xor_b64 s[6:7], exec, s[8:9]
	s_cbranch_execnz .LBB8_2269
; %bb.221:
	s_or_saveexec_b64 s[6:7], s[6:7]
	v_mov_b32_e32 v3, s10
	s_xor_b64 exec, exec, s[6:7]
	s_cbranch_execnz .LBB8_2272
.LBB8_222:
	s_or_b64 exec, exec, s[6:7]
	s_and_saveexec_b64 s[6:7], s[4:5]
	s_cbranch_execz .LBB8_224
.LBB8_223:
	v_bfe_u32 v3, v4, 24, 3
	v_ffbh_u32_e32 v12, v3
	v_min_u32_e32 v12, 32, v12
	v_lshrrev_b32_e32 v7, 27, v4
	v_subrev_u32_e32 v13, 28, v12
	v_and_b32_e32 v6, 0x80000000, v4
	v_and_b32_e32 v7, 15, v7
	v_bfe_u32 v8, v4, 27, 4
	v_lshlrev_b32_sdwa v4, v13, v4 dst_sel:DWORD dst_unused:UNUSED_PAD src0_sel:DWORD src1_sel:BYTE_3
	v_sub_u32_e32 v12, 29, v12
	v_and_b32_e32 v4, 7, v4
	v_cmp_eq_u16_e32 vcc, 0, v7
	v_cndmask_b32_e32 v3, v3, v4, vcc
	v_cndmask_b32_e32 v4, v8, v12, vcc
	v_mov_b32_e32 v7, 0x3b800000
	v_lshlrev_b32_e32 v3, 20, v3
	v_lshl_add_u32 v4, v4, 23, v7
	v_or3_b32 v3, v6, v4, v3
.LBB8_224:
	s_or_b64 exec, exec, s[6:7]
	s_nop 0
	v_mfma_f32_16x16x4f32 a[0:3], v2, v3, a[0:3]
	s_movk_i32 s4, 0x7f
	v_cmp_gt_i16_sdwa s[6:7], v9, s4 src0_sel:BYTE_0 src1_sel:DWORD
	s_mov_b64 s[4:5], 0
                                        ; implicit-def: $sgpr10
	s_and_saveexec_b64 s[8:9], s[6:7]
	s_xor_b64 s[6:7], exec, s[8:9]
	s_cbranch_execnz .LBB8_2273
; %bb.225:
	s_or_saveexec_b64 s[6:7], s[6:7]
	v_mov_b32_e32 v2, s10
	s_xor_b64 exec, exec, s[6:7]
	s_cbranch_execnz .LBB8_2276
.LBB8_226:
	s_or_b64 exec, exec, s[6:7]
	s_and_saveexec_b64 s[6:7], s[4:5]
	s_cbranch_execz .LBB8_228
.LBB8_227:
	v_mov_b32_e32 v2, 8
	v_and_b32_e32 v3, 7, v9
	v_lshrrev_b32_sdwa v2, v2, v9 dst_sel:BYTE_1 dst_unused:UNUSED_PAD src0_sel:DWORD src1_sel:DWORD
	v_ffbh_u32_e32 v4, v3
	v_or_b32_sdwa v2, v9, v2 dst_sel:DWORD dst_unused:UNUSED_PAD src0_sel:BYTE_0 src1_sel:DWORD
	v_min_u32_e32 v4, 32, v4
	v_lshrrev_b16_e32 v2, 3, v2
	v_subrev_u32_e32 v6, 28, v4
	v_and_b32_e32 v2, 15, v2
	v_lshlrev_b32_e32 v6, v6, v9
	v_sub_u32_e32 v4, 29, v4
	v_and_b32_e32 v6, 7, v6
	v_cmp_eq_u16_e32 vcc, 0, v2
	v_cndmask_b32_e32 v3, v3, v6, vcc
	v_cndmask_b32_e32 v2, v2, v4, vcc
	v_lshlrev_b32_e32 v4, 24, v9
	v_mov_b32_e32 v6, 0x3b800000
	v_lshlrev_b32_e32 v3, 20, v3
	v_and_b32_e32 v4, 0x80000000, v4
	v_lshl_add_u32 v2, v2, 23, v6
	v_or3_b32 v2, v4, v2, v3
.LBB8_228:
	s_or_b64 exec, exec, s[6:7]
	s_movk_i32 s4, 0x7f
	v_cmp_gt_i16_sdwa s[6:7], v5, s4 src0_sel:BYTE_0 src1_sel:DWORD
	s_mov_b64 s[4:5], 0
                                        ; implicit-def: $sgpr10
	s_and_saveexec_b64 s[8:9], s[6:7]
	s_xor_b64 s[6:7], exec, s[8:9]
	s_cbranch_execnz .LBB8_2277
; %bb.229:
	s_or_saveexec_b64 s[6:7], s[6:7]
	v_mov_b32_e32 v3, s10
	s_xor_b64 exec, exec, s[6:7]
	s_cbranch_execnz .LBB8_2280
.LBB8_230:
	s_or_b64 exec, exec, s[6:7]
	s_and_saveexec_b64 s[6:7], s[4:5]
	s_cbranch_execz .LBB8_232
.LBB8_231:
	v_mov_b32_e32 v3, 8
	v_and_b32_e32 v4, 7, v5
	v_lshrrev_b32_sdwa v3, v3, v5 dst_sel:BYTE_1 dst_unused:UNUSED_PAD src0_sel:DWORD src1_sel:DWORD
	v_ffbh_u32_e32 v6, v4
	v_or_b32_sdwa v3, v5, v3 dst_sel:DWORD dst_unused:UNUSED_PAD src0_sel:BYTE_0 src1_sel:DWORD
	v_min_u32_e32 v6, 32, v6
	v_lshrrev_b16_e32 v3, 3, v3
	v_subrev_u32_e32 v7, 28, v6
	v_and_b32_e32 v3, 15, v3
	v_lshlrev_b32_e32 v7, v7, v5
	v_sub_u32_e32 v6, 29, v6
	v_and_b32_e32 v7, 7, v7
	v_cmp_eq_u16_e32 vcc, 0, v3
	v_cndmask_b32_e32 v4, v4, v7, vcc
	v_cndmask_b32_e32 v3, v3, v6, vcc
	v_lshlrev_b32_e32 v6, 24, v5
	v_mov_b32_e32 v7, 0x3b800000
	v_lshlrev_b32_e32 v4, 20, v4
	v_and_b32_e32 v6, 0x80000000, v6
	v_lshl_add_u32 v3, v3, 23, v7
	v_or3_b32 v3, v6, v3, v4
.LBB8_232:
	s_or_b64 exec, exec, s[6:7]
	s_nop 0
	v_mfma_f32_16x16x4f32 a[0:3], v2, v3, a[0:3]
	v_lshrrev_b32_e32 v3, 8, v9
	s_movk_i32 s4, 0x7f
	v_cmp_gt_i16_sdwa s[6:7], v3, s4 src0_sel:BYTE_0 src1_sel:DWORD
	s_mov_b64 s[4:5], 0
                                        ; implicit-def: $sgpr10
	s_and_saveexec_b64 s[8:9], s[6:7]
	s_xor_b64 s[6:7], exec, s[8:9]
	s_cbranch_execnz .LBB8_2281
; %bb.233:
	s_or_saveexec_b64 s[6:7], s[6:7]
	v_mov_b32_e32 v2, s10
	s_xor_b64 exec, exec, s[6:7]
	s_cbranch_execnz .LBB8_2284
.LBB8_234:
	s_or_b64 exec, exec, s[6:7]
	s_and_saveexec_b64 s[6:7], s[4:5]
	s_cbranch_execz .LBB8_236
.LBB8_235:
	v_bfe_u32 v2, v9, 8, 3
	v_ffbh_u32_e32 v6, v2
	v_min_u32_e32 v6, 32, v6
	v_lshrrev_b16_e32 v4, 3, v3
	v_subrev_u32_e32 v7, 28, v6
	v_and_b32_e32 v4, 15, v4
	v_lshlrev_b32_e32 v3, v7, v3
	v_sub_u32_e32 v6, 29, v6
	v_and_b32_e32 v3, 7, v3
	v_cmp_eq_u16_e32 vcc, 0, v4
	v_cndmask_b32_e32 v2, v2, v3, vcc
	v_cndmask_b32_e32 v3, v4, v6, vcc
	v_lshlrev_b32_e32 v4, 16, v9
	v_mov_b32_e32 v6, 0x3b800000
	v_lshlrev_b32_e32 v2, 20, v2
	v_and_b32_e32 v4, 0x80000000, v4
	v_lshl_add_u32 v3, v3, 23, v6
	v_or3_b32 v2, v4, v3, v2
.LBB8_236:
	s_or_b64 exec, exec, s[6:7]
	v_lshrrev_b32_e32 v3, 8, v5
	s_movk_i32 s4, 0x7f
	v_cmp_gt_i16_sdwa s[6:7], v3, s4 src0_sel:BYTE_0 src1_sel:DWORD
	s_mov_b64 s[4:5], 0
                                        ; implicit-def: $sgpr10
	s_and_saveexec_b64 s[8:9], s[6:7]
	s_xor_b64 s[6:7], exec, s[8:9]
	s_cbranch_execnz .LBB8_2285
; %bb.237:
	s_or_saveexec_b64 s[6:7], s[6:7]
	v_mov_b32_e32 v4, s10
	s_xor_b64 exec, exec, s[6:7]
	s_cbranch_execnz .LBB8_2288
.LBB8_238:
	s_or_b64 exec, exec, s[6:7]
	s_and_saveexec_b64 s[6:7], s[4:5]
	s_cbranch_execz .LBB8_240
.LBB8_239:
	v_bfe_u32 v4, v5, 8, 3
	v_ffbh_u32_e32 v7, v4
	v_min_u32_e32 v7, 32, v7
	v_lshrrev_b16_e32 v6, 3, v3
	v_subrev_u32_e32 v8, 28, v7
	v_and_b32_e32 v6, 15, v6
	v_lshlrev_b32_e32 v3, v8, v3
	v_sub_u32_e32 v7, 29, v7
	v_and_b32_e32 v3, 7, v3
	v_cmp_eq_u16_e32 vcc, 0, v6
	v_cndmask_b32_e32 v3, v4, v3, vcc
	v_cndmask_b32_e32 v4, v6, v7, vcc
	v_lshlrev_b32_e32 v6, 16, v5
	v_mov_b32_e32 v7, 0x3b800000
	v_lshlrev_b32_e32 v3, 20, v3
	v_and_b32_e32 v6, 0x80000000, v6
	v_lshl_add_u32 v4, v4, 23, v7
	v_or3_b32 v4, v6, v4, v3
.LBB8_240:
	s_or_b64 exec, exec, s[6:7]
	s_nop 0
	v_mfma_f32_16x16x4f32 a[0:3], v2, v4, a[0:3]
	s_movk_i32 s4, 0xff
	v_and_b32_sdwa v3, v9, s4 dst_sel:DWORD dst_unused:UNUSED_PAD src0_sel:WORD_1 src1_sel:DWORD
	s_movk_i32 s4, 0x7f
	v_cmp_lt_i16_e32 vcc, s4, v3
	s_mov_b64 s[4:5], 0
                                        ; implicit-def: $sgpr10
	s_and_saveexec_b64 s[6:7], vcc
	s_xor_b64 s[6:7], exec, s[6:7]
	s_cbranch_execnz .LBB8_2289
; %bb.241:
	s_or_saveexec_b64 s[6:7], s[6:7]
	v_mov_b32_e32 v2, s10
	s_xor_b64 exec, exec, s[6:7]
	s_cbranch_execnz .LBB8_2292
.LBB8_242:
	s_or_b64 exec, exec, s[6:7]
	s_and_saveexec_b64 s[6:7], s[4:5]
	s_cbranch_execz .LBB8_244
.LBB8_243:
	v_bfe_u32 v2, v9, 16, 3
	v_ffbh_u32_e32 v6, v2
	v_min_u32_e32 v6, 32, v6
	v_lshrrev_b32_e32 v3, 19, v9
	v_subrev_u32_e32 v7, 28, v6
	v_and_b32_e32 v3, 15, v3
	v_lshlrev_b32_sdwa v7, v7, v9 dst_sel:DWORD dst_unused:UNUSED_PAD src0_sel:DWORD src1_sel:WORD_1
	v_bfe_u32 v4, v9, 19, 4
	v_sub_u32_e32 v6, 29, v6
	v_and_b32_e32 v7, 7, v7
	v_cmp_eq_u16_e32 vcc, 0, v3
	v_cndmask_b32_e32 v2, v2, v7, vcc
	v_cndmask_b32_e32 v3, v4, v6, vcc
	v_lshlrev_b32_e32 v4, 8, v9
	v_mov_b32_e32 v6, 0x3b800000
	v_lshlrev_b32_e32 v2, 20, v2
	v_and_b32_e32 v4, 0x80000000, v4
	v_lshl_add_u32 v3, v3, 23, v6
	v_or3_b32 v2, v4, v3, v2
.LBB8_244:
	s_or_b64 exec, exec, s[6:7]
	s_movk_i32 s4, 0xff
	v_and_b32_sdwa v3, v5, s4 dst_sel:DWORD dst_unused:UNUSED_PAD src0_sel:WORD_1 src1_sel:DWORD
	s_movk_i32 s4, 0x7f
	v_cmp_lt_i16_e32 vcc, s4, v3
	s_mov_b64 s[4:5], 0
                                        ; implicit-def: $sgpr10
	s_and_saveexec_b64 s[6:7], vcc
	s_xor_b64 s[6:7], exec, s[6:7]
	s_cbranch_execnz .LBB8_2293
; %bb.245:
	s_or_saveexec_b64 s[6:7], s[6:7]
	v_mov_b32_e32 v4, s10
	s_xor_b64 exec, exec, s[6:7]
	s_cbranch_execnz .LBB8_2296
.LBB8_246:
	s_or_b64 exec, exec, s[6:7]
	s_and_saveexec_b64 s[6:7], s[4:5]
	s_cbranch_execz .LBB8_248
.LBB8_247:
	v_bfe_u32 v3, v5, 16, 3
	v_ffbh_u32_e32 v7, v3
	v_min_u32_e32 v7, 32, v7
	v_lshrrev_b32_e32 v4, 19, v5
	v_subrev_u32_e32 v8, 28, v7
	v_and_b32_e32 v4, 15, v4
	v_lshlrev_b32_sdwa v8, v8, v5 dst_sel:DWORD dst_unused:UNUSED_PAD src0_sel:DWORD src1_sel:WORD_1
	v_bfe_u32 v6, v5, 19, 4
	v_sub_u32_e32 v7, 29, v7
	v_and_b32_e32 v8, 7, v8
	v_cmp_eq_u16_e32 vcc, 0, v4
	v_cndmask_b32_e32 v3, v3, v8, vcc
	v_cndmask_b32_e32 v4, v6, v7, vcc
	v_lshlrev_b32_e32 v6, 8, v5
	v_mov_b32_e32 v7, 0x3b800000
	v_lshlrev_b32_e32 v3, 20, v3
	v_and_b32_e32 v6, 0x80000000, v6
	v_lshl_add_u32 v4, v4, 23, v7
	v_or3_b32 v4, v6, v4, v3
.LBB8_248:
	s_or_b64 exec, exec, s[6:7]
	s_nop 0
	v_mfma_f32_16x16x4f32 a[0:3], v2, v4, a[0:3]
	s_movk_i32 s4, 0x7f
	v_cmp_gt_i16_sdwa s[6:7], v9, s4 src0_sel:BYTE_3 src1_sel:DWORD
	s_mov_b64 s[4:5], 0
                                        ; implicit-def: $sgpr10
	s_and_saveexec_b64 s[8:9], s[6:7]
	s_xor_b64 s[6:7], exec, s[8:9]
	s_cbranch_execnz .LBB8_2297
; %bb.249:
	s_or_saveexec_b64 s[6:7], s[6:7]
	v_mov_b32_e32 v2, s10
	s_xor_b64 exec, exec, s[6:7]
	s_cbranch_execnz .LBB8_2300
.LBB8_250:
	s_or_b64 exec, exec, s[6:7]
	s_and_saveexec_b64 s[6:7], s[4:5]
	s_cbranch_execz .LBB8_252
.LBB8_251:
	v_bfe_u32 v2, v9, 24, 3
	v_ffbh_u32_e32 v7, v2
	v_min_u32_e32 v7, 32, v7
	v_lshrrev_b32_e32 v4, 27, v9
	v_subrev_u32_e32 v8, 28, v7
	v_and_b32_e32 v4, 15, v4
	v_lshlrev_b32_sdwa v8, v8, v9 dst_sel:DWORD dst_unused:UNUSED_PAD src0_sel:DWORD src1_sel:BYTE_3
	v_bfe_u32 v6, v9, 27, 4
	v_sub_u32_e32 v7, 29, v7
	v_and_b32_e32 v8, 7, v8
	v_cmp_eq_u16_e32 vcc, 0, v4
	v_cndmask_b32_e32 v2, v2, v8, vcc
	v_cndmask_b32_e32 v4, v6, v7, vcc
	v_mov_b32_e32 v6, 0x3b800000
	v_and_b32_e32 v3, 0x80000000, v9
	v_lshlrev_b32_e32 v2, 20, v2
	v_lshl_add_u32 v4, v4, 23, v6
	v_or3_b32 v2, v3, v4, v2
.LBB8_252:
	s_or_b64 exec, exec, s[6:7]
	s_movk_i32 s4, 0x7f
	v_cmp_gt_i16_sdwa s[6:7], v5, s4 src0_sel:BYTE_3 src1_sel:DWORD
	s_mov_b64 s[4:5], 0
                                        ; implicit-def: $sgpr10
	s_and_saveexec_b64 s[8:9], s[6:7]
	s_xor_b64 s[6:7], exec, s[8:9]
	s_cbranch_execnz .LBB8_2301
; %bb.253:
	s_or_saveexec_b64 s[6:7], s[6:7]
	v_mov_b32_e32 v3, s10
	s_xor_b64 exec, exec, s[6:7]
	s_cbranch_execnz .LBB8_2304
.LBB8_254:
	s_or_b64 exec, exec, s[6:7]
	s_and_saveexec_b64 s[6:7], s[4:5]
	s_cbranch_execz .LBB8_256
.LBB8_255:
	v_bfe_u32 v3, v5, 24, 3
	v_ffbh_u32_e32 v8, v3
	v_min_u32_e32 v8, 32, v8
	v_lshrrev_b32_e32 v6, 27, v5
	v_subrev_u32_e32 v9, 28, v8
	v_and_b32_e32 v4, 0x80000000, v5
	v_and_b32_e32 v6, 15, v6
	v_bfe_u32 v7, v5, 27, 4
	v_lshlrev_b32_sdwa v5, v9, v5 dst_sel:DWORD dst_unused:UNUSED_PAD src0_sel:DWORD src1_sel:BYTE_3
	v_sub_u32_e32 v8, 29, v8
	v_and_b32_e32 v5, 7, v5
	v_cmp_eq_u16_e32 vcc, 0, v6
	v_cndmask_b32_e32 v3, v3, v5, vcc
	v_cndmask_b32_e32 v5, v7, v8, vcc
	v_mov_b32_e32 v6, 0x3b800000
	v_lshlrev_b32_e32 v3, 20, v3
	v_lshl_add_u32 v5, v5, 23, v6
	v_or3_b32 v3, v4, v5, v3
.LBB8_256:
	s_or_b64 exec, exec, s[6:7]
	s_nop 0
	v_mfma_f32_16x16x4f32 a[0:3], v2, v3, a[0:3]
	s_movk_i32 s4, 0x7f
                                        ; implicit-def: $sgpr10
	s_nop 7
	s_nop 1
	flat_store_dwordx4 v[10:11], a[0:3] offset:16
	flat_load_dwordx4 v[12:15], v[0:1] offset:8
	s_nop 0
	flat_load_dwordx2 v[10:11], v[0:1] offset:32
	s_waitcnt vmcnt(0) lgkmcnt(0)
	flat_load_dwordx4 v[6:9], v[12:13]
	flat_load_dwordx4 v[2:5], v[14:15] offset:64
	s_waitcnt vmcnt(0) lgkmcnt(0)
	v_cmp_gt_i16_sdwa s[6:7], v6, s4 src0_sel:BYTE_0 src1_sel:DWORD
	s_mov_b64 s[4:5], 0
	s_and_saveexec_b64 s[8:9], s[6:7]
	s_xor_b64 s[6:7], exec, s[8:9]
	s_cbranch_execnz .LBB8_2305
; %bb.257:
	s_or_saveexec_b64 s[6:7], s[6:7]
	v_mov_b32_e32 v12, s10
	s_xor_b64 exec, exec, s[6:7]
	s_cbranch_execnz .LBB8_2308
.LBB8_258:
	s_or_b64 exec, exec, s[6:7]
	s_and_saveexec_b64 s[6:7], s[4:5]
	s_cbranch_execz .LBB8_260
.LBB8_259:
	v_and_b32_e32 v12, 7, v6
	v_ffbh_u32_e32 v14, v12
	v_min_u32_e32 v14, 32, v14
	v_lshrrev_b16_e32 v13, 3, v6
	v_subrev_u32_e32 v15, 28, v14
	v_and_b32_e32 v13, 15, v13
	v_lshlrev_b32_e32 v15, v15, v6
	v_sub_u32_e32 v14, 29, v14
	v_and_b32_e32 v15, 7, v15
	v_cmp_eq_u16_e32 vcc, 0, v13
	v_cndmask_b32_e32 v12, v12, v15, vcc
	v_cndmask_b32_e32 v13, v13, v14, vcc
	v_lshlrev_b32_e32 v14, 24, v6
	v_mov_b32_e32 v15, 0x3b800000
	v_lshlrev_b32_e32 v12, 20, v12
	v_and_b32_e32 v14, 0x80000000, v14
	v_lshl_add_u32 v13, v13, 23, v15
	v_or3_b32 v12, v14, v13, v12
.LBB8_260:
	s_or_b64 exec, exec, s[6:7]
	s_movk_i32 s4, 0x7f
	v_cmp_gt_i16_sdwa s[6:7], v2, s4 src0_sel:BYTE_0 src1_sel:DWORD
	s_mov_b64 s[4:5], 0
                                        ; implicit-def: $sgpr10
	s_and_saveexec_b64 s[8:9], s[6:7]
	s_xor_b64 s[6:7], exec, s[8:9]
	s_cbranch_execnz .LBB8_2309
; %bb.261:
	s_or_saveexec_b64 s[6:7], s[6:7]
	v_mov_b32_e32 v13, s10
	s_xor_b64 exec, exec, s[6:7]
	s_cbranch_execnz .LBB8_2312
.LBB8_262:
	s_or_b64 exec, exec, s[6:7]
	s_and_saveexec_b64 s[6:7], s[4:5]
	s_cbranch_execz .LBB8_264
.LBB8_263:
	v_and_b32_e32 v13, 7, v2
	v_ffbh_u32_e32 v15, v13
	v_min_u32_e32 v15, 32, v15
	v_lshrrev_b16_e32 v14, 3, v2
	v_subrev_u32_e32 v16, 28, v15
	v_and_b32_e32 v14, 15, v14
	v_lshlrev_b32_e32 v16, v16, v2
	v_sub_u32_e32 v15, 29, v15
	v_and_b32_e32 v16, 7, v16
	v_cmp_eq_u16_e32 vcc, 0, v14
	v_cndmask_b32_e32 v13, v13, v16, vcc
	v_cndmask_b32_e32 v14, v14, v15, vcc
	v_lshlrev_b32_e32 v15, 24, v2
	v_mov_b32_e32 v16, 0x3b800000
	v_lshlrev_b32_e32 v13, 20, v13
	v_and_b32_e32 v15, 0x80000000, v15
	v_lshl_add_u32 v14, v14, 23, v16
	v_or3_b32 v13, v15, v14, v13
.LBB8_264:
	s_or_b64 exec, exec, s[6:7]
	flat_load_dwordx4 a[0:3], v[10:11] offset:32
	s_movk_i32 s4, 0x7f
                                        ; implicit-def: $sgpr10
	s_waitcnt vmcnt(0) lgkmcnt(0)
	v_mfma_f32_16x16x4f32 a[0:3], v12, v13, a[0:3]
	v_lshrrev_b32_e32 v13, 8, v6
	v_cmp_gt_i16_sdwa s[6:7], v13, s4 src0_sel:BYTE_0 src1_sel:DWORD
	s_mov_b64 s[4:5], 0
	s_and_saveexec_b64 s[8:9], s[6:7]
	s_xor_b64 s[6:7], exec, s[8:9]
	s_cbranch_execnz .LBB8_2313
; %bb.265:
	s_or_saveexec_b64 s[6:7], s[6:7]
	v_mov_b32_e32 v12, s10
	s_xor_b64 exec, exec, s[6:7]
	s_cbranch_execnz .LBB8_2316
.LBB8_266:
	s_or_b64 exec, exec, s[6:7]
	s_and_saveexec_b64 s[6:7], s[4:5]
	s_cbranch_execz .LBB8_268
.LBB8_267:
	v_bfe_u32 v12, v6, 8, 3
	v_ffbh_u32_e32 v15, v12
	v_min_u32_e32 v15, 32, v15
	v_lshrrev_b16_e32 v14, 3, v13
	v_subrev_u32_e32 v16, 28, v15
	v_and_b32_e32 v14, 15, v14
	v_lshlrev_b32_e32 v13, v16, v13
	v_sub_u32_e32 v15, 29, v15
	v_and_b32_e32 v13, 7, v13
	v_cmp_eq_u16_e32 vcc, 0, v14
	v_cndmask_b32_e32 v12, v12, v13, vcc
	v_cndmask_b32_e32 v13, v14, v15, vcc
	v_lshlrev_b32_e32 v14, 16, v6
	v_mov_b32_e32 v15, 0x3b800000
	v_lshlrev_b32_e32 v12, 20, v12
	v_and_b32_e32 v14, 0x80000000, v14
	v_lshl_add_u32 v13, v13, 23, v15
	v_or3_b32 v12, v14, v13, v12
.LBB8_268:
	s_or_b64 exec, exec, s[6:7]
	v_lshrrev_b32_e32 v13, 8, v2
	s_movk_i32 s4, 0x7f
	v_cmp_gt_i16_sdwa s[6:7], v13, s4 src0_sel:BYTE_0 src1_sel:DWORD
	s_mov_b64 s[4:5], 0
                                        ; implicit-def: $sgpr10
	s_and_saveexec_b64 s[8:9], s[6:7]
	s_xor_b64 s[6:7], exec, s[8:9]
	s_cbranch_execnz .LBB8_2317
; %bb.269:
	s_or_saveexec_b64 s[6:7], s[6:7]
	v_mov_b32_e32 v14, s10
	s_xor_b64 exec, exec, s[6:7]
	s_cbranch_execnz .LBB8_2320
.LBB8_270:
	s_or_b64 exec, exec, s[6:7]
	s_and_saveexec_b64 s[6:7], s[4:5]
	s_cbranch_execz .LBB8_272
.LBB8_271:
	v_bfe_u32 v14, v2, 8, 3
	v_ffbh_u32_e32 v16, v14
	v_min_u32_e32 v16, 32, v16
	v_lshrrev_b16_e32 v15, 3, v13
	v_subrev_u32_e32 v17, 28, v16
	v_and_b32_e32 v15, 15, v15
	v_lshlrev_b32_e32 v13, v17, v13
	v_sub_u32_e32 v16, 29, v16
	v_and_b32_e32 v13, 7, v13
	v_cmp_eq_u16_e32 vcc, 0, v15
	v_cndmask_b32_e32 v13, v14, v13, vcc
	v_cndmask_b32_e32 v14, v15, v16, vcc
	v_lshlrev_b32_e32 v15, 16, v2
	v_mov_b32_e32 v16, 0x3b800000
	v_lshlrev_b32_e32 v13, 20, v13
	v_and_b32_e32 v15, 0x80000000, v15
	v_lshl_add_u32 v14, v14, 23, v16
	v_or3_b32 v14, v15, v14, v13
.LBB8_272:
	s_or_b64 exec, exec, s[6:7]
	s_nop 0
	v_mfma_f32_16x16x4f32 a[0:3], v12, v14, a[0:3]
	s_movk_i32 s4, 0xff
	v_and_b32_sdwa v13, v6, s4 dst_sel:DWORD dst_unused:UNUSED_PAD src0_sel:WORD_1 src1_sel:DWORD
	s_movk_i32 s4, 0x7f
	v_cmp_lt_i16_e32 vcc, s4, v13
	s_mov_b64 s[4:5], 0
                                        ; implicit-def: $sgpr10
	s_and_saveexec_b64 s[6:7], vcc
	s_xor_b64 s[6:7], exec, s[6:7]
	s_cbranch_execnz .LBB8_2321
; %bb.273:
	s_or_saveexec_b64 s[6:7], s[6:7]
	v_mov_b32_e32 v12, s10
	s_xor_b64 exec, exec, s[6:7]
	s_cbranch_execnz .LBB8_2324
.LBB8_274:
	s_or_b64 exec, exec, s[6:7]
	s_and_saveexec_b64 s[6:7], s[4:5]
	s_cbranch_execz .LBB8_276
.LBB8_275:
	v_bfe_u32 v12, v6, 16, 3
	v_ffbh_u32_e32 v15, v12
	v_min_u32_e32 v15, 32, v15
	v_lshrrev_b32_e32 v13, 19, v6
	v_subrev_u32_e32 v16, 28, v15
	v_and_b32_e32 v13, 15, v13
	v_lshlrev_b32_sdwa v16, v16, v6 dst_sel:DWORD dst_unused:UNUSED_PAD src0_sel:DWORD src1_sel:WORD_1
	v_bfe_u32 v14, v6, 19, 4
	v_sub_u32_e32 v15, 29, v15
	v_and_b32_e32 v16, 7, v16
	v_cmp_eq_u16_e32 vcc, 0, v13
	v_cndmask_b32_e32 v12, v12, v16, vcc
	v_cndmask_b32_e32 v13, v14, v15, vcc
	v_lshlrev_b32_e32 v14, 8, v6
	v_mov_b32_e32 v15, 0x3b800000
	v_lshlrev_b32_e32 v12, 20, v12
	v_and_b32_e32 v14, 0x80000000, v14
	v_lshl_add_u32 v13, v13, 23, v15
	v_or3_b32 v12, v14, v13, v12
.LBB8_276:
	s_or_b64 exec, exec, s[6:7]
	s_movk_i32 s4, 0xff
	v_and_b32_sdwa v13, v2, s4 dst_sel:DWORD dst_unused:UNUSED_PAD src0_sel:WORD_1 src1_sel:DWORD
	s_movk_i32 s4, 0x7f
	v_cmp_lt_i16_e32 vcc, s4, v13
	s_mov_b64 s[4:5], 0
                                        ; implicit-def: $sgpr10
	s_and_saveexec_b64 s[6:7], vcc
	s_xor_b64 s[6:7], exec, s[6:7]
	s_cbranch_execnz .LBB8_2325
; %bb.277:
	s_or_saveexec_b64 s[6:7], s[6:7]
	v_mov_b32_e32 v14, s10
	s_xor_b64 exec, exec, s[6:7]
	s_cbranch_execnz .LBB8_2328
.LBB8_278:
	s_or_b64 exec, exec, s[6:7]
	s_and_saveexec_b64 s[6:7], s[4:5]
	s_cbranch_execz .LBB8_280
.LBB8_279:
	v_bfe_u32 v13, v2, 16, 3
	v_ffbh_u32_e32 v16, v13
	v_min_u32_e32 v16, 32, v16
	v_lshrrev_b32_e32 v14, 19, v2
	v_subrev_u32_e32 v17, 28, v16
	v_and_b32_e32 v14, 15, v14
	v_lshlrev_b32_sdwa v17, v17, v2 dst_sel:DWORD dst_unused:UNUSED_PAD src0_sel:DWORD src1_sel:WORD_1
	v_bfe_u32 v15, v2, 19, 4
	v_sub_u32_e32 v16, 29, v16
	v_and_b32_e32 v17, 7, v17
	v_cmp_eq_u16_e32 vcc, 0, v14
	v_cndmask_b32_e32 v13, v13, v17, vcc
	v_cndmask_b32_e32 v14, v15, v16, vcc
	v_lshlrev_b32_e32 v15, 8, v2
	v_mov_b32_e32 v16, 0x3b800000
	v_lshlrev_b32_e32 v13, 20, v13
	v_and_b32_e32 v15, 0x80000000, v15
	v_lshl_add_u32 v14, v14, 23, v16
	v_or3_b32 v14, v15, v14, v13
.LBB8_280:
	s_or_b64 exec, exec, s[6:7]
	s_nop 0
	v_mfma_f32_16x16x4f32 a[0:3], v12, v14, a[0:3]
	s_movk_i32 s4, 0x7f
	v_cmp_gt_i16_sdwa s[6:7], v6, s4 src0_sel:BYTE_3 src1_sel:DWORD
	s_mov_b64 s[4:5], 0
                                        ; implicit-def: $sgpr10
	s_and_saveexec_b64 s[8:9], s[6:7]
	s_xor_b64 s[6:7], exec, s[8:9]
	s_cbranch_execnz .LBB8_2329
; %bb.281:
	s_or_saveexec_b64 s[6:7], s[6:7]
	v_mov_b32_e32 v12, s10
	s_xor_b64 exec, exec, s[6:7]
	s_cbranch_execnz .LBB8_2332
.LBB8_282:
	s_or_b64 exec, exec, s[6:7]
	s_and_saveexec_b64 s[6:7], s[4:5]
	s_cbranch_execz .LBB8_284
.LBB8_283:
	v_bfe_u32 v12, v6, 24, 3
	v_ffbh_u32_e32 v16, v12
	v_min_u32_e32 v16, 32, v16
	v_lshrrev_b32_e32 v14, 27, v6
	v_subrev_u32_e32 v17, 28, v16
	v_and_b32_e32 v13, 0x80000000, v6
	v_and_b32_e32 v14, 15, v14
	v_bfe_u32 v15, v6, 27, 4
	v_lshlrev_b32_sdwa v6, v17, v6 dst_sel:DWORD dst_unused:UNUSED_PAD src0_sel:DWORD src1_sel:BYTE_3
	v_sub_u32_e32 v16, 29, v16
	v_and_b32_e32 v6, 7, v6
	v_cmp_eq_u16_e32 vcc, 0, v14
	v_cndmask_b32_e32 v6, v12, v6, vcc
	v_cndmask_b32_e32 v12, v15, v16, vcc
	v_mov_b32_e32 v14, 0x3b800000
	v_lshlrev_b32_e32 v6, 20, v6
	v_lshl_add_u32 v12, v12, 23, v14
	v_or3_b32 v12, v13, v12, v6
.LBB8_284:
	s_or_b64 exec, exec, s[6:7]
	s_movk_i32 s4, 0x7f
	v_cmp_gt_i16_sdwa s[6:7], v2, s4 src0_sel:BYTE_3 src1_sel:DWORD
	s_mov_b64 s[4:5], 0
                                        ; implicit-def: $sgpr10
	s_and_saveexec_b64 s[8:9], s[6:7]
	s_xor_b64 s[6:7], exec, s[8:9]
	s_cbranch_execnz .LBB8_2333
; %bb.285:
	s_or_saveexec_b64 s[6:7], s[6:7]
	v_mov_b32_e32 v6, s10
	s_xor_b64 exec, exec, s[6:7]
	s_cbranch_execnz .LBB8_2336
.LBB8_286:
	s_or_b64 exec, exec, s[6:7]
	s_and_saveexec_b64 s[6:7], s[4:5]
	s_cbranch_execz .LBB8_288
.LBB8_287:
	v_bfe_u32 v6, v2, 24, 3
	v_ffbh_u32_e32 v16, v6
	v_min_u32_e32 v16, 32, v16
	v_lshrrev_b32_e32 v14, 27, v2
	v_subrev_u32_e32 v17, 28, v16
	v_and_b32_e32 v13, 0x80000000, v2
	v_and_b32_e32 v14, 15, v14
	v_bfe_u32 v15, v2, 27, 4
	v_lshlrev_b32_sdwa v2, v17, v2 dst_sel:DWORD dst_unused:UNUSED_PAD src0_sel:DWORD src1_sel:BYTE_3
	v_sub_u32_e32 v16, 29, v16
	v_and_b32_e32 v2, 7, v2
	v_cmp_eq_u16_e32 vcc, 0, v14
	v_cndmask_b32_e32 v2, v6, v2, vcc
	v_cndmask_b32_e32 v6, v15, v16, vcc
	v_mov_b32_e32 v14, 0x3b800000
	v_lshlrev_b32_e32 v2, 20, v2
	v_lshl_add_u32 v6, v6, 23, v14
	v_or3_b32 v6, v13, v6, v2
.LBB8_288:
	s_or_b64 exec, exec, s[6:7]
	s_nop 0
	v_mfma_f32_16x16x4f32 a[0:3], v12, v6, a[0:3]
	s_movk_i32 s4, 0x7f
	v_cmp_gt_i16_sdwa s[6:7], v7, s4 src0_sel:BYTE_0 src1_sel:DWORD
	s_mov_b64 s[4:5], 0
                                        ; implicit-def: $sgpr10
	s_and_saveexec_b64 s[8:9], s[6:7]
	s_xor_b64 s[6:7], exec, s[8:9]
	s_cbranch_execnz .LBB8_2337
; %bb.289:
	s_or_saveexec_b64 s[6:7], s[6:7]
	v_mov_b32_e32 v2, s10
	s_xor_b64 exec, exec, s[6:7]
	s_cbranch_execnz .LBB8_2340
.LBB8_290:
	s_or_b64 exec, exec, s[6:7]
	s_and_saveexec_b64 s[6:7], s[4:5]
	s_cbranch_execz .LBB8_292
.LBB8_291:
	v_and_b32_e32 v2, 7, v7
	v_ffbh_u32_e32 v12, v2
	v_min_u32_e32 v12, 32, v12
	v_lshrrev_b16_e32 v6, 3, v7
	v_subrev_u32_e32 v13, 28, v12
	v_and_b32_e32 v6, 15, v6
	v_lshlrev_b32_e32 v13, v13, v7
	v_sub_u32_e32 v12, 29, v12
	v_and_b32_e32 v13, 7, v13
	v_cmp_eq_u16_e32 vcc, 0, v6
	v_cndmask_b32_e32 v2, v2, v13, vcc
	v_cndmask_b32_e32 v6, v6, v12, vcc
	v_lshlrev_b32_e32 v12, 24, v7
	v_mov_b32_e32 v13, 0x3b800000
	v_lshlrev_b32_e32 v2, 20, v2
	v_and_b32_e32 v12, 0x80000000, v12
	v_lshl_add_u32 v6, v6, 23, v13
	v_or3_b32 v2, v12, v6, v2
.LBB8_292:
	s_or_b64 exec, exec, s[6:7]
	s_movk_i32 s4, 0x7f
	v_cmp_gt_i16_sdwa s[6:7], v3, s4 src0_sel:BYTE_0 src1_sel:DWORD
	s_mov_b64 s[4:5], 0
                                        ; implicit-def: $sgpr10
	s_and_saveexec_b64 s[8:9], s[6:7]
	s_xor_b64 s[6:7], exec, s[8:9]
	s_cbranch_execnz .LBB8_2341
; %bb.293:
	s_or_saveexec_b64 s[6:7], s[6:7]
	v_mov_b32_e32 v6, s10
	s_xor_b64 exec, exec, s[6:7]
	s_cbranch_execnz .LBB8_2344
.LBB8_294:
	s_or_b64 exec, exec, s[6:7]
	s_and_saveexec_b64 s[6:7], s[4:5]
	s_cbranch_execz .LBB8_296
.LBB8_295:
	v_and_b32_e32 v6, 7, v3
	v_ffbh_u32_e32 v13, v6
	v_min_u32_e32 v13, 32, v13
	v_lshrrev_b16_e32 v12, 3, v3
	v_subrev_u32_e32 v14, 28, v13
	v_and_b32_e32 v12, 15, v12
	v_lshlrev_b32_e32 v14, v14, v3
	v_sub_u32_e32 v13, 29, v13
	v_and_b32_e32 v14, 7, v14
	v_cmp_eq_u16_e32 vcc, 0, v12
	v_cndmask_b32_e32 v6, v6, v14, vcc
	v_cndmask_b32_e32 v12, v12, v13, vcc
	v_lshlrev_b32_e32 v13, 24, v3
	v_mov_b32_e32 v14, 0x3b800000
	v_lshlrev_b32_e32 v6, 20, v6
	v_and_b32_e32 v13, 0x80000000, v13
	v_lshl_add_u32 v12, v12, 23, v14
	v_or3_b32 v6, v13, v12, v6
.LBB8_296:
	s_or_b64 exec, exec, s[6:7]
	s_nop 0
	v_mfma_f32_16x16x4f32 a[0:3], v2, v6, a[0:3]
	v_lshrrev_b32_e32 v6, 8, v7
	s_movk_i32 s4, 0x7f
	v_cmp_gt_i16_sdwa s[6:7], v6, s4 src0_sel:BYTE_0 src1_sel:DWORD
	s_mov_b64 s[4:5], 0
                                        ; implicit-def: $sgpr10
	s_and_saveexec_b64 s[8:9], s[6:7]
	s_xor_b64 s[6:7], exec, s[8:9]
	s_cbranch_execnz .LBB8_2345
; %bb.297:
	s_or_saveexec_b64 s[6:7], s[6:7]
	v_mov_b32_e32 v2, s10
	s_xor_b64 exec, exec, s[6:7]
	s_cbranch_execnz .LBB8_2348
.LBB8_298:
	s_or_b64 exec, exec, s[6:7]
	s_and_saveexec_b64 s[6:7], s[4:5]
	s_cbranch_execz .LBB8_300
.LBB8_299:
	v_bfe_u32 v2, v7, 8, 3
	v_ffbh_u32_e32 v13, v2
	v_min_u32_e32 v13, 32, v13
	v_lshrrev_b16_e32 v12, 3, v6
	v_subrev_u32_e32 v14, 28, v13
	v_and_b32_e32 v12, 15, v12
	v_lshlrev_b32_e32 v6, v14, v6
	v_sub_u32_e32 v13, 29, v13
	v_and_b32_e32 v6, 7, v6
	v_cmp_eq_u16_e32 vcc, 0, v12
	v_cndmask_b32_e32 v2, v2, v6, vcc
	v_cndmask_b32_e32 v6, v12, v13, vcc
	v_lshlrev_b32_e32 v12, 16, v7
	v_mov_b32_e32 v13, 0x3b800000
	v_lshlrev_b32_e32 v2, 20, v2
	v_and_b32_e32 v12, 0x80000000, v12
	v_lshl_add_u32 v6, v6, 23, v13
	v_or3_b32 v2, v12, v6, v2
.LBB8_300:
	s_or_b64 exec, exec, s[6:7]
	v_lshrrev_b32_e32 v6, 8, v3
	s_movk_i32 s4, 0x7f
	v_cmp_gt_i16_sdwa s[6:7], v6, s4 src0_sel:BYTE_0 src1_sel:DWORD
	s_mov_b64 s[4:5], 0
                                        ; implicit-def: $sgpr10
	s_and_saveexec_b64 s[8:9], s[6:7]
	s_xor_b64 s[6:7], exec, s[8:9]
	s_cbranch_execnz .LBB8_2349
; %bb.301:
	s_or_saveexec_b64 s[6:7], s[6:7]
	v_mov_b32_e32 v12, s10
	s_xor_b64 exec, exec, s[6:7]
	s_cbranch_execnz .LBB8_2352
.LBB8_302:
	s_or_b64 exec, exec, s[6:7]
	s_and_saveexec_b64 s[6:7], s[4:5]
	s_cbranch_execz .LBB8_304
.LBB8_303:
	v_bfe_u32 v12, v3, 8, 3
	v_ffbh_u32_e32 v14, v12
	v_min_u32_e32 v14, 32, v14
	v_lshrrev_b16_e32 v13, 3, v6
	v_subrev_u32_e32 v15, 28, v14
	v_and_b32_e32 v13, 15, v13
	v_lshlrev_b32_e32 v6, v15, v6
	v_sub_u32_e32 v14, 29, v14
	v_and_b32_e32 v6, 7, v6
	v_cmp_eq_u16_e32 vcc, 0, v13
	v_cndmask_b32_e32 v6, v12, v6, vcc
	v_cndmask_b32_e32 v12, v13, v14, vcc
	v_lshlrev_b32_e32 v13, 16, v3
	v_mov_b32_e32 v14, 0x3b800000
	v_lshlrev_b32_e32 v6, 20, v6
	v_and_b32_e32 v13, 0x80000000, v13
	v_lshl_add_u32 v12, v12, 23, v14
	v_or3_b32 v12, v13, v12, v6
.LBB8_304:
	s_or_b64 exec, exec, s[6:7]
	s_nop 0
	v_mfma_f32_16x16x4f32 a[0:3], v2, v12, a[0:3]
	s_movk_i32 s4, 0xff
	v_and_b32_sdwa v6, v7, s4 dst_sel:DWORD dst_unused:UNUSED_PAD src0_sel:WORD_1 src1_sel:DWORD
	s_movk_i32 s4, 0x7f
	v_cmp_lt_i16_e32 vcc, s4, v6
	s_mov_b64 s[4:5], 0
                                        ; implicit-def: $sgpr10
	s_and_saveexec_b64 s[6:7], vcc
	s_xor_b64 s[6:7], exec, s[6:7]
	s_cbranch_execnz .LBB8_2353
; %bb.305:
	s_or_saveexec_b64 s[6:7], s[6:7]
	v_mov_b32_e32 v2, s10
	s_xor_b64 exec, exec, s[6:7]
	s_cbranch_execnz .LBB8_2356
.LBB8_306:
	s_or_b64 exec, exec, s[6:7]
	s_and_saveexec_b64 s[6:7], s[4:5]
	s_cbranch_execz .LBB8_308
.LBB8_307:
	v_bfe_u32 v2, v7, 16, 3
	v_ffbh_u32_e32 v13, v2
	v_min_u32_e32 v13, 32, v13
	v_lshrrev_b32_e32 v6, 19, v7
	v_subrev_u32_e32 v14, 28, v13
	v_and_b32_e32 v6, 15, v6
	v_lshlrev_b32_sdwa v14, v14, v7 dst_sel:DWORD dst_unused:UNUSED_PAD src0_sel:DWORD src1_sel:WORD_1
	v_bfe_u32 v12, v7, 19, 4
	v_sub_u32_e32 v13, 29, v13
	v_and_b32_e32 v14, 7, v14
	v_cmp_eq_u16_e32 vcc, 0, v6
	v_cndmask_b32_e32 v2, v2, v14, vcc
	v_cndmask_b32_e32 v6, v12, v13, vcc
	v_lshlrev_b32_e32 v12, 8, v7
	v_mov_b32_e32 v13, 0x3b800000
	v_lshlrev_b32_e32 v2, 20, v2
	v_and_b32_e32 v12, 0x80000000, v12
	v_lshl_add_u32 v6, v6, 23, v13
	v_or3_b32 v2, v12, v6, v2
.LBB8_308:
	s_or_b64 exec, exec, s[6:7]
	s_movk_i32 s4, 0xff
	v_and_b32_sdwa v6, v3, s4 dst_sel:DWORD dst_unused:UNUSED_PAD src0_sel:WORD_1 src1_sel:DWORD
	s_movk_i32 s4, 0x7f
	v_cmp_lt_i16_e32 vcc, s4, v6
	s_mov_b64 s[4:5], 0
                                        ; implicit-def: $sgpr10
	s_and_saveexec_b64 s[6:7], vcc
	s_xor_b64 s[6:7], exec, s[6:7]
	s_cbranch_execnz .LBB8_2357
; %bb.309:
	s_or_saveexec_b64 s[6:7], s[6:7]
	v_mov_b32_e32 v12, s10
	s_xor_b64 exec, exec, s[6:7]
	s_cbranch_execnz .LBB8_2360
.LBB8_310:
	s_or_b64 exec, exec, s[6:7]
	s_and_saveexec_b64 s[6:7], s[4:5]
	s_cbranch_execz .LBB8_312
.LBB8_311:
	v_bfe_u32 v6, v3, 16, 3
	v_ffbh_u32_e32 v14, v6
	v_min_u32_e32 v14, 32, v14
	v_lshrrev_b32_e32 v12, 19, v3
	v_subrev_u32_e32 v15, 28, v14
	v_and_b32_e32 v12, 15, v12
	v_lshlrev_b32_sdwa v15, v15, v3 dst_sel:DWORD dst_unused:UNUSED_PAD src0_sel:DWORD src1_sel:WORD_1
	v_bfe_u32 v13, v3, 19, 4
	v_sub_u32_e32 v14, 29, v14
	v_and_b32_e32 v15, 7, v15
	v_cmp_eq_u16_e32 vcc, 0, v12
	v_cndmask_b32_e32 v6, v6, v15, vcc
	v_cndmask_b32_e32 v12, v13, v14, vcc
	v_lshlrev_b32_e32 v13, 8, v3
	v_mov_b32_e32 v14, 0x3b800000
	v_lshlrev_b32_e32 v6, 20, v6
	v_and_b32_e32 v13, 0x80000000, v13
	v_lshl_add_u32 v12, v12, 23, v14
	v_or3_b32 v12, v13, v12, v6
.LBB8_312:
	s_or_b64 exec, exec, s[6:7]
	s_nop 0
	v_mfma_f32_16x16x4f32 a[0:3], v2, v12, a[0:3]
	s_movk_i32 s4, 0x7f
	v_cmp_gt_i16_sdwa s[6:7], v7, s4 src0_sel:BYTE_3 src1_sel:DWORD
	s_mov_b64 s[4:5], 0
                                        ; implicit-def: $sgpr10
	s_and_saveexec_b64 s[8:9], s[6:7]
	s_xor_b64 s[6:7], exec, s[8:9]
	s_cbranch_execnz .LBB8_2361
; %bb.313:
	s_or_saveexec_b64 s[6:7], s[6:7]
	v_mov_b32_e32 v2, s10
	s_xor_b64 exec, exec, s[6:7]
	s_cbranch_execnz .LBB8_2364
.LBB8_314:
	s_or_b64 exec, exec, s[6:7]
	s_and_saveexec_b64 s[6:7], s[4:5]
	s_cbranch_execz .LBB8_316
.LBB8_315:
	v_bfe_u32 v2, v7, 24, 3
	v_ffbh_u32_e32 v14, v2
	v_min_u32_e32 v14, 32, v14
	v_lshrrev_b32_e32 v12, 27, v7
	v_subrev_u32_e32 v15, 28, v14
	v_and_b32_e32 v6, 0x80000000, v7
	v_and_b32_e32 v12, 15, v12
	v_bfe_u32 v13, v7, 27, 4
	v_lshlrev_b32_sdwa v7, v15, v7 dst_sel:DWORD dst_unused:UNUSED_PAD src0_sel:DWORD src1_sel:BYTE_3
	v_sub_u32_e32 v14, 29, v14
	v_and_b32_e32 v7, 7, v7
	v_cmp_eq_u16_e32 vcc, 0, v12
	v_cndmask_b32_e32 v2, v2, v7, vcc
	v_cndmask_b32_e32 v7, v13, v14, vcc
	v_mov_b32_e32 v12, 0x3b800000
	v_lshlrev_b32_e32 v2, 20, v2
	v_lshl_add_u32 v7, v7, 23, v12
	v_or3_b32 v2, v6, v7, v2
.LBB8_316:
	s_or_b64 exec, exec, s[6:7]
	s_movk_i32 s4, 0x7f
	v_cmp_gt_i16_sdwa s[6:7], v3, s4 src0_sel:BYTE_3 src1_sel:DWORD
	s_mov_b64 s[4:5], 0
                                        ; implicit-def: $sgpr10
	s_and_saveexec_b64 s[8:9], s[6:7]
	s_xor_b64 s[6:7], exec, s[8:9]
	s_cbranch_execnz .LBB8_2365
; %bb.317:
	s_or_saveexec_b64 s[6:7], s[6:7]
	v_mov_b32_e32 v6, s10
	s_xor_b64 exec, exec, s[6:7]
	s_cbranch_execnz .LBB8_2368
.LBB8_318:
	s_or_b64 exec, exec, s[6:7]
	s_and_saveexec_b64 s[6:7], s[4:5]
	s_cbranch_execz .LBB8_320
.LBB8_319:
	v_bfe_u32 v6, v3, 24, 3
	v_ffbh_u32_e32 v14, v6
	v_min_u32_e32 v14, 32, v14
	v_lshrrev_b32_e32 v12, 27, v3
	v_subrev_u32_e32 v15, 28, v14
	v_and_b32_e32 v7, 0x80000000, v3
	v_and_b32_e32 v12, 15, v12
	v_bfe_u32 v13, v3, 27, 4
	v_lshlrev_b32_sdwa v3, v15, v3 dst_sel:DWORD dst_unused:UNUSED_PAD src0_sel:DWORD src1_sel:BYTE_3
	v_sub_u32_e32 v14, 29, v14
	v_and_b32_e32 v3, 7, v3
	v_cmp_eq_u16_e32 vcc, 0, v12
	v_cndmask_b32_e32 v3, v6, v3, vcc
	v_cndmask_b32_e32 v6, v13, v14, vcc
	v_mov_b32_e32 v12, 0x3b800000
	v_lshlrev_b32_e32 v3, 20, v3
	v_lshl_add_u32 v6, v6, 23, v12
	v_or3_b32 v6, v7, v6, v3
.LBB8_320:
	s_or_b64 exec, exec, s[6:7]
	s_nop 0
	v_mfma_f32_16x16x4f32 a[0:3], v2, v6, a[0:3]
	s_movk_i32 s4, 0x7f
	v_cmp_gt_i16_sdwa s[6:7], v8, s4 src0_sel:BYTE_0 src1_sel:DWORD
	s_mov_b64 s[4:5], 0
                                        ; implicit-def: $sgpr10
	s_and_saveexec_b64 s[8:9], s[6:7]
	s_xor_b64 s[6:7], exec, s[8:9]
	s_cbranch_execnz .LBB8_2369
; %bb.321:
	s_or_saveexec_b64 s[6:7], s[6:7]
	v_mov_b32_e32 v2, s10
	s_xor_b64 exec, exec, s[6:7]
	s_cbranch_execnz .LBB8_2372
.LBB8_322:
	s_or_b64 exec, exec, s[6:7]
	s_and_saveexec_b64 s[6:7], s[4:5]
	s_cbranch_execz .LBB8_324
.LBB8_323:
	v_and_b32_e32 v2, 7, v8
	v_ffbh_u32_e32 v6, v2
	v_min_u32_e32 v6, 32, v6
	v_lshrrev_b16_e32 v3, 3, v8
	v_subrev_u32_e32 v7, 28, v6
	v_and_b32_e32 v3, 15, v3
	v_lshlrev_b32_e32 v7, v7, v8
	v_sub_u32_e32 v6, 29, v6
	v_and_b32_e32 v7, 7, v7
	v_cmp_eq_u16_e32 vcc, 0, v3
	v_cndmask_b32_e32 v2, v2, v7, vcc
	v_cndmask_b32_e32 v3, v3, v6, vcc
	v_lshlrev_b32_e32 v6, 24, v8
	v_mov_b32_e32 v7, 0x3b800000
	v_lshlrev_b32_e32 v2, 20, v2
	v_and_b32_e32 v6, 0x80000000, v6
	v_lshl_add_u32 v3, v3, 23, v7
	v_or3_b32 v2, v6, v3, v2
.LBB8_324:
	s_or_b64 exec, exec, s[6:7]
	s_movk_i32 s4, 0x7f
	v_cmp_gt_i16_sdwa s[6:7], v4, s4 src0_sel:BYTE_0 src1_sel:DWORD
	s_mov_b64 s[4:5], 0
                                        ; implicit-def: $sgpr10
	s_and_saveexec_b64 s[8:9], s[6:7]
	s_xor_b64 s[6:7], exec, s[8:9]
	s_cbranch_execnz .LBB8_2373
; %bb.325:
	s_or_saveexec_b64 s[6:7], s[6:7]
	v_mov_b32_e32 v3, s10
	s_xor_b64 exec, exec, s[6:7]
	s_cbranch_execnz .LBB8_2376
.LBB8_326:
	s_or_b64 exec, exec, s[6:7]
	s_and_saveexec_b64 s[6:7], s[4:5]
	s_cbranch_execz .LBB8_328
.LBB8_327:
	v_and_b32_e32 v3, 7, v4
	v_ffbh_u32_e32 v7, v3
	v_min_u32_e32 v7, 32, v7
	v_lshrrev_b16_e32 v6, 3, v4
	v_subrev_u32_e32 v12, 28, v7
	v_and_b32_e32 v6, 15, v6
	v_lshlrev_b32_e32 v12, v12, v4
	v_sub_u32_e32 v7, 29, v7
	v_and_b32_e32 v12, 7, v12
	v_cmp_eq_u16_e32 vcc, 0, v6
	v_cndmask_b32_e32 v3, v3, v12, vcc
	v_cndmask_b32_e32 v6, v6, v7, vcc
	v_lshlrev_b32_e32 v7, 24, v4
	v_mov_b32_e32 v12, 0x3b800000
	v_lshlrev_b32_e32 v3, 20, v3
	v_and_b32_e32 v7, 0x80000000, v7
	v_lshl_add_u32 v6, v6, 23, v12
	v_or3_b32 v3, v7, v6, v3
.LBB8_328:
	s_or_b64 exec, exec, s[6:7]
	s_nop 0
	v_mfma_f32_16x16x4f32 a[0:3], v2, v3, a[0:3]
	v_lshrrev_b32_e32 v3, 8, v8
	s_movk_i32 s4, 0x7f
	v_cmp_gt_i16_sdwa s[6:7], v3, s4 src0_sel:BYTE_0 src1_sel:DWORD
	s_mov_b64 s[4:5], 0
                                        ; implicit-def: $sgpr10
	s_and_saveexec_b64 s[8:9], s[6:7]
	s_xor_b64 s[6:7], exec, s[8:9]
	s_cbranch_execnz .LBB8_2377
; %bb.329:
	s_or_saveexec_b64 s[6:7], s[6:7]
	v_mov_b32_e32 v2, s10
	s_xor_b64 exec, exec, s[6:7]
	s_cbranch_execnz .LBB8_2380
.LBB8_330:
	s_or_b64 exec, exec, s[6:7]
	s_and_saveexec_b64 s[6:7], s[4:5]
	s_cbranch_execz .LBB8_332
.LBB8_331:
	v_bfe_u32 v2, v8, 8, 3
	v_ffbh_u32_e32 v7, v2
	v_min_u32_e32 v7, 32, v7
	v_lshrrev_b16_e32 v6, 3, v3
	v_subrev_u32_e32 v12, 28, v7
	v_and_b32_e32 v6, 15, v6
	v_lshlrev_b32_e32 v3, v12, v3
	v_sub_u32_e32 v7, 29, v7
	v_and_b32_e32 v3, 7, v3
	v_cmp_eq_u16_e32 vcc, 0, v6
	v_cndmask_b32_e32 v2, v2, v3, vcc
	v_cndmask_b32_e32 v3, v6, v7, vcc
	v_lshlrev_b32_e32 v6, 16, v8
	v_mov_b32_e32 v7, 0x3b800000
	v_lshlrev_b32_e32 v2, 20, v2
	v_and_b32_e32 v6, 0x80000000, v6
	v_lshl_add_u32 v3, v3, 23, v7
	v_or3_b32 v2, v6, v3, v2
.LBB8_332:
	s_or_b64 exec, exec, s[6:7]
	v_lshrrev_b32_e32 v3, 8, v4
	s_movk_i32 s4, 0x7f
	v_cmp_gt_i16_sdwa s[6:7], v3, s4 src0_sel:BYTE_0 src1_sel:DWORD
	s_mov_b64 s[4:5], 0
                                        ; implicit-def: $sgpr10
	s_and_saveexec_b64 s[8:9], s[6:7]
	s_xor_b64 s[6:7], exec, s[8:9]
	s_cbranch_execnz .LBB8_2381
; %bb.333:
	s_or_saveexec_b64 s[6:7], s[6:7]
	v_mov_b32_e32 v6, s10
	s_xor_b64 exec, exec, s[6:7]
	s_cbranch_execnz .LBB8_2384
.LBB8_334:
	s_or_b64 exec, exec, s[6:7]
	s_and_saveexec_b64 s[6:7], s[4:5]
	s_cbranch_execz .LBB8_336
.LBB8_335:
	v_bfe_u32 v6, v4, 8, 3
	v_ffbh_u32_e32 v12, v6
	v_min_u32_e32 v12, 32, v12
	v_lshrrev_b16_e32 v7, 3, v3
	v_subrev_u32_e32 v13, 28, v12
	v_and_b32_e32 v7, 15, v7
	v_lshlrev_b32_e32 v3, v13, v3
	v_sub_u32_e32 v12, 29, v12
	v_and_b32_e32 v3, 7, v3
	v_cmp_eq_u16_e32 vcc, 0, v7
	v_cndmask_b32_e32 v3, v6, v3, vcc
	v_cndmask_b32_e32 v6, v7, v12, vcc
	v_lshlrev_b32_e32 v7, 16, v4
	v_mov_b32_e32 v12, 0x3b800000
	v_lshlrev_b32_e32 v3, 20, v3
	v_and_b32_e32 v7, 0x80000000, v7
	v_lshl_add_u32 v6, v6, 23, v12
	v_or3_b32 v6, v7, v6, v3
.LBB8_336:
	s_or_b64 exec, exec, s[6:7]
	s_nop 0
	v_mfma_f32_16x16x4f32 a[0:3], v2, v6, a[0:3]
	s_movk_i32 s4, 0xff
	v_and_b32_sdwa v3, v8, s4 dst_sel:DWORD dst_unused:UNUSED_PAD src0_sel:WORD_1 src1_sel:DWORD
	s_movk_i32 s4, 0x7f
	v_cmp_lt_i16_e32 vcc, s4, v3
	s_mov_b64 s[4:5], 0
                                        ; implicit-def: $sgpr10
	s_and_saveexec_b64 s[6:7], vcc
	s_xor_b64 s[6:7], exec, s[6:7]
	s_cbranch_execnz .LBB8_2385
; %bb.337:
	s_or_saveexec_b64 s[6:7], s[6:7]
	v_mov_b32_e32 v2, s10
	s_xor_b64 exec, exec, s[6:7]
	s_cbranch_execnz .LBB8_2388
.LBB8_338:
	s_or_b64 exec, exec, s[6:7]
	s_and_saveexec_b64 s[6:7], s[4:5]
	s_cbranch_execz .LBB8_340
.LBB8_339:
	v_bfe_u32 v2, v8, 16, 3
	v_ffbh_u32_e32 v7, v2
	v_min_u32_e32 v7, 32, v7
	v_lshrrev_b32_e32 v3, 19, v8
	v_subrev_u32_e32 v12, 28, v7
	v_and_b32_e32 v3, 15, v3
	v_lshlrev_b32_sdwa v12, v12, v8 dst_sel:DWORD dst_unused:UNUSED_PAD src0_sel:DWORD src1_sel:WORD_1
	v_bfe_u32 v6, v8, 19, 4
	v_sub_u32_e32 v7, 29, v7
	v_and_b32_e32 v12, 7, v12
	v_cmp_eq_u16_e32 vcc, 0, v3
	v_cndmask_b32_e32 v2, v2, v12, vcc
	v_cndmask_b32_e32 v3, v6, v7, vcc
	v_lshlrev_b32_e32 v6, 8, v8
	v_mov_b32_e32 v7, 0x3b800000
	v_lshlrev_b32_e32 v2, 20, v2
	v_and_b32_e32 v6, 0x80000000, v6
	v_lshl_add_u32 v3, v3, 23, v7
	v_or3_b32 v2, v6, v3, v2
.LBB8_340:
	s_or_b64 exec, exec, s[6:7]
	s_movk_i32 s4, 0xff
	v_and_b32_sdwa v3, v4, s4 dst_sel:DWORD dst_unused:UNUSED_PAD src0_sel:WORD_1 src1_sel:DWORD
	s_movk_i32 s4, 0x7f
	v_cmp_lt_i16_e32 vcc, s4, v3
	s_mov_b64 s[4:5], 0
                                        ; implicit-def: $sgpr10
	s_and_saveexec_b64 s[6:7], vcc
	s_xor_b64 s[6:7], exec, s[6:7]
	s_cbranch_execnz .LBB8_2389
; %bb.341:
	s_or_saveexec_b64 s[6:7], s[6:7]
	v_mov_b32_e32 v6, s10
	s_xor_b64 exec, exec, s[6:7]
	s_cbranch_execnz .LBB8_2392
.LBB8_342:
	s_or_b64 exec, exec, s[6:7]
	s_and_saveexec_b64 s[6:7], s[4:5]
	s_cbranch_execz .LBB8_344
.LBB8_343:
	v_bfe_u32 v3, v4, 16, 3
	v_ffbh_u32_e32 v12, v3
	v_min_u32_e32 v12, 32, v12
	v_lshrrev_b32_e32 v6, 19, v4
	v_subrev_u32_e32 v13, 28, v12
	v_and_b32_e32 v6, 15, v6
	v_lshlrev_b32_sdwa v13, v13, v4 dst_sel:DWORD dst_unused:UNUSED_PAD src0_sel:DWORD src1_sel:WORD_1
	v_bfe_u32 v7, v4, 19, 4
	v_sub_u32_e32 v12, 29, v12
	v_and_b32_e32 v13, 7, v13
	v_cmp_eq_u16_e32 vcc, 0, v6
	v_cndmask_b32_e32 v3, v3, v13, vcc
	v_cndmask_b32_e32 v6, v7, v12, vcc
	v_lshlrev_b32_e32 v7, 8, v4
	v_mov_b32_e32 v12, 0x3b800000
	v_lshlrev_b32_e32 v3, 20, v3
	v_and_b32_e32 v7, 0x80000000, v7
	v_lshl_add_u32 v6, v6, 23, v12
	v_or3_b32 v6, v7, v6, v3
.LBB8_344:
	s_or_b64 exec, exec, s[6:7]
	s_nop 0
	v_mfma_f32_16x16x4f32 a[0:3], v2, v6, a[0:3]
	s_movk_i32 s4, 0x7f
	v_cmp_gt_i16_sdwa s[6:7], v8, s4 src0_sel:BYTE_3 src1_sel:DWORD
	s_mov_b64 s[4:5], 0
                                        ; implicit-def: $sgpr10
	s_and_saveexec_b64 s[8:9], s[6:7]
	s_xor_b64 s[6:7], exec, s[8:9]
	s_cbranch_execnz .LBB8_2393
; %bb.345:
	s_or_saveexec_b64 s[6:7], s[6:7]
	v_mov_b32_e32 v2, s10
	s_xor_b64 exec, exec, s[6:7]
	s_cbranch_execnz .LBB8_2396
.LBB8_346:
	s_or_b64 exec, exec, s[6:7]
	s_and_saveexec_b64 s[6:7], s[4:5]
	s_cbranch_execz .LBB8_348
.LBB8_347:
	v_bfe_u32 v2, v8, 24, 3
	v_ffbh_u32_e32 v12, v2
	v_min_u32_e32 v12, 32, v12
	v_lshrrev_b32_e32 v6, 27, v8
	v_subrev_u32_e32 v13, 28, v12
	v_and_b32_e32 v3, 0x80000000, v8
	v_and_b32_e32 v6, 15, v6
	v_bfe_u32 v7, v8, 27, 4
	v_lshlrev_b32_sdwa v8, v13, v8 dst_sel:DWORD dst_unused:UNUSED_PAD src0_sel:DWORD src1_sel:BYTE_3
	v_sub_u32_e32 v12, 29, v12
	v_and_b32_e32 v8, 7, v8
	v_cmp_eq_u16_e32 vcc, 0, v6
	v_cndmask_b32_e32 v2, v2, v8, vcc
	v_cndmask_b32_e32 v6, v7, v12, vcc
	v_mov_b32_e32 v7, 0x3b800000
	v_lshlrev_b32_e32 v2, 20, v2
	v_lshl_add_u32 v6, v6, 23, v7
	v_or3_b32 v2, v3, v6, v2
.LBB8_348:
	s_or_b64 exec, exec, s[6:7]
	s_movk_i32 s4, 0x7f
	v_cmp_gt_i16_sdwa s[6:7], v4, s4 src0_sel:BYTE_3 src1_sel:DWORD
	s_mov_b64 s[4:5], 0
                                        ; implicit-def: $sgpr10
	s_and_saveexec_b64 s[8:9], s[6:7]
	s_xor_b64 s[6:7], exec, s[8:9]
	s_cbranch_execnz .LBB8_2397
; %bb.349:
	s_or_saveexec_b64 s[6:7], s[6:7]
	v_mov_b32_e32 v3, s10
	s_xor_b64 exec, exec, s[6:7]
	s_cbranch_execnz .LBB8_2400
.LBB8_350:
	s_or_b64 exec, exec, s[6:7]
	s_and_saveexec_b64 s[6:7], s[4:5]
	s_cbranch_execz .LBB8_352
.LBB8_351:
	v_bfe_u32 v3, v4, 24, 3
	v_ffbh_u32_e32 v12, v3
	v_min_u32_e32 v12, 32, v12
	v_lshrrev_b32_e32 v7, 27, v4
	v_subrev_u32_e32 v13, 28, v12
	v_and_b32_e32 v6, 0x80000000, v4
	v_and_b32_e32 v7, 15, v7
	v_bfe_u32 v8, v4, 27, 4
	v_lshlrev_b32_sdwa v4, v13, v4 dst_sel:DWORD dst_unused:UNUSED_PAD src0_sel:DWORD src1_sel:BYTE_3
	v_sub_u32_e32 v12, 29, v12
	v_and_b32_e32 v4, 7, v4
	v_cmp_eq_u16_e32 vcc, 0, v7
	v_cndmask_b32_e32 v3, v3, v4, vcc
	v_cndmask_b32_e32 v4, v8, v12, vcc
	v_mov_b32_e32 v7, 0x3b800000
	v_lshlrev_b32_e32 v3, 20, v3
	v_lshl_add_u32 v4, v4, 23, v7
	v_or3_b32 v3, v6, v4, v3
.LBB8_352:
	s_or_b64 exec, exec, s[6:7]
	s_nop 0
	v_mfma_f32_16x16x4f32 a[0:3], v2, v3, a[0:3]
	s_movk_i32 s4, 0x7f
	v_cmp_gt_i16_sdwa s[6:7], v9, s4 src0_sel:BYTE_0 src1_sel:DWORD
	s_mov_b64 s[4:5], 0
                                        ; implicit-def: $sgpr10
	s_and_saveexec_b64 s[8:9], s[6:7]
	s_xor_b64 s[6:7], exec, s[8:9]
	s_cbranch_execnz .LBB8_2401
; %bb.353:
	s_or_saveexec_b64 s[6:7], s[6:7]
	v_mov_b32_e32 v2, s10
	s_xor_b64 exec, exec, s[6:7]
	s_cbranch_execnz .LBB8_2404
.LBB8_354:
	s_or_b64 exec, exec, s[6:7]
	s_and_saveexec_b64 s[6:7], s[4:5]
	s_cbranch_execz .LBB8_356
.LBB8_355:
	v_mov_b32_e32 v2, 8
	v_and_b32_e32 v3, 7, v9
	v_lshrrev_b32_sdwa v2, v2, v9 dst_sel:BYTE_1 dst_unused:UNUSED_PAD src0_sel:DWORD src1_sel:DWORD
	v_ffbh_u32_e32 v4, v3
	v_or_b32_sdwa v2, v9, v2 dst_sel:DWORD dst_unused:UNUSED_PAD src0_sel:BYTE_0 src1_sel:DWORD
	v_min_u32_e32 v4, 32, v4
	v_lshrrev_b16_e32 v2, 3, v2
	v_subrev_u32_e32 v6, 28, v4
	v_and_b32_e32 v2, 15, v2
	v_lshlrev_b32_e32 v6, v6, v9
	v_sub_u32_e32 v4, 29, v4
	v_and_b32_e32 v6, 7, v6
	v_cmp_eq_u16_e32 vcc, 0, v2
	v_cndmask_b32_e32 v3, v3, v6, vcc
	v_cndmask_b32_e32 v2, v2, v4, vcc
	v_lshlrev_b32_e32 v4, 24, v9
	v_mov_b32_e32 v6, 0x3b800000
	v_lshlrev_b32_e32 v3, 20, v3
	v_and_b32_e32 v4, 0x80000000, v4
	v_lshl_add_u32 v2, v2, 23, v6
	v_or3_b32 v2, v4, v2, v3
.LBB8_356:
	s_or_b64 exec, exec, s[6:7]
	s_movk_i32 s4, 0x7f
	v_cmp_gt_i16_sdwa s[6:7], v5, s4 src0_sel:BYTE_0 src1_sel:DWORD
	s_mov_b64 s[4:5], 0
                                        ; implicit-def: $sgpr10
	s_and_saveexec_b64 s[8:9], s[6:7]
	s_xor_b64 s[6:7], exec, s[8:9]
	s_cbranch_execnz .LBB8_2405
; %bb.357:
	s_or_saveexec_b64 s[6:7], s[6:7]
	v_mov_b32_e32 v3, s10
	s_xor_b64 exec, exec, s[6:7]
	s_cbranch_execnz .LBB8_2408
.LBB8_358:
	s_or_b64 exec, exec, s[6:7]
	s_and_saveexec_b64 s[6:7], s[4:5]
	s_cbranch_execz .LBB8_360
.LBB8_359:
	v_mov_b32_e32 v3, 8
	v_and_b32_e32 v4, 7, v5
	v_lshrrev_b32_sdwa v3, v3, v5 dst_sel:BYTE_1 dst_unused:UNUSED_PAD src0_sel:DWORD src1_sel:DWORD
	v_ffbh_u32_e32 v6, v4
	v_or_b32_sdwa v3, v5, v3 dst_sel:DWORD dst_unused:UNUSED_PAD src0_sel:BYTE_0 src1_sel:DWORD
	v_min_u32_e32 v6, 32, v6
	v_lshrrev_b16_e32 v3, 3, v3
	v_subrev_u32_e32 v7, 28, v6
	v_and_b32_e32 v3, 15, v3
	v_lshlrev_b32_e32 v7, v7, v5
	v_sub_u32_e32 v6, 29, v6
	v_and_b32_e32 v7, 7, v7
	v_cmp_eq_u16_e32 vcc, 0, v3
	v_cndmask_b32_e32 v4, v4, v7, vcc
	v_cndmask_b32_e32 v3, v3, v6, vcc
	v_lshlrev_b32_e32 v6, 24, v5
	v_mov_b32_e32 v7, 0x3b800000
	v_lshlrev_b32_e32 v4, 20, v4
	v_and_b32_e32 v6, 0x80000000, v6
	v_lshl_add_u32 v3, v3, 23, v7
	v_or3_b32 v3, v6, v3, v4
.LBB8_360:
	s_or_b64 exec, exec, s[6:7]
	s_nop 0
	v_mfma_f32_16x16x4f32 a[0:3], v2, v3, a[0:3]
	v_lshrrev_b32_e32 v3, 8, v9
	s_movk_i32 s4, 0x7f
	v_cmp_gt_i16_sdwa s[6:7], v3, s4 src0_sel:BYTE_0 src1_sel:DWORD
	s_mov_b64 s[4:5], 0
                                        ; implicit-def: $sgpr10
	s_and_saveexec_b64 s[8:9], s[6:7]
	s_xor_b64 s[6:7], exec, s[8:9]
	s_cbranch_execnz .LBB8_2409
; %bb.361:
	s_or_saveexec_b64 s[6:7], s[6:7]
	v_mov_b32_e32 v2, s10
	s_xor_b64 exec, exec, s[6:7]
	s_cbranch_execnz .LBB8_2412
.LBB8_362:
	s_or_b64 exec, exec, s[6:7]
	s_and_saveexec_b64 s[6:7], s[4:5]
	s_cbranch_execz .LBB8_364
.LBB8_363:
	v_bfe_u32 v2, v9, 8, 3
	v_ffbh_u32_e32 v6, v2
	v_min_u32_e32 v6, 32, v6
	v_lshrrev_b16_e32 v4, 3, v3
	v_subrev_u32_e32 v7, 28, v6
	v_and_b32_e32 v4, 15, v4
	v_lshlrev_b32_e32 v3, v7, v3
	v_sub_u32_e32 v6, 29, v6
	v_and_b32_e32 v3, 7, v3
	v_cmp_eq_u16_e32 vcc, 0, v4
	v_cndmask_b32_e32 v2, v2, v3, vcc
	v_cndmask_b32_e32 v3, v4, v6, vcc
	v_lshlrev_b32_e32 v4, 16, v9
	v_mov_b32_e32 v6, 0x3b800000
	v_lshlrev_b32_e32 v2, 20, v2
	v_and_b32_e32 v4, 0x80000000, v4
	v_lshl_add_u32 v3, v3, 23, v6
	v_or3_b32 v2, v4, v3, v2
.LBB8_364:
	s_or_b64 exec, exec, s[6:7]
	v_lshrrev_b32_e32 v3, 8, v5
	s_movk_i32 s4, 0x7f
	v_cmp_gt_i16_sdwa s[6:7], v3, s4 src0_sel:BYTE_0 src1_sel:DWORD
	s_mov_b64 s[4:5], 0
                                        ; implicit-def: $sgpr10
	s_and_saveexec_b64 s[8:9], s[6:7]
	s_xor_b64 s[6:7], exec, s[8:9]
	s_cbranch_execnz .LBB8_2413
; %bb.365:
	s_or_saveexec_b64 s[6:7], s[6:7]
	v_mov_b32_e32 v4, s10
	s_xor_b64 exec, exec, s[6:7]
	s_cbranch_execnz .LBB8_2416
.LBB8_366:
	s_or_b64 exec, exec, s[6:7]
	s_and_saveexec_b64 s[6:7], s[4:5]
	s_cbranch_execz .LBB8_368
.LBB8_367:
	v_bfe_u32 v4, v5, 8, 3
	v_ffbh_u32_e32 v7, v4
	v_min_u32_e32 v7, 32, v7
	v_lshrrev_b16_e32 v6, 3, v3
	v_subrev_u32_e32 v8, 28, v7
	v_and_b32_e32 v6, 15, v6
	v_lshlrev_b32_e32 v3, v8, v3
	v_sub_u32_e32 v7, 29, v7
	v_and_b32_e32 v3, 7, v3
	v_cmp_eq_u16_e32 vcc, 0, v6
	v_cndmask_b32_e32 v3, v4, v3, vcc
	v_cndmask_b32_e32 v4, v6, v7, vcc
	v_lshlrev_b32_e32 v6, 16, v5
	v_mov_b32_e32 v7, 0x3b800000
	v_lshlrev_b32_e32 v3, 20, v3
	v_and_b32_e32 v6, 0x80000000, v6
	v_lshl_add_u32 v4, v4, 23, v7
	v_or3_b32 v4, v6, v4, v3
.LBB8_368:
	s_or_b64 exec, exec, s[6:7]
	s_nop 0
	v_mfma_f32_16x16x4f32 a[0:3], v2, v4, a[0:3]
	s_movk_i32 s4, 0xff
	v_and_b32_sdwa v3, v9, s4 dst_sel:DWORD dst_unused:UNUSED_PAD src0_sel:WORD_1 src1_sel:DWORD
	s_movk_i32 s4, 0x7f
	v_cmp_lt_i16_e32 vcc, s4, v3
	s_mov_b64 s[4:5], 0
                                        ; implicit-def: $sgpr10
	s_and_saveexec_b64 s[6:7], vcc
	s_xor_b64 s[6:7], exec, s[6:7]
	s_cbranch_execnz .LBB8_2417
; %bb.369:
	s_or_saveexec_b64 s[6:7], s[6:7]
	v_mov_b32_e32 v2, s10
	s_xor_b64 exec, exec, s[6:7]
	s_cbranch_execnz .LBB8_2420
.LBB8_370:
	s_or_b64 exec, exec, s[6:7]
	s_and_saveexec_b64 s[6:7], s[4:5]
	s_cbranch_execz .LBB8_372
.LBB8_371:
	v_bfe_u32 v2, v9, 16, 3
	v_ffbh_u32_e32 v6, v2
	v_min_u32_e32 v6, 32, v6
	v_lshrrev_b32_e32 v3, 19, v9
	v_subrev_u32_e32 v7, 28, v6
	v_and_b32_e32 v3, 15, v3
	v_lshlrev_b32_sdwa v7, v7, v9 dst_sel:DWORD dst_unused:UNUSED_PAD src0_sel:DWORD src1_sel:WORD_1
	v_bfe_u32 v4, v9, 19, 4
	v_sub_u32_e32 v6, 29, v6
	v_and_b32_e32 v7, 7, v7
	v_cmp_eq_u16_e32 vcc, 0, v3
	v_cndmask_b32_e32 v2, v2, v7, vcc
	v_cndmask_b32_e32 v3, v4, v6, vcc
	v_lshlrev_b32_e32 v4, 8, v9
	v_mov_b32_e32 v6, 0x3b800000
	v_lshlrev_b32_e32 v2, 20, v2
	v_and_b32_e32 v4, 0x80000000, v4
	v_lshl_add_u32 v3, v3, 23, v6
	v_or3_b32 v2, v4, v3, v2
.LBB8_372:
	s_or_b64 exec, exec, s[6:7]
	s_movk_i32 s4, 0xff
	v_and_b32_sdwa v3, v5, s4 dst_sel:DWORD dst_unused:UNUSED_PAD src0_sel:WORD_1 src1_sel:DWORD
	s_movk_i32 s4, 0x7f
	v_cmp_lt_i16_e32 vcc, s4, v3
	s_mov_b64 s[4:5], 0
                                        ; implicit-def: $sgpr10
	s_and_saveexec_b64 s[6:7], vcc
	s_xor_b64 s[6:7], exec, s[6:7]
	s_cbranch_execnz .LBB8_2421
; %bb.373:
	s_or_saveexec_b64 s[6:7], s[6:7]
	v_mov_b32_e32 v4, s10
	s_xor_b64 exec, exec, s[6:7]
	s_cbranch_execnz .LBB8_2424
.LBB8_374:
	s_or_b64 exec, exec, s[6:7]
	s_and_saveexec_b64 s[6:7], s[4:5]
	s_cbranch_execz .LBB8_376
.LBB8_375:
	v_bfe_u32 v3, v5, 16, 3
	v_ffbh_u32_e32 v7, v3
	v_min_u32_e32 v7, 32, v7
	v_lshrrev_b32_e32 v4, 19, v5
	v_subrev_u32_e32 v8, 28, v7
	v_and_b32_e32 v4, 15, v4
	v_lshlrev_b32_sdwa v8, v8, v5 dst_sel:DWORD dst_unused:UNUSED_PAD src0_sel:DWORD src1_sel:WORD_1
	v_bfe_u32 v6, v5, 19, 4
	v_sub_u32_e32 v7, 29, v7
	v_and_b32_e32 v8, 7, v8
	v_cmp_eq_u16_e32 vcc, 0, v4
	v_cndmask_b32_e32 v3, v3, v8, vcc
	v_cndmask_b32_e32 v4, v6, v7, vcc
	v_lshlrev_b32_e32 v6, 8, v5
	v_mov_b32_e32 v7, 0x3b800000
	v_lshlrev_b32_e32 v3, 20, v3
	v_and_b32_e32 v6, 0x80000000, v6
	v_lshl_add_u32 v4, v4, 23, v7
	v_or3_b32 v4, v6, v4, v3
.LBB8_376:
	s_or_b64 exec, exec, s[6:7]
	s_nop 0
	v_mfma_f32_16x16x4f32 a[0:3], v2, v4, a[0:3]
	s_movk_i32 s4, 0x7f
	v_cmp_gt_i16_sdwa s[6:7], v9, s4 src0_sel:BYTE_3 src1_sel:DWORD
	s_mov_b64 s[4:5], 0
                                        ; implicit-def: $sgpr10
	s_and_saveexec_b64 s[8:9], s[6:7]
	s_xor_b64 s[6:7], exec, s[8:9]
	s_cbranch_execnz .LBB8_2425
; %bb.377:
	s_or_saveexec_b64 s[6:7], s[6:7]
	v_mov_b32_e32 v2, s10
	s_xor_b64 exec, exec, s[6:7]
	s_cbranch_execnz .LBB8_2428
.LBB8_378:
	s_or_b64 exec, exec, s[6:7]
	s_and_saveexec_b64 s[6:7], s[4:5]
	s_cbranch_execz .LBB8_380
.LBB8_379:
	v_bfe_u32 v2, v9, 24, 3
	v_ffbh_u32_e32 v7, v2
	v_min_u32_e32 v7, 32, v7
	v_lshrrev_b32_e32 v4, 27, v9
	v_subrev_u32_e32 v8, 28, v7
	v_and_b32_e32 v4, 15, v4
	v_lshlrev_b32_sdwa v8, v8, v9 dst_sel:DWORD dst_unused:UNUSED_PAD src0_sel:DWORD src1_sel:BYTE_3
	v_bfe_u32 v6, v9, 27, 4
	v_sub_u32_e32 v7, 29, v7
	v_and_b32_e32 v8, 7, v8
	v_cmp_eq_u16_e32 vcc, 0, v4
	v_cndmask_b32_e32 v2, v2, v8, vcc
	v_cndmask_b32_e32 v4, v6, v7, vcc
	v_mov_b32_e32 v6, 0x3b800000
	v_and_b32_e32 v3, 0x80000000, v9
	v_lshlrev_b32_e32 v2, 20, v2
	v_lshl_add_u32 v4, v4, 23, v6
	v_or3_b32 v2, v3, v4, v2
.LBB8_380:
	s_or_b64 exec, exec, s[6:7]
	s_movk_i32 s4, 0x7f
	v_cmp_gt_i16_sdwa s[6:7], v5, s4 src0_sel:BYTE_3 src1_sel:DWORD
	s_mov_b64 s[4:5], 0
                                        ; implicit-def: $sgpr10
	s_and_saveexec_b64 s[8:9], s[6:7]
	s_xor_b64 s[6:7], exec, s[8:9]
	s_cbranch_execnz .LBB8_2429
; %bb.381:
	s_or_saveexec_b64 s[6:7], s[6:7]
	v_mov_b32_e32 v3, s10
	s_xor_b64 exec, exec, s[6:7]
	s_cbranch_execnz .LBB8_2432
.LBB8_382:
	s_or_b64 exec, exec, s[6:7]
	s_and_saveexec_b64 s[6:7], s[4:5]
	s_cbranch_execz .LBB8_384
.LBB8_383:
	v_bfe_u32 v3, v5, 24, 3
	v_ffbh_u32_e32 v8, v3
	v_min_u32_e32 v8, 32, v8
	v_lshrrev_b32_e32 v6, 27, v5
	v_subrev_u32_e32 v9, 28, v8
	v_and_b32_e32 v4, 0x80000000, v5
	v_and_b32_e32 v6, 15, v6
	v_bfe_u32 v7, v5, 27, 4
	v_lshlrev_b32_sdwa v5, v9, v5 dst_sel:DWORD dst_unused:UNUSED_PAD src0_sel:DWORD src1_sel:BYTE_3
	v_sub_u32_e32 v8, 29, v8
	v_and_b32_e32 v5, 7, v5
	v_cmp_eq_u16_e32 vcc, 0, v6
	v_cndmask_b32_e32 v3, v3, v5, vcc
	v_cndmask_b32_e32 v5, v7, v8, vcc
	v_mov_b32_e32 v6, 0x3b800000
	v_lshlrev_b32_e32 v3, 20, v3
	v_lshl_add_u32 v5, v5, 23, v6
	v_or3_b32 v3, v4, v5, v3
.LBB8_384:
	s_or_b64 exec, exec, s[6:7]
	s_nop 0
	v_mfma_f32_16x16x4f32 a[0:3], v2, v3, a[0:3]
	s_movk_i32 s4, 0x7f
                                        ; implicit-def: $sgpr10
	s_nop 7
	s_nop 1
	flat_store_dwordx4 v[10:11], a[0:3] offset:32
	flat_load_dwordx4 v[12:15], v[0:1] offset:8
	s_nop 0
	flat_load_dwordx2 v[10:11], v[0:1] offset:32
	s_waitcnt vmcnt(0) lgkmcnt(0)
	flat_load_dwordx4 v[6:9], v[12:13]
	flat_load_dwordx4 v[2:5], v[14:15] offset:96
	s_waitcnt vmcnt(0) lgkmcnt(0)
	v_cmp_gt_i16_sdwa s[6:7], v6, s4 src0_sel:BYTE_0 src1_sel:DWORD
	s_mov_b64 s[4:5], 0
	s_and_saveexec_b64 s[8:9], s[6:7]
	s_xor_b64 s[6:7], exec, s[8:9]
	s_cbranch_execnz .LBB8_2433
; %bb.385:
	s_or_saveexec_b64 s[6:7], s[6:7]
	v_mov_b32_e32 v12, s10
	s_xor_b64 exec, exec, s[6:7]
	s_cbranch_execnz .LBB8_2436
.LBB8_386:
	s_or_b64 exec, exec, s[6:7]
	s_and_saveexec_b64 s[6:7], s[4:5]
	s_cbranch_execz .LBB8_388
.LBB8_387:
	v_and_b32_e32 v12, 7, v6
	v_ffbh_u32_e32 v14, v12
	v_min_u32_e32 v14, 32, v14
	v_lshrrev_b16_e32 v13, 3, v6
	v_subrev_u32_e32 v15, 28, v14
	v_and_b32_e32 v13, 15, v13
	v_lshlrev_b32_e32 v15, v15, v6
	v_sub_u32_e32 v14, 29, v14
	v_and_b32_e32 v15, 7, v15
	v_cmp_eq_u16_e32 vcc, 0, v13
	v_cndmask_b32_e32 v12, v12, v15, vcc
	v_cndmask_b32_e32 v13, v13, v14, vcc
	v_lshlrev_b32_e32 v14, 24, v6
	v_mov_b32_e32 v15, 0x3b800000
	v_lshlrev_b32_e32 v12, 20, v12
	v_and_b32_e32 v14, 0x80000000, v14
	v_lshl_add_u32 v13, v13, 23, v15
	v_or3_b32 v12, v14, v13, v12
.LBB8_388:
	s_or_b64 exec, exec, s[6:7]
	s_movk_i32 s4, 0x7f
	v_cmp_gt_i16_sdwa s[6:7], v2, s4 src0_sel:BYTE_0 src1_sel:DWORD
	s_mov_b64 s[4:5], 0
                                        ; implicit-def: $sgpr10
	s_and_saveexec_b64 s[8:9], s[6:7]
	s_xor_b64 s[6:7], exec, s[8:9]
	s_cbranch_execnz .LBB8_2437
; %bb.389:
	s_or_saveexec_b64 s[6:7], s[6:7]
	v_mov_b32_e32 v13, s10
	s_xor_b64 exec, exec, s[6:7]
	s_cbranch_execnz .LBB8_2440
.LBB8_390:
	s_or_b64 exec, exec, s[6:7]
	s_and_saveexec_b64 s[6:7], s[4:5]
	s_cbranch_execz .LBB8_392
.LBB8_391:
	v_and_b32_e32 v13, 7, v2
	v_ffbh_u32_e32 v15, v13
	v_min_u32_e32 v15, 32, v15
	v_lshrrev_b16_e32 v14, 3, v2
	v_subrev_u32_e32 v16, 28, v15
	v_and_b32_e32 v14, 15, v14
	v_lshlrev_b32_e32 v16, v16, v2
	v_sub_u32_e32 v15, 29, v15
	v_and_b32_e32 v16, 7, v16
	v_cmp_eq_u16_e32 vcc, 0, v14
	v_cndmask_b32_e32 v13, v13, v16, vcc
	v_cndmask_b32_e32 v14, v14, v15, vcc
	v_lshlrev_b32_e32 v15, 24, v2
	v_mov_b32_e32 v16, 0x3b800000
	v_lshlrev_b32_e32 v13, 20, v13
	v_and_b32_e32 v15, 0x80000000, v15
	v_lshl_add_u32 v14, v14, 23, v16
	v_or3_b32 v13, v15, v14, v13
.LBB8_392:
	s_or_b64 exec, exec, s[6:7]
	flat_load_dwordx4 a[0:3], v[10:11] offset:48
	s_movk_i32 s4, 0x7f
                                        ; implicit-def: $sgpr10
	s_waitcnt vmcnt(0) lgkmcnt(0)
	v_mfma_f32_16x16x4f32 a[0:3], v12, v13, a[0:3]
	v_lshrrev_b32_e32 v13, 8, v6
	v_cmp_gt_i16_sdwa s[6:7], v13, s4 src0_sel:BYTE_0 src1_sel:DWORD
	s_mov_b64 s[4:5], 0
	s_and_saveexec_b64 s[8:9], s[6:7]
	s_xor_b64 s[6:7], exec, s[8:9]
	s_cbranch_execnz .LBB8_2441
; %bb.393:
	s_or_saveexec_b64 s[6:7], s[6:7]
	v_mov_b32_e32 v12, s10
	s_xor_b64 exec, exec, s[6:7]
	s_cbranch_execnz .LBB8_2444
.LBB8_394:
	s_or_b64 exec, exec, s[6:7]
	s_and_saveexec_b64 s[6:7], s[4:5]
	s_cbranch_execz .LBB8_396
.LBB8_395:
	v_bfe_u32 v12, v6, 8, 3
	v_ffbh_u32_e32 v15, v12
	v_min_u32_e32 v15, 32, v15
	v_lshrrev_b16_e32 v14, 3, v13
	v_subrev_u32_e32 v16, 28, v15
	v_and_b32_e32 v14, 15, v14
	v_lshlrev_b32_e32 v13, v16, v13
	v_sub_u32_e32 v15, 29, v15
	v_and_b32_e32 v13, 7, v13
	v_cmp_eq_u16_e32 vcc, 0, v14
	v_cndmask_b32_e32 v12, v12, v13, vcc
	v_cndmask_b32_e32 v13, v14, v15, vcc
	v_lshlrev_b32_e32 v14, 16, v6
	v_mov_b32_e32 v15, 0x3b800000
	v_lshlrev_b32_e32 v12, 20, v12
	v_and_b32_e32 v14, 0x80000000, v14
	v_lshl_add_u32 v13, v13, 23, v15
	v_or3_b32 v12, v14, v13, v12
.LBB8_396:
	s_or_b64 exec, exec, s[6:7]
	v_lshrrev_b32_e32 v13, 8, v2
	s_movk_i32 s4, 0x7f
	v_cmp_gt_i16_sdwa s[6:7], v13, s4 src0_sel:BYTE_0 src1_sel:DWORD
	s_mov_b64 s[4:5], 0
                                        ; implicit-def: $sgpr10
	s_and_saveexec_b64 s[8:9], s[6:7]
	s_xor_b64 s[6:7], exec, s[8:9]
	s_cbranch_execnz .LBB8_2445
; %bb.397:
	s_or_saveexec_b64 s[6:7], s[6:7]
	v_mov_b32_e32 v14, s10
	s_xor_b64 exec, exec, s[6:7]
	s_cbranch_execnz .LBB8_2448
.LBB8_398:
	s_or_b64 exec, exec, s[6:7]
	s_and_saveexec_b64 s[6:7], s[4:5]
	s_cbranch_execz .LBB8_400
.LBB8_399:
	v_bfe_u32 v14, v2, 8, 3
	v_ffbh_u32_e32 v16, v14
	v_min_u32_e32 v16, 32, v16
	v_lshrrev_b16_e32 v15, 3, v13
	v_subrev_u32_e32 v17, 28, v16
	v_and_b32_e32 v15, 15, v15
	v_lshlrev_b32_e32 v13, v17, v13
	v_sub_u32_e32 v16, 29, v16
	v_and_b32_e32 v13, 7, v13
	v_cmp_eq_u16_e32 vcc, 0, v15
	v_cndmask_b32_e32 v13, v14, v13, vcc
	v_cndmask_b32_e32 v14, v15, v16, vcc
	v_lshlrev_b32_e32 v15, 16, v2
	v_mov_b32_e32 v16, 0x3b800000
	v_lshlrev_b32_e32 v13, 20, v13
	v_and_b32_e32 v15, 0x80000000, v15
	v_lshl_add_u32 v14, v14, 23, v16
	v_or3_b32 v14, v15, v14, v13
.LBB8_400:
	s_or_b64 exec, exec, s[6:7]
	s_nop 0
	v_mfma_f32_16x16x4f32 a[0:3], v12, v14, a[0:3]
	s_movk_i32 s4, 0xff
	v_and_b32_sdwa v13, v6, s4 dst_sel:DWORD dst_unused:UNUSED_PAD src0_sel:WORD_1 src1_sel:DWORD
	s_movk_i32 s4, 0x7f
	v_cmp_lt_i16_e32 vcc, s4, v13
	s_mov_b64 s[4:5], 0
                                        ; implicit-def: $sgpr10
	s_and_saveexec_b64 s[6:7], vcc
	s_xor_b64 s[6:7], exec, s[6:7]
	s_cbranch_execnz .LBB8_2449
; %bb.401:
	s_or_saveexec_b64 s[6:7], s[6:7]
	v_mov_b32_e32 v12, s10
	s_xor_b64 exec, exec, s[6:7]
	s_cbranch_execnz .LBB8_2452
.LBB8_402:
	s_or_b64 exec, exec, s[6:7]
	s_and_saveexec_b64 s[6:7], s[4:5]
	s_cbranch_execz .LBB8_404
.LBB8_403:
	v_bfe_u32 v12, v6, 16, 3
	v_ffbh_u32_e32 v15, v12
	v_min_u32_e32 v15, 32, v15
	v_lshrrev_b32_e32 v13, 19, v6
	v_subrev_u32_e32 v16, 28, v15
	v_and_b32_e32 v13, 15, v13
	v_lshlrev_b32_sdwa v16, v16, v6 dst_sel:DWORD dst_unused:UNUSED_PAD src0_sel:DWORD src1_sel:WORD_1
	v_bfe_u32 v14, v6, 19, 4
	v_sub_u32_e32 v15, 29, v15
	v_and_b32_e32 v16, 7, v16
	v_cmp_eq_u16_e32 vcc, 0, v13
	v_cndmask_b32_e32 v12, v12, v16, vcc
	v_cndmask_b32_e32 v13, v14, v15, vcc
	v_lshlrev_b32_e32 v14, 8, v6
	v_mov_b32_e32 v15, 0x3b800000
	v_lshlrev_b32_e32 v12, 20, v12
	v_and_b32_e32 v14, 0x80000000, v14
	v_lshl_add_u32 v13, v13, 23, v15
	v_or3_b32 v12, v14, v13, v12
.LBB8_404:
	s_or_b64 exec, exec, s[6:7]
	s_movk_i32 s4, 0xff
	v_and_b32_sdwa v13, v2, s4 dst_sel:DWORD dst_unused:UNUSED_PAD src0_sel:WORD_1 src1_sel:DWORD
	s_movk_i32 s4, 0x7f
	v_cmp_lt_i16_e32 vcc, s4, v13
	s_mov_b64 s[4:5], 0
                                        ; implicit-def: $sgpr10
	s_and_saveexec_b64 s[6:7], vcc
	s_xor_b64 s[6:7], exec, s[6:7]
	s_cbranch_execnz .LBB8_2453
; %bb.405:
	s_or_saveexec_b64 s[6:7], s[6:7]
	v_mov_b32_e32 v14, s10
	s_xor_b64 exec, exec, s[6:7]
	s_cbranch_execnz .LBB8_2456
.LBB8_406:
	s_or_b64 exec, exec, s[6:7]
	s_and_saveexec_b64 s[6:7], s[4:5]
	s_cbranch_execz .LBB8_408
.LBB8_407:
	v_bfe_u32 v13, v2, 16, 3
	v_ffbh_u32_e32 v16, v13
	v_min_u32_e32 v16, 32, v16
	v_lshrrev_b32_e32 v14, 19, v2
	v_subrev_u32_e32 v17, 28, v16
	v_and_b32_e32 v14, 15, v14
	v_lshlrev_b32_sdwa v17, v17, v2 dst_sel:DWORD dst_unused:UNUSED_PAD src0_sel:DWORD src1_sel:WORD_1
	v_bfe_u32 v15, v2, 19, 4
	v_sub_u32_e32 v16, 29, v16
	v_and_b32_e32 v17, 7, v17
	v_cmp_eq_u16_e32 vcc, 0, v14
	v_cndmask_b32_e32 v13, v13, v17, vcc
	v_cndmask_b32_e32 v14, v15, v16, vcc
	v_lshlrev_b32_e32 v15, 8, v2
	v_mov_b32_e32 v16, 0x3b800000
	v_lshlrev_b32_e32 v13, 20, v13
	v_and_b32_e32 v15, 0x80000000, v15
	v_lshl_add_u32 v14, v14, 23, v16
	v_or3_b32 v14, v15, v14, v13
.LBB8_408:
	s_or_b64 exec, exec, s[6:7]
	s_nop 0
	v_mfma_f32_16x16x4f32 a[0:3], v12, v14, a[0:3]
	s_movk_i32 s4, 0x7f
	v_cmp_gt_i16_sdwa s[6:7], v6, s4 src0_sel:BYTE_3 src1_sel:DWORD
	s_mov_b64 s[4:5], 0
                                        ; implicit-def: $sgpr10
	s_and_saveexec_b64 s[8:9], s[6:7]
	s_xor_b64 s[6:7], exec, s[8:9]
	s_cbranch_execnz .LBB8_2457
; %bb.409:
	s_or_saveexec_b64 s[6:7], s[6:7]
	v_mov_b32_e32 v12, s10
	s_xor_b64 exec, exec, s[6:7]
	s_cbranch_execnz .LBB8_2460
.LBB8_410:
	s_or_b64 exec, exec, s[6:7]
	s_and_saveexec_b64 s[6:7], s[4:5]
	s_cbranch_execz .LBB8_412
.LBB8_411:
	v_bfe_u32 v12, v6, 24, 3
	v_ffbh_u32_e32 v16, v12
	v_min_u32_e32 v16, 32, v16
	v_lshrrev_b32_e32 v14, 27, v6
	v_subrev_u32_e32 v17, 28, v16
	v_and_b32_e32 v13, 0x80000000, v6
	v_and_b32_e32 v14, 15, v14
	v_bfe_u32 v15, v6, 27, 4
	v_lshlrev_b32_sdwa v6, v17, v6 dst_sel:DWORD dst_unused:UNUSED_PAD src0_sel:DWORD src1_sel:BYTE_3
	v_sub_u32_e32 v16, 29, v16
	v_and_b32_e32 v6, 7, v6
	v_cmp_eq_u16_e32 vcc, 0, v14
	v_cndmask_b32_e32 v6, v12, v6, vcc
	v_cndmask_b32_e32 v12, v15, v16, vcc
	v_mov_b32_e32 v14, 0x3b800000
	v_lshlrev_b32_e32 v6, 20, v6
	v_lshl_add_u32 v12, v12, 23, v14
	v_or3_b32 v12, v13, v12, v6
.LBB8_412:
	s_or_b64 exec, exec, s[6:7]
	s_movk_i32 s4, 0x7f
	v_cmp_gt_i16_sdwa s[6:7], v2, s4 src0_sel:BYTE_3 src1_sel:DWORD
	s_mov_b64 s[4:5], 0
                                        ; implicit-def: $sgpr10
	s_and_saveexec_b64 s[8:9], s[6:7]
	s_xor_b64 s[6:7], exec, s[8:9]
	s_cbranch_execnz .LBB8_2461
; %bb.413:
	s_or_saveexec_b64 s[6:7], s[6:7]
	v_mov_b32_e32 v6, s10
	s_xor_b64 exec, exec, s[6:7]
	s_cbranch_execnz .LBB8_2464
.LBB8_414:
	s_or_b64 exec, exec, s[6:7]
	s_and_saveexec_b64 s[6:7], s[4:5]
	s_cbranch_execz .LBB8_416
.LBB8_415:
	v_bfe_u32 v6, v2, 24, 3
	v_ffbh_u32_e32 v16, v6
	v_min_u32_e32 v16, 32, v16
	v_lshrrev_b32_e32 v14, 27, v2
	v_subrev_u32_e32 v17, 28, v16
	v_and_b32_e32 v13, 0x80000000, v2
	v_and_b32_e32 v14, 15, v14
	v_bfe_u32 v15, v2, 27, 4
	v_lshlrev_b32_sdwa v2, v17, v2 dst_sel:DWORD dst_unused:UNUSED_PAD src0_sel:DWORD src1_sel:BYTE_3
	v_sub_u32_e32 v16, 29, v16
	v_and_b32_e32 v2, 7, v2
	v_cmp_eq_u16_e32 vcc, 0, v14
	v_cndmask_b32_e32 v2, v6, v2, vcc
	v_cndmask_b32_e32 v6, v15, v16, vcc
	v_mov_b32_e32 v14, 0x3b800000
	v_lshlrev_b32_e32 v2, 20, v2
	v_lshl_add_u32 v6, v6, 23, v14
	v_or3_b32 v6, v13, v6, v2
.LBB8_416:
	s_or_b64 exec, exec, s[6:7]
	s_nop 0
	v_mfma_f32_16x16x4f32 a[0:3], v12, v6, a[0:3]
	s_movk_i32 s4, 0x7f
	v_cmp_gt_i16_sdwa s[6:7], v7, s4 src0_sel:BYTE_0 src1_sel:DWORD
	s_mov_b64 s[4:5], 0
                                        ; implicit-def: $sgpr10
	s_and_saveexec_b64 s[8:9], s[6:7]
	s_xor_b64 s[6:7], exec, s[8:9]
	s_cbranch_execnz .LBB8_2465
; %bb.417:
	s_or_saveexec_b64 s[6:7], s[6:7]
	v_mov_b32_e32 v2, s10
	s_xor_b64 exec, exec, s[6:7]
	s_cbranch_execnz .LBB8_2468
.LBB8_418:
	s_or_b64 exec, exec, s[6:7]
	s_and_saveexec_b64 s[6:7], s[4:5]
	s_cbranch_execz .LBB8_420
.LBB8_419:
	v_and_b32_e32 v2, 7, v7
	v_ffbh_u32_e32 v12, v2
	v_min_u32_e32 v12, 32, v12
	v_lshrrev_b16_e32 v6, 3, v7
	v_subrev_u32_e32 v13, 28, v12
	v_and_b32_e32 v6, 15, v6
	v_lshlrev_b32_e32 v13, v13, v7
	v_sub_u32_e32 v12, 29, v12
	v_and_b32_e32 v13, 7, v13
	v_cmp_eq_u16_e32 vcc, 0, v6
	v_cndmask_b32_e32 v2, v2, v13, vcc
	v_cndmask_b32_e32 v6, v6, v12, vcc
	v_lshlrev_b32_e32 v12, 24, v7
	v_mov_b32_e32 v13, 0x3b800000
	v_lshlrev_b32_e32 v2, 20, v2
	v_and_b32_e32 v12, 0x80000000, v12
	v_lshl_add_u32 v6, v6, 23, v13
	v_or3_b32 v2, v12, v6, v2
.LBB8_420:
	s_or_b64 exec, exec, s[6:7]
	s_movk_i32 s4, 0x7f
	v_cmp_gt_i16_sdwa s[6:7], v3, s4 src0_sel:BYTE_0 src1_sel:DWORD
	s_mov_b64 s[4:5], 0
                                        ; implicit-def: $sgpr10
	s_and_saveexec_b64 s[8:9], s[6:7]
	s_xor_b64 s[6:7], exec, s[8:9]
	s_cbranch_execnz .LBB8_2469
; %bb.421:
	s_or_saveexec_b64 s[6:7], s[6:7]
	v_mov_b32_e32 v6, s10
	s_xor_b64 exec, exec, s[6:7]
	s_cbranch_execnz .LBB8_2472
.LBB8_422:
	s_or_b64 exec, exec, s[6:7]
	s_and_saveexec_b64 s[6:7], s[4:5]
	s_cbranch_execz .LBB8_424
.LBB8_423:
	v_and_b32_e32 v6, 7, v3
	v_ffbh_u32_e32 v13, v6
	v_min_u32_e32 v13, 32, v13
	v_lshrrev_b16_e32 v12, 3, v3
	v_subrev_u32_e32 v14, 28, v13
	v_and_b32_e32 v12, 15, v12
	v_lshlrev_b32_e32 v14, v14, v3
	v_sub_u32_e32 v13, 29, v13
	v_and_b32_e32 v14, 7, v14
	v_cmp_eq_u16_e32 vcc, 0, v12
	v_cndmask_b32_e32 v6, v6, v14, vcc
	v_cndmask_b32_e32 v12, v12, v13, vcc
	v_lshlrev_b32_e32 v13, 24, v3
	v_mov_b32_e32 v14, 0x3b800000
	v_lshlrev_b32_e32 v6, 20, v6
	v_and_b32_e32 v13, 0x80000000, v13
	v_lshl_add_u32 v12, v12, 23, v14
	v_or3_b32 v6, v13, v12, v6
.LBB8_424:
	s_or_b64 exec, exec, s[6:7]
	s_nop 0
	v_mfma_f32_16x16x4f32 a[0:3], v2, v6, a[0:3]
	v_lshrrev_b32_e32 v6, 8, v7
	s_movk_i32 s4, 0x7f
	v_cmp_gt_i16_sdwa s[6:7], v6, s4 src0_sel:BYTE_0 src1_sel:DWORD
	s_mov_b64 s[4:5], 0
                                        ; implicit-def: $sgpr10
	s_and_saveexec_b64 s[8:9], s[6:7]
	s_xor_b64 s[6:7], exec, s[8:9]
	s_cbranch_execnz .LBB8_2473
; %bb.425:
	s_or_saveexec_b64 s[6:7], s[6:7]
	v_mov_b32_e32 v2, s10
	s_xor_b64 exec, exec, s[6:7]
	s_cbranch_execnz .LBB8_2476
.LBB8_426:
	s_or_b64 exec, exec, s[6:7]
	s_and_saveexec_b64 s[6:7], s[4:5]
	s_cbranch_execz .LBB8_428
.LBB8_427:
	v_bfe_u32 v2, v7, 8, 3
	v_ffbh_u32_e32 v13, v2
	v_min_u32_e32 v13, 32, v13
	v_lshrrev_b16_e32 v12, 3, v6
	v_subrev_u32_e32 v14, 28, v13
	v_and_b32_e32 v12, 15, v12
	v_lshlrev_b32_e32 v6, v14, v6
	v_sub_u32_e32 v13, 29, v13
	v_and_b32_e32 v6, 7, v6
	v_cmp_eq_u16_e32 vcc, 0, v12
	v_cndmask_b32_e32 v2, v2, v6, vcc
	v_cndmask_b32_e32 v6, v12, v13, vcc
	v_lshlrev_b32_e32 v12, 16, v7
	v_mov_b32_e32 v13, 0x3b800000
	v_lshlrev_b32_e32 v2, 20, v2
	v_and_b32_e32 v12, 0x80000000, v12
	v_lshl_add_u32 v6, v6, 23, v13
	v_or3_b32 v2, v12, v6, v2
.LBB8_428:
	s_or_b64 exec, exec, s[6:7]
	v_lshrrev_b32_e32 v6, 8, v3
	s_movk_i32 s4, 0x7f
	v_cmp_gt_i16_sdwa s[6:7], v6, s4 src0_sel:BYTE_0 src1_sel:DWORD
	s_mov_b64 s[4:5], 0
                                        ; implicit-def: $sgpr10
	s_and_saveexec_b64 s[8:9], s[6:7]
	s_xor_b64 s[6:7], exec, s[8:9]
	s_cbranch_execnz .LBB8_2477
; %bb.429:
	s_or_saveexec_b64 s[6:7], s[6:7]
	v_mov_b32_e32 v12, s10
	s_xor_b64 exec, exec, s[6:7]
	s_cbranch_execnz .LBB8_2480
.LBB8_430:
	s_or_b64 exec, exec, s[6:7]
	s_and_saveexec_b64 s[6:7], s[4:5]
	s_cbranch_execz .LBB8_432
.LBB8_431:
	v_bfe_u32 v12, v3, 8, 3
	v_ffbh_u32_e32 v14, v12
	v_min_u32_e32 v14, 32, v14
	v_lshrrev_b16_e32 v13, 3, v6
	v_subrev_u32_e32 v15, 28, v14
	v_and_b32_e32 v13, 15, v13
	v_lshlrev_b32_e32 v6, v15, v6
	v_sub_u32_e32 v14, 29, v14
	v_and_b32_e32 v6, 7, v6
	v_cmp_eq_u16_e32 vcc, 0, v13
	v_cndmask_b32_e32 v6, v12, v6, vcc
	v_cndmask_b32_e32 v12, v13, v14, vcc
	v_lshlrev_b32_e32 v13, 16, v3
	v_mov_b32_e32 v14, 0x3b800000
	v_lshlrev_b32_e32 v6, 20, v6
	v_and_b32_e32 v13, 0x80000000, v13
	v_lshl_add_u32 v12, v12, 23, v14
	v_or3_b32 v12, v13, v12, v6
.LBB8_432:
	s_or_b64 exec, exec, s[6:7]
	s_nop 0
	v_mfma_f32_16x16x4f32 a[0:3], v2, v12, a[0:3]
	s_movk_i32 s4, 0xff
	v_and_b32_sdwa v6, v7, s4 dst_sel:DWORD dst_unused:UNUSED_PAD src0_sel:WORD_1 src1_sel:DWORD
	s_movk_i32 s4, 0x7f
	v_cmp_lt_i16_e32 vcc, s4, v6
	s_mov_b64 s[4:5], 0
                                        ; implicit-def: $sgpr10
	s_and_saveexec_b64 s[6:7], vcc
	s_xor_b64 s[6:7], exec, s[6:7]
	s_cbranch_execnz .LBB8_2481
; %bb.433:
	s_or_saveexec_b64 s[6:7], s[6:7]
	v_mov_b32_e32 v2, s10
	s_xor_b64 exec, exec, s[6:7]
	s_cbranch_execnz .LBB8_2484
.LBB8_434:
	s_or_b64 exec, exec, s[6:7]
	s_and_saveexec_b64 s[6:7], s[4:5]
	s_cbranch_execz .LBB8_436
.LBB8_435:
	v_bfe_u32 v2, v7, 16, 3
	v_ffbh_u32_e32 v13, v2
	v_min_u32_e32 v13, 32, v13
	v_lshrrev_b32_e32 v6, 19, v7
	v_subrev_u32_e32 v14, 28, v13
	v_and_b32_e32 v6, 15, v6
	v_lshlrev_b32_sdwa v14, v14, v7 dst_sel:DWORD dst_unused:UNUSED_PAD src0_sel:DWORD src1_sel:WORD_1
	v_bfe_u32 v12, v7, 19, 4
	v_sub_u32_e32 v13, 29, v13
	v_and_b32_e32 v14, 7, v14
	v_cmp_eq_u16_e32 vcc, 0, v6
	v_cndmask_b32_e32 v2, v2, v14, vcc
	v_cndmask_b32_e32 v6, v12, v13, vcc
	v_lshlrev_b32_e32 v12, 8, v7
	v_mov_b32_e32 v13, 0x3b800000
	v_lshlrev_b32_e32 v2, 20, v2
	v_and_b32_e32 v12, 0x80000000, v12
	v_lshl_add_u32 v6, v6, 23, v13
	v_or3_b32 v2, v12, v6, v2
.LBB8_436:
	s_or_b64 exec, exec, s[6:7]
	s_movk_i32 s4, 0xff
	v_and_b32_sdwa v6, v3, s4 dst_sel:DWORD dst_unused:UNUSED_PAD src0_sel:WORD_1 src1_sel:DWORD
	s_movk_i32 s4, 0x7f
	v_cmp_lt_i16_e32 vcc, s4, v6
	s_mov_b64 s[4:5], 0
                                        ; implicit-def: $sgpr10
	s_and_saveexec_b64 s[6:7], vcc
	s_xor_b64 s[6:7], exec, s[6:7]
	s_cbranch_execnz .LBB8_2485
; %bb.437:
	s_or_saveexec_b64 s[6:7], s[6:7]
	v_mov_b32_e32 v12, s10
	s_xor_b64 exec, exec, s[6:7]
	s_cbranch_execnz .LBB8_2488
.LBB8_438:
	s_or_b64 exec, exec, s[6:7]
	s_and_saveexec_b64 s[6:7], s[4:5]
	s_cbranch_execz .LBB8_440
.LBB8_439:
	v_bfe_u32 v6, v3, 16, 3
	v_ffbh_u32_e32 v14, v6
	v_min_u32_e32 v14, 32, v14
	v_lshrrev_b32_e32 v12, 19, v3
	v_subrev_u32_e32 v15, 28, v14
	v_and_b32_e32 v12, 15, v12
	v_lshlrev_b32_sdwa v15, v15, v3 dst_sel:DWORD dst_unused:UNUSED_PAD src0_sel:DWORD src1_sel:WORD_1
	v_bfe_u32 v13, v3, 19, 4
	v_sub_u32_e32 v14, 29, v14
	v_and_b32_e32 v15, 7, v15
	v_cmp_eq_u16_e32 vcc, 0, v12
	v_cndmask_b32_e32 v6, v6, v15, vcc
	v_cndmask_b32_e32 v12, v13, v14, vcc
	v_lshlrev_b32_e32 v13, 8, v3
	v_mov_b32_e32 v14, 0x3b800000
	v_lshlrev_b32_e32 v6, 20, v6
	v_and_b32_e32 v13, 0x80000000, v13
	v_lshl_add_u32 v12, v12, 23, v14
	v_or3_b32 v12, v13, v12, v6
.LBB8_440:
	s_or_b64 exec, exec, s[6:7]
	s_nop 0
	v_mfma_f32_16x16x4f32 a[0:3], v2, v12, a[0:3]
	s_movk_i32 s4, 0x7f
	v_cmp_gt_i16_sdwa s[6:7], v7, s4 src0_sel:BYTE_3 src1_sel:DWORD
	s_mov_b64 s[4:5], 0
                                        ; implicit-def: $sgpr10
	s_and_saveexec_b64 s[8:9], s[6:7]
	s_xor_b64 s[6:7], exec, s[8:9]
	s_cbranch_execnz .LBB8_2489
; %bb.441:
	s_or_saveexec_b64 s[6:7], s[6:7]
	v_mov_b32_e32 v2, s10
	s_xor_b64 exec, exec, s[6:7]
	s_cbranch_execnz .LBB8_2492
.LBB8_442:
	s_or_b64 exec, exec, s[6:7]
	s_and_saveexec_b64 s[6:7], s[4:5]
	s_cbranch_execz .LBB8_444
.LBB8_443:
	v_bfe_u32 v2, v7, 24, 3
	v_ffbh_u32_e32 v14, v2
	v_min_u32_e32 v14, 32, v14
	v_lshrrev_b32_e32 v12, 27, v7
	v_subrev_u32_e32 v15, 28, v14
	v_and_b32_e32 v6, 0x80000000, v7
	v_and_b32_e32 v12, 15, v12
	v_bfe_u32 v13, v7, 27, 4
	v_lshlrev_b32_sdwa v7, v15, v7 dst_sel:DWORD dst_unused:UNUSED_PAD src0_sel:DWORD src1_sel:BYTE_3
	v_sub_u32_e32 v14, 29, v14
	v_and_b32_e32 v7, 7, v7
	v_cmp_eq_u16_e32 vcc, 0, v12
	v_cndmask_b32_e32 v2, v2, v7, vcc
	v_cndmask_b32_e32 v7, v13, v14, vcc
	v_mov_b32_e32 v12, 0x3b800000
	v_lshlrev_b32_e32 v2, 20, v2
	v_lshl_add_u32 v7, v7, 23, v12
	v_or3_b32 v2, v6, v7, v2
.LBB8_444:
	s_or_b64 exec, exec, s[6:7]
	s_movk_i32 s4, 0x7f
	v_cmp_gt_i16_sdwa s[6:7], v3, s4 src0_sel:BYTE_3 src1_sel:DWORD
	s_mov_b64 s[4:5], 0
                                        ; implicit-def: $sgpr10
	s_and_saveexec_b64 s[8:9], s[6:7]
	s_xor_b64 s[6:7], exec, s[8:9]
	s_cbranch_execnz .LBB8_2493
; %bb.445:
	s_or_saveexec_b64 s[6:7], s[6:7]
	v_mov_b32_e32 v6, s10
	s_xor_b64 exec, exec, s[6:7]
	s_cbranch_execnz .LBB8_2496
.LBB8_446:
	s_or_b64 exec, exec, s[6:7]
	s_and_saveexec_b64 s[6:7], s[4:5]
	s_cbranch_execz .LBB8_448
.LBB8_447:
	v_bfe_u32 v6, v3, 24, 3
	v_ffbh_u32_e32 v14, v6
	v_min_u32_e32 v14, 32, v14
	v_lshrrev_b32_e32 v12, 27, v3
	v_subrev_u32_e32 v15, 28, v14
	v_and_b32_e32 v7, 0x80000000, v3
	v_and_b32_e32 v12, 15, v12
	v_bfe_u32 v13, v3, 27, 4
	v_lshlrev_b32_sdwa v3, v15, v3 dst_sel:DWORD dst_unused:UNUSED_PAD src0_sel:DWORD src1_sel:BYTE_3
	v_sub_u32_e32 v14, 29, v14
	v_and_b32_e32 v3, 7, v3
	v_cmp_eq_u16_e32 vcc, 0, v12
	v_cndmask_b32_e32 v3, v6, v3, vcc
	v_cndmask_b32_e32 v6, v13, v14, vcc
	v_mov_b32_e32 v12, 0x3b800000
	v_lshlrev_b32_e32 v3, 20, v3
	v_lshl_add_u32 v6, v6, 23, v12
	v_or3_b32 v6, v7, v6, v3
.LBB8_448:
	s_or_b64 exec, exec, s[6:7]
	s_nop 0
	v_mfma_f32_16x16x4f32 a[0:3], v2, v6, a[0:3]
	s_movk_i32 s4, 0x7f
	v_cmp_gt_i16_sdwa s[6:7], v8, s4 src0_sel:BYTE_0 src1_sel:DWORD
	s_mov_b64 s[4:5], 0
                                        ; implicit-def: $sgpr10
	s_and_saveexec_b64 s[8:9], s[6:7]
	s_xor_b64 s[6:7], exec, s[8:9]
	s_cbranch_execnz .LBB8_2497
; %bb.449:
	s_or_saveexec_b64 s[6:7], s[6:7]
	v_mov_b32_e32 v2, s10
	s_xor_b64 exec, exec, s[6:7]
	s_cbranch_execnz .LBB8_2500
.LBB8_450:
	s_or_b64 exec, exec, s[6:7]
	s_and_saveexec_b64 s[6:7], s[4:5]
	s_cbranch_execz .LBB8_452
.LBB8_451:
	v_and_b32_e32 v2, 7, v8
	v_ffbh_u32_e32 v6, v2
	v_min_u32_e32 v6, 32, v6
	v_lshrrev_b16_e32 v3, 3, v8
	v_subrev_u32_e32 v7, 28, v6
	v_and_b32_e32 v3, 15, v3
	v_lshlrev_b32_e32 v7, v7, v8
	v_sub_u32_e32 v6, 29, v6
	v_and_b32_e32 v7, 7, v7
	v_cmp_eq_u16_e32 vcc, 0, v3
	v_cndmask_b32_e32 v2, v2, v7, vcc
	v_cndmask_b32_e32 v3, v3, v6, vcc
	v_lshlrev_b32_e32 v6, 24, v8
	v_mov_b32_e32 v7, 0x3b800000
	v_lshlrev_b32_e32 v2, 20, v2
	v_and_b32_e32 v6, 0x80000000, v6
	v_lshl_add_u32 v3, v3, 23, v7
	v_or3_b32 v2, v6, v3, v2
.LBB8_452:
	s_or_b64 exec, exec, s[6:7]
	s_movk_i32 s4, 0x7f
	v_cmp_gt_i16_sdwa s[6:7], v4, s4 src0_sel:BYTE_0 src1_sel:DWORD
	s_mov_b64 s[4:5], 0
                                        ; implicit-def: $sgpr10
	s_and_saveexec_b64 s[8:9], s[6:7]
	s_xor_b64 s[6:7], exec, s[8:9]
	s_cbranch_execnz .LBB8_2501
; %bb.453:
	s_or_saveexec_b64 s[6:7], s[6:7]
	v_mov_b32_e32 v3, s10
	s_xor_b64 exec, exec, s[6:7]
	s_cbranch_execnz .LBB8_2504
.LBB8_454:
	s_or_b64 exec, exec, s[6:7]
	s_and_saveexec_b64 s[6:7], s[4:5]
	s_cbranch_execz .LBB8_456
.LBB8_455:
	v_and_b32_e32 v3, 7, v4
	v_ffbh_u32_e32 v7, v3
	v_min_u32_e32 v7, 32, v7
	v_lshrrev_b16_e32 v6, 3, v4
	v_subrev_u32_e32 v12, 28, v7
	v_and_b32_e32 v6, 15, v6
	v_lshlrev_b32_e32 v12, v12, v4
	v_sub_u32_e32 v7, 29, v7
	v_and_b32_e32 v12, 7, v12
	v_cmp_eq_u16_e32 vcc, 0, v6
	v_cndmask_b32_e32 v3, v3, v12, vcc
	v_cndmask_b32_e32 v6, v6, v7, vcc
	v_lshlrev_b32_e32 v7, 24, v4
	v_mov_b32_e32 v12, 0x3b800000
	v_lshlrev_b32_e32 v3, 20, v3
	v_and_b32_e32 v7, 0x80000000, v7
	v_lshl_add_u32 v6, v6, 23, v12
	v_or3_b32 v3, v7, v6, v3
.LBB8_456:
	s_or_b64 exec, exec, s[6:7]
	s_nop 0
	v_mfma_f32_16x16x4f32 a[0:3], v2, v3, a[0:3]
	v_lshrrev_b32_e32 v3, 8, v8
	s_movk_i32 s4, 0x7f
	v_cmp_gt_i16_sdwa s[6:7], v3, s4 src0_sel:BYTE_0 src1_sel:DWORD
	s_mov_b64 s[4:5], 0
                                        ; implicit-def: $sgpr10
	s_and_saveexec_b64 s[8:9], s[6:7]
	s_xor_b64 s[6:7], exec, s[8:9]
	s_cbranch_execnz .LBB8_2505
; %bb.457:
	s_or_saveexec_b64 s[6:7], s[6:7]
	v_mov_b32_e32 v2, s10
	s_xor_b64 exec, exec, s[6:7]
	s_cbranch_execnz .LBB8_2508
.LBB8_458:
	s_or_b64 exec, exec, s[6:7]
	s_and_saveexec_b64 s[6:7], s[4:5]
	s_cbranch_execz .LBB8_460
.LBB8_459:
	v_bfe_u32 v2, v8, 8, 3
	v_ffbh_u32_e32 v7, v2
	v_min_u32_e32 v7, 32, v7
	v_lshrrev_b16_e32 v6, 3, v3
	v_subrev_u32_e32 v12, 28, v7
	v_and_b32_e32 v6, 15, v6
	v_lshlrev_b32_e32 v3, v12, v3
	v_sub_u32_e32 v7, 29, v7
	v_and_b32_e32 v3, 7, v3
	v_cmp_eq_u16_e32 vcc, 0, v6
	v_cndmask_b32_e32 v2, v2, v3, vcc
	v_cndmask_b32_e32 v3, v6, v7, vcc
	v_lshlrev_b32_e32 v6, 16, v8
	v_mov_b32_e32 v7, 0x3b800000
	v_lshlrev_b32_e32 v2, 20, v2
	v_and_b32_e32 v6, 0x80000000, v6
	v_lshl_add_u32 v3, v3, 23, v7
	v_or3_b32 v2, v6, v3, v2
.LBB8_460:
	s_or_b64 exec, exec, s[6:7]
	v_lshrrev_b32_e32 v3, 8, v4
	s_movk_i32 s4, 0x7f
	v_cmp_gt_i16_sdwa s[6:7], v3, s4 src0_sel:BYTE_0 src1_sel:DWORD
	s_mov_b64 s[4:5], 0
                                        ; implicit-def: $sgpr10
	s_and_saveexec_b64 s[8:9], s[6:7]
	s_xor_b64 s[6:7], exec, s[8:9]
	s_cbranch_execnz .LBB8_2509
; %bb.461:
	s_or_saveexec_b64 s[6:7], s[6:7]
	v_mov_b32_e32 v6, s10
	s_xor_b64 exec, exec, s[6:7]
	s_cbranch_execnz .LBB8_2512
.LBB8_462:
	s_or_b64 exec, exec, s[6:7]
	s_and_saveexec_b64 s[6:7], s[4:5]
	s_cbranch_execz .LBB8_464
.LBB8_463:
	v_bfe_u32 v6, v4, 8, 3
	v_ffbh_u32_e32 v12, v6
	v_min_u32_e32 v12, 32, v12
	v_lshrrev_b16_e32 v7, 3, v3
	v_subrev_u32_e32 v13, 28, v12
	v_and_b32_e32 v7, 15, v7
	v_lshlrev_b32_e32 v3, v13, v3
	v_sub_u32_e32 v12, 29, v12
	v_and_b32_e32 v3, 7, v3
	v_cmp_eq_u16_e32 vcc, 0, v7
	v_cndmask_b32_e32 v3, v6, v3, vcc
	v_cndmask_b32_e32 v6, v7, v12, vcc
	v_lshlrev_b32_e32 v7, 16, v4
	v_mov_b32_e32 v12, 0x3b800000
	v_lshlrev_b32_e32 v3, 20, v3
	v_and_b32_e32 v7, 0x80000000, v7
	v_lshl_add_u32 v6, v6, 23, v12
	v_or3_b32 v6, v7, v6, v3
.LBB8_464:
	s_or_b64 exec, exec, s[6:7]
	s_nop 0
	v_mfma_f32_16x16x4f32 a[0:3], v2, v6, a[0:3]
	s_movk_i32 s4, 0xff
	v_and_b32_sdwa v3, v8, s4 dst_sel:DWORD dst_unused:UNUSED_PAD src0_sel:WORD_1 src1_sel:DWORD
	s_movk_i32 s4, 0x7f
	v_cmp_lt_i16_e32 vcc, s4, v3
	s_mov_b64 s[4:5], 0
                                        ; implicit-def: $sgpr10
	s_and_saveexec_b64 s[6:7], vcc
	s_xor_b64 s[6:7], exec, s[6:7]
	s_cbranch_execnz .LBB8_2513
; %bb.465:
	s_or_saveexec_b64 s[6:7], s[6:7]
	v_mov_b32_e32 v2, s10
	s_xor_b64 exec, exec, s[6:7]
	s_cbranch_execnz .LBB8_2516
.LBB8_466:
	s_or_b64 exec, exec, s[6:7]
	s_and_saveexec_b64 s[6:7], s[4:5]
	s_cbranch_execz .LBB8_468
.LBB8_467:
	v_bfe_u32 v2, v8, 16, 3
	v_ffbh_u32_e32 v7, v2
	v_min_u32_e32 v7, 32, v7
	v_lshrrev_b32_e32 v3, 19, v8
	v_subrev_u32_e32 v12, 28, v7
	v_and_b32_e32 v3, 15, v3
	v_lshlrev_b32_sdwa v12, v12, v8 dst_sel:DWORD dst_unused:UNUSED_PAD src0_sel:DWORD src1_sel:WORD_1
	v_bfe_u32 v6, v8, 19, 4
	v_sub_u32_e32 v7, 29, v7
	v_and_b32_e32 v12, 7, v12
	v_cmp_eq_u16_e32 vcc, 0, v3
	v_cndmask_b32_e32 v2, v2, v12, vcc
	v_cndmask_b32_e32 v3, v6, v7, vcc
	v_lshlrev_b32_e32 v6, 8, v8
	v_mov_b32_e32 v7, 0x3b800000
	v_lshlrev_b32_e32 v2, 20, v2
	v_and_b32_e32 v6, 0x80000000, v6
	v_lshl_add_u32 v3, v3, 23, v7
	v_or3_b32 v2, v6, v3, v2
.LBB8_468:
	s_or_b64 exec, exec, s[6:7]
	s_movk_i32 s4, 0xff
	v_and_b32_sdwa v3, v4, s4 dst_sel:DWORD dst_unused:UNUSED_PAD src0_sel:WORD_1 src1_sel:DWORD
	s_movk_i32 s4, 0x7f
	v_cmp_lt_i16_e32 vcc, s4, v3
	s_mov_b64 s[4:5], 0
                                        ; implicit-def: $sgpr10
	s_and_saveexec_b64 s[6:7], vcc
	s_xor_b64 s[6:7], exec, s[6:7]
	s_cbranch_execnz .LBB8_2517
; %bb.469:
	s_or_saveexec_b64 s[6:7], s[6:7]
	v_mov_b32_e32 v6, s10
	s_xor_b64 exec, exec, s[6:7]
	s_cbranch_execnz .LBB8_2520
.LBB8_470:
	s_or_b64 exec, exec, s[6:7]
	s_and_saveexec_b64 s[6:7], s[4:5]
	s_cbranch_execz .LBB8_472
.LBB8_471:
	v_bfe_u32 v3, v4, 16, 3
	v_ffbh_u32_e32 v12, v3
	v_min_u32_e32 v12, 32, v12
	v_lshrrev_b32_e32 v6, 19, v4
	v_subrev_u32_e32 v13, 28, v12
	v_and_b32_e32 v6, 15, v6
	v_lshlrev_b32_sdwa v13, v13, v4 dst_sel:DWORD dst_unused:UNUSED_PAD src0_sel:DWORD src1_sel:WORD_1
	v_bfe_u32 v7, v4, 19, 4
	v_sub_u32_e32 v12, 29, v12
	v_and_b32_e32 v13, 7, v13
	v_cmp_eq_u16_e32 vcc, 0, v6
	v_cndmask_b32_e32 v3, v3, v13, vcc
	v_cndmask_b32_e32 v6, v7, v12, vcc
	v_lshlrev_b32_e32 v7, 8, v4
	v_mov_b32_e32 v12, 0x3b800000
	v_lshlrev_b32_e32 v3, 20, v3
	v_and_b32_e32 v7, 0x80000000, v7
	v_lshl_add_u32 v6, v6, 23, v12
	v_or3_b32 v6, v7, v6, v3
.LBB8_472:
	s_or_b64 exec, exec, s[6:7]
	s_nop 0
	v_mfma_f32_16x16x4f32 a[0:3], v2, v6, a[0:3]
	s_movk_i32 s4, 0x7f
	v_cmp_gt_i16_sdwa s[6:7], v8, s4 src0_sel:BYTE_3 src1_sel:DWORD
	s_mov_b64 s[4:5], 0
                                        ; implicit-def: $sgpr10
	s_and_saveexec_b64 s[8:9], s[6:7]
	s_xor_b64 s[6:7], exec, s[8:9]
	s_cbranch_execnz .LBB8_2521
; %bb.473:
	s_or_saveexec_b64 s[6:7], s[6:7]
	v_mov_b32_e32 v2, s10
	s_xor_b64 exec, exec, s[6:7]
	s_cbranch_execnz .LBB8_2524
.LBB8_474:
	s_or_b64 exec, exec, s[6:7]
	s_and_saveexec_b64 s[6:7], s[4:5]
	s_cbranch_execz .LBB8_476
.LBB8_475:
	v_bfe_u32 v2, v8, 24, 3
	v_ffbh_u32_e32 v12, v2
	v_min_u32_e32 v12, 32, v12
	v_lshrrev_b32_e32 v6, 27, v8
	v_subrev_u32_e32 v13, 28, v12
	v_and_b32_e32 v3, 0x80000000, v8
	v_and_b32_e32 v6, 15, v6
	v_bfe_u32 v7, v8, 27, 4
	v_lshlrev_b32_sdwa v8, v13, v8 dst_sel:DWORD dst_unused:UNUSED_PAD src0_sel:DWORD src1_sel:BYTE_3
	v_sub_u32_e32 v12, 29, v12
	v_and_b32_e32 v8, 7, v8
	v_cmp_eq_u16_e32 vcc, 0, v6
	v_cndmask_b32_e32 v2, v2, v8, vcc
	v_cndmask_b32_e32 v6, v7, v12, vcc
	v_mov_b32_e32 v7, 0x3b800000
	v_lshlrev_b32_e32 v2, 20, v2
	v_lshl_add_u32 v6, v6, 23, v7
	v_or3_b32 v2, v3, v6, v2
.LBB8_476:
	s_or_b64 exec, exec, s[6:7]
	s_movk_i32 s4, 0x7f
	v_cmp_gt_i16_sdwa s[6:7], v4, s4 src0_sel:BYTE_3 src1_sel:DWORD
	s_mov_b64 s[4:5], 0
                                        ; implicit-def: $sgpr10
	s_and_saveexec_b64 s[8:9], s[6:7]
	s_xor_b64 s[6:7], exec, s[8:9]
	s_cbranch_execnz .LBB8_2525
; %bb.477:
	s_or_saveexec_b64 s[6:7], s[6:7]
	v_mov_b32_e32 v3, s10
	s_xor_b64 exec, exec, s[6:7]
	s_cbranch_execnz .LBB8_2528
.LBB8_478:
	s_or_b64 exec, exec, s[6:7]
	s_and_saveexec_b64 s[6:7], s[4:5]
	s_cbranch_execz .LBB8_480
.LBB8_479:
	v_bfe_u32 v3, v4, 24, 3
	v_ffbh_u32_e32 v12, v3
	v_min_u32_e32 v12, 32, v12
	v_lshrrev_b32_e32 v7, 27, v4
	v_subrev_u32_e32 v13, 28, v12
	v_and_b32_e32 v6, 0x80000000, v4
	v_and_b32_e32 v7, 15, v7
	v_bfe_u32 v8, v4, 27, 4
	v_lshlrev_b32_sdwa v4, v13, v4 dst_sel:DWORD dst_unused:UNUSED_PAD src0_sel:DWORD src1_sel:BYTE_3
	v_sub_u32_e32 v12, 29, v12
	v_and_b32_e32 v4, 7, v4
	v_cmp_eq_u16_e32 vcc, 0, v7
	v_cndmask_b32_e32 v3, v3, v4, vcc
	v_cndmask_b32_e32 v4, v8, v12, vcc
	v_mov_b32_e32 v7, 0x3b800000
	v_lshlrev_b32_e32 v3, 20, v3
	v_lshl_add_u32 v4, v4, 23, v7
	v_or3_b32 v3, v6, v4, v3
.LBB8_480:
	s_or_b64 exec, exec, s[6:7]
	s_nop 0
	v_mfma_f32_16x16x4f32 a[0:3], v2, v3, a[0:3]
	s_movk_i32 s4, 0x7f
	v_cmp_gt_i16_sdwa s[6:7], v9, s4 src0_sel:BYTE_0 src1_sel:DWORD
	s_mov_b64 s[4:5], 0
                                        ; implicit-def: $sgpr10
	s_and_saveexec_b64 s[8:9], s[6:7]
	s_xor_b64 s[6:7], exec, s[8:9]
	s_cbranch_execnz .LBB8_2529
; %bb.481:
	s_or_saveexec_b64 s[6:7], s[6:7]
	v_mov_b32_e32 v2, s10
	s_xor_b64 exec, exec, s[6:7]
	s_cbranch_execnz .LBB8_2532
.LBB8_482:
	s_or_b64 exec, exec, s[6:7]
	s_and_saveexec_b64 s[6:7], s[4:5]
	s_cbranch_execz .LBB8_484
.LBB8_483:
	v_mov_b32_e32 v2, 8
	v_and_b32_e32 v3, 7, v9
	v_lshrrev_b32_sdwa v2, v2, v9 dst_sel:BYTE_1 dst_unused:UNUSED_PAD src0_sel:DWORD src1_sel:DWORD
	v_ffbh_u32_e32 v4, v3
	v_or_b32_sdwa v2, v9, v2 dst_sel:DWORD dst_unused:UNUSED_PAD src0_sel:BYTE_0 src1_sel:DWORD
	v_min_u32_e32 v4, 32, v4
	v_lshrrev_b16_e32 v2, 3, v2
	v_subrev_u32_e32 v6, 28, v4
	v_and_b32_e32 v2, 15, v2
	v_lshlrev_b32_e32 v6, v6, v9
	v_sub_u32_e32 v4, 29, v4
	v_and_b32_e32 v6, 7, v6
	v_cmp_eq_u16_e32 vcc, 0, v2
	v_cndmask_b32_e32 v3, v3, v6, vcc
	v_cndmask_b32_e32 v2, v2, v4, vcc
	v_lshlrev_b32_e32 v4, 24, v9
	v_mov_b32_e32 v6, 0x3b800000
	v_lshlrev_b32_e32 v3, 20, v3
	v_and_b32_e32 v4, 0x80000000, v4
	v_lshl_add_u32 v2, v2, 23, v6
	v_or3_b32 v2, v4, v2, v3
.LBB8_484:
	s_or_b64 exec, exec, s[6:7]
	s_movk_i32 s4, 0x7f
	v_cmp_gt_i16_sdwa s[6:7], v5, s4 src0_sel:BYTE_0 src1_sel:DWORD
	s_mov_b64 s[4:5], 0
                                        ; implicit-def: $sgpr10
	s_and_saveexec_b64 s[8:9], s[6:7]
	s_xor_b64 s[6:7], exec, s[8:9]
	s_cbranch_execnz .LBB8_2533
; %bb.485:
	s_or_saveexec_b64 s[6:7], s[6:7]
	v_mov_b32_e32 v3, s10
	s_xor_b64 exec, exec, s[6:7]
	s_cbranch_execnz .LBB8_2536
.LBB8_486:
	s_or_b64 exec, exec, s[6:7]
	s_and_saveexec_b64 s[6:7], s[4:5]
	s_cbranch_execz .LBB8_488
.LBB8_487:
	v_mov_b32_e32 v3, 8
	v_and_b32_e32 v4, 7, v5
	v_lshrrev_b32_sdwa v3, v3, v5 dst_sel:BYTE_1 dst_unused:UNUSED_PAD src0_sel:DWORD src1_sel:DWORD
	v_ffbh_u32_e32 v6, v4
	v_or_b32_sdwa v3, v5, v3 dst_sel:DWORD dst_unused:UNUSED_PAD src0_sel:BYTE_0 src1_sel:DWORD
	v_min_u32_e32 v6, 32, v6
	v_lshrrev_b16_e32 v3, 3, v3
	v_subrev_u32_e32 v7, 28, v6
	v_and_b32_e32 v3, 15, v3
	v_lshlrev_b32_e32 v7, v7, v5
	v_sub_u32_e32 v6, 29, v6
	v_and_b32_e32 v7, 7, v7
	v_cmp_eq_u16_e32 vcc, 0, v3
	v_cndmask_b32_e32 v4, v4, v7, vcc
	v_cndmask_b32_e32 v3, v3, v6, vcc
	v_lshlrev_b32_e32 v6, 24, v5
	v_mov_b32_e32 v7, 0x3b800000
	v_lshlrev_b32_e32 v4, 20, v4
	v_and_b32_e32 v6, 0x80000000, v6
	v_lshl_add_u32 v3, v3, 23, v7
	v_or3_b32 v3, v6, v3, v4
.LBB8_488:
	s_or_b64 exec, exec, s[6:7]
	s_nop 0
	v_mfma_f32_16x16x4f32 a[0:3], v2, v3, a[0:3]
	v_lshrrev_b32_e32 v3, 8, v9
	s_movk_i32 s4, 0x7f
	v_cmp_gt_i16_sdwa s[6:7], v3, s4 src0_sel:BYTE_0 src1_sel:DWORD
	s_mov_b64 s[4:5], 0
                                        ; implicit-def: $sgpr10
	s_and_saveexec_b64 s[8:9], s[6:7]
	s_xor_b64 s[6:7], exec, s[8:9]
	s_cbranch_execnz .LBB8_2537
; %bb.489:
	s_or_saveexec_b64 s[6:7], s[6:7]
	v_mov_b32_e32 v2, s10
	s_xor_b64 exec, exec, s[6:7]
	s_cbranch_execnz .LBB8_2540
.LBB8_490:
	s_or_b64 exec, exec, s[6:7]
	s_and_saveexec_b64 s[6:7], s[4:5]
	s_cbranch_execz .LBB8_492
.LBB8_491:
	v_bfe_u32 v2, v9, 8, 3
	v_ffbh_u32_e32 v6, v2
	v_min_u32_e32 v6, 32, v6
	v_lshrrev_b16_e32 v4, 3, v3
	v_subrev_u32_e32 v7, 28, v6
	v_and_b32_e32 v4, 15, v4
	v_lshlrev_b32_e32 v3, v7, v3
	v_sub_u32_e32 v6, 29, v6
	v_and_b32_e32 v3, 7, v3
	v_cmp_eq_u16_e32 vcc, 0, v4
	v_cndmask_b32_e32 v2, v2, v3, vcc
	v_cndmask_b32_e32 v3, v4, v6, vcc
	v_lshlrev_b32_e32 v4, 16, v9
	v_mov_b32_e32 v6, 0x3b800000
	v_lshlrev_b32_e32 v2, 20, v2
	v_and_b32_e32 v4, 0x80000000, v4
	v_lshl_add_u32 v3, v3, 23, v6
	v_or3_b32 v2, v4, v3, v2
.LBB8_492:
	s_or_b64 exec, exec, s[6:7]
	v_lshrrev_b32_e32 v3, 8, v5
	s_movk_i32 s4, 0x7f
	v_cmp_gt_i16_sdwa s[6:7], v3, s4 src0_sel:BYTE_0 src1_sel:DWORD
	s_mov_b64 s[4:5], 0
                                        ; implicit-def: $sgpr10
	s_and_saveexec_b64 s[8:9], s[6:7]
	s_xor_b64 s[6:7], exec, s[8:9]
	s_cbranch_execnz .LBB8_2541
; %bb.493:
	s_or_saveexec_b64 s[6:7], s[6:7]
	v_mov_b32_e32 v4, s10
	s_xor_b64 exec, exec, s[6:7]
	s_cbranch_execnz .LBB8_2544
.LBB8_494:
	s_or_b64 exec, exec, s[6:7]
	s_and_saveexec_b64 s[6:7], s[4:5]
	s_cbranch_execz .LBB8_496
.LBB8_495:
	v_bfe_u32 v4, v5, 8, 3
	v_ffbh_u32_e32 v7, v4
	v_min_u32_e32 v7, 32, v7
	v_lshrrev_b16_e32 v6, 3, v3
	v_subrev_u32_e32 v8, 28, v7
	v_and_b32_e32 v6, 15, v6
	v_lshlrev_b32_e32 v3, v8, v3
	v_sub_u32_e32 v7, 29, v7
	v_and_b32_e32 v3, 7, v3
	v_cmp_eq_u16_e32 vcc, 0, v6
	v_cndmask_b32_e32 v3, v4, v3, vcc
	v_cndmask_b32_e32 v4, v6, v7, vcc
	v_lshlrev_b32_e32 v6, 16, v5
	v_mov_b32_e32 v7, 0x3b800000
	v_lshlrev_b32_e32 v3, 20, v3
	v_and_b32_e32 v6, 0x80000000, v6
	v_lshl_add_u32 v4, v4, 23, v7
	v_or3_b32 v4, v6, v4, v3
.LBB8_496:
	s_or_b64 exec, exec, s[6:7]
	s_nop 0
	v_mfma_f32_16x16x4f32 a[0:3], v2, v4, a[0:3]
	s_movk_i32 s4, 0xff
	v_and_b32_sdwa v3, v9, s4 dst_sel:DWORD dst_unused:UNUSED_PAD src0_sel:WORD_1 src1_sel:DWORD
	s_movk_i32 s4, 0x7f
	v_cmp_lt_i16_e32 vcc, s4, v3
	s_mov_b64 s[4:5], 0
                                        ; implicit-def: $sgpr10
	s_and_saveexec_b64 s[6:7], vcc
	s_xor_b64 s[6:7], exec, s[6:7]
	s_cbranch_execnz .LBB8_2545
; %bb.497:
	s_or_saveexec_b64 s[6:7], s[6:7]
	v_mov_b32_e32 v2, s10
	s_xor_b64 exec, exec, s[6:7]
	s_cbranch_execnz .LBB8_2548
.LBB8_498:
	s_or_b64 exec, exec, s[6:7]
	s_and_saveexec_b64 s[6:7], s[4:5]
	s_cbranch_execz .LBB8_500
.LBB8_499:
	v_bfe_u32 v2, v9, 16, 3
	v_ffbh_u32_e32 v6, v2
	v_min_u32_e32 v6, 32, v6
	v_lshrrev_b32_e32 v3, 19, v9
	v_subrev_u32_e32 v7, 28, v6
	v_and_b32_e32 v3, 15, v3
	v_lshlrev_b32_sdwa v7, v7, v9 dst_sel:DWORD dst_unused:UNUSED_PAD src0_sel:DWORD src1_sel:WORD_1
	v_bfe_u32 v4, v9, 19, 4
	v_sub_u32_e32 v6, 29, v6
	v_and_b32_e32 v7, 7, v7
	v_cmp_eq_u16_e32 vcc, 0, v3
	v_cndmask_b32_e32 v2, v2, v7, vcc
	v_cndmask_b32_e32 v3, v4, v6, vcc
	v_lshlrev_b32_e32 v4, 8, v9
	v_mov_b32_e32 v6, 0x3b800000
	v_lshlrev_b32_e32 v2, 20, v2
	v_and_b32_e32 v4, 0x80000000, v4
	v_lshl_add_u32 v3, v3, 23, v6
	v_or3_b32 v2, v4, v3, v2
.LBB8_500:
	s_or_b64 exec, exec, s[6:7]
	s_movk_i32 s4, 0xff
	v_and_b32_sdwa v3, v5, s4 dst_sel:DWORD dst_unused:UNUSED_PAD src0_sel:WORD_1 src1_sel:DWORD
	s_movk_i32 s4, 0x7f
	v_cmp_lt_i16_e32 vcc, s4, v3
	s_mov_b64 s[4:5], 0
                                        ; implicit-def: $sgpr10
	s_and_saveexec_b64 s[6:7], vcc
	s_xor_b64 s[6:7], exec, s[6:7]
	s_cbranch_execnz .LBB8_2549
; %bb.501:
	s_or_saveexec_b64 s[6:7], s[6:7]
	v_mov_b32_e32 v4, s10
	s_xor_b64 exec, exec, s[6:7]
	s_cbranch_execnz .LBB8_2552
.LBB8_502:
	s_or_b64 exec, exec, s[6:7]
	s_and_saveexec_b64 s[6:7], s[4:5]
	s_cbranch_execz .LBB8_504
.LBB8_503:
	v_bfe_u32 v3, v5, 16, 3
	v_ffbh_u32_e32 v7, v3
	v_min_u32_e32 v7, 32, v7
	v_lshrrev_b32_e32 v4, 19, v5
	v_subrev_u32_e32 v8, 28, v7
	v_and_b32_e32 v4, 15, v4
	v_lshlrev_b32_sdwa v8, v8, v5 dst_sel:DWORD dst_unused:UNUSED_PAD src0_sel:DWORD src1_sel:WORD_1
	v_bfe_u32 v6, v5, 19, 4
	v_sub_u32_e32 v7, 29, v7
	v_and_b32_e32 v8, 7, v8
	v_cmp_eq_u16_e32 vcc, 0, v4
	v_cndmask_b32_e32 v3, v3, v8, vcc
	v_cndmask_b32_e32 v4, v6, v7, vcc
	v_lshlrev_b32_e32 v6, 8, v5
	v_mov_b32_e32 v7, 0x3b800000
	v_lshlrev_b32_e32 v3, 20, v3
	v_and_b32_e32 v6, 0x80000000, v6
	v_lshl_add_u32 v4, v4, 23, v7
	v_or3_b32 v4, v6, v4, v3
.LBB8_504:
	s_or_b64 exec, exec, s[6:7]
	s_nop 0
	v_mfma_f32_16x16x4f32 a[0:3], v2, v4, a[0:3]
	s_movk_i32 s4, 0x7f
	v_cmp_gt_i16_sdwa s[6:7], v9, s4 src0_sel:BYTE_3 src1_sel:DWORD
	s_mov_b64 s[4:5], 0
                                        ; implicit-def: $sgpr10
	s_and_saveexec_b64 s[8:9], s[6:7]
	s_xor_b64 s[6:7], exec, s[8:9]
	s_cbranch_execnz .LBB8_2553
; %bb.505:
	s_or_saveexec_b64 s[6:7], s[6:7]
	v_mov_b32_e32 v2, s10
	s_xor_b64 exec, exec, s[6:7]
	s_cbranch_execnz .LBB8_2556
.LBB8_506:
	s_or_b64 exec, exec, s[6:7]
	s_and_saveexec_b64 s[6:7], s[4:5]
	s_cbranch_execz .LBB8_508
.LBB8_507:
	v_bfe_u32 v2, v9, 24, 3
	v_ffbh_u32_e32 v7, v2
	v_min_u32_e32 v7, 32, v7
	v_lshrrev_b32_e32 v4, 27, v9
	v_subrev_u32_e32 v8, 28, v7
	v_and_b32_e32 v4, 15, v4
	v_lshlrev_b32_sdwa v8, v8, v9 dst_sel:DWORD dst_unused:UNUSED_PAD src0_sel:DWORD src1_sel:BYTE_3
	v_bfe_u32 v6, v9, 27, 4
	v_sub_u32_e32 v7, 29, v7
	v_and_b32_e32 v8, 7, v8
	v_cmp_eq_u16_e32 vcc, 0, v4
	v_cndmask_b32_e32 v2, v2, v8, vcc
	v_cndmask_b32_e32 v4, v6, v7, vcc
	v_mov_b32_e32 v6, 0x3b800000
	v_and_b32_e32 v3, 0x80000000, v9
	v_lshlrev_b32_e32 v2, 20, v2
	v_lshl_add_u32 v4, v4, 23, v6
	v_or3_b32 v2, v3, v4, v2
.LBB8_508:
	s_or_b64 exec, exec, s[6:7]
	s_movk_i32 s4, 0x7f
	v_cmp_gt_i16_sdwa s[6:7], v5, s4 src0_sel:BYTE_3 src1_sel:DWORD
	s_mov_b64 s[4:5], 0
                                        ; implicit-def: $sgpr10
	s_and_saveexec_b64 s[8:9], s[6:7]
	s_xor_b64 s[6:7], exec, s[8:9]
	s_cbranch_execnz .LBB8_2557
; %bb.509:
	s_or_saveexec_b64 s[6:7], s[6:7]
	v_mov_b32_e32 v3, s10
	s_xor_b64 exec, exec, s[6:7]
	s_cbranch_execnz .LBB8_2560
.LBB8_510:
	s_or_b64 exec, exec, s[6:7]
	s_and_saveexec_b64 s[6:7], s[4:5]
	s_cbranch_execz .LBB8_512
.LBB8_511:
	v_bfe_u32 v3, v5, 24, 3
	v_ffbh_u32_e32 v8, v3
	v_min_u32_e32 v8, 32, v8
	v_lshrrev_b32_e32 v6, 27, v5
	v_subrev_u32_e32 v9, 28, v8
	v_and_b32_e32 v4, 0x80000000, v5
	v_and_b32_e32 v6, 15, v6
	v_bfe_u32 v7, v5, 27, 4
	v_lshlrev_b32_sdwa v5, v9, v5 dst_sel:DWORD dst_unused:UNUSED_PAD src0_sel:DWORD src1_sel:BYTE_3
	v_sub_u32_e32 v8, 29, v8
	v_and_b32_e32 v5, 7, v5
	v_cmp_eq_u16_e32 vcc, 0, v6
	v_cndmask_b32_e32 v3, v3, v5, vcc
	v_cndmask_b32_e32 v5, v7, v8, vcc
	v_mov_b32_e32 v6, 0x3b800000
	v_lshlrev_b32_e32 v3, 20, v3
	v_lshl_add_u32 v5, v5, 23, v6
	v_or3_b32 v3, v4, v5, v3
.LBB8_512:
	s_or_b64 exec, exec, s[6:7]
	s_nop 0
	v_mfma_f32_16x16x4f32 a[0:3], v2, v3, a[0:3]
	s_movk_i32 s4, 0x7f
                                        ; implicit-def: $sgpr10
	s_nop 7
	s_nop 1
	flat_store_dwordx4 v[10:11], a[0:3] offset:48
	flat_load_dwordx4 v[12:15], v[0:1] offset:8
	s_nop 0
	flat_load_dwordx2 v[10:11], v[0:1] offset:32
	s_waitcnt vmcnt(0) lgkmcnt(0)
	flat_load_dwordx4 v[6:9], v[12:13] offset:32
	flat_load_dwordx4 v[2:5], v[14:15]
	s_waitcnt vmcnt(0) lgkmcnt(0)
	v_cmp_gt_i16_sdwa s[6:7], v6, s4 src0_sel:BYTE_0 src1_sel:DWORD
	s_mov_b64 s[4:5], 0
	s_and_saveexec_b64 s[8:9], s[6:7]
	s_xor_b64 s[6:7], exec, s[8:9]
	s_cbranch_execnz .LBB8_2561
; %bb.513:
	s_or_saveexec_b64 s[6:7], s[6:7]
	v_mov_b32_e32 v12, s10
	s_xor_b64 exec, exec, s[6:7]
	s_cbranch_execnz .LBB8_2564
.LBB8_514:
	s_or_b64 exec, exec, s[6:7]
	s_and_saveexec_b64 s[6:7], s[4:5]
	s_cbranch_execz .LBB8_516
.LBB8_515:
	v_and_b32_e32 v12, 7, v6
	v_ffbh_u32_e32 v14, v12
	v_min_u32_e32 v14, 32, v14
	v_lshrrev_b16_e32 v13, 3, v6
	v_subrev_u32_e32 v15, 28, v14
	v_and_b32_e32 v13, 15, v13
	v_lshlrev_b32_e32 v15, v15, v6
	v_sub_u32_e32 v14, 29, v14
	v_and_b32_e32 v15, 7, v15
	v_cmp_eq_u16_e32 vcc, 0, v13
	v_cndmask_b32_e32 v12, v12, v15, vcc
	v_cndmask_b32_e32 v13, v13, v14, vcc
	v_lshlrev_b32_e32 v14, 24, v6
	v_mov_b32_e32 v15, 0x3b800000
	v_lshlrev_b32_e32 v12, 20, v12
	v_and_b32_e32 v14, 0x80000000, v14
	v_lshl_add_u32 v13, v13, 23, v15
	v_or3_b32 v12, v14, v13, v12
.LBB8_516:
	s_or_b64 exec, exec, s[6:7]
	s_movk_i32 s4, 0x7f
	v_cmp_gt_i16_sdwa s[6:7], v2, s4 src0_sel:BYTE_0 src1_sel:DWORD
	s_mov_b64 s[4:5], 0
                                        ; implicit-def: $sgpr10
	s_and_saveexec_b64 s[8:9], s[6:7]
	s_xor_b64 s[6:7], exec, s[8:9]
	s_cbranch_execnz .LBB8_2565
; %bb.517:
	s_or_saveexec_b64 s[6:7], s[6:7]
	v_mov_b32_e32 v13, s10
	s_xor_b64 exec, exec, s[6:7]
	s_cbranch_execnz .LBB8_2568
.LBB8_518:
	s_or_b64 exec, exec, s[6:7]
	s_and_saveexec_b64 s[6:7], s[4:5]
	s_cbranch_execz .LBB8_520
.LBB8_519:
	v_and_b32_e32 v13, 7, v2
	v_ffbh_u32_e32 v15, v13
	v_min_u32_e32 v15, 32, v15
	v_lshrrev_b16_e32 v14, 3, v2
	v_subrev_u32_e32 v16, 28, v15
	v_and_b32_e32 v14, 15, v14
	v_lshlrev_b32_e32 v16, v16, v2
	v_sub_u32_e32 v15, 29, v15
	v_and_b32_e32 v16, 7, v16
	v_cmp_eq_u16_e32 vcc, 0, v14
	v_cndmask_b32_e32 v13, v13, v16, vcc
	v_cndmask_b32_e32 v14, v14, v15, vcc
	v_lshlrev_b32_e32 v15, 24, v2
	v_mov_b32_e32 v16, 0x3b800000
	v_lshlrev_b32_e32 v13, 20, v13
	v_and_b32_e32 v15, 0x80000000, v15
	v_lshl_add_u32 v14, v14, 23, v16
	v_or3_b32 v13, v15, v14, v13
.LBB8_520:
	s_or_b64 exec, exec, s[6:7]
	flat_load_dwordx4 a[0:3], v[10:11] offset:64
	s_movk_i32 s4, 0x7f
                                        ; implicit-def: $sgpr10
	s_waitcnt vmcnt(0) lgkmcnt(0)
	v_mfma_f32_16x16x4f32 a[0:3], v12, v13, a[0:3]
	v_lshrrev_b32_e32 v13, 8, v6
	v_cmp_gt_i16_sdwa s[6:7], v13, s4 src0_sel:BYTE_0 src1_sel:DWORD
	s_mov_b64 s[4:5], 0
	s_and_saveexec_b64 s[8:9], s[6:7]
	s_xor_b64 s[6:7], exec, s[8:9]
	s_cbranch_execnz .LBB8_2569
; %bb.521:
	s_or_saveexec_b64 s[6:7], s[6:7]
	v_mov_b32_e32 v12, s10
	s_xor_b64 exec, exec, s[6:7]
	s_cbranch_execnz .LBB8_2572
.LBB8_522:
	s_or_b64 exec, exec, s[6:7]
	s_and_saveexec_b64 s[6:7], s[4:5]
	s_cbranch_execz .LBB8_524
.LBB8_523:
	v_bfe_u32 v12, v6, 8, 3
	v_ffbh_u32_e32 v15, v12
	v_min_u32_e32 v15, 32, v15
	v_lshrrev_b16_e32 v14, 3, v13
	v_subrev_u32_e32 v16, 28, v15
	v_and_b32_e32 v14, 15, v14
	v_lshlrev_b32_e32 v13, v16, v13
	v_sub_u32_e32 v15, 29, v15
	v_and_b32_e32 v13, 7, v13
	v_cmp_eq_u16_e32 vcc, 0, v14
	v_cndmask_b32_e32 v12, v12, v13, vcc
	v_cndmask_b32_e32 v13, v14, v15, vcc
	v_lshlrev_b32_e32 v14, 16, v6
	v_mov_b32_e32 v15, 0x3b800000
	v_lshlrev_b32_e32 v12, 20, v12
	v_and_b32_e32 v14, 0x80000000, v14
	v_lshl_add_u32 v13, v13, 23, v15
	v_or3_b32 v12, v14, v13, v12
.LBB8_524:
	s_or_b64 exec, exec, s[6:7]
	v_lshrrev_b32_e32 v13, 8, v2
	s_movk_i32 s4, 0x7f
	v_cmp_gt_i16_sdwa s[6:7], v13, s4 src0_sel:BYTE_0 src1_sel:DWORD
	s_mov_b64 s[4:5], 0
                                        ; implicit-def: $sgpr10
	s_and_saveexec_b64 s[8:9], s[6:7]
	s_xor_b64 s[6:7], exec, s[8:9]
	s_cbranch_execnz .LBB8_2573
; %bb.525:
	s_or_saveexec_b64 s[6:7], s[6:7]
	v_mov_b32_e32 v14, s10
	s_xor_b64 exec, exec, s[6:7]
	s_cbranch_execnz .LBB8_2576
.LBB8_526:
	s_or_b64 exec, exec, s[6:7]
	s_and_saveexec_b64 s[6:7], s[4:5]
	s_cbranch_execz .LBB8_528
.LBB8_527:
	v_bfe_u32 v14, v2, 8, 3
	v_ffbh_u32_e32 v16, v14
	v_min_u32_e32 v16, 32, v16
	v_lshrrev_b16_e32 v15, 3, v13
	v_subrev_u32_e32 v17, 28, v16
	v_and_b32_e32 v15, 15, v15
	v_lshlrev_b32_e32 v13, v17, v13
	v_sub_u32_e32 v16, 29, v16
	v_and_b32_e32 v13, 7, v13
	v_cmp_eq_u16_e32 vcc, 0, v15
	v_cndmask_b32_e32 v13, v14, v13, vcc
	v_cndmask_b32_e32 v14, v15, v16, vcc
	v_lshlrev_b32_e32 v15, 16, v2
	v_mov_b32_e32 v16, 0x3b800000
	v_lshlrev_b32_e32 v13, 20, v13
	v_and_b32_e32 v15, 0x80000000, v15
	v_lshl_add_u32 v14, v14, 23, v16
	v_or3_b32 v14, v15, v14, v13
.LBB8_528:
	s_or_b64 exec, exec, s[6:7]
	s_nop 0
	v_mfma_f32_16x16x4f32 a[0:3], v12, v14, a[0:3]
	s_movk_i32 s4, 0xff
	v_and_b32_sdwa v13, v6, s4 dst_sel:DWORD dst_unused:UNUSED_PAD src0_sel:WORD_1 src1_sel:DWORD
	s_movk_i32 s4, 0x7f
	v_cmp_lt_i16_e32 vcc, s4, v13
	s_mov_b64 s[4:5], 0
                                        ; implicit-def: $sgpr10
	s_and_saveexec_b64 s[6:7], vcc
	s_xor_b64 s[6:7], exec, s[6:7]
	s_cbranch_execnz .LBB8_2577
; %bb.529:
	s_or_saveexec_b64 s[6:7], s[6:7]
	v_mov_b32_e32 v12, s10
	s_xor_b64 exec, exec, s[6:7]
	s_cbranch_execnz .LBB8_2580
.LBB8_530:
	s_or_b64 exec, exec, s[6:7]
	s_and_saveexec_b64 s[6:7], s[4:5]
	s_cbranch_execz .LBB8_532
.LBB8_531:
	v_bfe_u32 v12, v6, 16, 3
	v_ffbh_u32_e32 v15, v12
	v_min_u32_e32 v15, 32, v15
	v_lshrrev_b32_e32 v13, 19, v6
	v_subrev_u32_e32 v16, 28, v15
	v_and_b32_e32 v13, 15, v13
	v_lshlrev_b32_sdwa v16, v16, v6 dst_sel:DWORD dst_unused:UNUSED_PAD src0_sel:DWORD src1_sel:WORD_1
	v_bfe_u32 v14, v6, 19, 4
	v_sub_u32_e32 v15, 29, v15
	v_and_b32_e32 v16, 7, v16
	v_cmp_eq_u16_e32 vcc, 0, v13
	v_cndmask_b32_e32 v12, v12, v16, vcc
	v_cndmask_b32_e32 v13, v14, v15, vcc
	v_lshlrev_b32_e32 v14, 8, v6
	v_mov_b32_e32 v15, 0x3b800000
	v_lshlrev_b32_e32 v12, 20, v12
	v_and_b32_e32 v14, 0x80000000, v14
	v_lshl_add_u32 v13, v13, 23, v15
	v_or3_b32 v12, v14, v13, v12
.LBB8_532:
	s_or_b64 exec, exec, s[6:7]
	s_movk_i32 s4, 0xff
	v_and_b32_sdwa v13, v2, s4 dst_sel:DWORD dst_unused:UNUSED_PAD src0_sel:WORD_1 src1_sel:DWORD
	s_movk_i32 s4, 0x7f
	v_cmp_lt_i16_e32 vcc, s4, v13
	s_mov_b64 s[4:5], 0
                                        ; implicit-def: $sgpr10
	s_and_saveexec_b64 s[6:7], vcc
	s_xor_b64 s[6:7], exec, s[6:7]
	s_cbranch_execnz .LBB8_2581
; %bb.533:
	s_or_saveexec_b64 s[6:7], s[6:7]
	v_mov_b32_e32 v14, s10
	s_xor_b64 exec, exec, s[6:7]
	s_cbranch_execnz .LBB8_2584
.LBB8_534:
	s_or_b64 exec, exec, s[6:7]
	s_and_saveexec_b64 s[6:7], s[4:5]
	s_cbranch_execz .LBB8_536
.LBB8_535:
	v_bfe_u32 v13, v2, 16, 3
	v_ffbh_u32_e32 v16, v13
	v_min_u32_e32 v16, 32, v16
	v_lshrrev_b32_e32 v14, 19, v2
	v_subrev_u32_e32 v17, 28, v16
	v_and_b32_e32 v14, 15, v14
	v_lshlrev_b32_sdwa v17, v17, v2 dst_sel:DWORD dst_unused:UNUSED_PAD src0_sel:DWORD src1_sel:WORD_1
	v_bfe_u32 v15, v2, 19, 4
	v_sub_u32_e32 v16, 29, v16
	v_and_b32_e32 v17, 7, v17
	v_cmp_eq_u16_e32 vcc, 0, v14
	v_cndmask_b32_e32 v13, v13, v17, vcc
	v_cndmask_b32_e32 v14, v15, v16, vcc
	v_lshlrev_b32_e32 v15, 8, v2
	v_mov_b32_e32 v16, 0x3b800000
	v_lshlrev_b32_e32 v13, 20, v13
	v_and_b32_e32 v15, 0x80000000, v15
	v_lshl_add_u32 v14, v14, 23, v16
	v_or3_b32 v14, v15, v14, v13
.LBB8_536:
	s_or_b64 exec, exec, s[6:7]
	s_nop 0
	v_mfma_f32_16x16x4f32 a[0:3], v12, v14, a[0:3]
	s_movk_i32 s4, 0x7f
	v_cmp_gt_i16_sdwa s[6:7], v6, s4 src0_sel:BYTE_3 src1_sel:DWORD
	s_mov_b64 s[4:5], 0
                                        ; implicit-def: $sgpr10
	s_and_saveexec_b64 s[8:9], s[6:7]
	s_xor_b64 s[6:7], exec, s[8:9]
	s_cbranch_execnz .LBB8_2585
; %bb.537:
	s_or_saveexec_b64 s[6:7], s[6:7]
	v_mov_b32_e32 v12, s10
	s_xor_b64 exec, exec, s[6:7]
	s_cbranch_execnz .LBB8_2588
.LBB8_538:
	s_or_b64 exec, exec, s[6:7]
	s_and_saveexec_b64 s[6:7], s[4:5]
	s_cbranch_execz .LBB8_540
.LBB8_539:
	v_bfe_u32 v12, v6, 24, 3
	v_ffbh_u32_e32 v16, v12
	v_min_u32_e32 v16, 32, v16
	v_lshrrev_b32_e32 v14, 27, v6
	v_subrev_u32_e32 v17, 28, v16
	v_and_b32_e32 v13, 0x80000000, v6
	v_and_b32_e32 v14, 15, v14
	v_bfe_u32 v15, v6, 27, 4
	v_lshlrev_b32_sdwa v6, v17, v6 dst_sel:DWORD dst_unused:UNUSED_PAD src0_sel:DWORD src1_sel:BYTE_3
	v_sub_u32_e32 v16, 29, v16
	v_and_b32_e32 v6, 7, v6
	v_cmp_eq_u16_e32 vcc, 0, v14
	v_cndmask_b32_e32 v6, v12, v6, vcc
	v_cndmask_b32_e32 v12, v15, v16, vcc
	v_mov_b32_e32 v14, 0x3b800000
	v_lshlrev_b32_e32 v6, 20, v6
	v_lshl_add_u32 v12, v12, 23, v14
	v_or3_b32 v12, v13, v12, v6
.LBB8_540:
	s_or_b64 exec, exec, s[6:7]
	s_movk_i32 s4, 0x7f
	v_cmp_gt_i16_sdwa s[6:7], v2, s4 src0_sel:BYTE_3 src1_sel:DWORD
	s_mov_b64 s[4:5], 0
                                        ; implicit-def: $sgpr10
	s_and_saveexec_b64 s[8:9], s[6:7]
	s_xor_b64 s[6:7], exec, s[8:9]
	s_cbranch_execnz .LBB8_2589
; %bb.541:
	s_or_saveexec_b64 s[6:7], s[6:7]
	v_mov_b32_e32 v6, s10
	s_xor_b64 exec, exec, s[6:7]
	s_cbranch_execnz .LBB8_2592
.LBB8_542:
	s_or_b64 exec, exec, s[6:7]
	s_and_saveexec_b64 s[6:7], s[4:5]
	s_cbranch_execz .LBB8_544
.LBB8_543:
	v_bfe_u32 v6, v2, 24, 3
	v_ffbh_u32_e32 v16, v6
	v_min_u32_e32 v16, 32, v16
	v_lshrrev_b32_e32 v14, 27, v2
	v_subrev_u32_e32 v17, 28, v16
	v_and_b32_e32 v13, 0x80000000, v2
	v_and_b32_e32 v14, 15, v14
	v_bfe_u32 v15, v2, 27, 4
	v_lshlrev_b32_sdwa v2, v17, v2 dst_sel:DWORD dst_unused:UNUSED_PAD src0_sel:DWORD src1_sel:BYTE_3
	v_sub_u32_e32 v16, 29, v16
	v_and_b32_e32 v2, 7, v2
	v_cmp_eq_u16_e32 vcc, 0, v14
	v_cndmask_b32_e32 v2, v6, v2, vcc
	v_cndmask_b32_e32 v6, v15, v16, vcc
	v_mov_b32_e32 v14, 0x3b800000
	v_lshlrev_b32_e32 v2, 20, v2
	v_lshl_add_u32 v6, v6, 23, v14
	v_or3_b32 v6, v13, v6, v2
.LBB8_544:
	s_or_b64 exec, exec, s[6:7]
	s_nop 0
	v_mfma_f32_16x16x4f32 a[0:3], v12, v6, a[0:3]
	s_movk_i32 s4, 0x7f
	v_cmp_gt_i16_sdwa s[6:7], v7, s4 src0_sel:BYTE_0 src1_sel:DWORD
	s_mov_b64 s[4:5], 0
                                        ; implicit-def: $sgpr10
	s_and_saveexec_b64 s[8:9], s[6:7]
	s_xor_b64 s[6:7], exec, s[8:9]
	s_cbranch_execnz .LBB8_2593
; %bb.545:
	s_or_saveexec_b64 s[6:7], s[6:7]
	v_mov_b32_e32 v2, s10
	s_xor_b64 exec, exec, s[6:7]
	s_cbranch_execnz .LBB8_2596
.LBB8_546:
	s_or_b64 exec, exec, s[6:7]
	s_and_saveexec_b64 s[6:7], s[4:5]
	s_cbranch_execz .LBB8_548
.LBB8_547:
	v_and_b32_e32 v2, 7, v7
	v_ffbh_u32_e32 v12, v2
	v_min_u32_e32 v12, 32, v12
	v_lshrrev_b16_e32 v6, 3, v7
	v_subrev_u32_e32 v13, 28, v12
	v_and_b32_e32 v6, 15, v6
	v_lshlrev_b32_e32 v13, v13, v7
	v_sub_u32_e32 v12, 29, v12
	v_and_b32_e32 v13, 7, v13
	v_cmp_eq_u16_e32 vcc, 0, v6
	v_cndmask_b32_e32 v2, v2, v13, vcc
	v_cndmask_b32_e32 v6, v6, v12, vcc
	v_lshlrev_b32_e32 v12, 24, v7
	v_mov_b32_e32 v13, 0x3b800000
	v_lshlrev_b32_e32 v2, 20, v2
	v_and_b32_e32 v12, 0x80000000, v12
	v_lshl_add_u32 v6, v6, 23, v13
	v_or3_b32 v2, v12, v6, v2
.LBB8_548:
	s_or_b64 exec, exec, s[6:7]
	s_movk_i32 s4, 0x7f
	v_cmp_gt_i16_sdwa s[6:7], v3, s4 src0_sel:BYTE_0 src1_sel:DWORD
	s_mov_b64 s[4:5], 0
                                        ; implicit-def: $sgpr10
	s_and_saveexec_b64 s[8:9], s[6:7]
	s_xor_b64 s[6:7], exec, s[8:9]
	s_cbranch_execnz .LBB8_2597
; %bb.549:
	s_or_saveexec_b64 s[6:7], s[6:7]
	v_mov_b32_e32 v6, s10
	s_xor_b64 exec, exec, s[6:7]
	s_cbranch_execnz .LBB8_2600
.LBB8_550:
	s_or_b64 exec, exec, s[6:7]
	s_and_saveexec_b64 s[6:7], s[4:5]
	s_cbranch_execz .LBB8_552
.LBB8_551:
	v_and_b32_e32 v6, 7, v3
	v_ffbh_u32_e32 v13, v6
	v_min_u32_e32 v13, 32, v13
	v_lshrrev_b16_e32 v12, 3, v3
	v_subrev_u32_e32 v14, 28, v13
	v_and_b32_e32 v12, 15, v12
	v_lshlrev_b32_e32 v14, v14, v3
	v_sub_u32_e32 v13, 29, v13
	v_and_b32_e32 v14, 7, v14
	v_cmp_eq_u16_e32 vcc, 0, v12
	v_cndmask_b32_e32 v6, v6, v14, vcc
	v_cndmask_b32_e32 v12, v12, v13, vcc
	v_lshlrev_b32_e32 v13, 24, v3
	v_mov_b32_e32 v14, 0x3b800000
	v_lshlrev_b32_e32 v6, 20, v6
	v_and_b32_e32 v13, 0x80000000, v13
	v_lshl_add_u32 v12, v12, 23, v14
	v_or3_b32 v6, v13, v12, v6
.LBB8_552:
	s_or_b64 exec, exec, s[6:7]
	s_nop 0
	v_mfma_f32_16x16x4f32 a[0:3], v2, v6, a[0:3]
	v_lshrrev_b32_e32 v6, 8, v7
	s_movk_i32 s4, 0x7f
	v_cmp_gt_i16_sdwa s[6:7], v6, s4 src0_sel:BYTE_0 src1_sel:DWORD
	s_mov_b64 s[4:5], 0
                                        ; implicit-def: $sgpr10
	s_and_saveexec_b64 s[8:9], s[6:7]
	s_xor_b64 s[6:7], exec, s[8:9]
	s_cbranch_execnz .LBB8_2601
; %bb.553:
	s_or_saveexec_b64 s[6:7], s[6:7]
	v_mov_b32_e32 v2, s10
	s_xor_b64 exec, exec, s[6:7]
	s_cbranch_execnz .LBB8_2604
.LBB8_554:
	s_or_b64 exec, exec, s[6:7]
	s_and_saveexec_b64 s[6:7], s[4:5]
	s_cbranch_execz .LBB8_556
.LBB8_555:
	v_bfe_u32 v2, v7, 8, 3
	v_ffbh_u32_e32 v13, v2
	v_min_u32_e32 v13, 32, v13
	v_lshrrev_b16_e32 v12, 3, v6
	v_subrev_u32_e32 v14, 28, v13
	v_and_b32_e32 v12, 15, v12
	v_lshlrev_b32_e32 v6, v14, v6
	v_sub_u32_e32 v13, 29, v13
	v_and_b32_e32 v6, 7, v6
	v_cmp_eq_u16_e32 vcc, 0, v12
	v_cndmask_b32_e32 v2, v2, v6, vcc
	v_cndmask_b32_e32 v6, v12, v13, vcc
	v_lshlrev_b32_e32 v12, 16, v7
	v_mov_b32_e32 v13, 0x3b800000
	v_lshlrev_b32_e32 v2, 20, v2
	v_and_b32_e32 v12, 0x80000000, v12
	v_lshl_add_u32 v6, v6, 23, v13
	v_or3_b32 v2, v12, v6, v2
.LBB8_556:
	s_or_b64 exec, exec, s[6:7]
	v_lshrrev_b32_e32 v6, 8, v3
	s_movk_i32 s4, 0x7f
	v_cmp_gt_i16_sdwa s[6:7], v6, s4 src0_sel:BYTE_0 src1_sel:DWORD
	s_mov_b64 s[4:5], 0
                                        ; implicit-def: $sgpr10
	s_and_saveexec_b64 s[8:9], s[6:7]
	s_xor_b64 s[6:7], exec, s[8:9]
	s_cbranch_execnz .LBB8_2605
; %bb.557:
	s_or_saveexec_b64 s[6:7], s[6:7]
	v_mov_b32_e32 v12, s10
	s_xor_b64 exec, exec, s[6:7]
	s_cbranch_execnz .LBB8_2608
.LBB8_558:
	s_or_b64 exec, exec, s[6:7]
	s_and_saveexec_b64 s[6:7], s[4:5]
	s_cbranch_execz .LBB8_560
.LBB8_559:
	v_bfe_u32 v12, v3, 8, 3
	v_ffbh_u32_e32 v14, v12
	v_min_u32_e32 v14, 32, v14
	v_lshrrev_b16_e32 v13, 3, v6
	v_subrev_u32_e32 v15, 28, v14
	v_and_b32_e32 v13, 15, v13
	v_lshlrev_b32_e32 v6, v15, v6
	v_sub_u32_e32 v14, 29, v14
	v_and_b32_e32 v6, 7, v6
	v_cmp_eq_u16_e32 vcc, 0, v13
	v_cndmask_b32_e32 v6, v12, v6, vcc
	v_cndmask_b32_e32 v12, v13, v14, vcc
	v_lshlrev_b32_e32 v13, 16, v3
	v_mov_b32_e32 v14, 0x3b800000
	v_lshlrev_b32_e32 v6, 20, v6
	v_and_b32_e32 v13, 0x80000000, v13
	v_lshl_add_u32 v12, v12, 23, v14
	v_or3_b32 v12, v13, v12, v6
.LBB8_560:
	s_or_b64 exec, exec, s[6:7]
	s_nop 0
	v_mfma_f32_16x16x4f32 a[0:3], v2, v12, a[0:3]
	s_movk_i32 s4, 0xff
	v_and_b32_sdwa v6, v7, s4 dst_sel:DWORD dst_unused:UNUSED_PAD src0_sel:WORD_1 src1_sel:DWORD
	s_movk_i32 s4, 0x7f
	v_cmp_lt_i16_e32 vcc, s4, v6
	s_mov_b64 s[4:5], 0
                                        ; implicit-def: $sgpr10
	s_and_saveexec_b64 s[6:7], vcc
	s_xor_b64 s[6:7], exec, s[6:7]
	s_cbranch_execnz .LBB8_2609
; %bb.561:
	s_or_saveexec_b64 s[6:7], s[6:7]
	v_mov_b32_e32 v2, s10
	s_xor_b64 exec, exec, s[6:7]
	s_cbranch_execnz .LBB8_2612
.LBB8_562:
	s_or_b64 exec, exec, s[6:7]
	s_and_saveexec_b64 s[6:7], s[4:5]
	s_cbranch_execz .LBB8_564
.LBB8_563:
	v_bfe_u32 v2, v7, 16, 3
	v_ffbh_u32_e32 v13, v2
	v_min_u32_e32 v13, 32, v13
	v_lshrrev_b32_e32 v6, 19, v7
	v_subrev_u32_e32 v14, 28, v13
	v_and_b32_e32 v6, 15, v6
	v_lshlrev_b32_sdwa v14, v14, v7 dst_sel:DWORD dst_unused:UNUSED_PAD src0_sel:DWORD src1_sel:WORD_1
	v_bfe_u32 v12, v7, 19, 4
	v_sub_u32_e32 v13, 29, v13
	v_and_b32_e32 v14, 7, v14
	v_cmp_eq_u16_e32 vcc, 0, v6
	v_cndmask_b32_e32 v2, v2, v14, vcc
	v_cndmask_b32_e32 v6, v12, v13, vcc
	v_lshlrev_b32_e32 v12, 8, v7
	v_mov_b32_e32 v13, 0x3b800000
	v_lshlrev_b32_e32 v2, 20, v2
	v_and_b32_e32 v12, 0x80000000, v12
	v_lshl_add_u32 v6, v6, 23, v13
	v_or3_b32 v2, v12, v6, v2
.LBB8_564:
	s_or_b64 exec, exec, s[6:7]
	s_movk_i32 s4, 0xff
	v_and_b32_sdwa v6, v3, s4 dst_sel:DWORD dst_unused:UNUSED_PAD src0_sel:WORD_1 src1_sel:DWORD
	s_movk_i32 s4, 0x7f
	v_cmp_lt_i16_e32 vcc, s4, v6
	s_mov_b64 s[4:5], 0
                                        ; implicit-def: $sgpr10
	s_and_saveexec_b64 s[6:7], vcc
	s_xor_b64 s[6:7], exec, s[6:7]
	s_cbranch_execnz .LBB8_2613
; %bb.565:
	s_or_saveexec_b64 s[6:7], s[6:7]
	v_mov_b32_e32 v12, s10
	s_xor_b64 exec, exec, s[6:7]
	s_cbranch_execnz .LBB8_2616
.LBB8_566:
	s_or_b64 exec, exec, s[6:7]
	s_and_saveexec_b64 s[6:7], s[4:5]
	s_cbranch_execz .LBB8_568
.LBB8_567:
	v_bfe_u32 v6, v3, 16, 3
	v_ffbh_u32_e32 v14, v6
	v_min_u32_e32 v14, 32, v14
	v_lshrrev_b32_e32 v12, 19, v3
	v_subrev_u32_e32 v15, 28, v14
	v_and_b32_e32 v12, 15, v12
	v_lshlrev_b32_sdwa v15, v15, v3 dst_sel:DWORD dst_unused:UNUSED_PAD src0_sel:DWORD src1_sel:WORD_1
	v_bfe_u32 v13, v3, 19, 4
	v_sub_u32_e32 v14, 29, v14
	v_and_b32_e32 v15, 7, v15
	v_cmp_eq_u16_e32 vcc, 0, v12
	v_cndmask_b32_e32 v6, v6, v15, vcc
	v_cndmask_b32_e32 v12, v13, v14, vcc
	v_lshlrev_b32_e32 v13, 8, v3
	v_mov_b32_e32 v14, 0x3b800000
	v_lshlrev_b32_e32 v6, 20, v6
	v_and_b32_e32 v13, 0x80000000, v13
	v_lshl_add_u32 v12, v12, 23, v14
	v_or3_b32 v12, v13, v12, v6
.LBB8_568:
	s_or_b64 exec, exec, s[6:7]
	s_nop 0
	v_mfma_f32_16x16x4f32 a[0:3], v2, v12, a[0:3]
	s_movk_i32 s4, 0x7f
	v_cmp_gt_i16_sdwa s[6:7], v7, s4 src0_sel:BYTE_3 src1_sel:DWORD
	s_mov_b64 s[4:5], 0
                                        ; implicit-def: $sgpr10
	s_and_saveexec_b64 s[8:9], s[6:7]
	s_xor_b64 s[6:7], exec, s[8:9]
	s_cbranch_execnz .LBB8_2617
; %bb.569:
	s_or_saveexec_b64 s[6:7], s[6:7]
	v_mov_b32_e32 v2, s10
	s_xor_b64 exec, exec, s[6:7]
	s_cbranch_execnz .LBB8_2620
.LBB8_570:
	s_or_b64 exec, exec, s[6:7]
	s_and_saveexec_b64 s[6:7], s[4:5]
	s_cbranch_execz .LBB8_572
.LBB8_571:
	v_bfe_u32 v2, v7, 24, 3
	v_ffbh_u32_e32 v14, v2
	v_min_u32_e32 v14, 32, v14
	v_lshrrev_b32_e32 v12, 27, v7
	v_subrev_u32_e32 v15, 28, v14
	v_and_b32_e32 v6, 0x80000000, v7
	v_and_b32_e32 v12, 15, v12
	v_bfe_u32 v13, v7, 27, 4
	v_lshlrev_b32_sdwa v7, v15, v7 dst_sel:DWORD dst_unused:UNUSED_PAD src0_sel:DWORD src1_sel:BYTE_3
	v_sub_u32_e32 v14, 29, v14
	v_and_b32_e32 v7, 7, v7
	v_cmp_eq_u16_e32 vcc, 0, v12
	v_cndmask_b32_e32 v2, v2, v7, vcc
	v_cndmask_b32_e32 v7, v13, v14, vcc
	v_mov_b32_e32 v12, 0x3b800000
	v_lshlrev_b32_e32 v2, 20, v2
	v_lshl_add_u32 v7, v7, 23, v12
	v_or3_b32 v2, v6, v7, v2
.LBB8_572:
	s_or_b64 exec, exec, s[6:7]
	s_movk_i32 s4, 0x7f
	v_cmp_gt_i16_sdwa s[6:7], v3, s4 src0_sel:BYTE_3 src1_sel:DWORD
	s_mov_b64 s[4:5], 0
                                        ; implicit-def: $sgpr10
	s_and_saveexec_b64 s[8:9], s[6:7]
	s_xor_b64 s[6:7], exec, s[8:9]
	s_cbranch_execnz .LBB8_2621
; %bb.573:
	s_or_saveexec_b64 s[6:7], s[6:7]
	v_mov_b32_e32 v6, s10
	s_xor_b64 exec, exec, s[6:7]
	s_cbranch_execnz .LBB8_2624
.LBB8_574:
	s_or_b64 exec, exec, s[6:7]
	s_and_saveexec_b64 s[6:7], s[4:5]
	s_cbranch_execz .LBB8_576
.LBB8_575:
	v_bfe_u32 v6, v3, 24, 3
	v_ffbh_u32_e32 v14, v6
	v_min_u32_e32 v14, 32, v14
	v_lshrrev_b32_e32 v12, 27, v3
	v_subrev_u32_e32 v15, 28, v14
	v_and_b32_e32 v7, 0x80000000, v3
	v_and_b32_e32 v12, 15, v12
	v_bfe_u32 v13, v3, 27, 4
	v_lshlrev_b32_sdwa v3, v15, v3 dst_sel:DWORD dst_unused:UNUSED_PAD src0_sel:DWORD src1_sel:BYTE_3
	v_sub_u32_e32 v14, 29, v14
	v_and_b32_e32 v3, 7, v3
	v_cmp_eq_u16_e32 vcc, 0, v12
	v_cndmask_b32_e32 v3, v6, v3, vcc
	v_cndmask_b32_e32 v6, v13, v14, vcc
	v_mov_b32_e32 v12, 0x3b800000
	v_lshlrev_b32_e32 v3, 20, v3
	v_lshl_add_u32 v6, v6, 23, v12
	v_or3_b32 v6, v7, v6, v3
.LBB8_576:
	s_or_b64 exec, exec, s[6:7]
	s_nop 0
	v_mfma_f32_16x16x4f32 a[0:3], v2, v6, a[0:3]
	s_movk_i32 s4, 0x7f
	v_cmp_gt_i16_sdwa s[6:7], v8, s4 src0_sel:BYTE_0 src1_sel:DWORD
	s_mov_b64 s[4:5], 0
                                        ; implicit-def: $sgpr10
	s_and_saveexec_b64 s[8:9], s[6:7]
	s_xor_b64 s[6:7], exec, s[8:9]
	s_cbranch_execnz .LBB8_2625
; %bb.577:
	s_or_saveexec_b64 s[6:7], s[6:7]
	v_mov_b32_e32 v2, s10
	s_xor_b64 exec, exec, s[6:7]
	s_cbranch_execnz .LBB8_2628
.LBB8_578:
	s_or_b64 exec, exec, s[6:7]
	s_and_saveexec_b64 s[6:7], s[4:5]
	s_cbranch_execz .LBB8_580
.LBB8_579:
	v_and_b32_e32 v2, 7, v8
	v_ffbh_u32_e32 v6, v2
	v_min_u32_e32 v6, 32, v6
	v_lshrrev_b16_e32 v3, 3, v8
	v_subrev_u32_e32 v7, 28, v6
	v_and_b32_e32 v3, 15, v3
	v_lshlrev_b32_e32 v7, v7, v8
	v_sub_u32_e32 v6, 29, v6
	v_and_b32_e32 v7, 7, v7
	v_cmp_eq_u16_e32 vcc, 0, v3
	v_cndmask_b32_e32 v2, v2, v7, vcc
	v_cndmask_b32_e32 v3, v3, v6, vcc
	v_lshlrev_b32_e32 v6, 24, v8
	v_mov_b32_e32 v7, 0x3b800000
	v_lshlrev_b32_e32 v2, 20, v2
	v_and_b32_e32 v6, 0x80000000, v6
	v_lshl_add_u32 v3, v3, 23, v7
	v_or3_b32 v2, v6, v3, v2
.LBB8_580:
	s_or_b64 exec, exec, s[6:7]
	s_movk_i32 s4, 0x7f
	v_cmp_gt_i16_sdwa s[6:7], v4, s4 src0_sel:BYTE_0 src1_sel:DWORD
	s_mov_b64 s[4:5], 0
                                        ; implicit-def: $sgpr10
	s_and_saveexec_b64 s[8:9], s[6:7]
	s_xor_b64 s[6:7], exec, s[8:9]
	s_cbranch_execnz .LBB8_2629
; %bb.581:
	s_or_saveexec_b64 s[6:7], s[6:7]
	v_mov_b32_e32 v3, s10
	s_xor_b64 exec, exec, s[6:7]
	s_cbranch_execnz .LBB8_2632
.LBB8_582:
	s_or_b64 exec, exec, s[6:7]
	s_and_saveexec_b64 s[6:7], s[4:5]
	s_cbranch_execz .LBB8_584
.LBB8_583:
	v_and_b32_e32 v3, 7, v4
	v_ffbh_u32_e32 v7, v3
	v_min_u32_e32 v7, 32, v7
	v_lshrrev_b16_e32 v6, 3, v4
	v_subrev_u32_e32 v12, 28, v7
	v_and_b32_e32 v6, 15, v6
	v_lshlrev_b32_e32 v12, v12, v4
	v_sub_u32_e32 v7, 29, v7
	v_and_b32_e32 v12, 7, v12
	v_cmp_eq_u16_e32 vcc, 0, v6
	v_cndmask_b32_e32 v3, v3, v12, vcc
	v_cndmask_b32_e32 v6, v6, v7, vcc
	v_lshlrev_b32_e32 v7, 24, v4
	v_mov_b32_e32 v12, 0x3b800000
	v_lshlrev_b32_e32 v3, 20, v3
	v_and_b32_e32 v7, 0x80000000, v7
	v_lshl_add_u32 v6, v6, 23, v12
	v_or3_b32 v3, v7, v6, v3
.LBB8_584:
	s_or_b64 exec, exec, s[6:7]
	s_nop 0
	v_mfma_f32_16x16x4f32 a[0:3], v2, v3, a[0:3]
	v_lshrrev_b32_e32 v3, 8, v8
	s_movk_i32 s4, 0x7f
	v_cmp_gt_i16_sdwa s[6:7], v3, s4 src0_sel:BYTE_0 src1_sel:DWORD
	s_mov_b64 s[4:5], 0
                                        ; implicit-def: $sgpr10
	s_and_saveexec_b64 s[8:9], s[6:7]
	s_xor_b64 s[6:7], exec, s[8:9]
	s_cbranch_execnz .LBB8_2633
; %bb.585:
	s_or_saveexec_b64 s[6:7], s[6:7]
	v_mov_b32_e32 v2, s10
	s_xor_b64 exec, exec, s[6:7]
	s_cbranch_execnz .LBB8_2636
.LBB8_586:
	s_or_b64 exec, exec, s[6:7]
	s_and_saveexec_b64 s[6:7], s[4:5]
	s_cbranch_execz .LBB8_588
.LBB8_587:
	v_bfe_u32 v2, v8, 8, 3
	v_ffbh_u32_e32 v7, v2
	v_min_u32_e32 v7, 32, v7
	v_lshrrev_b16_e32 v6, 3, v3
	v_subrev_u32_e32 v12, 28, v7
	v_and_b32_e32 v6, 15, v6
	v_lshlrev_b32_e32 v3, v12, v3
	v_sub_u32_e32 v7, 29, v7
	v_and_b32_e32 v3, 7, v3
	v_cmp_eq_u16_e32 vcc, 0, v6
	v_cndmask_b32_e32 v2, v2, v3, vcc
	v_cndmask_b32_e32 v3, v6, v7, vcc
	v_lshlrev_b32_e32 v6, 16, v8
	v_mov_b32_e32 v7, 0x3b800000
	v_lshlrev_b32_e32 v2, 20, v2
	v_and_b32_e32 v6, 0x80000000, v6
	v_lshl_add_u32 v3, v3, 23, v7
	v_or3_b32 v2, v6, v3, v2
.LBB8_588:
	s_or_b64 exec, exec, s[6:7]
	v_lshrrev_b32_e32 v3, 8, v4
	s_movk_i32 s4, 0x7f
	v_cmp_gt_i16_sdwa s[6:7], v3, s4 src0_sel:BYTE_0 src1_sel:DWORD
	s_mov_b64 s[4:5], 0
                                        ; implicit-def: $sgpr10
	s_and_saveexec_b64 s[8:9], s[6:7]
	s_xor_b64 s[6:7], exec, s[8:9]
	s_cbranch_execnz .LBB8_2637
; %bb.589:
	s_or_saveexec_b64 s[6:7], s[6:7]
	v_mov_b32_e32 v6, s10
	s_xor_b64 exec, exec, s[6:7]
	s_cbranch_execnz .LBB8_2640
.LBB8_590:
	s_or_b64 exec, exec, s[6:7]
	s_and_saveexec_b64 s[6:7], s[4:5]
	s_cbranch_execz .LBB8_592
.LBB8_591:
	v_bfe_u32 v6, v4, 8, 3
	v_ffbh_u32_e32 v12, v6
	v_min_u32_e32 v12, 32, v12
	v_lshrrev_b16_e32 v7, 3, v3
	v_subrev_u32_e32 v13, 28, v12
	v_and_b32_e32 v7, 15, v7
	v_lshlrev_b32_e32 v3, v13, v3
	v_sub_u32_e32 v12, 29, v12
	v_and_b32_e32 v3, 7, v3
	v_cmp_eq_u16_e32 vcc, 0, v7
	v_cndmask_b32_e32 v3, v6, v3, vcc
	v_cndmask_b32_e32 v6, v7, v12, vcc
	v_lshlrev_b32_e32 v7, 16, v4
	v_mov_b32_e32 v12, 0x3b800000
	v_lshlrev_b32_e32 v3, 20, v3
	v_and_b32_e32 v7, 0x80000000, v7
	v_lshl_add_u32 v6, v6, 23, v12
	v_or3_b32 v6, v7, v6, v3
.LBB8_592:
	s_or_b64 exec, exec, s[6:7]
	s_nop 0
	v_mfma_f32_16x16x4f32 a[0:3], v2, v6, a[0:3]
	s_movk_i32 s4, 0xff
	v_and_b32_sdwa v3, v8, s4 dst_sel:DWORD dst_unused:UNUSED_PAD src0_sel:WORD_1 src1_sel:DWORD
	s_movk_i32 s4, 0x7f
	v_cmp_lt_i16_e32 vcc, s4, v3
	s_mov_b64 s[4:5], 0
                                        ; implicit-def: $sgpr10
	s_and_saveexec_b64 s[6:7], vcc
	s_xor_b64 s[6:7], exec, s[6:7]
	s_cbranch_execnz .LBB8_2641
; %bb.593:
	s_or_saveexec_b64 s[6:7], s[6:7]
	v_mov_b32_e32 v2, s10
	s_xor_b64 exec, exec, s[6:7]
	s_cbranch_execnz .LBB8_2644
.LBB8_594:
	s_or_b64 exec, exec, s[6:7]
	s_and_saveexec_b64 s[6:7], s[4:5]
	s_cbranch_execz .LBB8_596
.LBB8_595:
	v_bfe_u32 v2, v8, 16, 3
	v_ffbh_u32_e32 v7, v2
	v_min_u32_e32 v7, 32, v7
	v_lshrrev_b32_e32 v3, 19, v8
	v_subrev_u32_e32 v12, 28, v7
	v_and_b32_e32 v3, 15, v3
	v_lshlrev_b32_sdwa v12, v12, v8 dst_sel:DWORD dst_unused:UNUSED_PAD src0_sel:DWORD src1_sel:WORD_1
	v_bfe_u32 v6, v8, 19, 4
	v_sub_u32_e32 v7, 29, v7
	v_and_b32_e32 v12, 7, v12
	v_cmp_eq_u16_e32 vcc, 0, v3
	v_cndmask_b32_e32 v2, v2, v12, vcc
	v_cndmask_b32_e32 v3, v6, v7, vcc
	v_lshlrev_b32_e32 v6, 8, v8
	v_mov_b32_e32 v7, 0x3b800000
	v_lshlrev_b32_e32 v2, 20, v2
	v_and_b32_e32 v6, 0x80000000, v6
	v_lshl_add_u32 v3, v3, 23, v7
	v_or3_b32 v2, v6, v3, v2
.LBB8_596:
	s_or_b64 exec, exec, s[6:7]
	s_movk_i32 s4, 0xff
	v_and_b32_sdwa v3, v4, s4 dst_sel:DWORD dst_unused:UNUSED_PAD src0_sel:WORD_1 src1_sel:DWORD
	s_movk_i32 s4, 0x7f
	v_cmp_lt_i16_e32 vcc, s4, v3
	s_mov_b64 s[4:5], 0
                                        ; implicit-def: $sgpr10
	s_and_saveexec_b64 s[6:7], vcc
	s_xor_b64 s[6:7], exec, s[6:7]
	s_cbranch_execnz .LBB8_2645
; %bb.597:
	s_or_saveexec_b64 s[6:7], s[6:7]
	v_mov_b32_e32 v6, s10
	s_xor_b64 exec, exec, s[6:7]
	s_cbranch_execnz .LBB8_2648
.LBB8_598:
	s_or_b64 exec, exec, s[6:7]
	s_and_saveexec_b64 s[6:7], s[4:5]
	s_cbranch_execz .LBB8_600
.LBB8_599:
	v_bfe_u32 v3, v4, 16, 3
	v_ffbh_u32_e32 v12, v3
	v_min_u32_e32 v12, 32, v12
	v_lshrrev_b32_e32 v6, 19, v4
	v_subrev_u32_e32 v13, 28, v12
	v_and_b32_e32 v6, 15, v6
	v_lshlrev_b32_sdwa v13, v13, v4 dst_sel:DWORD dst_unused:UNUSED_PAD src0_sel:DWORD src1_sel:WORD_1
	v_bfe_u32 v7, v4, 19, 4
	v_sub_u32_e32 v12, 29, v12
	v_and_b32_e32 v13, 7, v13
	v_cmp_eq_u16_e32 vcc, 0, v6
	v_cndmask_b32_e32 v3, v3, v13, vcc
	v_cndmask_b32_e32 v6, v7, v12, vcc
	v_lshlrev_b32_e32 v7, 8, v4
	v_mov_b32_e32 v12, 0x3b800000
	v_lshlrev_b32_e32 v3, 20, v3
	v_and_b32_e32 v7, 0x80000000, v7
	v_lshl_add_u32 v6, v6, 23, v12
	v_or3_b32 v6, v7, v6, v3
.LBB8_600:
	s_or_b64 exec, exec, s[6:7]
	s_nop 0
	v_mfma_f32_16x16x4f32 a[0:3], v2, v6, a[0:3]
	s_movk_i32 s4, 0x7f
	v_cmp_gt_i16_sdwa s[6:7], v8, s4 src0_sel:BYTE_3 src1_sel:DWORD
	s_mov_b64 s[4:5], 0
                                        ; implicit-def: $sgpr10
	s_and_saveexec_b64 s[8:9], s[6:7]
	s_xor_b64 s[6:7], exec, s[8:9]
	s_cbranch_execnz .LBB8_2649
; %bb.601:
	s_or_saveexec_b64 s[6:7], s[6:7]
	v_mov_b32_e32 v2, s10
	s_xor_b64 exec, exec, s[6:7]
	s_cbranch_execnz .LBB8_2652
.LBB8_602:
	s_or_b64 exec, exec, s[6:7]
	s_and_saveexec_b64 s[6:7], s[4:5]
	s_cbranch_execz .LBB8_604
.LBB8_603:
	v_bfe_u32 v2, v8, 24, 3
	v_ffbh_u32_e32 v12, v2
	v_min_u32_e32 v12, 32, v12
	v_lshrrev_b32_e32 v6, 27, v8
	v_subrev_u32_e32 v13, 28, v12
	v_and_b32_e32 v3, 0x80000000, v8
	v_and_b32_e32 v6, 15, v6
	v_bfe_u32 v7, v8, 27, 4
	v_lshlrev_b32_sdwa v8, v13, v8 dst_sel:DWORD dst_unused:UNUSED_PAD src0_sel:DWORD src1_sel:BYTE_3
	v_sub_u32_e32 v12, 29, v12
	v_and_b32_e32 v8, 7, v8
	v_cmp_eq_u16_e32 vcc, 0, v6
	v_cndmask_b32_e32 v2, v2, v8, vcc
	v_cndmask_b32_e32 v6, v7, v12, vcc
	v_mov_b32_e32 v7, 0x3b800000
	v_lshlrev_b32_e32 v2, 20, v2
	v_lshl_add_u32 v6, v6, 23, v7
	v_or3_b32 v2, v3, v6, v2
.LBB8_604:
	s_or_b64 exec, exec, s[6:7]
	s_movk_i32 s4, 0x7f
	v_cmp_gt_i16_sdwa s[6:7], v4, s4 src0_sel:BYTE_3 src1_sel:DWORD
	s_mov_b64 s[4:5], 0
                                        ; implicit-def: $sgpr10
	s_and_saveexec_b64 s[8:9], s[6:7]
	s_xor_b64 s[6:7], exec, s[8:9]
	s_cbranch_execnz .LBB8_2653
; %bb.605:
	s_or_saveexec_b64 s[6:7], s[6:7]
	v_mov_b32_e32 v3, s10
	s_xor_b64 exec, exec, s[6:7]
	s_cbranch_execnz .LBB8_2656
.LBB8_606:
	s_or_b64 exec, exec, s[6:7]
	s_and_saveexec_b64 s[6:7], s[4:5]
	s_cbranch_execz .LBB8_608
.LBB8_607:
	v_bfe_u32 v3, v4, 24, 3
	v_ffbh_u32_e32 v12, v3
	v_min_u32_e32 v12, 32, v12
	v_lshrrev_b32_e32 v7, 27, v4
	v_subrev_u32_e32 v13, 28, v12
	v_and_b32_e32 v6, 0x80000000, v4
	v_and_b32_e32 v7, 15, v7
	v_bfe_u32 v8, v4, 27, 4
	v_lshlrev_b32_sdwa v4, v13, v4 dst_sel:DWORD dst_unused:UNUSED_PAD src0_sel:DWORD src1_sel:BYTE_3
	v_sub_u32_e32 v12, 29, v12
	v_and_b32_e32 v4, 7, v4
	v_cmp_eq_u16_e32 vcc, 0, v7
	v_cndmask_b32_e32 v3, v3, v4, vcc
	v_cndmask_b32_e32 v4, v8, v12, vcc
	v_mov_b32_e32 v7, 0x3b800000
	v_lshlrev_b32_e32 v3, 20, v3
	v_lshl_add_u32 v4, v4, 23, v7
	v_or3_b32 v3, v6, v4, v3
.LBB8_608:
	s_or_b64 exec, exec, s[6:7]
	s_nop 0
	v_mfma_f32_16x16x4f32 a[0:3], v2, v3, a[0:3]
	s_movk_i32 s4, 0x7f
	v_cmp_gt_i16_sdwa s[6:7], v9, s4 src0_sel:BYTE_0 src1_sel:DWORD
	s_mov_b64 s[4:5], 0
                                        ; implicit-def: $sgpr10
	s_and_saveexec_b64 s[8:9], s[6:7]
	s_xor_b64 s[6:7], exec, s[8:9]
	s_cbranch_execnz .LBB8_2657
; %bb.609:
	s_or_saveexec_b64 s[6:7], s[6:7]
	v_mov_b32_e32 v2, s10
	s_xor_b64 exec, exec, s[6:7]
	s_cbranch_execnz .LBB8_2660
.LBB8_610:
	s_or_b64 exec, exec, s[6:7]
	s_and_saveexec_b64 s[6:7], s[4:5]
	s_cbranch_execz .LBB8_612
.LBB8_611:
	v_mov_b32_e32 v2, 8
	v_and_b32_e32 v3, 7, v9
	v_lshrrev_b32_sdwa v2, v2, v9 dst_sel:BYTE_1 dst_unused:UNUSED_PAD src0_sel:DWORD src1_sel:DWORD
	v_ffbh_u32_e32 v4, v3
	v_or_b32_sdwa v2, v9, v2 dst_sel:DWORD dst_unused:UNUSED_PAD src0_sel:BYTE_0 src1_sel:DWORD
	v_min_u32_e32 v4, 32, v4
	v_lshrrev_b16_e32 v2, 3, v2
	v_subrev_u32_e32 v6, 28, v4
	v_and_b32_e32 v2, 15, v2
	v_lshlrev_b32_e32 v6, v6, v9
	v_sub_u32_e32 v4, 29, v4
	v_and_b32_e32 v6, 7, v6
	v_cmp_eq_u16_e32 vcc, 0, v2
	v_cndmask_b32_e32 v3, v3, v6, vcc
	v_cndmask_b32_e32 v2, v2, v4, vcc
	v_lshlrev_b32_e32 v4, 24, v9
	v_mov_b32_e32 v6, 0x3b800000
	v_lshlrev_b32_e32 v3, 20, v3
	v_and_b32_e32 v4, 0x80000000, v4
	v_lshl_add_u32 v2, v2, 23, v6
	v_or3_b32 v2, v4, v2, v3
.LBB8_612:
	s_or_b64 exec, exec, s[6:7]
	s_movk_i32 s4, 0x7f
	v_cmp_gt_i16_sdwa s[6:7], v5, s4 src0_sel:BYTE_0 src1_sel:DWORD
	s_mov_b64 s[4:5], 0
                                        ; implicit-def: $sgpr10
	s_and_saveexec_b64 s[8:9], s[6:7]
	s_xor_b64 s[6:7], exec, s[8:9]
	s_cbranch_execnz .LBB8_2661
; %bb.613:
	s_or_saveexec_b64 s[6:7], s[6:7]
	v_mov_b32_e32 v3, s10
	s_xor_b64 exec, exec, s[6:7]
	s_cbranch_execnz .LBB8_2664
.LBB8_614:
	s_or_b64 exec, exec, s[6:7]
	s_and_saveexec_b64 s[6:7], s[4:5]
	s_cbranch_execz .LBB8_616
.LBB8_615:
	v_mov_b32_e32 v3, 8
	v_and_b32_e32 v4, 7, v5
	v_lshrrev_b32_sdwa v3, v3, v5 dst_sel:BYTE_1 dst_unused:UNUSED_PAD src0_sel:DWORD src1_sel:DWORD
	v_ffbh_u32_e32 v6, v4
	v_or_b32_sdwa v3, v5, v3 dst_sel:DWORD dst_unused:UNUSED_PAD src0_sel:BYTE_0 src1_sel:DWORD
	v_min_u32_e32 v6, 32, v6
	v_lshrrev_b16_e32 v3, 3, v3
	v_subrev_u32_e32 v7, 28, v6
	v_and_b32_e32 v3, 15, v3
	v_lshlrev_b32_e32 v7, v7, v5
	v_sub_u32_e32 v6, 29, v6
	v_and_b32_e32 v7, 7, v7
	v_cmp_eq_u16_e32 vcc, 0, v3
	v_cndmask_b32_e32 v4, v4, v7, vcc
	v_cndmask_b32_e32 v3, v3, v6, vcc
	v_lshlrev_b32_e32 v6, 24, v5
	v_mov_b32_e32 v7, 0x3b800000
	v_lshlrev_b32_e32 v4, 20, v4
	v_and_b32_e32 v6, 0x80000000, v6
	v_lshl_add_u32 v3, v3, 23, v7
	v_or3_b32 v3, v6, v3, v4
.LBB8_616:
	s_or_b64 exec, exec, s[6:7]
	s_nop 0
	v_mfma_f32_16x16x4f32 a[0:3], v2, v3, a[0:3]
	v_lshrrev_b32_e32 v3, 8, v9
	s_movk_i32 s4, 0x7f
	v_cmp_gt_i16_sdwa s[6:7], v3, s4 src0_sel:BYTE_0 src1_sel:DWORD
	s_mov_b64 s[4:5], 0
                                        ; implicit-def: $sgpr10
	s_and_saveexec_b64 s[8:9], s[6:7]
	s_xor_b64 s[6:7], exec, s[8:9]
	s_cbranch_execnz .LBB8_2665
; %bb.617:
	s_or_saveexec_b64 s[6:7], s[6:7]
	v_mov_b32_e32 v2, s10
	s_xor_b64 exec, exec, s[6:7]
	s_cbranch_execnz .LBB8_2668
.LBB8_618:
	s_or_b64 exec, exec, s[6:7]
	s_and_saveexec_b64 s[6:7], s[4:5]
	s_cbranch_execz .LBB8_620
.LBB8_619:
	v_bfe_u32 v2, v9, 8, 3
	v_ffbh_u32_e32 v6, v2
	v_min_u32_e32 v6, 32, v6
	v_lshrrev_b16_e32 v4, 3, v3
	v_subrev_u32_e32 v7, 28, v6
	v_and_b32_e32 v4, 15, v4
	v_lshlrev_b32_e32 v3, v7, v3
	v_sub_u32_e32 v6, 29, v6
	v_and_b32_e32 v3, 7, v3
	v_cmp_eq_u16_e32 vcc, 0, v4
	v_cndmask_b32_e32 v2, v2, v3, vcc
	v_cndmask_b32_e32 v3, v4, v6, vcc
	v_lshlrev_b32_e32 v4, 16, v9
	v_mov_b32_e32 v6, 0x3b800000
	v_lshlrev_b32_e32 v2, 20, v2
	v_and_b32_e32 v4, 0x80000000, v4
	v_lshl_add_u32 v3, v3, 23, v6
	v_or3_b32 v2, v4, v3, v2
.LBB8_620:
	s_or_b64 exec, exec, s[6:7]
	v_lshrrev_b32_e32 v3, 8, v5
	s_movk_i32 s4, 0x7f
	v_cmp_gt_i16_sdwa s[6:7], v3, s4 src0_sel:BYTE_0 src1_sel:DWORD
	s_mov_b64 s[4:5], 0
                                        ; implicit-def: $sgpr10
	s_and_saveexec_b64 s[8:9], s[6:7]
	s_xor_b64 s[6:7], exec, s[8:9]
	s_cbranch_execnz .LBB8_2669
; %bb.621:
	s_or_saveexec_b64 s[6:7], s[6:7]
	v_mov_b32_e32 v4, s10
	s_xor_b64 exec, exec, s[6:7]
	s_cbranch_execnz .LBB8_2672
.LBB8_622:
	s_or_b64 exec, exec, s[6:7]
	s_and_saveexec_b64 s[6:7], s[4:5]
	s_cbranch_execz .LBB8_624
.LBB8_623:
	v_bfe_u32 v4, v5, 8, 3
	v_ffbh_u32_e32 v7, v4
	v_min_u32_e32 v7, 32, v7
	v_lshrrev_b16_e32 v6, 3, v3
	v_subrev_u32_e32 v8, 28, v7
	v_and_b32_e32 v6, 15, v6
	v_lshlrev_b32_e32 v3, v8, v3
	v_sub_u32_e32 v7, 29, v7
	v_and_b32_e32 v3, 7, v3
	v_cmp_eq_u16_e32 vcc, 0, v6
	v_cndmask_b32_e32 v3, v4, v3, vcc
	v_cndmask_b32_e32 v4, v6, v7, vcc
	v_lshlrev_b32_e32 v6, 16, v5
	v_mov_b32_e32 v7, 0x3b800000
	v_lshlrev_b32_e32 v3, 20, v3
	v_and_b32_e32 v6, 0x80000000, v6
	v_lshl_add_u32 v4, v4, 23, v7
	v_or3_b32 v4, v6, v4, v3
.LBB8_624:
	s_or_b64 exec, exec, s[6:7]
	s_nop 0
	v_mfma_f32_16x16x4f32 a[0:3], v2, v4, a[0:3]
	s_movk_i32 s4, 0xff
	v_and_b32_sdwa v3, v9, s4 dst_sel:DWORD dst_unused:UNUSED_PAD src0_sel:WORD_1 src1_sel:DWORD
	s_movk_i32 s4, 0x7f
	v_cmp_lt_i16_e32 vcc, s4, v3
	s_mov_b64 s[4:5], 0
                                        ; implicit-def: $sgpr10
	s_and_saveexec_b64 s[6:7], vcc
	s_xor_b64 s[6:7], exec, s[6:7]
	s_cbranch_execnz .LBB8_2673
; %bb.625:
	s_or_saveexec_b64 s[6:7], s[6:7]
	v_mov_b32_e32 v2, s10
	s_xor_b64 exec, exec, s[6:7]
	s_cbranch_execnz .LBB8_2676
.LBB8_626:
	s_or_b64 exec, exec, s[6:7]
	s_and_saveexec_b64 s[6:7], s[4:5]
	s_cbranch_execz .LBB8_628
.LBB8_627:
	v_bfe_u32 v2, v9, 16, 3
	v_ffbh_u32_e32 v6, v2
	v_min_u32_e32 v6, 32, v6
	v_lshrrev_b32_e32 v3, 19, v9
	v_subrev_u32_e32 v7, 28, v6
	v_and_b32_e32 v3, 15, v3
	v_lshlrev_b32_sdwa v7, v7, v9 dst_sel:DWORD dst_unused:UNUSED_PAD src0_sel:DWORD src1_sel:WORD_1
	v_bfe_u32 v4, v9, 19, 4
	v_sub_u32_e32 v6, 29, v6
	v_and_b32_e32 v7, 7, v7
	v_cmp_eq_u16_e32 vcc, 0, v3
	v_cndmask_b32_e32 v2, v2, v7, vcc
	v_cndmask_b32_e32 v3, v4, v6, vcc
	v_lshlrev_b32_e32 v4, 8, v9
	v_mov_b32_e32 v6, 0x3b800000
	v_lshlrev_b32_e32 v2, 20, v2
	v_and_b32_e32 v4, 0x80000000, v4
	v_lshl_add_u32 v3, v3, 23, v6
	v_or3_b32 v2, v4, v3, v2
.LBB8_628:
	s_or_b64 exec, exec, s[6:7]
	s_movk_i32 s4, 0xff
	v_and_b32_sdwa v3, v5, s4 dst_sel:DWORD dst_unused:UNUSED_PAD src0_sel:WORD_1 src1_sel:DWORD
	s_movk_i32 s4, 0x7f
	v_cmp_lt_i16_e32 vcc, s4, v3
	s_mov_b64 s[4:5], 0
                                        ; implicit-def: $sgpr10
	s_and_saveexec_b64 s[6:7], vcc
	s_xor_b64 s[6:7], exec, s[6:7]
	s_cbranch_execnz .LBB8_2677
; %bb.629:
	s_or_saveexec_b64 s[6:7], s[6:7]
	v_mov_b32_e32 v4, s10
	s_xor_b64 exec, exec, s[6:7]
	s_cbranch_execnz .LBB8_2680
.LBB8_630:
	s_or_b64 exec, exec, s[6:7]
	s_and_saveexec_b64 s[6:7], s[4:5]
	s_cbranch_execz .LBB8_632
.LBB8_631:
	v_bfe_u32 v3, v5, 16, 3
	v_ffbh_u32_e32 v7, v3
	v_min_u32_e32 v7, 32, v7
	v_lshrrev_b32_e32 v4, 19, v5
	v_subrev_u32_e32 v8, 28, v7
	v_and_b32_e32 v4, 15, v4
	v_lshlrev_b32_sdwa v8, v8, v5 dst_sel:DWORD dst_unused:UNUSED_PAD src0_sel:DWORD src1_sel:WORD_1
	v_bfe_u32 v6, v5, 19, 4
	v_sub_u32_e32 v7, 29, v7
	v_and_b32_e32 v8, 7, v8
	v_cmp_eq_u16_e32 vcc, 0, v4
	v_cndmask_b32_e32 v3, v3, v8, vcc
	v_cndmask_b32_e32 v4, v6, v7, vcc
	v_lshlrev_b32_e32 v6, 8, v5
	v_mov_b32_e32 v7, 0x3b800000
	v_lshlrev_b32_e32 v3, 20, v3
	v_and_b32_e32 v6, 0x80000000, v6
	v_lshl_add_u32 v4, v4, 23, v7
	v_or3_b32 v4, v6, v4, v3
.LBB8_632:
	s_or_b64 exec, exec, s[6:7]
	s_nop 0
	v_mfma_f32_16x16x4f32 a[0:3], v2, v4, a[0:3]
	s_movk_i32 s4, 0x7f
	v_cmp_gt_i16_sdwa s[6:7], v9, s4 src0_sel:BYTE_3 src1_sel:DWORD
	s_mov_b64 s[4:5], 0
                                        ; implicit-def: $sgpr10
	s_and_saveexec_b64 s[8:9], s[6:7]
	s_xor_b64 s[6:7], exec, s[8:9]
	s_cbranch_execnz .LBB8_2681
; %bb.633:
	s_or_saveexec_b64 s[6:7], s[6:7]
	v_mov_b32_e32 v2, s10
	s_xor_b64 exec, exec, s[6:7]
	s_cbranch_execnz .LBB8_2684
.LBB8_634:
	s_or_b64 exec, exec, s[6:7]
	s_and_saveexec_b64 s[6:7], s[4:5]
	s_cbranch_execz .LBB8_636
.LBB8_635:
	v_bfe_u32 v2, v9, 24, 3
	v_ffbh_u32_e32 v7, v2
	v_min_u32_e32 v7, 32, v7
	v_lshrrev_b32_e32 v4, 27, v9
	v_subrev_u32_e32 v8, 28, v7
	v_and_b32_e32 v4, 15, v4
	v_lshlrev_b32_sdwa v8, v8, v9 dst_sel:DWORD dst_unused:UNUSED_PAD src0_sel:DWORD src1_sel:BYTE_3
	v_bfe_u32 v6, v9, 27, 4
	v_sub_u32_e32 v7, 29, v7
	v_and_b32_e32 v8, 7, v8
	v_cmp_eq_u16_e32 vcc, 0, v4
	v_cndmask_b32_e32 v2, v2, v8, vcc
	v_cndmask_b32_e32 v4, v6, v7, vcc
	v_mov_b32_e32 v6, 0x3b800000
	v_and_b32_e32 v3, 0x80000000, v9
	v_lshlrev_b32_e32 v2, 20, v2
	v_lshl_add_u32 v4, v4, 23, v6
	v_or3_b32 v2, v3, v4, v2
.LBB8_636:
	s_or_b64 exec, exec, s[6:7]
	s_movk_i32 s4, 0x7f
	v_cmp_gt_i16_sdwa s[6:7], v5, s4 src0_sel:BYTE_3 src1_sel:DWORD
	s_mov_b64 s[4:5], 0
                                        ; implicit-def: $sgpr10
	s_and_saveexec_b64 s[8:9], s[6:7]
	s_xor_b64 s[6:7], exec, s[8:9]
	s_cbranch_execnz .LBB8_2685
; %bb.637:
	s_or_saveexec_b64 s[6:7], s[6:7]
	v_mov_b32_e32 v3, s10
	s_xor_b64 exec, exec, s[6:7]
	s_cbranch_execnz .LBB8_2688
.LBB8_638:
	s_or_b64 exec, exec, s[6:7]
	s_and_saveexec_b64 s[6:7], s[4:5]
	s_cbranch_execz .LBB8_640
.LBB8_639:
	v_bfe_u32 v3, v5, 24, 3
	v_ffbh_u32_e32 v8, v3
	v_min_u32_e32 v8, 32, v8
	v_lshrrev_b32_e32 v6, 27, v5
	v_subrev_u32_e32 v9, 28, v8
	v_and_b32_e32 v4, 0x80000000, v5
	v_and_b32_e32 v6, 15, v6
	v_bfe_u32 v7, v5, 27, 4
	v_lshlrev_b32_sdwa v5, v9, v5 dst_sel:DWORD dst_unused:UNUSED_PAD src0_sel:DWORD src1_sel:BYTE_3
	v_sub_u32_e32 v8, 29, v8
	v_and_b32_e32 v5, 7, v5
	v_cmp_eq_u16_e32 vcc, 0, v6
	v_cndmask_b32_e32 v3, v3, v5, vcc
	v_cndmask_b32_e32 v5, v7, v8, vcc
	v_mov_b32_e32 v6, 0x3b800000
	v_lshlrev_b32_e32 v3, 20, v3
	v_lshl_add_u32 v5, v5, 23, v6
	v_or3_b32 v3, v4, v5, v3
.LBB8_640:
	s_or_b64 exec, exec, s[6:7]
	s_nop 0
	v_mfma_f32_16x16x4f32 a[0:3], v2, v3, a[0:3]
	s_movk_i32 s4, 0x7f
                                        ; implicit-def: $sgpr10
	s_nop 7
	s_nop 1
	flat_store_dwordx4 v[10:11], a[0:3] offset:64
	flat_load_dwordx4 v[12:15], v[0:1] offset:8
	s_nop 0
	flat_load_dwordx2 v[10:11], v[0:1] offset:32
	s_waitcnt vmcnt(0) lgkmcnt(0)
	flat_load_dwordx4 v[6:9], v[12:13] offset:32
	flat_load_dwordx4 v[2:5], v[14:15] offset:32
	s_waitcnt vmcnt(0) lgkmcnt(0)
	v_cmp_gt_i16_sdwa s[6:7], v6, s4 src0_sel:BYTE_0 src1_sel:DWORD
	s_mov_b64 s[4:5], 0
	s_and_saveexec_b64 s[8:9], s[6:7]
	s_xor_b64 s[6:7], exec, s[8:9]
	s_cbranch_execnz .LBB8_2689
; %bb.641:
	s_or_saveexec_b64 s[6:7], s[6:7]
	v_mov_b32_e32 v12, s10
	s_xor_b64 exec, exec, s[6:7]
	s_cbranch_execnz .LBB8_2692
.LBB8_642:
	s_or_b64 exec, exec, s[6:7]
	s_and_saveexec_b64 s[6:7], s[4:5]
	s_cbranch_execz .LBB8_644
.LBB8_643:
	v_and_b32_e32 v12, 7, v6
	v_ffbh_u32_e32 v14, v12
	v_min_u32_e32 v14, 32, v14
	v_lshrrev_b16_e32 v13, 3, v6
	v_subrev_u32_e32 v15, 28, v14
	v_and_b32_e32 v13, 15, v13
	v_lshlrev_b32_e32 v15, v15, v6
	v_sub_u32_e32 v14, 29, v14
	v_and_b32_e32 v15, 7, v15
	v_cmp_eq_u16_e32 vcc, 0, v13
	v_cndmask_b32_e32 v12, v12, v15, vcc
	v_cndmask_b32_e32 v13, v13, v14, vcc
	v_lshlrev_b32_e32 v14, 24, v6
	v_mov_b32_e32 v15, 0x3b800000
	v_lshlrev_b32_e32 v12, 20, v12
	v_and_b32_e32 v14, 0x80000000, v14
	v_lshl_add_u32 v13, v13, 23, v15
	v_or3_b32 v12, v14, v13, v12
.LBB8_644:
	s_or_b64 exec, exec, s[6:7]
	s_movk_i32 s4, 0x7f
	v_cmp_gt_i16_sdwa s[6:7], v2, s4 src0_sel:BYTE_0 src1_sel:DWORD
	s_mov_b64 s[4:5], 0
                                        ; implicit-def: $sgpr10
	s_and_saveexec_b64 s[8:9], s[6:7]
	s_xor_b64 s[6:7], exec, s[8:9]
	s_cbranch_execnz .LBB8_2693
; %bb.645:
	s_or_saveexec_b64 s[6:7], s[6:7]
	v_mov_b32_e32 v13, s10
	s_xor_b64 exec, exec, s[6:7]
	s_cbranch_execnz .LBB8_2696
.LBB8_646:
	s_or_b64 exec, exec, s[6:7]
	s_and_saveexec_b64 s[6:7], s[4:5]
	s_cbranch_execz .LBB8_648
.LBB8_647:
	v_and_b32_e32 v13, 7, v2
	v_ffbh_u32_e32 v15, v13
	v_min_u32_e32 v15, 32, v15
	v_lshrrev_b16_e32 v14, 3, v2
	v_subrev_u32_e32 v16, 28, v15
	v_and_b32_e32 v14, 15, v14
	v_lshlrev_b32_e32 v16, v16, v2
	v_sub_u32_e32 v15, 29, v15
	v_and_b32_e32 v16, 7, v16
	v_cmp_eq_u16_e32 vcc, 0, v14
	v_cndmask_b32_e32 v13, v13, v16, vcc
	v_cndmask_b32_e32 v14, v14, v15, vcc
	v_lshlrev_b32_e32 v15, 24, v2
	v_mov_b32_e32 v16, 0x3b800000
	v_lshlrev_b32_e32 v13, 20, v13
	v_and_b32_e32 v15, 0x80000000, v15
	v_lshl_add_u32 v14, v14, 23, v16
	v_or3_b32 v13, v15, v14, v13
.LBB8_648:
	s_or_b64 exec, exec, s[6:7]
	flat_load_dwordx4 a[0:3], v[10:11] offset:80
	s_movk_i32 s4, 0x7f
                                        ; implicit-def: $sgpr10
	s_waitcnt vmcnt(0) lgkmcnt(0)
	v_mfma_f32_16x16x4f32 a[0:3], v12, v13, a[0:3]
	v_lshrrev_b32_e32 v13, 8, v6
	v_cmp_gt_i16_sdwa s[6:7], v13, s4 src0_sel:BYTE_0 src1_sel:DWORD
	s_mov_b64 s[4:5], 0
	s_and_saveexec_b64 s[8:9], s[6:7]
	s_xor_b64 s[6:7], exec, s[8:9]
	s_cbranch_execnz .LBB8_2697
; %bb.649:
	s_or_saveexec_b64 s[6:7], s[6:7]
	v_mov_b32_e32 v12, s10
	s_xor_b64 exec, exec, s[6:7]
	s_cbranch_execnz .LBB8_2700
.LBB8_650:
	s_or_b64 exec, exec, s[6:7]
	s_and_saveexec_b64 s[6:7], s[4:5]
	s_cbranch_execz .LBB8_652
.LBB8_651:
	v_bfe_u32 v12, v6, 8, 3
	v_ffbh_u32_e32 v15, v12
	v_min_u32_e32 v15, 32, v15
	v_lshrrev_b16_e32 v14, 3, v13
	v_subrev_u32_e32 v16, 28, v15
	v_and_b32_e32 v14, 15, v14
	v_lshlrev_b32_e32 v13, v16, v13
	v_sub_u32_e32 v15, 29, v15
	v_and_b32_e32 v13, 7, v13
	v_cmp_eq_u16_e32 vcc, 0, v14
	v_cndmask_b32_e32 v12, v12, v13, vcc
	v_cndmask_b32_e32 v13, v14, v15, vcc
	v_lshlrev_b32_e32 v14, 16, v6
	v_mov_b32_e32 v15, 0x3b800000
	v_lshlrev_b32_e32 v12, 20, v12
	v_and_b32_e32 v14, 0x80000000, v14
	v_lshl_add_u32 v13, v13, 23, v15
	v_or3_b32 v12, v14, v13, v12
.LBB8_652:
	s_or_b64 exec, exec, s[6:7]
	v_lshrrev_b32_e32 v13, 8, v2
	s_movk_i32 s4, 0x7f
	v_cmp_gt_i16_sdwa s[6:7], v13, s4 src0_sel:BYTE_0 src1_sel:DWORD
	s_mov_b64 s[4:5], 0
                                        ; implicit-def: $sgpr10
	s_and_saveexec_b64 s[8:9], s[6:7]
	s_xor_b64 s[6:7], exec, s[8:9]
	s_cbranch_execnz .LBB8_2701
; %bb.653:
	s_or_saveexec_b64 s[6:7], s[6:7]
	v_mov_b32_e32 v14, s10
	s_xor_b64 exec, exec, s[6:7]
	s_cbranch_execnz .LBB8_2704
.LBB8_654:
	s_or_b64 exec, exec, s[6:7]
	s_and_saveexec_b64 s[6:7], s[4:5]
	s_cbranch_execz .LBB8_656
.LBB8_655:
	v_bfe_u32 v14, v2, 8, 3
	v_ffbh_u32_e32 v16, v14
	v_min_u32_e32 v16, 32, v16
	v_lshrrev_b16_e32 v15, 3, v13
	v_subrev_u32_e32 v17, 28, v16
	v_and_b32_e32 v15, 15, v15
	v_lshlrev_b32_e32 v13, v17, v13
	v_sub_u32_e32 v16, 29, v16
	v_and_b32_e32 v13, 7, v13
	v_cmp_eq_u16_e32 vcc, 0, v15
	v_cndmask_b32_e32 v13, v14, v13, vcc
	v_cndmask_b32_e32 v14, v15, v16, vcc
	v_lshlrev_b32_e32 v15, 16, v2
	v_mov_b32_e32 v16, 0x3b800000
	v_lshlrev_b32_e32 v13, 20, v13
	v_and_b32_e32 v15, 0x80000000, v15
	v_lshl_add_u32 v14, v14, 23, v16
	v_or3_b32 v14, v15, v14, v13
.LBB8_656:
	s_or_b64 exec, exec, s[6:7]
	s_nop 0
	v_mfma_f32_16x16x4f32 a[0:3], v12, v14, a[0:3]
	s_movk_i32 s4, 0xff
	v_and_b32_sdwa v13, v6, s4 dst_sel:DWORD dst_unused:UNUSED_PAD src0_sel:WORD_1 src1_sel:DWORD
	s_movk_i32 s4, 0x7f
	v_cmp_lt_i16_e32 vcc, s4, v13
	s_mov_b64 s[4:5], 0
                                        ; implicit-def: $sgpr10
	s_and_saveexec_b64 s[6:7], vcc
	s_xor_b64 s[6:7], exec, s[6:7]
	s_cbranch_execnz .LBB8_2705
; %bb.657:
	s_or_saveexec_b64 s[6:7], s[6:7]
	v_mov_b32_e32 v12, s10
	s_xor_b64 exec, exec, s[6:7]
	s_cbranch_execnz .LBB8_2708
.LBB8_658:
	s_or_b64 exec, exec, s[6:7]
	s_and_saveexec_b64 s[6:7], s[4:5]
	s_cbranch_execz .LBB8_660
.LBB8_659:
	v_bfe_u32 v12, v6, 16, 3
	v_ffbh_u32_e32 v15, v12
	v_min_u32_e32 v15, 32, v15
	v_lshrrev_b32_e32 v13, 19, v6
	v_subrev_u32_e32 v16, 28, v15
	v_and_b32_e32 v13, 15, v13
	v_lshlrev_b32_sdwa v16, v16, v6 dst_sel:DWORD dst_unused:UNUSED_PAD src0_sel:DWORD src1_sel:WORD_1
	v_bfe_u32 v14, v6, 19, 4
	v_sub_u32_e32 v15, 29, v15
	v_and_b32_e32 v16, 7, v16
	v_cmp_eq_u16_e32 vcc, 0, v13
	v_cndmask_b32_e32 v12, v12, v16, vcc
	v_cndmask_b32_e32 v13, v14, v15, vcc
	v_lshlrev_b32_e32 v14, 8, v6
	v_mov_b32_e32 v15, 0x3b800000
	v_lshlrev_b32_e32 v12, 20, v12
	v_and_b32_e32 v14, 0x80000000, v14
	v_lshl_add_u32 v13, v13, 23, v15
	v_or3_b32 v12, v14, v13, v12
.LBB8_660:
	s_or_b64 exec, exec, s[6:7]
	s_movk_i32 s4, 0xff
	v_and_b32_sdwa v13, v2, s4 dst_sel:DWORD dst_unused:UNUSED_PAD src0_sel:WORD_1 src1_sel:DWORD
	s_movk_i32 s4, 0x7f
	v_cmp_lt_i16_e32 vcc, s4, v13
	s_mov_b64 s[4:5], 0
                                        ; implicit-def: $sgpr10
	s_and_saveexec_b64 s[6:7], vcc
	s_xor_b64 s[6:7], exec, s[6:7]
	s_cbranch_execnz .LBB8_2709
; %bb.661:
	s_or_saveexec_b64 s[6:7], s[6:7]
	v_mov_b32_e32 v14, s10
	s_xor_b64 exec, exec, s[6:7]
	s_cbranch_execnz .LBB8_2712
.LBB8_662:
	s_or_b64 exec, exec, s[6:7]
	s_and_saveexec_b64 s[6:7], s[4:5]
	s_cbranch_execz .LBB8_664
.LBB8_663:
	v_bfe_u32 v13, v2, 16, 3
	v_ffbh_u32_e32 v16, v13
	v_min_u32_e32 v16, 32, v16
	v_lshrrev_b32_e32 v14, 19, v2
	v_subrev_u32_e32 v17, 28, v16
	v_and_b32_e32 v14, 15, v14
	v_lshlrev_b32_sdwa v17, v17, v2 dst_sel:DWORD dst_unused:UNUSED_PAD src0_sel:DWORD src1_sel:WORD_1
	v_bfe_u32 v15, v2, 19, 4
	v_sub_u32_e32 v16, 29, v16
	v_and_b32_e32 v17, 7, v17
	v_cmp_eq_u16_e32 vcc, 0, v14
	v_cndmask_b32_e32 v13, v13, v17, vcc
	v_cndmask_b32_e32 v14, v15, v16, vcc
	v_lshlrev_b32_e32 v15, 8, v2
	v_mov_b32_e32 v16, 0x3b800000
	v_lshlrev_b32_e32 v13, 20, v13
	v_and_b32_e32 v15, 0x80000000, v15
	v_lshl_add_u32 v14, v14, 23, v16
	v_or3_b32 v14, v15, v14, v13
.LBB8_664:
	s_or_b64 exec, exec, s[6:7]
	s_nop 0
	v_mfma_f32_16x16x4f32 a[0:3], v12, v14, a[0:3]
	s_movk_i32 s4, 0x7f
	v_cmp_gt_i16_sdwa s[6:7], v6, s4 src0_sel:BYTE_3 src1_sel:DWORD
	s_mov_b64 s[4:5], 0
                                        ; implicit-def: $sgpr10
	s_and_saveexec_b64 s[8:9], s[6:7]
	s_xor_b64 s[6:7], exec, s[8:9]
	s_cbranch_execnz .LBB8_2713
; %bb.665:
	s_or_saveexec_b64 s[6:7], s[6:7]
	v_mov_b32_e32 v12, s10
	s_xor_b64 exec, exec, s[6:7]
	s_cbranch_execnz .LBB8_2716
.LBB8_666:
	s_or_b64 exec, exec, s[6:7]
	s_and_saveexec_b64 s[6:7], s[4:5]
	s_cbranch_execz .LBB8_668
.LBB8_667:
	v_bfe_u32 v12, v6, 24, 3
	v_ffbh_u32_e32 v16, v12
	v_min_u32_e32 v16, 32, v16
	v_lshrrev_b32_e32 v14, 27, v6
	v_subrev_u32_e32 v17, 28, v16
	v_and_b32_e32 v13, 0x80000000, v6
	v_and_b32_e32 v14, 15, v14
	v_bfe_u32 v15, v6, 27, 4
	v_lshlrev_b32_sdwa v6, v17, v6 dst_sel:DWORD dst_unused:UNUSED_PAD src0_sel:DWORD src1_sel:BYTE_3
	v_sub_u32_e32 v16, 29, v16
	v_and_b32_e32 v6, 7, v6
	v_cmp_eq_u16_e32 vcc, 0, v14
	v_cndmask_b32_e32 v6, v12, v6, vcc
	v_cndmask_b32_e32 v12, v15, v16, vcc
	v_mov_b32_e32 v14, 0x3b800000
	v_lshlrev_b32_e32 v6, 20, v6
	v_lshl_add_u32 v12, v12, 23, v14
	v_or3_b32 v12, v13, v12, v6
.LBB8_668:
	s_or_b64 exec, exec, s[6:7]
	s_movk_i32 s4, 0x7f
	v_cmp_gt_i16_sdwa s[6:7], v2, s4 src0_sel:BYTE_3 src1_sel:DWORD
	s_mov_b64 s[4:5], 0
                                        ; implicit-def: $sgpr10
	s_and_saveexec_b64 s[8:9], s[6:7]
	s_xor_b64 s[6:7], exec, s[8:9]
	s_cbranch_execnz .LBB8_2717
; %bb.669:
	s_or_saveexec_b64 s[6:7], s[6:7]
	v_mov_b32_e32 v6, s10
	s_xor_b64 exec, exec, s[6:7]
	s_cbranch_execnz .LBB8_2720
.LBB8_670:
	s_or_b64 exec, exec, s[6:7]
	s_and_saveexec_b64 s[6:7], s[4:5]
	s_cbranch_execz .LBB8_672
.LBB8_671:
	v_bfe_u32 v6, v2, 24, 3
	v_ffbh_u32_e32 v16, v6
	v_min_u32_e32 v16, 32, v16
	v_lshrrev_b32_e32 v14, 27, v2
	v_subrev_u32_e32 v17, 28, v16
	v_and_b32_e32 v13, 0x80000000, v2
	v_and_b32_e32 v14, 15, v14
	v_bfe_u32 v15, v2, 27, 4
	v_lshlrev_b32_sdwa v2, v17, v2 dst_sel:DWORD dst_unused:UNUSED_PAD src0_sel:DWORD src1_sel:BYTE_3
	v_sub_u32_e32 v16, 29, v16
	v_and_b32_e32 v2, 7, v2
	v_cmp_eq_u16_e32 vcc, 0, v14
	v_cndmask_b32_e32 v2, v6, v2, vcc
	v_cndmask_b32_e32 v6, v15, v16, vcc
	v_mov_b32_e32 v14, 0x3b800000
	v_lshlrev_b32_e32 v2, 20, v2
	v_lshl_add_u32 v6, v6, 23, v14
	v_or3_b32 v6, v13, v6, v2
.LBB8_672:
	s_or_b64 exec, exec, s[6:7]
	s_nop 0
	v_mfma_f32_16x16x4f32 a[0:3], v12, v6, a[0:3]
	s_movk_i32 s4, 0x7f
	v_cmp_gt_i16_sdwa s[6:7], v7, s4 src0_sel:BYTE_0 src1_sel:DWORD
	s_mov_b64 s[4:5], 0
                                        ; implicit-def: $sgpr10
	s_and_saveexec_b64 s[8:9], s[6:7]
	s_xor_b64 s[6:7], exec, s[8:9]
	s_cbranch_execnz .LBB8_2721
; %bb.673:
	s_or_saveexec_b64 s[6:7], s[6:7]
	v_mov_b32_e32 v2, s10
	s_xor_b64 exec, exec, s[6:7]
	s_cbranch_execnz .LBB8_2724
.LBB8_674:
	s_or_b64 exec, exec, s[6:7]
	s_and_saveexec_b64 s[6:7], s[4:5]
	s_cbranch_execz .LBB8_676
.LBB8_675:
	v_and_b32_e32 v2, 7, v7
	v_ffbh_u32_e32 v12, v2
	v_min_u32_e32 v12, 32, v12
	v_lshrrev_b16_e32 v6, 3, v7
	v_subrev_u32_e32 v13, 28, v12
	v_and_b32_e32 v6, 15, v6
	v_lshlrev_b32_e32 v13, v13, v7
	v_sub_u32_e32 v12, 29, v12
	v_and_b32_e32 v13, 7, v13
	v_cmp_eq_u16_e32 vcc, 0, v6
	v_cndmask_b32_e32 v2, v2, v13, vcc
	v_cndmask_b32_e32 v6, v6, v12, vcc
	v_lshlrev_b32_e32 v12, 24, v7
	v_mov_b32_e32 v13, 0x3b800000
	v_lshlrev_b32_e32 v2, 20, v2
	v_and_b32_e32 v12, 0x80000000, v12
	v_lshl_add_u32 v6, v6, 23, v13
	v_or3_b32 v2, v12, v6, v2
.LBB8_676:
	s_or_b64 exec, exec, s[6:7]
	s_movk_i32 s4, 0x7f
	v_cmp_gt_i16_sdwa s[6:7], v3, s4 src0_sel:BYTE_0 src1_sel:DWORD
	s_mov_b64 s[4:5], 0
                                        ; implicit-def: $sgpr10
	s_and_saveexec_b64 s[8:9], s[6:7]
	s_xor_b64 s[6:7], exec, s[8:9]
	s_cbranch_execnz .LBB8_2725
; %bb.677:
	s_or_saveexec_b64 s[6:7], s[6:7]
	v_mov_b32_e32 v6, s10
	s_xor_b64 exec, exec, s[6:7]
	s_cbranch_execnz .LBB8_2728
.LBB8_678:
	s_or_b64 exec, exec, s[6:7]
	s_and_saveexec_b64 s[6:7], s[4:5]
	s_cbranch_execz .LBB8_680
.LBB8_679:
	v_and_b32_e32 v6, 7, v3
	v_ffbh_u32_e32 v13, v6
	v_min_u32_e32 v13, 32, v13
	v_lshrrev_b16_e32 v12, 3, v3
	v_subrev_u32_e32 v14, 28, v13
	v_and_b32_e32 v12, 15, v12
	v_lshlrev_b32_e32 v14, v14, v3
	v_sub_u32_e32 v13, 29, v13
	v_and_b32_e32 v14, 7, v14
	v_cmp_eq_u16_e32 vcc, 0, v12
	v_cndmask_b32_e32 v6, v6, v14, vcc
	v_cndmask_b32_e32 v12, v12, v13, vcc
	v_lshlrev_b32_e32 v13, 24, v3
	v_mov_b32_e32 v14, 0x3b800000
	v_lshlrev_b32_e32 v6, 20, v6
	v_and_b32_e32 v13, 0x80000000, v13
	v_lshl_add_u32 v12, v12, 23, v14
	v_or3_b32 v6, v13, v12, v6
.LBB8_680:
	s_or_b64 exec, exec, s[6:7]
	s_nop 0
	v_mfma_f32_16x16x4f32 a[0:3], v2, v6, a[0:3]
	v_lshrrev_b32_e32 v6, 8, v7
	s_movk_i32 s4, 0x7f
	v_cmp_gt_i16_sdwa s[6:7], v6, s4 src0_sel:BYTE_0 src1_sel:DWORD
	s_mov_b64 s[4:5], 0
                                        ; implicit-def: $sgpr10
	s_and_saveexec_b64 s[8:9], s[6:7]
	s_xor_b64 s[6:7], exec, s[8:9]
	s_cbranch_execnz .LBB8_2729
; %bb.681:
	s_or_saveexec_b64 s[6:7], s[6:7]
	v_mov_b32_e32 v2, s10
	s_xor_b64 exec, exec, s[6:7]
	s_cbranch_execnz .LBB8_2732
.LBB8_682:
	s_or_b64 exec, exec, s[6:7]
	s_and_saveexec_b64 s[6:7], s[4:5]
	s_cbranch_execz .LBB8_684
.LBB8_683:
	v_bfe_u32 v2, v7, 8, 3
	v_ffbh_u32_e32 v13, v2
	v_min_u32_e32 v13, 32, v13
	v_lshrrev_b16_e32 v12, 3, v6
	v_subrev_u32_e32 v14, 28, v13
	v_and_b32_e32 v12, 15, v12
	v_lshlrev_b32_e32 v6, v14, v6
	v_sub_u32_e32 v13, 29, v13
	v_and_b32_e32 v6, 7, v6
	v_cmp_eq_u16_e32 vcc, 0, v12
	v_cndmask_b32_e32 v2, v2, v6, vcc
	v_cndmask_b32_e32 v6, v12, v13, vcc
	v_lshlrev_b32_e32 v12, 16, v7
	v_mov_b32_e32 v13, 0x3b800000
	v_lshlrev_b32_e32 v2, 20, v2
	v_and_b32_e32 v12, 0x80000000, v12
	v_lshl_add_u32 v6, v6, 23, v13
	v_or3_b32 v2, v12, v6, v2
.LBB8_684:
	s_or_b64 exec, exec, s[6:7]
	v_lshrrev_b32_e32 v6, 8, v3
	s_movk_i32 s4, 0x7f
	v_cmp_gt_i16_sdwa s[6:7], v6, s4 src0_sel:BYTE_0 src1_sel:DWORD
	s_mov_b64 s[4:5], 0
                                        ; implicit-def: $sgpr10
	s_and_saveexec_b64 s[8:9], s[6:7]
	s_xor_b64 s[6:7], exec, s[8:9]
	s_cbranch_execnz .LBB8_2733
; %bb.685:
	s_or_saveexec_b64 s[6:7], s[6:7]
	v_mov_b32_e32 v12, s10
	s_xor_b64 exec, exec, s[6:7]
	s_cbranch_execnz .LBB8_2736
.LBB8_686:
	s_or_b64 exec, exec, s[6:7]
	s_and_saveexec_b64 s[6:7], s[4:5]
	s_cbranch_execz .LBB8_688
.LBB8_687:
	v_bfe_u32 v12, v3, 8, 3
	v_ffbh_u32_e32 v14, v12
	v_min_u32_e32 v14, 32, v14
	v_lshrrev_b16_e32 v13, 3, v6
	v_subrev_u32_e32 v15, 28, v14
	v_and_b32_e32 v13, 15, v13
	v_lshlrev_b32_e32 v6, v15, v6
	v_sub_u32_e32 v14, 29, v14
	v_and_b32_e32 v6, 7, v6
	v_cmp_eq_u16_e32 vcc, 0, v13
	v_cndmask_b32_e32 v6, v12, v6, vcc
	v_cndmask_b32_e32 v12, v13, v14, vcc
	v_lshlrev_b32_e32 v13, 16, v3
	v_mov_b32_e32 v14, 0x3b800000
	v_lshlrev_b32_e32 v6, 20, v6
	v_and_b32_e32 v13, 0x80000000, v13
	v_lshl_add_u32 v12, v12, 23, v14
	v_or3_b32 v12, v13, v12, v6
.LBB8_688:
	s_or_b64 exec, exec, s[6:7]
	s_nop 0
	v_mfma_f32_16x16x4f32 a[0:3], v2, v12, a[0:3]
	s_movk_i32 s4, 0xff
	v_and_b32_sdwa v6, v7, s4 dst_sel:DWORD dst_unused:UNUSED_PAD src0_sel:WORD_1 src1_sel:DWORD
	s_movk_i32 s4, 0x7f
	v_cmp_lt_i16_e32 vcc, s4, v6
	s_mov_b64 s[4:5], 0
                                        ; implicit-def: $sgpr10
	s_and_saveexec_b64 s[6:7], vcc
	s_xor_b64 s[6:7], exec, s[6:7]
	s_cbranch_execnz .LBB8_2737
; %bb.689:
	s_or_saveexec_b64 s[6:7], s[6:7]
	v_mov_b32_e32 v2, s10
	s_xor_b64 exec, exec, s[6:7]
	s_cbranch_execnz .LBB8_2740
.LBB8_690:
	s_or_b64 exec, exec, s[6:7]
	s_and_saveexec_b64 s[6:7], s[4:5]
	s_cbranch_execz .LBB8_692
.LBB8_691:
	v_bfe_u32 v2, v7, 16, 3
	v_ffbh_u32_e32 v13, v2
	v_min_u32_e32 v13, 32, v13
	v_lshrrev_b32_e32 v6, 19, v7
	v_subrev_u32_e32 v14, 28, v13
	v_and_b32_e32 v6, 15, v6
	v_lshlrev_b32_sdwa v14, v14, v7 dst_sel:DWORD dst_unused:UNUSED_PAD src0_sel:DWORD src1_sel:WORD_1
	v_bfe_u32 v12, v7, 19, 4
	v_sub_u32_e32 v13, 29, v13
	v_and_b32_e32 v14, 7, v14
	v_cmp_eq_u16_e32 vcc, 0, v6
	v_cndmask_b32_e32 v2, v2, v14, vcc
	v_cndmask_b32_e32 v6, v12, v13, vcc
	v_lshlrev_b32_e32 v12, 8, v7
	v_mov_b32_e32 v13, 0x3b800000
	v_lshlrev_b32_e32 v2, 20, v2
	v_and_b32_e32 v12, 0x80000000, v12
	v_lshl_add_u32 v6, v6, 23, v13
	v_or3_b32 v2, v12, v6, v2
.LBB8_692:
	s_or_b64 exec, exec, s[6:7]
	s_movk_i32 s4, 0xff
	v_and_b32_sdwa v6, v3, s4 dst_sel:DWORD dst_unused:UNUSED_PAD src0_sel:WORD_1 src1_sel:DWORD
	s_movk_i32 s4, 0x7f
	v_cmp_lt_i16_e32 vcc, s4, v6
	s_mov_b64 s[4:5], 0
                                        ; implicit-def: $sgpr10
	s_and_saveexec_b64 s[6:7], vcc
	s_xor_b64 s[6:7], exec, s[6:7]
	s_cbranch_execnz .LBB8_2741
; %bb.693:
	s_or_saveexec_b64 s[6:7], s[6:7]
	v_mov_b32_e32 v12, s10
	s_xor_b64 exec, exec, s[6:7]
	s_cbranch_execnz .LBB8_2744
.LBB8_694:
	s_or_b64 exec, exec, s[6:7]
	s_and_saveexec_b64 s[6:7], s[4:5]
	s_cbranch_execz .LBB8_696
.LBB8_695:
	v_bfe_u32 v6, v3, 16, 3
	v_ffbh_u32_e32 v14, v6
	v_min_u32_e32 v14, 32, v14
	v_lshrrev_b32_e32 v12, 19, v3
	v_subrev_u32_e32 v15, 28, v14
	v_and_b32_e32 v12, 15, v12
	v_lshlrev_b32_sdwa v15, v15, v3 dst_sel:DWORD dst_unused:UNUSED_PAD src0_sel:DWORD src1_sel:WORD_1
	v_bfe_u32 v13, v3, 19, 4
	v_sub_u32_e32 v14, 29, v14
	v_and_b32_e32 v15, 7, v15
	v_cmp_eq_u16_e32 vcc, 0, v12
	v_cndmask_b32_e32 v6, v6, v15, vcc
	v_cndmask_b32_e32 v12, v13, v14, vcc
	v_lshlrev_b32_e32 v13, 8, v3
	v_mov_b32_e32 v14, 0x3b800000
	v_lshlrev_b32_e32 v6, 20, v6
	v_and_b32_e32 v13, 0x80000000, v13
	v_lshl_add_u32 v12, v12, 23, v14
	v_or3_b32 v12, v13, v12, v6
.LBB8_696:
	s_or_b64 exec, exec, s[6:7]
	s_nop 0
	v_mfma_f32_16x16x4f32 a[0:3], v2, v12, a[0:3]
	s_movk_i32 s4, 0x7f
	v_cmp_gt_i16_sdwa s[6:7], v7, s4 src0_sel:BYTE_3 src1_sel:DWORD
	s_mov_b64 s[4:5], 0
                                        ; implicit-def: $sgpr10
	s_and_saveexec_b64 s[8:9], s[6:7]
	s_xor_b64 s[6:7], exec, s[8:9]
	s_cbranch_execnz .LBB8_2745
; %bb.697:
	s_or_saveexec_b64 s[6:7], s[6:7]
	v_mov_b32_e32 v2, s10
	s_xor_b64 exec, exec, s[6:7]
	s_cbranch_execnz .LBB8_2748
.LBB8_698:
	s_or_b64 exec, exec, s[6:7]
	s_and_saveexec_b64 s[6:7], s[4:5]
	s_cbranch_execz .LBB8_700
.LBB8_699:
	v_bfe_u32 v2, v7, 24, 3
	v_ffbh_u32_e32 v14, v2
	v_min_u32_e32 v14, 32, v14
	v_lshrrev_b32_e32 v12, 27, v7
	v_subrev_u32_e32 v15, 28, v14
	v_and_b32_e32 v6, 0x80000000, v7
	v_and_b32_e32 v12, 15, v12
	v_bfe_u32 v13, v7, 27, 4
	v_lshlrev_b32_sdwa v7, v15, v7 dst_sel:DWORD dst_unused:UNUSED_PAD src0_sel:DWORD src1_sel:BYTE_3
	v_sub_u32_e32 v14, 29, v14
	v_and_b32_e32 v7, 7, v7
	v_cmp_eq_u16_e32 vcc, 0, v12
	v_cndmask_b32_e32 v2, v2, v7, vcc
	v_cndmask_b32_e32 v7, v13, v14, vcc
	v_mov_b32_e32 v12, 0x3b800000
	v_lshlrev_b32_e32 v2, 20, v2
	v_lshl_add_u32 v7, v7, 23, v12
	v_or3_b32 v2, v6, v7, v2
.LBB8_700:
	s_or_b64 exec, exec, s[6:7]
	s_movk_i32 s4, 0x7f
	v_cmp_gt_i16_sdwa s[6:7], v3, s4 src0_sel:BYTE_3 src1_sel:DWORD
	s_mov_b64 s[4:5], 0
                                        ; implicit-def: $sgpr10
	s_and_saveexec_b64 s[8:9], s[6:7]
	s_xor_b64 s[6:7], exec, s[8:9]
	s_cbranch_execnz .LBB8_2749
; %bb.701:
	s_or_saveexec_b64 s[6:7], s[6:7]
	v_mov_b32_e32 v6, s10
	s_xor_b64 exec, exec, s[6:7]
	s_cbranch_execnz .LBB8_2752
.LBB8_702:
	s_or_b64 exec, exec, s[6:7]
	s_and_saveexec_b64 s[6:7], s[4:5]
	s_cbranch_execz .LBB8_704
.LBB8_703:
	v_bfe_u32 v6, v3, 24, 3
	v_ffbh_u32_e32 v14, v6
	v_min_u32_e32 v14, 32, v14
	v_lshrrev_b32_e32 v12, 27, v3
	v_subrev_u32_e32 v15, 28, v14
	v_and_b32_e32 v7, 0x80000000, v3
	v_and_b32_e32 v12, 15, v12
	v_bfe_u32 v13, v3, 27, 4
	v_lshlrev_b32_sdwa v3, v15, v3 dst_sel:DWORD dst_unused:UNUSED_PAD src0_sel:DWORD src1_sel:BYTE_3
	v_sub_u32_e32 v14, 29, v14
	v_and_b32_e32 v3, 7, v3
	v_cmp_eq_u16_e32 vcc, 0, v12
	v_cndmask_b32_e32 v3, v6, v3, vcc
	v_cndmask_b32_e32 v6, v13, v14, vcc
	v_mov_b32_e32 v12, 0x3b800000
	v_lshlrev_b32_e32 v3, 20, v3
	v_lshl_add_u32 v6, v6, 23, v12
	v_or3_b32 v6, v7, v6, v3
.LBB8_704:
	s_or_b64 exec, exec, s[6:7]
	s_nop 0
	v_mfma_f32_16x16x4f32 a[0:3], v2, v6, a[0:3]
	s_movk_i32 s4, 0x7f
	v_cmp_gt_i16_sdwa s[6:7], v8, s4 src0_sel:BYTE_0 src1_sel:DWORD
	s_mov_b64 s[4:5], 0
                                        ; implicit-def: $sgpr10
	s_and_saveexec_b64 s[8:9], s[6:7]
	s_xor_b64 s[6:7], exec, s[8:9]
	s_cbranch_execnz .LBB8_2753
; %bb.705:
	s_or_saveexec_b64 s[6:7], s[6:7]
	v_mov_b32_e32 v2, s10
	s_xor_b64 exec, exec, s[6:7]
	s_cbranch_execnz .LBB8_2756
.LBB8_706:
	s_or_b64 exec, exec, s[6:7]
	s_and_saveexec_b64 s[6:7], s[4:5]
	s_cbranch_execz .LBB8_708
.LBB8_707:
	v_and_b32_e32 v2, 7, v8
	v_ffbh_u32_e32 v6, v2
	v_min_u32_e32 v6, 32, v6
	v_lshrrev_b16_e32 v3, 3, v8
	v_subrev_u32_e32 v7, 28, v6
	v_and_b32_e32 v3, 15, v3
	v_lshlrev_b32_e32 v7, v7, v8
	v_sub_u32_e32 v6, 29, v6
	v_and_b32_e32 v7, 7, v7
	v_cmp_eq_u16_e32 vcc, 0, v3
	v_cndmask_b32_e32 v2, v2, v7, vcc
	v_cndmask_b32_e32 v3, v3, v6, vcc
	v_lshlrev_b32_e32 v6, 24, v8
	v_mov_b32_e32 v7, 0x3b800000
	v_lshlrev_b32_e32 v2, 20, v2
	v_and_b32_e32 v6, 0x80000000, v6
	v_lshl_add_u32 v3, v3, 23, v7
	v_or3_b32 v2, v6, v3, v2
.LBB8_708:
	s_or_b64 exec, exec, s[6:7]
	s_movk_i32 s4, 0x7f
	v_cmp_gt_i16_sdwa s[6:7], v4, s4 src0_sel:BYTE_0 src1_sel:DWORD
	s_mov_b64 s[4:5], 0
                                        ; implicit-def: $sgpr10
	s_and_saveexec_b64 s[8:9], s[6:7]
	s_xor_b64 s[6:7], exec, s[8:9]
	s_cbranch_execnz .LBB8_2757
; %bb.709:
	s_or_saveexec_b64 s[6:7], s[6:7]
	v_mov_b32_e32 v3, s10
	s_xor_b64 exec, exec, s[6:7]
	s_cbranch_execnz .LBB8_2760
.LBB8_710:
	s_or_b64 exec, exec, s[6:7]
	s_and_saveexec_b64 s[6:7], s[4:5]
	s_cbranch_execz .LBB8_712
.LBB8_711:
	v_and_b32_e32 v3, 7, v4
	v_ffbh_u32_e32 v7, v3
	v_min_u32_e32 v7, 32, v7
	v_lshrrev_b16_e32 v6, 3, v4
	v_subrev_u32_e32 v12, 28, v7
	v_and_b32_e32 v6, 15, v6
	v_lshlrev_b32_e32 v12, v12, v4
	v_sub_u32_e32 v7, 29, v7
	v_and_b32_e32 v12, 7, v12
	v_cmp_eq_u16_e32 vcc, 0, v6
	v_cndmask_b32_e32 v3, v3, v12, vcc
	v_cndmask_b32_e32 v6, v6, v7, vcc
	v_lshlrev_b32_e32 v7, 24, v4
	v_mov_b32_e32 v12, 0x3b800000
	v_lshlrev_b32_e32 v3, 20, v3
	v_and_b32_e32 v7, 0x80000000, v7
	v_lshl_add_u32 v6, v6, 23, v12
	v_or3_b32 v3, v7, v6, v3
.LBB8_712:
	s_or_b64 exec, exec, s[6:7]
	s_nop 0
	v_mfma_f32_16x16x4f32 a[0:3], v2, v3, a[0:3]
	v_lshrrev_b32_e32 v3, 8, v8
	s_movk_i32 s4, 0x7f
	v_cmp_gt_i16_sdwa s[6:7], v3, s4 src0_sel:BYTE_0 src1_sel:DWORD
	s_mov_b64 s[4:5], 0
                                        ; implicit-def: $sgpr10
	s_and_saveexec_b64 s[8:9], s[6:7]
	s_xor_b64 s[6:7], exec, s[8:9]
	s_cbranch_execnz .LBB8_2761
; %bb.713:
	s_or_saveexec_b64 s[6:7], s[6:7]
	v_mov_b32_e32 v2, s10
	s_xor_b64 exec, exec, s[6:7]
	s_cbranch_execnz .LBB8_2764
.LBB8_714:
	s_or_b64 exec, exec, s[6:7]
	s_and_saveexec_b64 s[6:7], s[4:5]
	s_cbranch_execz .LBB8_716
.LBB8_715:
	v_bfe_u32 v2, v8, 8, 3
	v_ffbh_u32_e32 v7, v2
	v_min_u32_e32 v7, 32, v7
	v_lshrrev_b16_e32 v6, 3, v3
	v_subrev_u32_e32 v12, 28, v7
	v_and_b32_e32 v6, 15, v6
	v_lshlrev_b32_e32 v3, v12, v3
	v_sub_u32_e32 v7, 29, v7
	v_and_b32_e32 v3, 7, v3
	v_cmp_eq_u16_e32 vcc, 0, v6
	v_cndmask_b32_e32 v2, v2, v3, vcc
	v_cndmask_b32_e32 v3, v6, v7, vcc
	v_lshlrev_b32_e32 v6, 16, v8
	v_mov_b32_e32 v7, 0x3b800000
	v_lshlrev_b32_e32 v2, 20, v2
	v_and_b32_e32 v6, 0x80000000, v6
	v_lshl_add_u32 v3, v3, 23, v7
	v_or3_b32 v2, v6, v3, v2
.LBB8_716:
	s_or_b64 exec, exec, s[6:7]
	v_lshrrev_b32_e32 v3, 8, v4
	s_movk_i32 s4, 0x7f
	v_cmp_gt_i16_sdwa s[6:7], v3, s4 src0_sel:BYTE_0 src1_sel:DWORD
	s_mov_b64 s[4:5], 0
                                        ; implicit-def: $sgpr10
	s_and_saveexec_b64 s[8:9], s[6:7]
	s_xor_b64 s[6:7], exec, s[8:9]
	s_cbranch_execnz .LBB8_2765
; %bb.717:
	s_or_saveexec_b64 s[6:7], s[6:7]
	v_mov_b32_e32 v6, s10
	s_xor_b64 exec, exec, s[6:7]
	s_cbranch_execnz .LBB8_2768
.LBB8_718:
	s_or_b64 exec, exec, s[6:7]
	s_and_saveexec_b64 s[6:7], s[4:5]
	s_cbranch_execz .LBB8_720
.LBB8_719:
	v_bfe_u32 v6, v4, 8, 3
	v_ffbh_u32_e32 v12, v6
	v_min_u32_e32 v12, 32, v12
	v_lshrrev_b16_e32 v7, 3, v3
	v_subrev_u32_e32 v13, 28, v12
	v_and_b32_e32 v7, 15, v7
	v_lshlrev_b32_e32 v3, v13, v3
	v_sub_u32_e32 v12, 29, v12
	v_and_b32_e32 v3, 7, v3
	v_cmp_eq_u16_e32 vcc, 0, v7
	v_cndmask_b32_e32 v3, v6, v3, vcc
	v_cndmask_b32_e32 v6, v7, v12, vcc
	v_lshlrev_b32_e32 v7, 16, v4
	v_mov_b32_e32 v12, 0x3b800000
	v_lshlrev_b32_e32 v3, 20, v3
	v_and_b32_e32 v7, 0x80000000, v7
	v_lshl_add_u32 v6, v6, 23, v12
	v_or3_b32 v6, v7, v6, v3
.LBB8_720:
	s_or_b64 exec, exec, s[6:7]
	s_nop 0
	v_mfma_f32_16x16x4f32 a[0:3], v2, v6, a[0:3]
	s_movk_i32 s4, 0xff
	v_and_b32_sdwa v3, v8, s4 dst_sel:DWORD dst_unused:UNUSED_PAD src0_sel:WORD_1 src1_sel:DWORD
	s_movk_i32 s4, 0x7f
	v_cmp_lt_i16_e32 vcc, s4, v3
	s_mov_b64 s[4:5], 0
                                        ; implicit-def: $sgpr10
	s_and_saveexec_b64 s[6:7], vcc
	s_xor_b64 s[6:7], exec, s[6:7]
	s_cbranch_execnz .LBB8_2769
; %bb.721:
	s_or_saveexec_b64 s[6:7], s[6:7]
	v_mov_b32_e32 v2, s10
	s_xor_b64 exec, exec, s[6:7]
	s_cbranch_execnz .LBB8_2772
.LBB8_722:
	s_or_b64 exec, exec, s[6:7]
	s_and_saveexec_b64 s[6:7], s[4:5]
	s_cbranch_execz .LBB8_724
.LBB8_723:
	v_bfe_u32 v2, v8, 16, 3
	v_ffbh_u32_e32 v7, v2
	v_min_u32_e32 v7, 32, v7
	v_lshrrev_b32_e32 v3, 19, v8
	v_subrev_u32_e32 v12, 28, v7
	v_and_b32_e32 v3, 15, v3
	v_lshlrev_b32_sdwa v12, v12, v8 dst_sel:DWORD dst_unused:UNUSED_PAD src0_sel:DWORD src1_sel:WORD_1
	v_bfe_u32 v6, v8, 19, 4
	v_sub_u32_e32 v7, 29, v7
	v_and_b32_e32 v12, 7, v12
	v_cmp_eq_u16_e32 vcc, 0, v3
	v_cndmask_b32_e32 v2, v2, v12, vcc
	v_cndmask_b32_e32 v3, v6, v7, vcc
	v_lshlrev_b32_e32 v6, 8, v8
	v_mov_b32_e32 v7, 0x3b800000
	v_lshlrev_b32_e32 v2, 20, v2
	v_and_b32_e32 v6, 0x80000000, v6
	v_lshl_add_u32 v3, v3, 23, v7
	v_or3_b32 v2, v6, v3, v2
.LBB8_724:
	s_or_b64 exec, exec, s[6:7]
	s_movk_i32 s4, 0xff
	v_and_b32_sdwa v3, v4, s4 dst_sel:DWORD dst_unused:UNUSED_PAD src0_sel:WORD_1 src1_sel:DWORD
	s_movk_i32 s4, 0x7f
	v_cmp_lt_i16_e32 vcc, s4, v3
	s_mov_b64 s[4:5], 0
                                        ; implicit-def: $sgpr10
	s_and_saveexec_b64 s[6:7], vcc
	s_xor_b64 s[6:7], exec, s[6:7]
	s_cbranch_execnz .LBB8_2773
; %bb.725:
	s_or_saveexec_b64 s[6:7], s[6:7]
	v_mov_b32_e32 v6, s10
	s_xor_b64 exec, exec, s[6:7]
	s_cbranch_execnz .LBB8_2776
.LBB8_726:
	s_or_b64 exec, exec, s[6:7]
	s_and_saveexec_b64 s[6:7], s[4:5]
	s_cbranch_execz .LBB8_728
.LBB8_727:
	v_bfe_u32 v3, v4, 16, 3
	v_ffbh_u32_e32 v12, v3
	v_min_u32_e32 v12, 32, v12
	v_lshrrev_b32_e32 v6, 19, v4
	v_subrev_u32_e32 v13, 28, v12
	v_and_b32_e32 v6, 15, v6
	v_lshlrev_b32_sdwa v13, v13, v4 dst_sel:DWORD dst_unused:UNUSED_PAD src0_sel:DWORD src1_sel:WORD_1
	v_bfe_u32 v7, v4, 19, 4
	v_sub_u32_e32 v12, 29, v12
	v_and_b32_e32 v13, 7, v13
	v_cmp_eq_u16_e32 vcc, 0, v6
	v_cndmask_b32_e32 v3, v3, v13, vcc
	v_cndmask_b32_e32 v6, v7, v12, vcc
	v_lshlrev_b32_e32 v7, 8, v4
	v_mov_b32_e32 v12, 0x3b800000
	v_lshlrev_b32_e32 v3, 20, v3
	v_and_b32_e32 v7, 0x80000000, v7
	v_lshl_add_u32 v6, v6, 23, v12
	v_or3_b32 v6, v7, v6, v3
.LBB8_728:
	s_or_b64 exec, exec, s[6:7]
	s_nop 0
	v_mfma_f32_16x16x4f32 a[0:3], v2, v6, a[0:3]
	s_movk_i32 s4, 0x7f
	v_cmp_gt_i16_sdwa s[6:7], v8, s4 src0_sel:BYTE_3 src1_sel:DWORD
	s_mov_b64 s[4:5], 0
                                        ; implicit-def: $sgpr10
	s_and_saveexec_b64 s[8:9], s[6:7]
	s_xor_b64 s[6:7], exec, s[8:9]
	s_cbranch_execnz .LBB8_2777
; %bb.729:
	s_or_saveexec_b64 s[6:7], s[6:7]
	v_mov_b32_e32 v2, s10
	s_xor_b64 exec, exec, s[6:7]
	s_cbranch_execnz .LBB8_2780
.LBB8_730:
	s_or_b64 exec, exec, s[6:7]
	s_and_saveexec_b64 s[6:7], s[4:5]
	s_cbranch_execz .LBB8_732
.LBB8_731:
	v_bfe_u32 v2, v8, 24, 3
	v_ffbh_u32_e32 v12, v2
	v_min_u32_e32 v12, 32, v12
	v_lshrrev_b32_e32 v6, 27, v8
	v_subrev_u32_e32 v13, 28, v12
	v_and_b32_e32 v3, 0x80000000, v8
	v_and_b32_e32 v6, 15, v6
	v_bfe_u32 v7, v8, 27, 4
	v_lshlrev_b32_sdwa v8, v13, v8 dst_sel:DWORD dst_unused:UNUSED_PAD src0_sel:DWORD src1_sel:BYTE_3
	v_sub_u32_e32 v12, 29, v12
	v_and_b32_e32 v8, 7, v8
	v_cmp_eq_u16_e32 vcc, 0, v6
	v_cndmask_b32_e32 v2, v2, v8, vcc
	v_cndmask_b32_e32 v6, v7, v12, vcc
	v_mov_b32_e32 v7, 0x3b800000
	v_lshlrev_b32_e32 v2, 20, v2
	v_lshl_add_u32 v6, v6, 23, v7
	v_or3_b32 v2, v3, v6, v2
.LBB8_732:
	s_or_b64 exec, exec, s[6:7]
	s_movk_i32 s4, 0x7f
	v_cmp_gt_i16_sdwa s[6:7], v4, s4 src0_sel:BYTE_3 src1_sel:DWORD
	s_mov_b64 s[4:5], 0
                                        ; implicit-def: $sgpr10
	s_and_saveexec_b64 s[8:9], s[6:7]
	s_xor_b64 s[6:7], exec, s[8:9]
	s_cbranch_execnz .LBB8_2781
; %bb.733:
	s_or_saveexec_b64 s[6:7], s[6:7]
	v_mov_b32_e32 v3, s10
	s_xor_b64 exec, exec, s[6:7]
	s_cbranch_execnz .LBB8_2784
.LBB8_734:
	s_or_b64 exec, exec, s[6:7]
	s_and_saveexec_b64 s[6:7], s[4:5]
	s_cbranch_execz .LBB8_736
.LBB8_735:
	v_bfe_u32 v3, v4, 24, 3
	v_ffbh_u32_e32 v12, v3
	v_min_u32_e32 v12, 32, v12
	v_lshrrev_b32_e32 v7, 27, v4
	v_subrev_u32_e32 v13, 28, v12
	v_and_b32_e32 v6, 0x80000000, v4
	v_and_b32_e32 v7, 15, v7
	v_bfe_u32 v8, v4, 27, 4
	v_lshlrev_b32_sdwa v4, v13, v4 dst_sel:DWORD dst_unused:UNUSED_PAD src0_sel:DWORD src1_sel:BYTE_3
	v_sub_u32_e32 v12, 29, v12
	v_and_b32_e32 v4, 7, v4
	v_cmp_eq_u16_e32 vcc, 0, v7
	v_cndmask_b32_e32 v3, v3, v4, vcc
	v_cndmask_b32_e32 v4, v8, v12, vcc
	v_mov_b32_e32 v7, 0x3b800000
	v_lshlrev_b32_e32 v3, 20, v3
	v_lshl_add_u32 v4, v4, 23, v7
	v_or3_b32 v3, v6, v4, v3
.LBB8_736:
	s_or_b64 exec, exec, s[6:7]
	s_nop 0
	v_mfma_f32_16x16x4f32 a[0:3], v2, v3, a[0:3]
	s_movk_i32 s4, 0x7f
	v_cmp_gt_i16_sdwa s[6:7], v9, s4 src0_sel:BYTE_0 src1_sel:DWORD
	s_mov_b64 s[4:5], 0
                                        ; implicit-def: $sgpr10
	s_and_saveexec_b64 s[8:9], s[6:7]
	s_xor_b64 s[6:7], exec, s[8:9]
	s_cbranch_execnz .LBB8_2785
; %bb.737:
	s_or_saveexec_b64 s[6:7], s[6:7]
	v_mov_b32_e32 v2, s10
	s_xor_b64 exec, exec, s[6:7]
	s_cbranch_execnz .LBB8_2788
.LBB8_738:
	s_or_b64 exec, exec, s[6:7]
	s_and_saveexec_b64 s[6:7], s[4:5]
	s_cbranch_execz .LBB8_740
.LBB8_739:
	v_mov_b32_e32 v2, 8
	v_and_b32_e32 v3, 7, v9
	v_lshrrev_b32_sdwa v2, v2, v9 dst_sel:BYTE_1 dst_unused:UNUSED_PAD src0_sel:DWORD src1_sel:DWORD
	v_ffbh_u32_e32 v4, v3
	v_or_b32_sdwa v2, v9, v2 dst_sel:DWORD dst_unused:UNUSED_PAD src0_sel:BYTE_0 src1_sel:DWORD
	v_min_u32_e32 v4, 32, v4
	v_lshrrev_b16_e32 v2, 3, v2
	v_subrev_u32_e32 v6, 28, v4
	v_and_b32_e32 v2, 15, v2
	v_lshlrev_b32_e32 v6, v6, v9
	v_sub_u32_e32 v4, 29, v4
	v_and_b32_e32 v6, 7, v6
	v_cmp_eq_u16_e32 vcc, 0, v2
	v_cndmask_b32_e32 v3, v3, v6, vcc
	v_cndmask_b32_e32 v2, v2, v4, vcc
	v_lshlrev_b32_e32 v4, 24, v9
	v_mov_b32_e32 v6, 0x3b800000
	v_lshlrev_b32_e32 v3, 20, v3
	v_and_b32_e32 v4, 0x80000000, v4
	v_lshl_add_u32 v2, v2, 23, v6
	v_or3_b32 v2, v4, v2, v3
.LBB8_740:
	s_or_b64 exec, exec, s[6:7]
	s_movk_i32 s4, 0x7f
	v_cmp_gt_i16_sdwa s[6:7], v5, s4 src0_sel:BYTE_0 src1_sel:DWORD
	s_mov_b64 s[4:5], 0
                                        ; implicit-def: $sgpr10
	s_and_saveexec_b64 s[8:9], s[6:7]
	s_xor_b64 s[6:7], exec, s[8:9]
	s_cbranch_execnz .LBB8_2789
; %bb.741:
	s_or_saveexec_b64 s[6:7], s[6:7]
	v_mov_b32_e32 v3, s10
	s_xor_b64 exec, exec, s[6:7]
	s_cbranch_execnz .LBB8_2792
.LBB8_742:
	s_or_b64 exec, exec, s[6:7]
	s_and_saveexec_b64 s[6:7], s[4:5]
	s_cbranch_execz .LBB8_744
.LBB8_743:
	v_mov_b32_e32 v3, 8
	v_and_b32_e32 v4, 7, v5
	v_lshrrev_b32_sdwa v3, v3, v5 dst_sel:BYTE_1 dst_unused:UNUSED_PAD src0_sel:DWORD src1_sel:DWORD
	v_ffbh_u32_e32 v6, v4
	v_or_b32_sdwa v3, v5, v3 dst_sel:DWORD dst_unused:UNUSED_PAD src0_sel:BYTE_0 src1_sel:DWORD
	v_min_u32_e32 v6, 32, v6
	v_lshrrev_b16_e32 v3, 3, v3
	v_subrev_u32_e32 v7, 28, v6
	v_and_b32_e32 v3, 15, v3
	v_lshlrev_b32_e32 v7, v7, v5
	v_sub_u32_e32 v6, 29, v6
	v_and_b32_e32 v7, 7, v7
	v_cmp_eq_u16_e32 vcc, 0, v3
	v_cndmask_b32_e32 v4, v4, v7, vcc
	v_cndmask_b32_e32 v3, v3, v6, vcc
	v_lshlrev_b32_e32 v6, 24, v5
	v_mov_b32_e32 v7, 0x3b800000
	v_lshlrev_b32_e32 v4, 20, v4
	v_and_b32_e32 v6, 0x80000000, v6
	v_lshl_add_u32 v3, v3, 23, v7
	v_or3_b32 v3, v6, v3, v4
.LBB8_744:
	s_or_b64 exec, exec, s[6:7]
	s_nop 0
	v_mfma_f32_16x16x4f32 a[0:3], v2, v3, a[0:3]
	v_lshrrev_b32_e32 v3, 8, v9
	s_movk_i32 s4, 0x7f
	v_cmp_gt_i16_sdwa s[6:7], v3, s4 src0_sel:BYTE_0 src1_sel:DWORD
	s_mov_b64 s[4:5], 0
                                        ; implicit-def: $sgpr10
	s_and_saveexec_b64 s[8:9], s[6:7]
	s_xor_b64 s[6:7], exec, s[8:9]
	s_cbranch_execnz .LBB8_2793
; %bb.745:
	s_or_saveexec_b64 s[6:7], s[6:7]
	v_mov_b32_e32 v2, s10
	s_xor_b64 exec, exec, s[6:7]
	s_cbranch_execnz .LBB8_2796
.LBB8_746:
	s_or_b64 exec, exec, s[6:7]
	s_and_saveexec_b64 s[6:7], s[4:5]
	s_cbranch_execz .LBB8_748
.LBB8_747:
	v_bfe_u32 v2, v9, 8, 3
	v_ffbh_u32_e32 v6, v2
	v_min_u32_e32 v6, 32, v6
	v_lshrrev_b16_e32 v4, 3, v3
	v_subrev_u32_e32 v7, 28, v6
	v_and_b32_e32 v4, 15, v4
	v_lshlrev_b32_e32 v3, v7, v3
	v_sub_u32_e32 v6, 29, v6
	v_and_b32_e32 v3, 7, v3
	v_cmp_eq_u16_e32 vcc, 0, v4
	v_cndmask_b32_e32 v2, v2, v3, vcc
	v_cndmask_b32_e32 v3, v4, v6, vcc
	v_lshlrev_b32_e32 v4, 16, v9
	v_mov_b32_e32 v6, 0x3b800000
	v_lshlrev_b32_e32 v2, 20, v2
	v_and_b32_e32 v4, 0x80000000, v4
	v_lshl_add_u32 v3, v3, 23, v6
	v_or3_b32 v2, v4, v3, v2
.LBB8_748:
	s_or_b64 exec, exec, s[6:7]
	v_lshrrev_b32_e32 v3, 8, v5
	s_movk_i32 s4, 0x7f
	v_cmp_gt_i16_sdwa s[6:7], v3, s4 src0_sel:BYTE_0 src1_sel:DWORD
	s_mov_b64 s[4:5], 0
                                        ; implicit-def: $sgpr10
	s_and_saveexec_b64 s[8:9], s[6:7]
	s_xor_b64 s[6:7], exec, s[8:9]
	s_cbranch_execnz .LBB8_2797
; %bb.749:
	s_or_saveexec_b64 s[6:7], s[6:7]
	v_mov_b32_e32 v4, s10
	s_xor_b64 exec, exec, s[6:7]
	s_cbranch_execnz .LBB8_2800
.LBB8_750:
	s_or_b64 exec, exec, s[6:7]
	s_and_saveexec_b64 s[6:7], s[4:5]
	s_cbranch_execz .LBB8_752
.LBB8_751:
	v_bfe_u32 v4, v5, 8, 3
	v_ffbh_u32_e32 v7, v4
	v_min_u32_e32 v7, 32, v7
	v_lshrrev_b16_e32 v6, 3, v3
	v_subrev_u32_e32 v8, 28, v7
	v_and_b32_e32 v6, 15, v6
	v_lshlrev_b32_e32 v3, v8, v3
	v_sub_u32_e32 v7, 29, v7
	v_and_b32_e32 v3, 7, v3
	v_cmp_eq_u16_e32 vcc, 0, v6
	v_cndmask_b32_e32 v3, v4, v3, vcc
	v_cndmask_b32_e32 v4, v6, v7, vcc
	v_lshlrev_b32_e32 v6, 16, v5
	v_mov_b32_e32 v7, 0x3b800000
	v_lshlrev_b32_e32 v3, 20, v3
	v_and_b32_e32 v6, 0x80000000, v6
	v_lshl_add_u32 v4, v4, 23, v7
	v_or3_b32 v4, v6, v4, v3
.LBB8_752:
	s_or_b64 exec, exec, s[6:7]
	s_nop 0
	v_mfma_f32_16x16x4f32 a[0:3], v2, v4, a[0:3]
	s_movk_i32 s4, 0xff
	v_and_b32_sdwa v3, v9, s4 dst_sel:DWORD dst_unused:UNUSED_PAD src0_sel:WORD_1 src1_sel:DWORD
	s_movk_i32 s4, 0x7f
	v_cmp_lt_i16_e32 vcc, s4, v3
	s_mov_b64 s[4:5], 0
                                        ; implicit-def: $sgpr10
	s_and_saveexec_b64 s[6:7], vcc
	s_xor_b64 s[6:7], exec, s[6:7]
	s_cbranch_execnz .LBB8_2801
; %bb.753:
	s_or_saveexec_b64 s[6:7], s[6:7]
	v_mov_b32_e32 v2, s10
	s_xor_b64 exec, exec, s[6:7]
	s_cbranch_execnz .LBB8_2804
.LBB8_754:
	s_or_b64 exec, exec, s[6:7]
	s_and_saveexec_b64 s[6:7], s[4:5]
	s_cbranch_execz .LBB8_756
.LBB8_755:
	v_bfe_u32 v2, v9, 16, 3
	v_ffbh_u32_e32 v6, v2
	v_min_u32_e32 v6, 32, v6
	v_lshrrev_b32_e32 v3, 19, v9
	v_subrev_u32_e32 v7, 28, v6
	v_and_b32_e32 v3, 15, v3
	v_lshlrev_b32_sdwa v7, v7, v9 dst_sel:DWORD dst_unused:UNUSED_PAD src0_sel:DWORD src1_sel:WORD_1
	v_bfe_u32 v4, v9, 19, 4
	v_sub_u32_e32 v6, 29, v6
	v_and_b32_e32 v7, 7, v7
	v_cmp_eq_u16_e32 vcc, 0, v3
	v_cndmask_b32_e32 v2, v2, v7, vcc
	v_cndmask_b32_e32 v3, v4, v6, vcc
	v_lshlrev_b32_e32 v4, 8, v9
	v_mov_b32_e32 v6, 0x3b800000
	v_lshlrev_b32_e32 v2, 20, v2
	v_and_b32_e32 v4, 0x80000000, v4
	v_lshl_add_u32 v3, v3, 23, v6
	v_or3_b32 v2, v4, v3, v2
.LBB8_756:
	s_or_b64 exec, exec, s[6:7]
	s_movk_i32 s4, 0xff
	v_and_b32_sdwa v3, v5, s4 dst_sel:DWORD dst_unused:UNUSED_PAD src0_sel:WORD_1 src1_sel:DWORD
	s_movk_i32 s4, 0x7f
	v_cmp_lt_i16_e32 vcc, s4, v3
	s_mov_b64 s[4:5], 0
                                        ; implicit-def: $sgpr10
	s_and_saveexec_b64 s[6:7], vcc
	s_xor_b64 s[6:7], exec, s[6:7]
	s_cbranch_execnz .LBB8_2805
; %bb.757:
	s_or_saveexec_b64 s[6:7], s[6:7]
	v_mov_b32_e32 v4, s10
	s_xor_b64 exec, exec, s[6:7]
	s_cbranch_execnz .LBB8_2808
.LBB8_758:
	s_or_b64 exec, exec, s[6:7]
	s_and_saveexec_b64 s[6:7], s[4:5]
	s_cbranch_execz .LBB8_760
.LBB8_759:
	v_bfe_u32 v3, v5, 16, 3
	v_ffbh_u32_e32 v7, v3
	v_min_u32_e32 v7, 32, v7
	v_lshrrev_b32_e32 v4, 19, v5
	v_subrev_u32_e32 v8, 28, v7
	v_and_b32_e32 v4, 15, v4
	v_lshlrev_b32_sdwa v8, v8, v5 dst_sel:DWORD dst_unused:UNUSED_PAD src0_sel:DWORD src1_sel:WORD_1
	v_bfe_u32 v6, v5, 19, 4
	v_sub_u32_e32 v7, 29, v7
	v_and_b32_e32 v8, 7, v8
	v_cmp_eq_u16_e32 vcc, 0, v4
	v_cndmask_b32_e32 v3, v3, v8, vcc
	v_cndmask_b32_e32 v4, v6, v7, vcc
	v_lshlrev_b32_e32 v6, 8, v5
	v_mov_b32_e32 v7, 0x3b800000
	v_lshlrev_b32_e32 v3, 20, v3
	v_and_b32_e32 v6, 0x80000000, v6
	v_lshl_add_u32 v4, v4, 23, v7
	v_or3_b32 v4, v6, v4, v3
.LBB8_760:
	s_or_b64 exec, exec, s[6:7]
	s_nop 0
	v_mfma_f32_16x16x4f32 a[0:3], v2, v4, a[0:3]
	s_movk_i32 s4, 0x7f
	v_cmp_gt_i16_sdwa s[6:7], v9, s4 src0_sel:BYTE_3 src1_sel:DWORD
	s_mov_b64 s[4:5], 0
                                        ; implicit-def: $sgpr10
	s_and_saveexec_b64 s[8:9], s[6:7]
	s_xor_b64 s[6:7], exec, s[8:9]
	s_cbranch_execnz .LBB8_2809
; %bb.761:
	s_or_saveexec_b64 s[6:7], s[6:7]
	v_mov_b32_e32 v2, s10
	s_xor_b64 exec, exec, s[6:7]
	s_cbranch_execnz .LBB8_2812
.LBB8_762:
	s_or_b64 exec, exec, s[6:7]
	s_and_saveexec_b64 s[6:7], s[4:5]
	s_cbranch_execz .LBB8_764
.LBB8_763:
	v_bfe_u32 v2, v9, 24, 3
	v_ffbh_u32_e32 v7, v2
	v_min_u32_e32 v7, 32, v7
	v_lshrrev_b32_e32 v4, 27, v9
	v_subrev_u32_e32 v8, 28, v7
	v_and_b32_e32 v4, 15, v4
	v_lshlrev_b32_sdwa v8, v8, v9 dst_sel:DWORD dst_unused:UNUSED_PAD src0_sel:DWORD src1_sel:BYTE_3
	v_bfe_u32 v6, v9, 27, 4
	v_sub_u32_e32 v7, 29, v7
	v_and_b32_e32 v8, 7, v8
	v_cmp_eq_u16_e32 vcc, 0, v4
	v_cndmask_b32_e32 v2, v2, v8, vcc
	v_cndmask_b32_e32 v4, v6, v7, vcc
	v_mov_b32_e32 v6, 0x3b800000
	v_and_b32_e32 v3, 0x80000000, v9
	v_lshlrev_b32_e32 v2, 20, v2
	v_lshl_add_u32 v4, v4, 23, v6
	v_or3_b32 v2, v3, v4, v2
.LBB8_764:
	s_or_b64 exec, exec, s[6:7]
	s_movk_i32 s4, 0x7f
	v_cmp_gt_i16_sdwa s[6:7], v5, s4 src0_sel:BYTE_3 src1_sel:DWORD
	s_mov_b64 s[4:5], 0
                                        ; implicit-def: $sgpr10
	s_and_saveexec_b64 s[8:9], s[6:7]
	s_xor_b64 s[6:7], exec, s[8:9]
	s_cbranch_execnz .LBB8_2813
; %bb.765:
	s_or_saveexec_b64 s[6:7], s[6:7]
	v_mov_b32_e32 v3, s10
	s_xor_b64 exec, exec, s[6:7]
	s_cbranch_execnz .LBB8_2816
.LBB8_766:
	s_or_b64 exec, exec, s[6:7]
	s_and_saveexec_b64 s[6:7], s[4:5]
	s_cbranch_execz .LBB8_768
.LBB8_767:
	v_bfe_u32 v3, v5, 24, 3
	v_ffbh_u32_e32 v8, v3
	v_min_u32_e32 v8, 32, v8
	v_lshrrev_b32_e32 v6, 27, v5
	v_subrev_u32_e32 v9, 28, v8
	v_and_b32_e32 v4, 0x80000000, v5
	v_and_b32_e32 v6, 15, v6
	v_bfe_u32 v7, v5, 27, 4
	v_lshlrev_b32_sdwa v5, v9, v5 dst_sel:DWORD dst_unused:UNUSED_PAD src0_sel:DWORD src1_sel:BYTE_3
	v_sub_u32_e32 v8, 29, v8
	v_and_b32_e32 v5, 7, v5
	v_cmp_eq_u16_e32 vcc, 0, v6
	v_cndmask_b32_e32 v3, v3, v5, vcc
	v_cndmask_b32_e32 v5, v7, v8, vcc
	v_mov_b32_e32 v6, 0x3b800000
	v_lshlrev_b32_e32 v3, 20, v3
	v_lshl_add_u32 v5, v5, 23, v6
	v_or3_b32 v3, v4, v5, v3
.LBB8_768:
	s_or_b64 exec, exec, s[6:7]
	s_nop 0
	v_mfma_f32_16x16x4f32 a[0:3], v2, v3, a[0:3]
	s_movk_i32 s4, 0x7f
                                        ; implicit-def: $sgpr10
	s_nop 7
	s_nop 1
	flat_store_dwordx4 v[10:11], a[0:3] offset:80
	flat_load_dwordx4 v[12:15], v[0:1] offset:8
	s_nop 0
	flat_load_dwordx2 v[10:11], v[0:1] offset:32
	s_waitcnt vmcnt(0) lgkmcnt(0)
	flat_load_dwordx4 v[6:9], v[12:13] offset:32
	flat_load_dwordx4 v[2:5], v[14:15] offset:64
	s_waitcnt vmcnt(0) lgkmcnt(0)
	v_cmp_gt_i16_sdwa s[6:7], v6, s4 src0_sel:BYTE_0 src1_sel:DWORD
	s_mov_b64 s[4:5], 0
	s_and_saveexec_b64 s[8:9], s[6:7]
	s_xor_b64 s[6:7], exec, s[8:9]
	s_cbranch_execnz .LBB8_2817
; %bb.769:
	s_or_saveexec_b64 s[6:7], s[6:7]
	v_mov_b32_e32 v12, s10
	s_xor_b64 exec, exec, s[6:7]
	s_cbranch_execnz .LBB8_2820
.LBB8_770:
	s_or_b64 exec, exec, s[6:7]
	s_and_saveexec_b64 s[6:7], s[4:5]
	s_cbranch_execz .LBB8_772
.LBB8_771:
	v_and_b32_e32 v12, 7, v6
	v_ffbh_u32_e32 v14, v12
	v_min_u32_e32 v14, 32, v14
	v_lshrrev_b16_e32 v13, 3, v6
	v_subrev_u32_e32 v15, 28, v14
	v_and_b32_e32 v13, 15, v13
	v_lshlrev_b32_e32 v15, v15, v6
	v_sub_u32_e32 v14, 29, v14
	v_and_b32_e32 v15, 7, v15
	v_cmp_eq_u16_e32 vcc, 0, v13
	v_cndmask_b32_e32 v12, v12, v15, vcc
	v_cndmask_b32_e32 v13, v13, v14, vcc
	v_lshlrev_b32_e32 v14, 24, v6
	v_mov_b32_e32 v15, 0x3b800000
	v_lshlrev_b32_e32 v12, 20, v12
	v_and_b32_e32 v14, 0x80000000, v14
	v_lshl_add_u32 v13, v13, 23, v15
	v_or3_b32 v12, v14, v13, v12
.LBB8_772:
	s_or_b64 exec, exec, s[6:7]
	s_movk_i32 s4, 0x7f
	v_cmp_gt_i16_sdwa s[6:7], v2, s4 src0_sel:BYTE_0 src1_sel:DWORD
	s_mov_b64 s[4:5], 0
                                        ; implicit-def: $sgpr10
	s_and_saveexec_b64 s[8:9], s[6:7]
	s_xor_b64 s[6:7], exec, s[8:9]
	s_cbranch_execnz .LBB8_2821
; %bb.773:
	s_or_saveexec_b64 s[6:7], s[6:7]
	v_mov_b32_e32 v13, s10
	s_xor_b64 exec, exec, s[6:7]
	s_cbranch_execnz .LBB8_2824
.LBB8_774:
	s_or_b64 exec, exec, s[6:7]
	s_and_saveexec_b64 s[6:7], s[4:5]
	s_cbranch_execz .LBB8_776
.LBB8_775:
	v_and_b32_e32 v13, 7, v2
	v_ffbh_u32_e32 v15, v13
	v_min_u32_e32 v15, 32, v15
	v_lshrrev_b16_e32 v14, 3, v2
	v_subrev_u32_e32 v16, 28, v15
	v_and_b32_e32 v14, 15, v14
	v_lshlrev_b32_e32 v16, v16, v2
	v_sub_u32_e32 v15, 29, v15
	v_and_b32_e32 v16, 7, v16
	v_cmp_eq_u16_e32 vcc, 0, v14
	v_cndmask_b32_e32 v13, v13, v16, vcc
	v_cndmask_b32_e32 v14, v14, v15, vcc
	v_lshlrev_b32_e32 v15, 24, v2
	v_mov_b32_e32 v16, 0x3b800000
	v_lshlrev_b32_e32 v13, 20, v13
	v_and_b32_e32 v15, 0x80000000, v15
	v_lshl_add_u32 v14, v14, 23, v16
	v_or3_b32 v13, v15, v14, v13
.LBB8_776:
	s_or_b64 exec, exec, s[6:7]
	flat_load_dwordx4 a[0:3], v[10:11] offset:96
	s_movk_i32 s4, 0x7f
                                        ; implicit-def: $sgpr10
	s_waitcnt vmcnt(0) lgkmcnt(0)
	v_mfma_f32_16x16x4f32 a[0:3], v12, v13, a[0:3]
	v_lshrrev_b32_e32 v13, 8, v6
	v_cmp_gt_i16_sdwa s[6:7], v13, s4 src0_sel:BYTE_0 src1_sel:DWORD
	s_mov_b64 s[4:5], 0
	s_and_saveexec_b64 s[8:9], s[6:7]
	s_xor_b64 s[6:7], exec, s[8:9]
	s_cbranch_execnz .LBB8_2825
; %bb.777:
	s_or_saveexec_b64 s[6:7], s[6:7]
	v_mov_b32_e32 v12, s10
	s_xor_b64 exec, exec, s[6:7]
	s_cbranch_execnz .LBB8_2828
.LBB8_778:
	s_or_b64 exec, exec, s[6:7]
	s_and_saveexec_b64 s[6:7], s[4:5]
	s_cbranch_execz .LBB8_780
.LBB8_779:
	v_bfe_u32 v12, v6, 8, 3
	v_ffbh_u32_e32 v15, v12
	v_min_u32_e32 v15, 32, v15
	v_lshrrev_b16_e32 v14, 3, v13
	v_subrev_u32_e32 v16, 28, v15
	v_and_b32_e32 v14, 15, v14
	v_lshlrev_b32_e32 v13, v16, v13
	v_sub_u32_e32 v15, 29, v15
	v_and_b32_e32 v13, 7, v13
	v_cmp_eq_u16_e32 vcc, 0, v14
	v_cndmask_b32_e32 v12, v12, v13, vcc
	v_cndmask_b32_e32 v13, v14, v15, vcc
	v_lshlrev_b32_e32 v14, 16, v6
	v_mov_b32_e32 v15, 0x3b800000
	v_lshlrev_b32_e32 v12, 20, v12
	v_and_b32_e32 v14, 0x80000000, v14
	v_lshl_add_u32 v13, v13, 23, v15
	v_or3_b32 v12, v14, v13, v12
.LBB8_780:
	s_or_b64 exec, exec, s[6:7]
	v_lshrrev_b32_e32 v13, 8, v2
	s_movk_i32 s4, 0x7f
	v_cmp_gt_i16_sdwa s[6:7], v13, s4 src0_sel:BYTE_0 src1_sel:DWORD
	s_mov_b64 s[4:5], 0
                                        ; implicit-def: $sgpr10
	s_and_saveexec_b64 s[8:9], s[6:7]
	s_xor_b64 s[6:7], exec, s[8:9]
	s_cbranch_execnz .LBB8_2829
; %bb.781:
	s_or_saveexec_b64 s[6:7], s[6:7]
	v_mov_b32_e32 v14, s10
	s_xor_b64 exec, exec, s[6:7]
	s_cbranch_execnz .LBB8_2832
.LBB8_782:
	s_or_b64 exec, exec, s[6:7]
	s_and_saveexec_b64 s[6:7], s[4:5]
	s_cbranch_execz .LBB8_784
.LBB8_783:
	v_bfe_u32 v14, v2, 8, 3
	v_ffbh_u32_e32 v16, v14
	v_min_u32_e32 v16, 32, v16
	v_lshrrev_b16_e32 v15, 3, v13
	v_subrev_u32_e32 v17, 28, v16
	v_and_b32_e32 v15, 15, v15
	v_lshlrev_b32_e32 v13, v17, v13
	v_sub_u32_e32 v16, 29, v16
	v_and_b32_e32 v13, 7, v13
	v_cmp_eq_u16_e32 vcc, 0, v15
	v_cndmask_b32_e32 v13, v14, v13, vcc
	v_cndmask_b32_e32 v14, v15, v16, vcc
	v_lshlrev_b32_e32 v15, 16, v2
	v_mov_b32_e32 v16, 0x3b800000
	v_lshlrev_b32_e32 v13, 20, v13
	v_and_b32_e32 v15, 0x80000000, v15
	v_lshl_add_u32 v14, v14, 23, v16
	v_or3_b32 v14, v15, v14, v13
.LBB8_784:
	s_or_b64 exec, exec, s[6:7]
	s_nop 0
	v_mfma_f32_16x16x4f32 a[0:3], v12, v14, a[0:3]
	s_movk_i32 s4, 0xff
	v_and_b32_sdwa v13, v6, s4 dst_sel:DWORD dst_unused:UNUSED_PAD src0_sel:WORD_1 src1_sel:DWORD
	s_movk_i32 s4, 0x7f
	v_cmp_lt_i16_e32 vcc, s4, v13
	s_mov_b64 s[4:5], 0
                                        ; implicit-def: $sgpr10
	s_and_saveexec_b64 s[6:7], vcc
	s_xor_b64 s[6:7], exec, s[6:7]
	s_cbranch_execnz .LBB8_2833
; %bb.785:
	s_or_saveexec_b64 s[6:7], s[6:7]
	v_mov_b32_e32 v12, s10
	s_xor_b64 exec, exec, s[6:7]
	s_cbranch_execnz .LBB8_2836
.LBB8_786:
	s_or_b64 exec, exec, s[6:7]
	s_and_saveexec_b64 s[6:7], s[4:5]
	s_cbranch_execz .LBB8_788
.LBB8_787:
	v_bfe_u32 v12, v6, 16, 3
	v_ffbh_u32_e32 v15, v12
	v_min_u32_e32 v15, 32, v15
	v_lshrrev_b32_e32 v13, 19, v6
	v_subrev_u32_e32 v16, 28, v15
	v_and_b32_e32 v13, 15, v13
	v_lshlrev_b32_sdwa v16, v16, v6 dst_sel:DWORD dst_unused:UNUSED_PAD src0_sel:DWORD src1_sel:WORD_1
	v_bfe_u32 v14, v6, 19, 4
	v_sub_u32_e32 v15, 29, v15
	v_and_b32_e32 v16, 7, v16
	v_cmp_eq_u16_e32 vcc, 0, v13
	v_cndmask_b32_e32 v12, v12, v16, vcc
	v_cndmask_b32_e32 v13, v14, v15, vcc
	v_lshlrev_b32_e32 v14, 8, v6
	v_mov_b32_e32 v15, 0x3b800000
	v_lshlrev_b32_e32 v12, 20, v12
	v_and_b32_e32 v14, 0x80000000, v14
	v_lshl_add_u32 v13, v13, 23, v15
	v_or3_b32 v12, v14, v13, v12
.LBB8_788:
	s_or_b64 exec, exec, s[6:7]
	s_movk_i32 s4, 0xff
	v_and_b32_sdwa v13, v2, s4 dst_sel:DWORD dst_unused:UNUSED_PAD src0_sel:WORD_1 src1_sel:DWORD
	s_movk_i32 s4, 0x7f
	v_cmp_lt_i16_e32 vcc, s4, v13
	s_mov_b64 s[4:5], 0
                                        ; implicit-def: $sgpr10
	s_and_saveexec_b64 s[6:7], vcc
	s_xor_b64 s[6:7], exec, s[6:7]
	s_cbranch_execnz .LBB8_2837
; %bb.789:
	s_or_saveexec_b64 s[6:7], s[6:7]
	v_mov_b32_e32 v14, s10
	s_xor_b64 exec, exec, s[6:7]
	s_cbranch_execnz .LBB8_2840
.LBB8_790:
	s_or_b64 exec, exec, s[6:7]
	s_and_saveexec_b64 s[6:7], s[4:5]
	s_cbranch_execz .LBB8_792
.LBB8_791:
	v_bfe_u32 v13, v2, 16, 3
	v_ffbh_u32_e32 v16, v13
	v_min_u32_e32 v16, 32, v16
	v_lshrrev_b32_e32 v14, 19, v2
	v_subrev_u32_e32 v17, 28, v16
	v_and_b32_e32 v14, 15, v14
	v_lshlrev_b32_sdwa v17, v17, v2 dst_sel:DWORD dst_unused:UNUSED_PAD src0_sel:DWORD src1_sel:WORD_1
	v_bfe_u32 v15, v2, 19, 4
	v_sub_u32_e32 v16, 29, v16
	v_and_b32_e32 v17, 7, v17
	v_cmp_eq_u16_e32 vcc, 0, v14
	v_cndmask_b32_e32 v13, v13, v17, vcc
	v_cndmask_b32_e32 v14, v15, v16, vcc
	v_lshlrev_b32_e32 v15, 8, v2
	v_mov_b32_e32 v16, 0x3b800000
	v_lshlrev_b32_e32 v13, 20, v13
	v_and_b32_e32 v15, 0x80000000, v15
	v_lshl_add_u32 v14, v14, 23, v16
	v_or3_b32 v14, v15, v14, v13
.LBB8_792:
	s_or_b64 exec, exec, s[6:7]
	s_nop 0
	v_mfma_f32_16x16x4f32 a[0:3], v12, v14, a[0:3]
	s_movk_i32 s4, 0x7f
	v_cmp_gt_i16_sdwa s[6:7], v6, s4 src0_sel:BYTE_3 src1_sel:DWORD
	s_mov_b64 s[4:5], 0
                                        ; implicit-def: $sgpr10
	s_and_saveexec_b64 s[8:9], s[6:7]
	s_xor_b64 s[6:7], exec, s[8:9]
	s_cbranch_execnz .LBB8_2841
; %bb.793:
	s_or_saveexec_b64 s[6:7], s[6:7]
	v_mov_b32_e32 v12, s10
	s_xor_b64 exec, exec, s[6:7]
	s_cbranch_execnz .LBB8_2844
.LBB8_794:
	s_or_b64 exec, exec, s[6:7]
	s_and_saveexec_b64 s[6:7], s[4:5]
	s_cbranch_execz .LBB8_796
.LBB8_795:
	v_bfe_u32 v12, v6, 24, 3
	v_ffbh_u32_e32 v16, v12
	v_min_u32_e32 v16, 32, v16
	v_lshrrev_b32_e32 v14, 27, v6
	v_subrev_u32_e32 v17, 28, v16
	v_and_b32_e32 v13, 0x80000000, v6
	v_and_b32_e32 v14, 15, v14
	v_bfe_u32 v15, v6, 27, 4
	v_lshlrev_b32_sdwa v6, v17, v6 dst_sel:DWORD dst_unused:UNUSED_PAD src0_sel:DWORD src1_sel:BYTE_3
	v_sub_u32_e32 v16, 29, v16
	v_and_b32_e32 v6, 7, v6
	v_cmp_eq_u16_e32 vcc, 0, v14
	v_cndmask_b32_e32 v6, v12, v6, vcc
	v_cndmask_b32_e32 v12, v15, v16, vcc
	v_mov_b32_e32 v14, 0x3b800000
	v_lshlrev_b32_e32 v6, 20, v6
	v_lshl_add_u32 v12, v12, 23, v14
	v_or3_b32 v12, v13, v12, v6
.LBB8_796:
	s_or_b64 exec, exec, s[6:7]
	s_movk_i32 s4, 0x7f
	v_cmp_gt_i16_sdwa s[6:7], v2, s4 src0_sel:BYTE_3 src1_sel:DWORD
	s_mov_b64 s[4:5], 0
                                        ; implicit-def: $sgpr10
	s_and_saveexec_b64 s[8:9], s[6:7]
	s_xor_b64 s[6:7], exec, s[8:9]
	s_cbranch_execnz .LBB8_2845
; %bb.797:
	s_or_saveexec_b64 s[6:7], s[6:7]
	v_mov_b32_e32 v6, s10
	s_xor_b64 exec, exec, s[6:7]
	s_cbranch_execnz .LBB8_2848
.LBB8_798:
	s_or_b64 exec, exec, s[6:7]
	s_and_saveexec_b64 s[6:7], s[4:5]
	s_cbranch_execz .LBB8_800
.LBB8_799:
	v_bfe_u32 v6, v2, 24, 3
	v_ffbh_u32_e32 v16, v6
	v_min_u32_e32 v16, 32, v16
	v_lshrrev_b32_e32 v14, 27, v2
	v_subrev_u32_e32 v17, 28, v16
	v_and_b32_e32 v13, 0x80000000, v2
	v_and_b32_e32 v14, 15, v14
	v_bfe_u32 v15, v2, 27, 4
	v_lshlrev_b32_sdwa v2, v17, v2 dst_sel:DWORD dst_unused:UNUSED_PAD src0_sel:DWORD src1_sel:BYTE_3
	v_sub_u32_e32 v16, 29, v16
	v_and_b32_e32 v2, 7, v2
	v_cmp_eq_u16_e32 vcc, 0, v14
	v_cndmask_b32_e32 v2, v6, v2, vcc
	v_cndmask_b32_e32 v6, v15, v16, vcc
	v_mov_b32_e32 v14, 0x3b800000
	v_lshlrev_b32_e32 v2, 20, v2
	v_lshl_add_u32 v6, v6, 23, v14
	v_or3_b32 v6, v13, v6, v2
.LBB8_800:
	s_or_b64 exec, exec, s[6:7]
	s_nop 0
	v_mfma_f32_16x16x4f32 a[0:3], v12, v6, a[0:3]
	s_movk_i32 s4, 0x7f
	v_cmp_gt_i16_sdwa s[6:7], v7, s4 src0_sel:BYTE_0 src1_sel:DWORD
	s_mov_b64 s[4:5], 0
                                        ; implicit-def: $sgpr10
	s_and_saveexec_b64 s[8:9], s[6:7]
	s_xor_b64 s[6:7], exec, s[8:9]
	s_cbranch_execnz .LBB8_2849
; %bb.801:
	s_or_saveexec_b64 s[6:7], s[6:7]
	v_mov_b32_e32 v2, s10
	s_xor_b64 exec, exec, s[6:7]
	s_cbranch_execnz .LBB8_2852
.LBB8_802:
	s_or_b64 exec, exec, s[6:7]
	s_and_saveexec_b64 s[6:7], s[4:5]
	s_cbranch_execz .LBB8_804
.LBB8_803:
	v_and_b32_e32 v2, 7, v7
	v_ffbh_u32_e32 v12, v2
	v_min_u32_e32 v12, 32, v12
	v_lshrrev_b16_e32 v6, 3, v7
	v_subrev_u32_e32 v13, 28, v12
	v_and_b32_e32 v6, 15, v6
	v_lshlrev_b32_e32 v13, v13, v7
	v_sub_u32_e32 v12, 29, v12
	v_and_b32_e32 v13, 7, v13
	v_cmp_eq_u16_e32 vcc, 0, v6
	v_cndmask_b32_e32 v2, v2, v13, vcc
	v_cndmask_b32_e32 v6, v6, v12, vcc
	v_lshlrev_b32_e32 v12, 24, v7
	v_mov_b32_e32 v13, 0x3b800000
	v_lshlrev_b32_e32 v2, 20, v2
	v_and_b32_e32 v12, 0x80000000, v12
	v_lshl_add_u32 v6, v6, 23, v13
	v_or3_b32 v2, v12, v6, v2
.LBB8_804:
	s_or_b64 exec, exec, s[6:7]
	s_movk_i32 s4, 0x7f
	v_cmp_gt_i16_sdwa s[6:7], v3, s4 src0_sel:BYTE_0 src1_sel:DWORD
	s_mov_b64 s[4:5], 0
                                        ; implicit-def: $sgpr10
	s_and_saveexec_b64 s[8:9], s[6:7]
	s_xor_b64 s[6:7], exec, s[8:9]
	s_cbranch_execnz .LBB8_2853
; %bb.805:
	s_or_saveexec_b64 s[6:7], s[6:7]
	v_mov_b32_e32 v6, s10
	s_xor_b64 exec, exec, s[6:7]
	s_cbranch_execnz .LBB8_2856
.LBB8_806:
	s_or_b64 exec, exec, s[6:7]
	s_and_saveexec_b64 s[6:7], s[4:5]
	s_cbranch_execz .LBB8_808
.LBB8_807:
	v_and_b32_e32 v6, 7, v3
	v_ffbh_u32_e32 v13, v6
	v_min_u32_e32 v13, 32, v13
	v_lshrrev_b16_e32 v12, 3, v3
	v_subrev_u32_e32 v14, 28, v13
	v_and_b32_e32 v12, 15, v12
	v_lshlrev_b32_e32 v14, v14, v3
	v_sub_u32_e32 v13, 29, v13
	v_and_b32_e32 v14, 7, v14
	v_cmp_eq_u16_e32 vcc, 0, v12
	v_cndmask_b32_e32 v6, v6, v14, vcc
	v_cndmask_b32_e32 v12, v12, v13, vcc
	v_lshlrev_b32_e32 v13, 24, v3
	v_mov_b32_e32 v14, 0x3b800000
	v_lshlrev_b32_e32 v6, 20, v6
	v_and_b32_e32 v13, 0x80000000, v13
	v_lshl_add_u32 v12, v12, 23, v14
	v_or3_b32 v6, v13, v12, v6
.LBB8_808:
	s_or_b64 exec, exec, s[6:7]
	s_nop 0
	v_mfma_f32_16x16x4f32 a[0:3], v2, v6, a[0:3]
	v_lshrrev_b32_e32 v6, 8, v7
	s_movk_i32 s4, 0x7f
	v_cmp_gt_i16_sdwa s[6:7], v6, s4 src0_sel:BYTE_0 src1_sel:DWORD
	s_mov_b64 s[4:5], 0
                                        ; implicit-def: $sgpr10
	s_and_saveexec_b64 s[8:9], s[6:7]
	s_xor_b64 s[6:7], exec, s[8:9]
	s_cbranch_execnz .LBB8_2857
; %bb.809:
	s_or_saveexec_b64 s[6:7], s[6:7]
	v_mov_b32_e32 v2, s10
	s_xor_b64 exec, exec, s[6:7]
	s_cbranch_execnz .LBB8_2860
.LBB8_810:
	s_or_b64 exec, exec, s[6:7]
	s_and_saveexec_b64 s[6:7], s[4:5]
	s_cbranch_execz .LBB8_812
.LBB8_811:
	v_bfe_u32 v2, v7, 8, 3
	v_ffbh_u32_e32 v13, v2
	v_min_u32_e32 v13, 32, v13
	v_lshrrev_b16_e32 v12, 3, v6
	v_subrev_u32_e32 v14, 28, v13
	v_and_b32_e32 v12, 15, v12
	v_lshlrev_b32_e32 v6, v14, v6
	v_sub_u32_e32 v13, 29, v13
	v_and_b32_e32 v6, 7, v6
	v_cmp_eq_u16_e32 vcc, 0, v12
	v_cndmask_b32_e32 v2, v2, v6, vcc
	v_cndmask_b32_e32 v6, v12, v13, vcc
	v_lshlrev_b32_e32 v12, 16, v7
	v_mov_b32_e32 v13, 0x3b800000
	v_lshlrev_b32_e32 v2, 20, v2
	v_and_b32_e32 v12, 0x80000000, v12
	v_lshl_add_u32 v6, v6, 23, v13
	v_or3_b32 v2, v12, v6, v2
.LBB8_812:
	s_or_b64 exec, exec, s[6:7]
	v_lshrrev_b32_e32 v6, 8, v3
	s_movk_i32 s4, 0x7f
	v_cmp_gt_i16_sdwa s[6:7], v6, s4 src0_sel:BYTE_0 src1_sel:DWORD
	s_mov_b64 s[4:5], 0
                                        ; implicit-def: $sgpr10
	s_and_saveexec_b64 s[8:9], s[6:7]
	s_xor_b64 s[6:7], exec, s[8:9]
	s_cbranch_execnz .LBB8_2861
; %bb.813:
	s_or_saveexec_b64 s[6:7], s[6:7]
	v_mov_b32_e32 v12, s10
	s_xor_b64 exec, exec, s[6:7]
	s_cbranch_execnz .LBB8_2864
.LBB8_814:
	s_or_b64 exec, exec, s[6:7]
	s_and_saveexec_b64 s[6:7], s[4:5]
	s_cbranch_execz .LBB8_816
.LBB8_815:
	v_bfe_u32 v12, v3, 8, 3
	v_ffbh_u32_e32 v14, v12
	v_min_u32_e32 v14, 32, v14
	v_lshrrev_b16_e32 v13, 3, v6
	v_subrev_u32_e32 v15, 28, v14
	v_and_b32_e32 v13, 15, v13
	v_lshlrev_b32_e32 v6, v15, v6
	v_sub_u32_e32 v14, 29, v14
	v_and_b32_e32 v6, 7, v6
	v_cmp_eq_u16_e32 vcc, 0, v13
	v_cndmask_b32_e32 v6, v12, v6, vcc
	v_cndmask_b32_e32 v12, v13, v14, vcc
	v_lshlrev_b32_e32 v13, 16, v3
	v_mov_b32_e32 v14, 0x3b800000
	v_lshlrev_b32_e32 v6, 20, v6
	v_and_b32_e32 v13, 0x80000000, v13
	v_lshl_add_u32 v12, v12, 23, v14
	v_or3_b32 v12, v13, v12, v6
.LBB8_816:
	s_or_b64 exec, exec, s[6:7]
	s_nop 0
	v_mfma_f32_16x16x4f32 a[0:3], v2, v12, a[0:3]
	s_movk_i32 s4, 0xff
	v_and_b32_sdwa v6, v7, s4 dst_sel:DWORD dst_unused:UNUSED_PAD src0_sel:WORD_1 src1_sel:DWORD
	s_movk_i32 s4, 0x7f
	v_cmp_lt_i16_e32 vcc, s4, v6
	s_mov_b64 s[4:5], 0
                                        ; implicit-def: $sgpr10
	s_and_saveexec_b64 s[6:7], vcc
	s_xor_b64 s[6:7], exec, s[6:7]
	s_cbranch_execnz .LBB8_2865
; %bb.817:
	s_or_saveexec_b64 s[6:7], s[6:7]
	v_mov_b32_e32 v2, s10
	s_xor_b64 exec, exec, s[6:7]
	s_cbranch_execnz .LBB8_2868
.LBB8_818:
	s_or_b64 exec, exec, s[6:7]
	s_and_saveexec_b64 s[6:7], s[4:5]
	s_cbranch_execz .LBB8_820
.LBB8_819:
	v_bfe_u32 v2, v7, 16, 3
	v_ffbh_u32_e32 v13, v2
	v_min_u32_e32 v13, 32, v13
	v_lshrrev_b32_e32 v6, 19, v7
	v_subrev_u32_e32 v14, 28, v13
	v_and_b32_e32 v6, 15, v6
	v_lshlrev_b32_sdwa v14, v14, v7 dst_sel:DWORD dst_unused:UNUSED_PAD src0_sel:DWORD src1_sel:WORD_1
	v_bfe_u32 v12, v7, 19, 4
	v_sub_u32_e32 v13, 29, v13
	v_and_b32_e32 v14, 7, v14
	v_cmp_eq_u16_e32 vcc, 0, v6
	v_cndmask_b32_e32 v2, v2, v14, vcc
	v_cndmask_b32_e32 v6, v12, v13, vcc
	v_lshlrev_b32_e32 v12, 8, v7
	v_mov_b32_e32 v13, 0x3b800000
	v_lshlrev_b32_e32 v2, 20, v2
	v_and_b32_e32 v12, 0x80000000, v12
	v_lshl_add_u32 v6, v6, 23, v13
	v_or3_b32 v2, v12, v6, v2
.LBB8_820:
	s_or_b64 exec, exec, s[6:7]
	s_movk_i32 s4, 0xff
	v_and_b32_sdwa v6, v3, s4 dst_sel:DWORD dst_unused:UNUSED_PAD src0_sel:WORD_1 src1_sel:DWORD
	s_movk_i32 s4, 0x7f
	v_cmp_lt_i16_e32 vcc, s4, v6
	s_mov_b64 s[4:5], 0
                                        ; implicit-def: $sgpr10
	s_and_saveexec_b64 s[6:7], vcc
	s_xor_b64 s[6:7], exec, s[6:7]
	s_cbranch_execnz .LBB8_2869
; %bb.821:
	s_or_saveexec_b64 s[6:7], s[6:7]
	v_mov_b32_e32 v12, s10
	s_xor_b64 exec, exec, s[6:7]
	s_cbranch_execnz .LBB8_2872
.LBB8_822:
	s_or_b64 exec, exec, s[6:7]
	s_and_saveexec_b64 s[6:7], s[4:5]
	s_cbranch_execz .LBB8_824
.LBB8_823:
	v_bfe_u32 v6, v3, 16, 3
	v_ffbh_u32_e32 v14, v6
	v_min_u32_e32 v14, 32, v14
	v_lshrrev_b32_e32 v12, 19, v3
	v_subrev_u32_e32 v15, 28, v14
	v_and_b32_e32 v12, 15, v12
	v_lshlrev_b32_sdwa v15, v15, v3 dst_sel:DWORD dst_unused:UNUSED_PAD src0_sel:DWORD src1_sel:WORD_1
	v_bfe_u32 v13, v3, 19, 4
	v_sub_u32_e32 v14, 29, v14
	v_and_b32_e32 v15, 7, v15
	v_cmp_eq_u16_e32 vcc, 0, v12
	v_cndmask_b32_e32 v6, v6, v15, vcc
	v_cndmask_b32_e32 v12, v13, v14, vcc
	v_lshlrev_b32_e32 v13, 8, v3
	v_mov_b32_e32 v14, 0x3b800000
	v_lshlrev_b32_e32 v6, 20, v6
	v_and_b32_e32 v13, 0x80000000, v13
	v_lshl_add_u32 v12, v12, 23, v14
	v_or3_b32 v12, v13, v12, v6
.LBB8_824:
	s_or_b64 exec, exec, s[6:7]
	s_nop 0
	v_mfma_f32_16x16x4f32 a[0:3], v2, v12, a[0:3]
	s_movk_i32 s4, 0x7f
	v_cmp_gt_i16_sdwa s[6:7], v7, s4 src0_sel:BYTE_3 src1_sel:DWORD
	s_mov_b64 s[4:5], 0
                                        ; implicit-def: $sgpr10
	s_and_saveexec_b64 s[8:9], s[6:7]
	s_xor_b64 s[6:7], exec, s[8:9]
	s_cbranch_execnz .LBB8_2873
; %bb.825:
	s_or_saveexec_b64 s[6:7], s[6:7]
	v_mov_b32_e32 v2, s10
	s_xor_b64 exec, exec, s[6:7]
	s_cbranch_execnz .LBB8_2876
.LBB8_826:
	s_or_b64 exec, exec, s[6:7]
	s_and_saveexec_b64 s[6:7], s[4:5]
	s_cbranch_execz .LBB8_828
.LBB8_827:
	v_bfe_u32 v2, v7, 24, 3
	v_ffbh_u32_e32 v14, v2
	v_min_u32_e32 v14, 32, v14
	v_lshrrev_b32_e32 v12, 27, v7
	v_subrev_u32_e32 v15, 28, v14
	v_and_b32_e32 v6, 0x80000000, v7
	v_and_b32_e32 v12, 15, v12
	v_bfe_u32 v13, v7, 27, 4
	v_lshlrev_b32_sdwa v7, v15, v7 dst_sel:DWORD dst_unused:UNUSED_PAD src0_sel:DWORD src1_sel:BYTE_3
	v_sub_u32_e32 v14, 29, v14
	v_and_b32_e32 v7, 7, v7
	v_cmp_eq_u16_e32 vcc, 0, v12
	v_cndmask_b32_e32 v2, v2, v7, vcc
	v_cndmask_b32_e32 v7, v13, v14, vcc
	v_mov_b32_e32 v12, 0x3b800000
	v_lshlrev_b32_e32 v2, 20, v2
	v_lshl_add_u32 v7, v7, 23, v12
	v_or3_b32 v2, v6, v7, v2
.LBB8_828:
	s_or_b64 exec, exec, s[6:7]
	s_movk_i32 s4, 0x7f
	v_cmp_gt_i16_sdwa s[6:7], v3, s4 src0_sel:BYTE_3 src1_sel:DWORD
	s_mov_b64 s[4:5], 0
                                        ; implicit-def: $sgpr10
	s_and_saveexec_b64 s[8:9], s[6:7]
	s_xor_b64 s[6:7], exec, s[8:9]
	s_cbranch_execnz .LBB8_2877
; %bb.829:
	s_or_saveexec_b64 s[6:7], s[6:7]
	v_mov_b32_e32 v6, s10
	s_xor_b64 exec, exec, s[6:7]
	s_cbranch_execnz .LBB8_2880
.LBB8_830:
	s_or_b64 exec, exec, s[6:7]
	s_and_saveexec_b64 s[6:7], s[4:5]
	s_cbranch_execz .LBB8_832
.LBB8_831:
	v_bfe_u32 v6, v3, 24, 3
	v_ffbh_u32_e32 v14, v6
	v_min_u32_e32 v14, 32, v14
	v_lshrrev_b32_e32 v12, 27, v3
	v_subrev_u32_e32 v15, 28, v14
	v_and_b32_e32 v7, 0x80000000, v3
	v_and_b32_e32 v12, 15, v12
	v_bfe_u32 v13, v3, 27, 4
	v_lshlrev_b32_sdwa v3, v15, v3 dst_sel:DWORD dst_unused:UNUSED_PAD src0_sel:DWORD src1_sel:BYTE_3
	v_sub_u32_e32 v14, 29, v14
	v_and_b32_e32 v3, 7, v3
	v_cmp_eq_u16_e32 vcc, 0, v12
	v_cndmask_b32_e32 v3, v6, v3, vcc
	v_cndmask_b32_e32 v6, v13, v14, vcc
	v_mov_b32_e32 v12, 0x3b800000
	v_lshlrev_b32_e32 v3, 20, v3
	v_lshl_add_u32 v6, v6, 23, v12
	v_or3_b32 v6, v7, v6, v3
.LBB8_832:
	s_or_b64 exec, exec, s[6:7]
	s_nop 0
	v_mfma_f32_16x16x4f32 a[0:3], v2, v6, a[0:3]
	s_movk_i32 s4, 0x7f
	v_cmp_gt_i16_sdwa s[6:7], v8, s4 src0_sel:BYTE_0 src1_sel:DWORD
	s_mov_b64 s[4:5], 0
                                        ; implicit-def: $sgpr10
	s_and_saveexec_b64 s[8:9], s[6:7]
	s_xor_b64 s[6:7], exec, s[8:9]
	s_cbranch_execnz .LBB8_2881
; %bb.833:
	s_or_saveexec_b64 s[6:7], s[6:7]
	v_mov_b32_e32 v2, s10
	s_xor_b64 exec, exec, s[6:7]
	s_cbranch_execnz .LBB8_2884
.LBB8_834:
	s_or_b64 exec, exec, s[6:7]
	s_and_saveexec_b64 s[6:7], s[4:5]
	s_cbranch_execz .LBB8_836
.LBB8_835:
	v_and_b32_e32 v2, 7, v8
	v_ffbh_u32_e32 v6, v2
	v_min_u32_e32 v6, 32, v6
	v_lshrrev_b16_e32 v3, 3, v8
	v_subrev_u32_e32 v7, 28, v6
	v_and_b32_e32 v3, 15, v3
	v_lshlrev_b32_e32 v7, v7, v8
	v_sub_u32_e32 v6, 29, v6
	v_and_b32_e32 v7, 7, v7
	v_cmp_eq_u16_e32 vcc, 0, v3
	v_cndmask_b32_e32 v2, v2, v7, vcc
	v_cndmask_b32_e32 v3, v3, v6, vcc
	v_lshlrev_b32_e32 v6, 24, v8
	v_mov_b32_e32 v7, 0x3b800000
	v_lshlrev_b32_e32 v2, 20, v2
	v_and_b32_e32 v6, 0x80000000, v6
	v_lshl_add_u32 v3, v3, 23, v7
	v_or3_b32 v2, v6, v3, v2
.LBB8_836:
	s_or_b64 exec, exec, s[6:7]
	s_movk_i32 s4, 0x7f
	v_cmp_gt_i16_sdwa s[6:7], v4, s4 src0_sel:BYTE_0 src1_sel:DWORD
	s_mov_b64 s[4:5], 0
                                        ; implicit-def: $sgpr10
	s_and_saveexec_b64 s[8:9], s[6:7]
	s_xor_b64 s[6:7], exec, s[8:9]
	s_cbranch_execnz .LBB8_2885
; %bb.837:
	s_or_saveexec_b64 s[6:7], s[6:7]
	v_mov_b32_e32 v3, s10
	s_xor_b64 exec, exec, s[6:7]
	s_cbranch_execnz .LBB8_2888
.LBB8_838:
	s_or_b64 exec, exec, s[6:7]
	s_and_saveexec_b64 s[6:7], s[4:5]
	s_cbranch_execz .LBB8_840
.LBB8_839:
	v_and_b32_e32 v3, 7, v4
	v_ffbh_u32_e32 v7, v3
	v_min_u32_e32 v7, 32, v7
	v_lshrrev_b16_e32 v6, 3, v4
	v_subrev_u32_e32 v12, 28, v7
	v_and_b32_e32 v6, 15, v6
	v_lshlrev_b32_e32 v12, v12, v4
	v_sub_u32_e32 v7, 29, v7
	v_and_b32_e32 v12, 7, v12
	v_cmp_eq_u16_e32 vcc, 0, v6
	v_cndmask_b32_e32 v3, v3, v12, vcc
	v_cndmask_b32_e32 v6, v6, v7, vcc
	v_lshlrev_b32_e32 v7, 24, v4
	v_mov_b32_e32 v12, 0x3b800000
	v_lshlrev_b32_e32 v3, 20, v3
	v_and_b32_e32 v7, 0x80000000, v7
	v_lshl_add_u32 v6, v6, 23, v12
	v_or3_b32 v3, v7, v6, v3
.LBB8_840:
	s_or_b64 exec, exec, s[6:7]
	s_nop 0
	v_mfma_f32_16x16x4f32 a[0:3], v2, v3, a[0:3]
	v_lshrrev_b32_e32 v3, 8, v8
	s_movk_i32 s4, 0x7f
	v_cmp_gt_i16_sdwa s[6:7], v3, s4 src0_sel:BYTE_0 src1_sel:DWORD
	s_mov_b64 s[4:5], 0
                                        ; implicit-def: $sgpr10
	s_and_saveexec_b64 s[8:9], s[6:7]
	s_xor_b64 s[6:7], exec, s[8:9]
	s_cbranch_execnz .LBB8_2889
; %bb.841:
	s_or_saveexec_b64 s[6:7], s[6:7]
	v_mov_b32_e32 v2, s10
	s_xor_b64 exec, exec, s[6:7]
	s_cbranch_execnz .LBB8_2892
.LBB8_842:
	s_or_b64 exec, exec, s[6:7]
	s_and_saveexec_b64 s[6:7], s[4:5]
	s_cbranch_execz .LBB8_844
.LBB8_843:
	v_bfe_u32 v2, v8, 8, 3
	v_ffbh_u32_e32 v7, v2
	v_min_u32_e32 v7, 32, v7
	v_lshrrev_b16_e32 v6, 3, v3
	v_subrev_u32_e32 v12, 28, v7
	v_and_b32_e32 v6, 15, v6
	v_lshlrev_b32_e32 v3, v12, v3
	v_sub_u32_e32 v7, 29, v7
	v_and_b32_e32 v3, 7, v3
	v_cmp_eq_u16_e32 vcc, 0, v6
	v_cndmask_b32_e32 v2, v2, v3, vcc
	v_cndmask_b32_e32 v3, v6, v7, vcc
	v_lshlrev_b32_e32 v6, 16, v8
	v_mov_b32_e32 v7, 0x3b800000
	v_lshlrev_b32_e32 v2, 20, v2
	v_and_b32_e32 v6, 0x80000000, v6
	v_lshl_add_u32 v3, v3, 23, v7
	v_or3_b32 v2, v6, v3, v2
.LBB8_844:
	s_or_b64 exec, exec, s[6:7]
	v_lshrrev_b32_e32 v3, 8, v4
	s_movk_i32 s4, 0x7f
	v_cmp_gt_i16_sdwa s[6:7], v3, s4 src0_sel:BYTE_0 src1_sel:DWORD
	s_mov_b64 s[4:5], 0
                                        ; implicit-def: $sgpr10
	s_and_saveexec_b64 s[8:9], s[6:7]
	s_xor_b64 s[6:7], exec, s[8:9]
	s_cbranch_execnz .LBB8_2893
; %bb.845:
	s_or_saveexec_b64 s[6:7], s[6:7]
	v_mov_b32_e32 v6, s10
	s_xor_b64 exec, exec, s[6:7]
	s_cbranch_execnz .LBB8_2896
.LBB8_846:
	s_or_b64 exec, exec, s[6:7]
	s_and_saveexec_b64 s[6:7], s[4:5]
	s_cbranch_execz .LBB8_848
.LBB8_847:
	v_bfe_u32 v6, v4, 8, 3
	v_ffbh_u32_e32 v12, v6
	v_min_u32_e32 v12, 32, v12
	v_lshrrev_b16_e32 v7, 3, v3
	v_subrev_u32_e32 v13, 28, v12
	v_and_b32_e32 v7, 15, v7
	v_lshlrev_b32_e32 v3, v13, v3
	v_sub_u32_e32 v12, 29, v12
	v_and_b32_e32 v3, 7, v3
	v_cmp_eq_u16_e32 vcc, 0, v7
	v_cndmask_b32_e32 v3, v6, v3, vcc
	v_cndmask_b32_e32 v6, v7, v12, vcc
	v_lshlrev_b32_e32 v7, 16, v4
	v_mov_b32_e32 v12, 0x3b800000
	v_lshlrev_b32_e32 v3, 20, v3
	v_and_b32_e32 v7, 0x80000000, v7
	v_lshl_add_u32 v6, v6, 23, v12
	v_or3_b32 v6, v7, v6, v3
.LBB8_848:
	s_or_b64 exec, exec, s[6:7]
	s_nop 0
	v_mfma_f32_16x16x4f32 a[0:3], v2, v6, a[0:3]
	s_movk_i32 s4, 0xff
	v_and_b32_sdwa v3, v8, s4 dst_sel:DWORD dst_unused:UNUSED_PAD src0_sel:WORD_1 src1_sel:DWORD
	s_movk_i32 s4, 0x7f
	v_cmp_lt_i16_e32 vcc, s4, v3
	s_mov_b64 s[4:5], 0
                                        ; implicit-def: $sgpr10
	s_and_saveexec_b64 s[6:7], vcc
	s_xor_b64 s[6:7], exec, s[6:7]
	s_cbranch_execnz .LBB8_2897
; %bb.849:
	s_or_saveexec_b64 s[6:7], s[6:7]
	v_mov_b32_e32 v2, s10
	s_xor_b64 exec, exec, s[6:7]
	s_cbranch_execnz .LBB8_2900
.LBB8_850:
	s_or_b64 exec, exec, s[6:7]
	s_and_saveexec_b64 s[6:7], s[4:5]
	s_cbranch_execz .LBB8_852
.LBB8_851:
	v_bfe_u32 v2, v8, 16, 3
	v_ffbh_u32_e32 v7, v2
	v_min_u32_e32 v7, 32, v7
	v_lshrrev_b32_e32 v3, 19, v8
	v_subrev_u32_e32 v12, 28, v7
	v_and_b32_e32 v3, 15, v3
	v_lshlrev_b32_sdwa v12, v12, v8 dst_sel:DWORD dst_unused:UNUSED_PAD src0_sel:DWORD src1_sel:WORD_1
	v_bfe_u32 v6, v8, 19, 4
	v_sub_u32_e32 v7, 29, v7
	v_and_b32_e32 v12, 7, v12
	v_cmp_eq_u16_e32 vcc, 0, v3
	v_cndmask_b32_e32 v2, v2, v12, vcc
	v_cndmask_b32_e32 v3, v6, v7, vcc
	v_lshlrev_b32_e32 v6, 8, v8
	v_mov_b32_e32 v7, 0x3b800000
	v_lshlrev_b32_e32 v2, 20, v2
	v_and_b32_e32 v6, 0x80000000, v6
	v_lshl_add_u32 v3, v3, 23, v7
	v_or3_b32 v2, v6, v3, v2
.LBB8_852:
	s_or_b64 exec, exec, s[6:7]
	s_movk_i32 s4, 0xff
	v_and_b32_sdwa v3, v4, s4 dst_sel:DWORD dst_unused:UNUSED_PAD src0_sel:WORD_1 src1_sel:DWORD
	s_movk_i32 s4, 0x7f
	v_cmp_lt_i16_e32 vcc, s4, v3
	s_mov_b64 s[4:5], 0
                                        ; implicit-def: $sgpr10
	s_and_saveexec_b64 s[6:7], vcc
	s_xor_b64 s[6:7], exec, s[6:7]
	s_cbranch_execnz .LBB8_2901
; %bb.853:
	s_or_saveexec_b64 s[6:7], s[6:7]
	v_mov_b32_e32 v6, s10
	s_xor_b64 exec, exec, s[6:7]
	s_cbranch_execnz .LBB8_2904
.LBB8_854:
	s_or_b64 exec, exec, s[6:7]
	s_and_saveexec_b64 s[6:7], s[4:5]
	s_cbranch_execz .LBB8_856
.LBB8_855:
	v_bfe_u32 v3, v4, 16, 3
	v_ffbh_u32_e32 v12, v3
	v_min_u32_e32 v12, 32, v12
	v_lshrrev_b32_e32 v6, 19, v4
	v_subrev_u32_e32 v13, 28, v12
	v_and_b32_e32 v6, 15, v6
	v_lshlrev_b32_sdwa v13, v13, v4 dst_sel:DWORD dst_unused:UNUSED_PAD src0_sel:DWORD src1_sel:WORD_1
	v_bfe_u32 v7, v4, 19, 4
	v_sub_u32_e32 v12, 29, v12
	v_and_b32_e32 v13, 7, v13
	v_cmp_eq_u16_e32 vcc, 0, v6
	v_cndmask_b32_e32 v3, v3, v13, vcc
	v_cndmask_b32_e32 v6, v7, v12, vcc
	v_lshlrev_b32_e32 v7, 8, v4
	v_mov_b32_e32 v12, 0x3b800000
	v_lshlrev_b32_e32 v3, 20, v3
	v_and_b32_e32 v7, 0x80000000, v7
	v_lshl_add_u32 v6, v6, 23, v12
	v_or3_b32 v6, v7, v6, v3
.LBB8_856:
	s_or_b64 exec, exec, s[6:7]
	s_nop 0
	v_mfma_f32_16x16x4f32 a[0:3], v2, v6, a[0:3]
	s_movk_i32 s4, 0x7f
	v_cmp_gt_i16_sdwa s[6:7], v8, s4 src0_sel:BYTE_3 src1_sel:DWORD
	s_mov_b64 s[4:5], 0
                                        ; implicit-def: $sgpr10
	s_and_saveexec_b64 s[8:9], s[6:7]
	s_xor_b64 s[6:7], exec, s[8:9]
	s_cbranch_execnz .LBB8_2905
; %bb.857:
	s_or_saveexec_b64 s[6:7], s[6:7]
	v_mov_b32_e32 v2, s10
	s_xor_b64 exec, exec, s[6:7]
	s_cbranch_execnz .LBB8_2908
.LBB8_858:
	s_or_b64 exec, exec, s[6:7]
	s_and_saveexec_b64 s[6:7], s[4:5]
	s_cbranch_execz .LBB8_860
.LBB8_859:
	v_bfe_u32 v2, v8, 24, 3
	v_ffbh_u32_e32 v12, v2
	v_min_u32_e32 v12, 32, v12
	v_lshrrev_b32_e32 v6, 27, v8
	v_subrev_u32_e32 v13, 28, v12
	v_and_b32_e32 v3, 0x80000000, v8
	v_and_b32_e32 v6, 15, v6
	v_bfe_u32 v7, v8, 27, 4
	v_lshlrev_b32_sdwa v8, v13, v8 dst_sel:DWORD dst_unused:UNUSED_PAD src0_sel:DWORD src1_sel:BYTE_3
	v_sub_u32_e32 v12, 29, v12
	v_and_b32_e32 v8, 7, v8
	v_cmp_eq_u16_e32 vcc, 0, v6
	v_cndmask_b32_e32 v2, v2, v8, vcc
	v_cndmask_b32_e32 v6, v7, v12, vcc
	v_mov_b32_e32 v7, 0x3b800000
	v_lshlrev_b32_e32 v2, 20, v2
	v_lshl_add_u32 v6, v6, 23, v7
	v_or3_b32 v2, v3, v6, v2
.LBB8_860:
	s_or_b64 exec, exec, s[6:7]
	s_movk_i32 s4, 0x7f
	v_cmp_gt_i16_sdwa s[6:7], v4, s4 src0_sel:BYTE_3 src1_sel:DWORD
	s_mov_b64 s[4:5], 0
                                        ; implicit-def: $sgpr10
	s_and_saveexec_b64 s[8:9], s[6:7]
	s_xor_b64 s[6:7], exec, s[8:9]
	s_cbranch_execnz .LBB8_2909
; %bb.861:
	s_or_saveexec_b64 s[6:7], s[6:7]
	v_mov_b32_e32 v3, s10
	s_xor_b64 exec, exec, s[6:7]
	s_cbranch_execnz .LBB8_2912
.LBB8_862:
	s_or_b64 exec, exec, s[6:7]
	s_and_saveexec_b64 s[6:7], s[4:5]
	s_cbranch_execz .LBB8_864
.LBB8_863:
	v_bfe_u32 v3, v4, 24, 3
	v_ffbh_u32_e32 v12, v3
	v_min_u32_e32 v12, 32, v12
	v_lshrrev_b32_e32 v7, 27, v4
	v_subrev_u32_e32 v13, 28, v12
	v_and_b32_e32 v6, 0x80000000, v4
	v_and_b32_e32 v7, 15, v7
	v_bfe_u32 v8, v4, 27, 4
	v_lshlrev_b32_sdwa v4, v13, v4 dst_sel:DWORD dst_unused:UNUSED_PAD src0_sel:DWORD src1_sel:BYTE_3
	v_sub_u32_e32 v12, 29, v12
	v_and_b32_e32 v4, 7, v4
	v_cmp_eq_u16_e32 vcc, 0, v7
	v_cndmask_b32_e32 v3, v3, v4, vcc
	v_cndmask_b32_e32 v4, v8, v12, vcc
	v_mov_b32_e32 v7, 0x3b800000
	v_lshlrev_b32_e32 v3, 20, v3
	v_lshl_add_u32 v4, v4, 23, v7
	v_or3_b32 v3, v6, v4, v3
.LBB8_864:
	s_or_b64 exec, exec, s[6:7]
	s_nop 0
	v_mfma_f32_16x16x4f32 a[0:3], v2, v3, a[0:3]
	s_movk_i32 s4, 0x7f
	v_cmp_gt_i16_sdwa s[6:7], v9, s4 src0_sel:BYTE_0 src1_sel:DWORD
	s_mov_b64 s[4:5], 0
                                        ; implicit-def: $sgpr10
	s_and_saveexec_b64 s[8:9], s[6:7]
	s_xor_b64 s[6:7], exec, s[8:9]
	s_cbranch_execnz .LBB8_2913
; %bb.865:
	s_or_saveexec_b64 s[6:7], s[6:7]
	v_mov_b32_e32 v2, s10
	s_xor_b64 exec, exec, s[6:7]
	s_cbranch_execnz .LBB8_2916
.LBB8_866:
	s_or_b64 exec, exec, s[6:7]
	s_and_saveexec_b64 s[6:7], s[4:5]
	s_cbranch_execz .LBB8_868
.LBB8_867:
	v_mov_b32_e32 v2, 8
	v_and_b32_e32 v3, 7, v9
	v_lshrrev_b32_sdwa v2, v2, v9 dst_sel:BYTE_1 dst_unused:UNUSED_PAD src0_sel:DWORD src1_sel:DWORD
	v_ffbh_u32_e32 v4, v3
	v_or_b32_sdwa v2, v9, v2 dst_sel:DWORD dst_unused:UNUSED_PAD src0_sel:BYTE_0 src1_sel:DWORD
	v_min_u32_e32 v4, 32, v4
	v_lshrrev_b16_e32 v2, 3, v2
	v_subrev_u32_e32 v6, 28, v4
	v_and_b32_e32 v2, 15, v2
	v_lshlrev_b32_e32 v6, v6, v9
	v_sub_u32_e32 v4, 29, v4
	v_and_b32_e32 v6, 7, v6
	v_cmp_eq_u16_e32 vcc, 0, v2
	v_cndmask_b32_e32 v3, v3, v6, vcc
	v_cndmask_b32_e32 v2, v2, v4, vcc
	v_lshlrev_b32_e32 v4, 24, v9
	v_mov_b32_e32 v6, 0x3b800000
	v_lshlrev_b32_e32 v3, 20, v3
	v_and_b32_e32 v4, 0x80000000, v4
	v_lshl_add_u32 v2, v2, 23, v6
	v_or3_b32 v2, v4, v2, v3
.LBB8_868:
	s_or_b64 exec, exec, s[6:7]
	s_movk_i32 s4, 0x7f
	v_cmp_gt_i16_sdwa s[6:7], v5, s4 src0_sel:BYTE_0 src1_sel:DWORD
	s_mov_b64 s[4:5], 0
                                        ; implicit-def: $sgpr10
	s_and_saveexec_b64 s[8:9], s[6:7]
	s_xor_b64 s[6:7], exec, s[8:9]
	s_cbranch_execnz .LBB8_2917
; %bb.869:
	s_or_saveexec_b64 s[6:7], s[6:7]
	v_mov_b32_e32 v3, s10
	s_xor_b64 exec, exec, s[6:7]
	s_cbranch_execnz .LBB8_2920
.LBB8_870:
	s_or_b64 exec, exec, s[6:7]
	s_and_saveexec_b64 s[6:7], s[4:5]
	s_cbranch_execz .LBB8_872
.LBB8_871:
	v_mov_b32_e32 v3, 8
	v_and_b32_e32 v4, 7, v5
	v_lshrrev_b32_sdwa v3, v3, v5 dst_sel:BYTE_1 dst_unused:UNUSED_PAD src0_sel:DWORD src1_sel:DWORD
	v_ffbh_u32_e32 v6, v4
	v_or_b32_sdwa v3, v5, v3 dst_sel:DWORD dst_unused:UNUSED_PAD src0_sel:BYTE_0 src1_sel:DWORD
	v_min_u32_e32 v6, 32, v6
	v_lshrrev_b16_e32 v3, 3, v3
	v_subrev_u32_e32 v7, 28, v6
	v_and_b32_e32 v3, 15, v3
	v_lshlrev_b32_e32 v7, v7, v5
	v_sub_u32_e32 v6, 29, v6
	v_and_b32_e32 v7, 7, v7
	v_cmp_eq_u16_e32 vcc, 0, v3
	v_cndmask_b32_e32 v4, v4, v7, vcc
	v_cndmask_b32_e32 v3, v3, v6, vcc
	v_lshlrev_b32_e32 v6, 24, v5
	v_mov_b32_e32 v7, 0x3b800000
	v_lshlrev_b32_e32 v4, 20, v4
	v_and_b32_e32 v6, 0x80000000, v6
	v_lshl_add_u32 v3, v3, 23, v7
	v_or3_b32 v3, v6, v3, v4
.LBB8_872:
	s_or_b64 exec, exec, s[6:7]
	s_nop 0
	v_mfma_f32_16x16x4f32 a[0:3], v2, v3, a[0:3]
	v_lshrrev_b32_e32 v3, 8, v9
	s_movk_i32 s4, 0x7f
	v_cmp_gt_i16_sdwa s[6:7], v3, s4 src0_sel:BYTE_0 src1_sel:DWORD
	s_mov_b64 s[4:5], 0
                                        ; implicit-def: $sgpr10
	s_and_saveexec_b64 s[8:9], s[6:7]
	s_xor_b64 s[6:7], exec, s[8:9]
	s_cbranch_execnz .LBB8_2921
; %bb.873:
	s_or_saveexec_b64 s[6:7], s[6:7]
	v_mov_b32_e32 v2, s10
	s_xor_b64 exec, exec, s[6:7]
	s_cbranch_execnz .LBB8_2924
.LBB8_874:
	s_or_b64 exec, exec, s[6:7]
	s_and_saveexec_b64 s[6:7], s[4:5]
	s_cbranch_execz .LBB8_876
.LBB8_875:
	v_bfe_u32 v2, v9, 8, 3
	v_ffbh_u32_e32 v6, v2
	v_min_u32_e32 v6, 32, v6
	v_lshrrev_b16_e32 v4, 3, v3
	v_subrev_u32_e32 v7, 28, v6
	v_and_b32_e32 v4, 15, v4
	v_lshlrev_b32_e32 v3, v7, v3
	v_sub_u32_e32 v6, 29, v6
	v_and_b32_e32 v3, 7, v3
	v_cmp_eq_u16_e32 vcc, 0, v4
	v_cndmask_b32_e32 v2, v2, v3, vcc
	v_cndmask_b32_e32 v3, v4, v6, vcc
	v_lshlrev_b32_e32 v4, 16, v9
	v_mov_b32_e32 v6, 0x3b800000
	v_lshlrev_b32_e32 v2, 20, v2
	v_and_b32_e32 v4, 0x80000000, v4
	v_lshl_add_u32 v3, v3, 23, v6
	v_or3_b32 v2, v4, v3, v2
.LBB8_876:
	s_or_b64 exec, exec, s[6:7]
	v_lshrrev_b32_e32 v3, 8, v5
	s_movk_i32 s4, 0x7f
	v_cmp_gt_i16_sdwa s[6:7], v3, s4 src0_sel:BYTE_0 src1_sel:DWORD
	s_mov_b64 s[4:5], 0
                                        ; implicit-def: $sgpr10
	s_and_saveexec_b64 s[8:9], s[6:7]
	s_xor_b64 s[6:7], exec, s[8:9]
	s_cbranch_execnz .LBB8_2925
; %bb.877:
	s_or_saveexec_b64 s[6:7], s[6:7]
	v_mov_b32_e32 v4, s10
	s_xor_b64 exec, exec, s[6:7]
	s_cbranch_execnz .LBB8_2928
.LBB8_878:
	s_or_b64 exec, exec, s[6:7]
	s_and_saveexec_b64 s[6:7], s[4:5]
	s_cbranch_execz .LBB8_880
.LBB8_879:
	v_bfe_u32 v4, v5, 8, 3
	v_ffbh_u32_e32 v7, v4
	v_min_u32_e32 v7, 32, v7
	v_lshrrev_b16_e32 v6, 3, v3
	v_subrev_u32_e32 v8, 28, v7
	v_and_b32_e32 v6, 15, v6
	v_lshlrev_b32_e32 v3, v8, v3
	v_sub_u32_e32 v7, 29, v7
	v_and_b32_e32 v3, 7, v3
	v_cmp_eq_u16_e32 vcc, 0, v6
	v_cndmask_b32_e32 v3, v4, v3, vcc
	v_cndmask_b32_e32 v4, v6, v7, vcc
	v_lshlrev_b32_e32 v6, 16, v5
	v_mov_b32_e32 v7, 0x3b800000
	v_lshlrev_b32_e32 v3, 20, v3
	v_and_b32_e32 v6, 0x80000000, v6
	v_lshl_add_u32 v4, v4, 23, v7
	v_or3_b32 v4, v6, v4, v3
.LBB8_880:
	s_or_b64 exec, exec, s[6:7]
	s_nop 0
	v_mfma_f32_16x16x4f32 a[0:3], v2, v4, a[0:3]
	s_movk_i32 s4, 0xff
	v_and_b32_sdwa v3, v9, s4 dst_sel:DWORD dst_unused:UNUSED_PAD src0_sel:WORD_1 src1_sel:DWORD
	s_movk_i32 s4, 0x7f
	v_cmp_lt_i16_e32 vcc, s4, v3
	s_mov_b64 s[4:5], 0
                                        ; implicit-def: $sgpr10
	s_and_saveexec_b64 s[6:7], vcc
	s_xor_b64 s[6:7], exec, s[6:7]
	s_cbranch_execnz .LBB8_2929
; %bb.881:
	s_or_saveexec_b64 s[6:7], s[6:7]
	v_mov_b32_e32 v2, s10
	s_xor_b64 exec, exec, s[6:7]
	s_cbranch_execnz .LBB8_2932
.LBB8_882:
	s_or_b64 exec, exec, s[6:7]
	s_and_saveexec_b64 s[6:7], s[4:5]
	s_cbranch_execz .LBB8_884
.LBB8_883:
	v_bfe_u32 v2, v9, 16, 3
	v_ffbh_u32_e32 v6, v2
	v_min_u32_e32 v6, 32, v6
	v_lshrrev_b32_e32 v3, 19, v9
	v_subrev_u32_e32 v7, 28, v6
	v_and_b32_e32 v3, 15, v3
	v_lshlrev_b32_sdwa v7, v7, v9 dst_sel:DWORD dst_unused:UNUSED_PAD src0_sel:DWORD src1_sel:WORD_1
	v_bfe_u32 v4, v9, 19, 4
	v_sub_u32_e32 v6, 29, v6
	v_and_b32_e32 v7, 7, v7
	v_cmp_eq_u16_e32 vcc, 0, v3
	v_cndmask_b32_e32 v2, v2, v7, vcc
	v_cndmask_b32_e32 v3, v4, v6, vcc
	v_lshlrev_b32_e32 v4, 8, v9
	v_mov_b32_e32 v6, 0x3b800000
	v_lshlrev_b32_e32 v2, 20, v2
	v_and_b32_e32 v4, 0x80000000, v4
	v_lshl_add_u32 v3, v3, 23, v6
	v_or3_b32 v2, v4, v3, v2
.LBB8_884:
	s_or_b64 exec, exec, s[6:7]
	s_movk_i32 s4, 0xff
	v_and_b32_sdwa v3, v5, s4 dst_sel:DWORD dst_unused:UNUSED_PAD src0_sel:WORD_1 src1_sel:DWORD
	s_movk_i32 s4, 0x7f
	v_cmp_lt_i16_e32 vcc, s4, v3
	s_mov_b64 s[4:5], 0
                                        ; implicit-def: $sgpr10
	s_and_saveexec_b64 s[6:7], vcc
	s_xor_b64 s[6:7], exec, s[6:7]
	s_cbranch_execnz .LBB8_2933
; %bb.885:
	s_or_saveexec_b64 s[6:7], s[6:7]
	v_mov_b32_e32 v4, s10
	s_xor_b64 exec, exec, s[6:7]
	s_cbranch_execnz .LBB8_2936
.LBB8_886:
	s_or_b64 exec, exec, s[6:7]
	s_and_saveexec_b64 s[6:7], s[4:5]
	s_cbranch_execz .LBB8_888
.LBB8_887:
	v_bfe_u32 v3, v5, 16, 3
	v_ffbh_u32_e32 v7, v3
	v_min_u32_e32 v7, 32, v7
	v_lshrrev_b32_e32 v4, 19, v5
	v_subrev_u32_e32 v8, 28, v7
	v_and_b32_e32 v4, 15, v4
	v_lshlrev_b32_sdwa v8, v8, v5 dst_sel:DWORD dst_unused:UNUSED_PAD src0_sel:DWORD src1_sel:WORD_1
	v_bfe_u32 v6, v5, 19, 4
	v_sub_u32_e32 v7, 29, v7
	v_and_b32_e32 v8, 7, v8
	v_cmp_eq_u16_e32 vcc, 0, v4
	v_cndmask_b32_e32 v3, v3, v8, vcc
	v_cndmask_b32_e32 v4, v6, v7, vcc
	v_lshlrev_b32_e32 v6, 8, v5
	v_mov_b32_e32 v7, 0x3b800000
	v_lshlrev_b32_e32 v3, 20, v3
	v_and_b32_e32 v6, 0x80000000, v6
	v_lshl_add_u32 v4, v4, 23, v7
	v_or3_b32 v4, v6, v4, v3
.LBB8_888:
	s_or_b64 exec, exec, s[6:7]
	s_nop 0
	v_mfma_f32_16x16x4f32 a[0:3], v2, v4, a[0:3]
	s_movk_i32 s4, 0x7f
	v_cmp_gt_i16_sdwa s[6:7], v9, s4 src0_sel:BYTE_3 src1_sel:DWORD
	s_mov_b64 s[4:5], 0
                                        ; implicit-def: $sgpr10
	s_and_saveexec_b64 s[8:9], s[6:7]
	s_xor_b64 s[6:7], exec, s[8:9]
	s_cbranch_execnz .LBB8_2937
; %bb.889:
	s_or_saveexec_b64 s[6:7], s[6:7]
	v_mov_b32_e32 v2, s10
	s_xor_b64 exec, exec, s[6:7]
	s_cbranch_execnz .LBB8_2940
.LBB8_890:
	s_or_b64 exec, exec, s[6:7]
	s_and_saveexec_b64 s[6:7], s[4:5]
	s_cbranch_execz .LBB8_892
.LBB8_891:
	v_bfe_u32 v2, v9, 24, 3
	v_ffbh_u32_e32 v7, v2
	v_min_u32_e32 v7, 32, v7
	v_lshrrev_b32_e32 v4, 27, v9
	v_subrev_u32_e32 v8, 28, v7
	v_and_b32_e32 v4, 15, v4
	v_lshlrev_b32_sdwa v8, v8, v9 dst_sel:DWORD dst_unused:UNUSED_PAD src0_sel:DWORD src1_sel:BYTE_3
	v_bfe_u32 v6, v9, 27, 4
	v_sub_u32_e32 v7, 29, v7
	v_and_b32_e32 v8, 7, v8
	v_cmp_eq_u16_e32 vcc, 0, v4
	v_cndmask_b32_e32 v2, v2, v8, vcc
	v_cndmask_b32_e32 v4, v6, v7, vcc
	v_mov_b32_e32 v6, 0x3b800000
	v_and_b32_e32 v3, 0x80000000, v9
	v_lshlrev_b32_e32 v2, 20, v2
	v_lshl_add_u32 v4, v4, 23, v6
	v_or3_b32 v2, v3, v4, v2
.LBB8_892:
	s_or_b64 exec, exec, s[6:7]
	s_movk_i32 s4, 0x7f
	v_cmp_gt_i16_sdwa s[6:7], v5, s4 src0_sel:BYTE_3 src1_sel:DWORD
	s_mov_b64 s[4:5], 0
                                        ; implicit-def: $sgpr10
	s_and_saveexec_b64 s[8:9], s[6:7]
	s_xor_b64 s[6:7], exec, s[8:9]
	s_cbranch_execnz .LBB8_2941
; %bb.893:
	s_or_saveexec_b64 s[6:7], s[6:7]
	v_mov_b32_e32 v3, s10
	s_xor_b64 exec, exec, s[6:7]
	s_cbranch_execnz .LBB8_2944
.LBB8_894:
	s_or_b64 exec, exec, s[6:7]
	s_and_saveexec_b64 s[6:7], s[4:5]
	s_cbranch_execz .LBB8_896
.LBB8_895:
	v_bfe_u32 v3, v5, 24, 3
	v_ffbh_u32_e32 v8, v3
	v_min_u32_e32 v8, 32, v8
	v_lshrrev_b32_e32 v6, 27, v5
	v_subrev_u32_e32 v9, 28, v8
	v_and_b32_e32 v4, 0x80000000, v5
	v_and_b32_e32 v6, 15, v6
	v_bfe_u32 v7, v5, 27, 4
	v_lshlrev_b32_sdwa v5, v9, v5 dst_sel:DWORD dst_unused:UNUSED_PAD src0_sel:DWORD src1_sel:BYTE_3
	v_sub_u32_e32 v8, 29, v8
	v_and_b32_e32 v5, 7, v5
	v_cmp_eq_u16_e32 vcc, 0, v6
	v_cndmask_b32_e32 v3, v3, v5, vcc
	v_cndmask_b32_e32 v5, v7, v8, vcc
	v_mov_b32_e32 v6, 0x3b800000
	v_lshlrev_b32_e32 v3, 20, v3
	v_lshl_add_u32 v5, v5, 23, v6
	v_or3_b32 v3, v4, v5, v3
.LBB8_896:
	s_or_b64 exec, exec, s[6:7]
	s_nop 0
	v_mfma_f32_16x16x4f32 a[0:3], v2, v3, a[0:3]
	s_movk_i32 s4, 0x7f
                                        ; implicit-def: $sgpr10
	s_nop 7
	s_nop 1
	flat_store_dwordx4 v[10:11], a[0:3] offset:96
	flat_load_dwordx4 v[12:15], v[0:1] offset:8
	s_nop 0
	flat_load_dwordx2 v[10:11], v[0:1] offset:32
	s_waitcnt vmcnt(0) lgkmcnt(0)
	flat_load_dwordx4 v[6:9], v[12:13] offset:32
	flat_load_dwordx4 v[2:5], v[14:15] offset:96
	s_waitcnt vmcnt(0) lgkmcnt(0)
	v_cmp_gt_i16_sdwa s[6:7], v6, s4 src0_sel:BYTE_0 src1_sel:DWORD
	s_mov_b64 s[4:5], 0
	s_and_saveexec_b64 s[8:9], s[6:7]
	s_xor_b64 s[6:7], exec, s[8:9]
	s_cbranch_execnz .LBB8_2945
; %bb.897:
	s_or_saveexec_b64 s[6:7], s[6:7]
	v_mov_b32_e32 v12, s10
	s_xor_b64 exec, exec, s[6:7]
	s_cbranch_execnz .LBB8_2948
.LBB8_898:
	s_or_b64 exec, exec, s[6:7]
	s_and_saveexec_b64 s[6:7], s[4:5]
	s_cbranch_execz .LBB8_900
.LBB8_899:
	v_and_b32_e32 v12, 7, v6
	v_ffbh_u32_e32 v14, v12
	v_min_u32_e32 v14, 32, v14
	v_lshrrev_b16_e32 v13, 3, v6
	v_subrev_u32_e32 v15, 28, v14
	v_and_b32_e32 v13, 15, v13
	v_lshlrev_b32_e32 v15, v15, v6
	v_sub_u32_e32 v14, 29, v14
	v_and_b32_e32 v15, 7, v15
	v_cmp_eq_u16_e32 vcc, 0, v13
	v_cndmask_b32_e32 v12, v12, v15, vcc
	v_cndmask_b32_e32 v13, v13, v14, vcc
	v_lshlrev_b32_e32 v14, 24, v6
	v_mov_b32_e32 v15, 0x3b800000
	v_lshlrev_b32_e32 v12, 20, v12
	v_and_b32_e32 v14, 0x80000000, v14
	v_lshl_add_u32 v13, v13, 23, v15
	v_or3_b32 v12, v14, v13, v12
.LBB8_900:
	s_or_b64 exec, exec, s[6:7]
	s_movk_i32 s4, 0x7f
	v_cmp_gt_i16_sdwa s[6:7], v2, s4 src0_sel:BYTE_0 src1_sel:DWORD
	s_mov_b64 s[4:5], 0
                                        ; implicit-def: $sgpr10
	s_and_saveexec_b64 s[8:9], s[6:7]
	s_xor_b64 s[6:7], exec, s[8:9]
	s_cbranch_execnz .LBB8_2949
; %bb.901:
	s_or_saveexec_b64 s[6:7], s[6:7]
	v_mov_b32_e32 v13, s10
	s_xor_b64 exec, exec, s[6:7]
	s_cbranch_execnz .LBB8_2952
.LBB8_902:
	s_or_b64 exec, exec, s[6:7]
	s_and_saveexec_b64 s[6:7], s[4:5]
	s_cbranch_execz .LBB8_904
.LBB8_903:
	v_and_b32_e32 v13, 7, v2
	v_ffbh_u32_e32 v15, v13
	v_min_u32_e32 v15, 32, v15
	v_lshrrev_b16_e32 v14, 3, v2
	v_subrev_u32_e32 v16, 28, v15
	v_and_b32_e32 v14, 15, v14
	v_lshlrev_b32_e32 v16, v16, v2
	v_sub_u32_e32 v15, 29, v15
	v_and_b32_e32 v16, 7, v16
	v_cmp_eq_u16_e32 vcc, 0, v14
	v_cndmask_b32_e32 v13, v13, v16, vcc
	v_cndmask_b32_e32 v14, v14, v15, vcc
	v_lshlrev_b32_e32 v15, 24, v2
	v_mov_b32_e32 v16, 0x3b800000
	v_lshlrev_b32_e32 v13, 20, v13
	v_and_b32_e32 v15, 0x80000000, v15
	v_lshl_add_u32 v14, v14, 23, v16
	v_or3_b32 v13, v15, v14, v13
.LBB8_904:
	s_or_b64 exec, exec, s[6:7]
	flat_load_dwordx4 a[0:3], v[10:11] offset:112
	s_movk_i32 s4, 0x7f
                                        ; implicit-def: $sgpr10
	s_waitcnt vmcnt(0) lgkmcnt(0)
	v_mfma_f32_16x16x4f32 a[0:3], v12, v13, a[0:3]
	v_lshrrev_b32_e32 v13, 8, v6
	v_cmp_gt_i16_sdwa s[6:7], v13, s4 src0_sel:BYTE_0 src1_sel:DWORD
	s_mov_b64 s[4:5], 0
	s_and_saveexec_b64 s[8:9], s[6:7]
	s_xor_b64 s[6:7], exec, s[8:9]
	s_cbranch_execnz .LBB8_2953
; %bb.905:
	s_or_saveexec_b64 s[6:7], s[6:7]
	v_mov_b32_e32 v12, s10
	s_xor_b64 exec, exec, s[6:7]
	s_cbranch_execnz .LBB8_2956
.LBB8_906:
	s_or_b64 exec, exec, s[6:7]
	s_and_saveexec_b64 s[6:7], s[4:5]
	s_cbranch_execz .LBB8_908
.LBB8_907:
	v_bfe_u32 v12, v6, 8, 3
	v_ffbh_u32_e32 v15, v12
	v_min_u32_e32 v15, 32, v15
	v_lshrrev_b16_e32 v14, 3, v13
	v_subrev_u32_e32 v16, 28, v15
	v_and_b32_e32 v14, 15, v14
	v_lshlrev_b32_e32 v13, v16, v13
	v_sub_u32_e32 v15, 29, v15
	v_and_b32_e32 v13, 7, v13
	v_cmp_eq_u16_e32 vcc, 0, v14
	v_cndmask_b32_e32 v12, v12, v13, vcc
	v_cndmask_b32_e32 v13, v14, v15, vcc
	v_lshlrev_b32_e32 v14, 16, v6
	v_mov_b32_e32 v15, 0x3b800000
	v_lshlrev_b32_e32 v12, 20, v12
	v_and_b32_e32 v14, 0x80000000, v14
	v_lshl_add_u32 v13, v13, 23, v15
	v_or3_b32 v12, v14, v13, v12
.LBB8_908:
	s_or_b64 exec, exec, s[6:7]
	v_lshrrev_b32_e32 v13, 8, v2
	s_movk_i32 s4, 0x7f
	v_cmp_gt_i16_sdwa s[6:7], v13, s4 src0_sel:BYTE_0 src1_sel:DWORD
	s_mov_b64 s[4:5], 0
                                        ; implicit-def: $sgpr10
	s_and_saveexec_b64 s[8:9], s[6:7]
	s_xor_b64 s[6:7], exec, s[8:9]
	s_cbranch_execnz .LBB8_2957
; %bb.909:
	s_or_saveexec_b64 s[6:7], s[6:7]
	v_mov_b32_e32 v14, s10
	s_xor_b64 exec, exec, s[6:7]
	s_cbranch_execnz .LBB8_2960
.LBB8_910:
	s_or_b64 exec, exec, s[6:7]
	s_and_saveexec_b64 s[6:7], s[4:5]
	s_cbranch_execz .LBB8_912
.LBB8_911:
	v_bfe_u32 v14, v2, 8, 3
	v_ffbh_u32_e32 v16, v14
	v_min_u32_e32 v16, 32, v16
	v_lshrrev_b16_e32 v15, 3, v13
	v_subrev_u32_e32 v17, 28, v16
	v_and_b32_e32 v15, 15, v15
	v_lshlrev_b32_e32 v13, v17, v13
	v_sub_u32_e32 v16, 29, v16
	v_and_b32_e32 v13, 7, v13
	v_cmp_eq_u16_e32 vcc, 0, v15
	v_cndmask_b32_e32 v13, v14, v13, vcc
	v_cndmask_b32_e32 v14, v15, v16, vcc
	v_lshlrev_b32_e32 v15, 16, v2
	v_mov_b32_e32 v16, 0x3b800000
	v_lshlrev_b32_e32 v13, 20, v13
	v_and_b32_e32 v15, 0x80000000, v15
	v_lshl_add_u32 v14, v14, 23, v16
	v_or3_b32 v14, v15, v14, v13
.LBB8_912:
	s_or_b64 exec, exec, s[6:7]
	s_nop 0
	v_mfma_f32_16x16x4f32 a[0:3], v12, v14, a[0:3]
	s_movk_i32 s4, 0xff
	v_and_b32_sdwa v13, v6, s4 dst_sel:DWORD dst_unused:UNUSED_PAD src0_sel:WORD_1 src1_sel:DWORD
	s_movk_i32 s4, 0x7f
	v_cmp_lt_i16_e32 vcc, s4, v13
	s_mov_b64 s[4:5], 0
                                        ; implicit-def: $sgpr10
	s_and_saveexec_b64 s[6:7], vcc
	s_xor_b64 s[6:7], exec, s[6:7]
	s_cbranch_execnz .LBB8_2961
; %bb.913:
	s_or_saveexec_b64 s[6:7], s[6:7]
	v_mov_b32_e32 v12, s10
	s_xor_b64 exec, exec, s[6:7]
	s_cbranch_execnz .LBB8_2964
.LBB8_914:
	s_or_b64 exec, exec, s[6:7]
	s_and_saveexec_b64 s[6:7], s[4:5]
	s_cbranch_execz .LBB8_916
.LBB8_915:
	v_bfe_u32 v12, v6, 16, 3
	v_ffbh_u32_e32 v15, v12
	v_min_u32_e32 v15, 32, v15
	v_lshrrev_b32_e32 v13, 19, v6
	v_subrev_u32_e32 v16, 28, v15
	v_and_b32_e32 v13, 15, v13
	v_lshlrev_b32_sdwa v16, v16, v6 dst_sel:DWORD dst_unused:UNUSED_PAD src0_sel:DWORD src1_sel:WORD_1
	v_bfe_u32 v14, v6, 19, 4
	v_sub_u32_e32 v15, 29, v15
	v_and_b32_e32 v16, 7, v16
	v_cmp_eq_u16_e32 vcc, 0, v13
	v_cndmask_b32_e32 v12, v12, v16, vcc
	v_cndmask_b32_e32 v13, v14, v15, vcc
	v_lshlrev_b32_e32 v14, 8, v6
	v_mov_b32_e32 v15, 0x3b800000
	v_lshlrev_b32_e32 v12, 20, v12
	v_and_b32_e32 v14, 0x80000000, v14
	v_lshl_add_u32 v13, v13, 23, v15
	v_or3_b32 v12, v14, v13, v12
.LBB8_916:
	s_or_b64 exec, exec, s[6:7]
	s_movk_i32 s4, 0xff
	v_and_b32_sdwa v13, v2, s4 dst_sel:DWORD dst_unused:UNUSED_PAD src0_sel:WORD_1 src1_sel:DWORD
	s_movk_i32 s4, 0x7f
	v_cmp_lt_i16_e32 vcc, s4, v13
	s_mov_b64 s[4:5], 0
                                        ; implicit-def: $sgpr10
	s_and_saveexec_b64 s[6:7], vcc
	s_xor_b64 s[6:7], exec, s[6:7]
	s_cbranch_execnz .LBB8_2965
; %bb.917:
	s_or_saveexec_b64 s[6:7], s[6:7]
	v_mov_b32_e32 v14, s10
	s_xor_b64 exec, exec, s[6:7]
	s_cbranch_execnz .LBB8_2968
.LBB8_918:
	s_or_b64 exec, exec, s[6:7]
	s_and_saveexec_b64 s[6:7], s[4:5]
	s_cbranch_execz .LBB8_920
.LBB8_919:
	v_bfe_u32 v13, v2, 16, 3
	v_ffbh_u32_e32 v16, v13
	v_min_u32_e32 v16, 32, v16
	v_lshrrev_b32_e32 v14, 19, v2
	v_subrev_u32_e32 v17, 28, v16
	v_and_b32_e32 v14, 15, v14
	v_lshlrev_b32_sdwa v17, v17, v2 dst_sel:DWORD dst_unused:UNUSED_PAD src0_sel:DWORD src1_sel:WORD_1
	v_bfe_u32 v15, v2, 19, 4
	v_sub_u32_e32 v16, 29, v16
	v_and_b32_e32 v17, 7, v17
	v_cmp_eq_u16_e32 vcc, 0, v14
	v_cndmask_b32_e32 v13, v13, v17, vcc
	v_cndmask_b32_e32 v14, v15, v16, vcc
	v_lshlrev_b32_e32 v15, 8, v2
	v_mov_b32_e32 v16, 0x3b800000
	v_lshlrev_b32_e32 v13, 20, v13
	v_and_b32_e32 v15, 0x80000000, v15
	v_lshl_add_u32 v14, v14, 23, v16
	v_or3_b32 v14, v15, v14, v13
.LBB8_920:
	s_or_b64 exec, exec, s[6:7]
	s_nop 0
	v_mfma_f32_16x16x4f32 a[0:3], v12, v14, a[0:3]
	s_movk_i32 s4, 0x7f
	v_cmp_gt_i16_sdwa s[6:7], v6, s4 src0_sel:BYTE_3 src1_sel:DWORD
	s_mov_b64 s[4:5], 0
                                        ; implicit-def: $sgpr10
	s_and_saveexec_b64 s[8:9], s[6:7]
	s_xor_b64 s[6:7], exec, s[8:9]
	s_cbranch_execnz .LBB8_2969
; %bb.921:
	s_or_saveexec_b64 s[6:7], s[6:7]
	v_mov_b32_e32 v12, s10
	s_xor_b64 exec, exec, s[6:7]
	s_cbranch_execnz .LBB8_2972
.LBB8_922:
	s_or_b64 exec, exec, s[6:7]
	s_and_saveexec_b64 s[6:7], s[4:5]
	s_cbranch_execz .LBB8_924
.LBB8_923:
	v_bfe_u32 v12, v6, 24, 3
	v_ffbh_u32_e32 v16, v12
	v_min_u32_e32 v16, 32, v16
	v_lshrrev_b32_e32 v14, 27, v6
	v_subrev_u32_e32 v17, 28, v16
	v_and_b32_e32 v13, 0x80000000, v6
	v_and_b32_e32 v14, 15, v14
	v_bfe_u32 v15, v6, 27, 4
	v_lshlrev_b32_sdwa v6, v17, v6 dst_sel:DWORD dst_unused:UNUSED_PAD src0_sel:DWORD src1_sel:BYTE_3
	v_sub_u32_e32 v16, 29, v16
	v_and_b32_e32 v6, 7, v6
	v_cmp_eq_u16_e32 vcc, 0, v14
	v_cndmask_b32_e32 v6, v12, v6, vcc
	v_cndmask_b32_e32 v12, v15, v16, vcc
	v_mov_b32_e32 v14, 0x3b800000
	v_lshlrev_b32_e32 v6, 20, v6
	v_lshl_add_u32 v12, v12, 23, v14
	v_or3_b32 v12, v13, v12, v6
.LBB8_924:
	s_or_b64 exec, exec, s[6:7]
	s_movk_i32 s4, 0x7f
	v_cmp_gt_i16_sdwa s[6:7], v2, s4 src0_sel:BYTE_3 src1_sel:DWORD
	s_mov_b64 s[4:5], 0
                                        ; implicit-def: $sgpr10
	s_and_saveexec_b64 s[8:9], s[6:7]
	s_xor_b64 s[6:7], exec, s[8:9]
	s_cbranch_execnz .LBB8_2973
; %bb.925:
	s_or_saveexec_b64 s[6:7], s[6:7]
	v_mov_b32_e32 v6, s10
	s_xor_b64 exec, exec, s[6:7]
	s_cbranch_execnz .LBB8_2976
.LBB8_926:
	s_or_b64 exec, exec, s[6:7]
	s_and_saveexec_b64 s[6:7], s[4:5]
	s_cbranch_execz .LBB8_928
.LBB8_927:
	v_bfe_u32 v6, v2, 24, 3
	v_ffbh_u32_e32 v16, v6
	v_min_u32_e32 v16, 32, v16
	v_lshrrev_b32_e32 v14, 27, v2
	v_subrev_u32_e32 v17, 28, v16
	v_and_b32_e32 v13, 0x80000000, v2
	v_and_b32_e32 v14, 15, v14
	v_bfe_u32 v15, v2, 27, 4
	v_lshlrev_b32_sdwa v2, v17, v2 dst_sel:DWORD dst_unused:UNUSED_PAD src0_sel:DWORD src1_sel:BYTE_3
	v_sub_u32_e32 v16, 29, v16
	v_and_b32_e32 v2, 7, v2
	v_cmp_eq_u16_e32 vcc, 0, v14
	v_cndmask_b32_e32 v2, v6, v2, vcc
	v_cndmask_b32_e32 v6, v15, v16, vcc
	v_mov_b32_e32 v14, 0x3b800000
	v_lshlrev_b32_e32 v2, 20, v2
	v_lshl_add_u32 v6, v6, 23, v14
	v_or3_b32 v6, v13, v6, v2
.LBB8_928:
	s_or_b64 exec, exec, s[6:7]
	s_nop 0
	v_mfma_f32_16x16x4f32 a[0:3], v12, v6, a[0:3]
	s_movk_i32 s4, 0x7f
	v_cmp_gt_i16_sdwa s[6:7], v7, s4 src0_sel:BYTE_0 src1_sel:DWORD
	s_mov_b64 s[4:5], 0
                                        ; implicit-def: $sgpr10
	s_and_saveexec_b64 s[8:9], s[6:7]
	s_xor_b64 s[6:7], exec, s[8:9]
	s_cbranch_execnz .LBB8_2977
; %bb.929:
	s_or_saveexec_b64 s[6:7], s[6:7]
	v_mov_b32_e32 v2, s10
	s_xor_b64 exec, exec, s[6:7]
	s_cbranch_execnz .LBB8_2980
.LBB8_930:
	s_or_b64 exec, exec, s[6:7]
	s_and_saveexec_b64 s[6:7], s[4:5]
	s_cbranch_execz .LBB8_932
.LBB8_931:
	v_and_b32_e32 v2, 7, v7
	v_ffbh_u32_e32 v12, v2
	v_min_u32_e32 v12, 32, v12
	v_lshrrev_b16_e32 v6, 3, v7
	v_subrev_u32_e32 v13, 28, v12
	v_and_b32_e32 v6, 15, v6
	v_lshlrev_b32_e32 v13, v13, v7
	v_sub_u32_e32 v12, 29, v12
	v_and_b32_e32 v13, 7, v13
	v_cmp_eq_u16_e32 vcc, 0, v6
	v_cndmask_b32_e32 v2, v2, v13, vcc
	v_cndmask_b32_e32 v6, v6, v12, vcc
	v_lshlrev_b32_e32 v12, 24, v7
	v_mov_b32_e32 v13, 0x3b800000
	v_lshlrev_b32_e32 v2, 20, v2
	v_and_b32_e32 v12, 0x80000000, v12
	v_lshl_add_u32 v6, v6, 23, v13
	v_or3_b32 v2, v12, v6, v2
.LBB8_932:
	s_or_b64 exec, exec, s[6:7]
	s_movk_i32 s4, 0x7f
	v_cmp_gt_i16_sdwa s[6:7], v3, s4 src0_sel:BYTE_0 src1_sel:DWORD
	s_mov_b64 s[4:5], 0
                                        ; implicit-def: $sgpr10
	s_and_saveexec_b64 s[8:9], s[6:7]
	s_xor_b64 s[6:7], exec, s[8:9]
	s_cbranch_execnz .LBB8_2981
; %bb.933:
	s_or_saveexec_b64 s[6:7], s[6:7]
	v_mov_b32_e32 v6, s10
	s_xor_b64 exec, exec, s[6:7]
	s_cbranch_execnz .LBB8_2984
.LBB8_934:
	s_or_b64 exec, exec, s[6:7]
	s_and_saveexec_b64 s[6:7], s[4:5]
	s_cbranch_execz .LBB8_936
.LBB8_935:
	v_and_b32_e32 v6, 7, v3
	v_ffbh_u32_e32 v13, v6
	v_min_u32_e32 v13, 32, v13
	v_lshrrev_b16_e32 v12, 3, v3
	v_subrev_u32_e32 v14, 28, v13
	v_and_b32_e32 v12, 15, v12
	v_lshlrev_b32_e32 v14, v14, v3
	v_sub_u32_e32 v13, 29, v13
	v_and_b32_e32 v14, 7, v14
	v_cmp_eq_u16_e32 vcc, 0, v12
	v_cndmask_b32_e32 v6, v6, v14, vcc
	v_cndmask_b32_e32 v12, v12, v13, vcc
	v_lshlrev_b32_e32 v13, 24, v3
	v_mov_b32_e32 v14, 0x3b800000
	v_lshlrev_b32_e32 v6, 20, v6
	v_and_b32_e32 v13, 0x80000000, v13
	v_lshl_add_u32 v12, v12, 23, v14
	v_or3_b32 v6, v13, v12, v6
.LBB8_936:
	s_or_b64 exec, exec, s[6:7]
	s_nop 0
	v_mfma_f32_16x16x4f32 a[0:3], v2, v6, a[0:3]
	v_lshrrev_b32_e32 v6, 8, v7
	s_movk_i32 s4, 0x7f
	v_cmp_gt_i16_sdwa s[6:7], v6, s4 src0_sel:BYTE_0 src1_sel:DWORD
	s_mov_b64 s[4:5], 0
                                        ; implicit-def: $sgpr10
	s_and_saveexec_b64 s[8:9], s[6:7]
	s_xor_b64 s[6:7], exec, s[8:9]
	s_cbranch_execnz .LBB8_2985
; %bb.937:
	s_or_saveexec_b64 s[6:7], s[6:7]
	v_mov_b32_e32 v2, s10
	s_xor_b64 exec, exec, s[6:7]
	s_cbranch_execnz .LBB8_2988
.LBB8_938:
	s_or_b64 exec, exec, s[6:7]
	s_and_saveexec_b64 s[6:7], s[4:5]
	s_cbranch_execz .LBB8_940
.LBB8_939:
	v_bfe_u32 v2, v7, 8, 3
	v_ffbh_u32_e32 v13, v2
	v_min_u32_e32 v13, 32, v13
	v_lshrrev_b16_e32 v12, 3, v6
	v_subrev_u32_e32 v14, 28, v13
	v_and_b32_e32 v12, 15, v12
	v_lshlrev_b32_e32 v6, v14, v6
	v_sub_u32_e32 v13, 29, v13
	v_and_b32_e32 v6, 7, v6
	v_cmp_eq_u16_e32 vcc, 0, v12
	v_cndmask_b32_e32 v2, v2, v6, vcc
	v_cndmask_b32_e32 v6, v12, v13, vcc
	v_lshlrev_b32_e32 v12, 16, v7
	v_mov_b32_e32 v13, 0x3b800000
	v_lshlrev_b32_e32 v2, 20, v2
	v_and_b32_e32 v12, 0x80000000, v12
	v_lshl_add_u32 v6, v6, 23, v13
	v_or3_b32 v2, v12, v6, v2
.LBB8_940:
	s_or_b64 exec, exec, s[6:7]
	v_lshrrev_b32_e32 v6, 8, v3
	s_movk_i32 s4, 0x7f
	v_cmp_gt_i16_sdwa s[6:7], v6, s4 src0_sel:BYTE_0 src1_sel:DWORD
	s_mov_b64 s[4:5], 0
                                        ; implicit-def: $sgpr10
	s_and_saveexec_b64 s[8:9], s[6:7]
	s_xor_b64 s[6:7], exec, s[8:9]
	s_cbranch_execnz .LBB8_2989
; %bb.941:
	s_or_saveexec_b64 s[6:7], s[6:7]
	v_mov_b32_e32 v12, s10
	s_xor_b64 exec, exec, s[6:7]
	s_cbranch_execnz .LBB8_2992
.LBB8_942:
	s_or_b64 exec, exec, s[6:7]
	s_and_saveexec_b64 s[6:7], s[4:5]
	s_cbranch_execz .LBB8_944
.LBB8_943:
	v_bfe_u32 v12, v3, 8, 3
	v_ffbh_u32_e32 v14, v12
	v_min_u32_e32 v14, 32, v14
	v_lshrrev_b16_e32 v13, 3, v6
	v_subrev_u32_e32 v15, 28, v14
	v_and_b32_e32 v13, 15, v13
	v_lshlrev_b32_e32 v6, v15, v6
	v_sub_u32_e32 v14, 29, v14
	v_and_b32_e32 v6, 7, v6
	v_cmp_eq_u16_e32 vcc, 0, v13
	v_cndmask_b32_e32 v6, v12, v6, vcc
	v_cndmask_b32_e32 v12, v13, v14, vcc
	v_lshlrev_b32_e32 v13, 16, v3
	v_mov_b32_e32 v14, 0x3b800000
	v_lshlrev_b32_e32 v6, 20, v6
	v_and_b32_e32 v13, 0x80000000, v13
	v_lshl_add_u32 v12, v12, 23, v14
	v_or3_b32 v12, v13, v12, v6
.LBB8_944:
	s_or_b64 exec, exec, s[6:7]
	s_nop 0
	v_mfma_f32_16x16x4f32 a[0:3], v2, v12, a[0:3]
	s_movk_i32 s4, 0xff
	v_and_b32_sdwa v6, v7, s4 dst_sel:DWORD dst_unused:UNUSED_PAD src0_sel:WORD_1 src1_sel:DWORD
	s_movk_i32 s4, 0x7f
	v_cmp_lt_i16_e32 vcc, s4, v6
	s_mov_b64 s[4:5], 0
                                        ; implicit-def: $sgpr10
	s_and_saveexec_b64 s[6:7], vcc
	s_xor_b64 s[6:7], exec, s[6:7]
	s_cbranch_execnz .LBB8_2993
; %bb.945:
	s_or_saveexec_b64 s[6:7], s[6:7]
	v_mov_b32_e32 v2, s10
	s_xor_b64 exec, exec, s[6:7]
	s_cbranch_execnz .LBB8_2996
.LBB8_946:
	s_or_b64 exec, exec, s[6:7]
	s_and_saveexec_b64 s[6:7], s[4:5]
	s_cbranch_execz .LBB8_948
.LBB8_947:
	v_bfe_u32 v2, v7, 16, 3
	v_ffbh_u32_e32 v13, v2
	v_min_u32_e32 v13, 32, v13
	v_lshrrev_b32_e32 v6, 19, v7
	v_subrev_u32_e32 v14, 28, v13
	v_and_b32_e32 v6, 15, v6
	v_lshlrev_b32_sdwa v14, v14, v7 dst_sel:DWORD dst_unused:UNUSED_PAD src0_sel:DWORD src1_sel:WORD_1
	v_bfe_u32 v12, v7, 19, 4
	v_sub_u32_e32 v13, 29, v13
	v_and_b32_e32 v14, 7, v14
	v_cmp_eq_u16_e32 vcc, 0, v6
	v_cndmask_b32_e32 v2, v2, v14, vcc
	v_cndmask_b32_e32 v6, v12, v13, vcc
	v_lshlrev_b32_e32 v12, 8, v7
	v_mov_b32_e32 v13, 0x3b800000
	v_lshlrev_b32_e32 v2, 20, v2
	v_and_b32_e32 v12, 0x80000000, v12
	v_lshl_add_u32 v6, v6, 23, v13
	v_or3_b32 v2, v12, v6, v2
.LBB8_948:
	s_or_b64 exec, exec, s[6:7]
	s_movk_i32 s4, 0xff
	v_and_b32_sdwa v6, v3, s4 dst_sel:DWORD dst_unused:UNUSED_PAD src0_sel:WORD_1 src1_sel:DWORD
	s_movk_i32 s4, 0x7f
	v_cmp_lt_i16_e32 vcc, s4, v6
	s_mov_b64 s[4:5], 0
                                        ; implicit-def: $sgpr10
	s_and_saveexec_b64 s[6:7], vcc
	s_xor_b64 s[6:7], exec, s[6:7]
	s_cbranch_execnz .LBB8_2997
; %bb.949:
	s_or_saveexec_b64 s[6:7], s[6:7]
	v_mov_b32_e32 v12, s10
	s_xor_b64 exec, exec, s[6:7]
	s_cbranch_execnz .LBB8_3000
.LBB8_950:
	s_or_b64 exec, exec, s[6:7]
	s_and_saveexec_b64 s[6:7], s[4:5]
	s_cbranch_execz .LBB8_952
.LBB8_951:
	v_bfe_u32 v6, v3, 16, 3
	v_ffbh_u32_e32 v14, v6
	v_min_u32_e32 v14, 32, v14
	v_lshrrev_b32_e32 v12, 19, v3
	v_subrev_u32_e32 v15, 28, v14
	v_and_b32_e32 v12, 15, v12
	v_lshlrev_b32_sdwa v15, v15, v3 dst_sel:DWORD dst_unused:UNUSED_PAD src0_sel:DWORD src1_sel:WORD_1
	v_bfe_u32 v13, v3, 19, 4
	v_sub_u32_e32 v14, 29, v14
	v_and_b32_e32 v15, 7, v15
	v_cmp_eq_u16_e32 vcc, 0, v12
	v_cndmask_b32_e32 v6, v6, v15, vcc
	v_cndmask_b32_e32 v12, v13, v14, vcc
	v_lshlrev_b32_e32 v13, 8, v3
	v_mov_b32_e32 v14, 0x3b800000
	v_lshlrev_b32_e32 v6, 20, v6
	v_and_b32_e32 v13, 0x80000000, v13
	v_lshl_add_u32 v12, v12, 23, v14
	v_or3_b32 v12, v13, v12, v6
.LBB8_952:
	s_or_b64 exec, exec, s[6:7]
	s_nop 0
	v_mfma_f32_16x16x4f32 a[0:3], v2, v12, a[0:3]
	s_movk_i32 s4, 0x7f
	v_cmp_gt_i16_sdwa s[6:7], v7, s4 src0_sel:BYTE_3 src1_sel:DWORD
	s_mov_b64 s[4:5], 0
                                        ; implicit-def: $sgpr10
	s_and_saveexec_b64 s[8:9], s[6:7]
	s_xor_b64 s[6:7], exec, s[8:9]
	s_cbranch_execnz .LBB8_3001
; %bb.953:
	s_or_saveexec_b64 s[6:7], s[6:7]
	v_mov_b32_e32 v2, s10
	s_xor_b64 exec, exec, s[6:7]
	s_cbranch_execnz .LBB8_3004
.LBB8_954:
	s_or_b64 exec, exec, s[6:7]
	s_and_saveexec_b64 s[6:7], s[4:5]
	s_cbranch_execz .LBB8_956
.LBB8_955:
	v_bfe_u32 v2, v7, 24, 3
	v_ffbh_u32_e32 v14, v2
	v_min_u32_e32 v14, 32, v14
	v_lshrrev_b32_e32 v12, 27, v7
	v_subrev_u32_e32 v15, 28, v14
	v_and_b32_e32 v6, 0x80000000, v7
	v_and_b32_e32 v12, 15, v12
	v_bfe_u32 v13, v7, 27, 4
	v_lshlrev_b32_sdwa v7, v15, v7 dst_sel:DWORD dst_unused:UNUSED_PAD src0_sel:DWORD src1_sel:BYTE_3
	v_sub_u32_e32 v14, 29, v14
	v_and_b32_e32 v7, 7, v7
	v_cmp_eq_u16_e32 vcc, 0, v12
	v_cndmask_b32_e32 v2, v2, v7, vcc
	v_cndmask_b32_e32 v7, v13, v14, vcc
	v_mov_b32_e32 v12, 0x3b800000
	v_lshlrev_b32_e32 v2, 20, v2
	v_lshl_add_u32 v7, v7, 23, v12
	v_or3_b32 v2, v6, v7, v2
.LBB8_956:
	s_or_b64 exec, exec, s[6:7]
	s_movk_i32 s4, 0x7f
	v_cmp_gt_i16_sdwa s[6:7], v3, s4 src0_sel:BYTE_3 src1_sel:DWORD
	s_mov_b64 s[4:5], 0
                                        ; implicit-def: $sgpr10
	s_and_saveexec_b64 s[8:9], s[6:7]
	s_xor_b64 s[6:7], exec, s[8:9]
	s_cbranch_execnz .LBB8_3005
; %bb.957:
	s_or_saveexec_b64 s[6:7], s[6:7]
	v_mov_b32_e32 v6, s10
	s_xor_b64 exec, exec, s[6:7]
	s_cbranch_execnz .LBB8_3008
.LBB8_958:
	s_or_b64 exec, exec, s[6:7]
	s_and_saveexec_b64 s[6:7], s[4:5]
	s_cbranch_execz .LBB8_960
.LBB8_959:
	v_bfe_u32 v6, v3, 24, 3
	v_ffbh_u32_e32 v14, v6
	v_min_u32_e32 v14, 32, v14
	v_lshrrev_b32_e32 v12, 27, v3
	v_subrev_u32_e32 v15, 28, v14
	v_and_b32_e32 v7, 0x80000000, v3
	v_and_b32_e32 v12, 15, v12
	v_bfe_u32 v13, v3, 27, 4
	v_lshlrev_b32_sdwa v3, v15, v3 dst_sel:DWORD dst_unused:UNUSED_PAD src0_sel:DWORD src1_sel:BYTE_3
	v_sub_u32_e32 v14, 29, v14
	v_and_b32_e32 v3, 7, v3
	v_cmp_eq_u16_e32 vcc, 0, v12
	v_cndmask_b32_e32 v3, v6, v3, vcc
	v_cndmask_b32_e32 v6, v13, v14, vcc
	v_mov_b32_e32 v12, 0x3b800000
	v_lshlrev_b32_e32 v3, 20, v3
	v_lshl_add_u32 v6, v6, 23, v12
	v_or3_b32 v6, v7, v6, v3
.LBB8_960:
	s_or_b64 exec, exec, s[6:7]
	s_nop 0
	v_mfma_f32_16x16x4f32 a[0:3], v2, v6, a[0:3]
	s_movk_i32 s4, 0x7f
	v_cmp_gt_i16_sdwa s[6:7], v8, s4 src0_sel:BYTE_0 src1_sel:DWORD
	s_mov_b64 s[4:5], 0
                                        ; implicit-def: $sgpr10
	s_and_saveexec_b64 s[8:9], s[6:7]
	s_xor_b64 s[6:7], exec, s[8:9]
	s_cbranch_execnz .LBB8_3009
; %bb.961:
	s_or_saveexec_b64 s[6:7], s[6:7]
	v_mov_b32_e32 v2, s10
	s_xor_b64 exec, exec, s[6:7]
	s_cbranch_execnz .LBB8_3012
.LBB8_962:
	s_or_b64 exec, exec, s[6:7]
	s_and_saveexec_b64 s[6:7], s[4:5]
	s_cbranch_execz .LBB8_964
.LBB8_963:
	v_and_b32_e32 v2, 7, v8
	v_ffbh_u32_e32 v6, v2
	v_min_u32_e32 v6, 32, v6
	v_lshrrev_b16_e32 v3, 3, v8
	v_subrev_u32_e32 v7, 28, v6
	v_and_b32_e32 v3, 15, v3
	v_lshlrev_b32_e32 v7, v7, v8
	v_sub_u32_e32 v6, 29, v6
	v_and_b32_e32 v7, 7, v7
	v_cmp_eq_u16_e32 vcc, 0, v3
	v_cndmask_b32_e32 v2, v2, v7, vcc
	v_cndmask_b32_e32 v3, v3, v6, vcc
	v_lshlrev_b32_e32 v6, 24, v8
	v_mov_b32_e32 v7, 0x3b800000
	v_lshlrev_b32_e32 v2, 20, v2
	v_and_b32_e32 v6, 0x80000000, v6
	v_lshl_add_u32 v3, v3, 23, v7
	v_or3_b32 v2, v6, v3, v2
.LBB8_964:
	s_or_b64 exec, exec, s[6:7]
	s_movk_i32 s4, 0x7f
	v_cmp_gt_i16_sdwa s[6:7], v4, s4 src0_sel:BYTE_0 src1_sel:DWORD
	s_mov_b64 s[4:5], 0
                                        ; implicit-def: $sgpr10
	s_and_saveexec_b64 s[8:9], s[6:7]
	s_xor_b64 s[6:7], exec, s[8:9]
	s_cbranch_execnz .LBB8_3013
; %bb.965:
	s_or_saveexec_b64 s[6:7], s[6:7]
	v_mov_b32_e32 v3, s10
	s_xor_b64 exec, exec, s[6:7]
	s_cbranch_execnz .LBB8_3016
.LBB8_966:
	s_or_b64 exec, exec, s[6:7]
	s_and_saveexec_b64 s[6:7], s[4:5]
	s_cbranch_execz .LBB8_968
.LBB8_967:
	v_and_b32_e32 v3, 7, v4
	v_ffbh_u32_e32 v7, v3
	v_min_u32_e32 v7, 32, v7
	v_lshrrev_b16_e32 v6, 3, v4
	v_subrev_u32_e32 v12, 28, v7
	v_and_b32_e32 v6, 15, v6
	v_lshlrev_b32_e32 v12, v12, v4
	v_sub_u32_e32 v7, 29, v7
	v_and_b32_e32 v12, 7, v12
	v_cmp_eq_u16_e32 vcc, 0, v6
	v_cndmask_b32_e32 v3, v3, v12, vcc
	v_cndmask_b32_e32 v6, v6, v7, vcc
	v_lshlrev_b32_e32 v7, 24, v4
	v_mov_b32_e32 v12, 0x3b800000
	v_lshlrev_b32_e32 v3, 20, v3
	v_and_b32_e32 v7, 0x80000000, v7
	v_lshl_add_u32 v6, v6, 23, v12
	v_or3_b32 v3, v7, v6, v3
.LBB8_968:
	s_or_b64 exec, exec, s[6:7]
	s_nop 0
	v_mfma_f32_16x16x4f32 a[0:3], v2, v3, a[0:3]
	v_lshrrev_b32_e32 v3, 8, v8
	s_movk_i32 s4, 0x7f
	v_cmp_gt_i16_sdwa s[6:7], v3, s4 src0_sel:BYTE_0 src1_sel:DWORD
	s_mov_b64 s[4:5], 0
                                        ; implicit-def: $sgpr10
	s_and_saveexec_b64 s[8:9], s[6:7]
	s_xor_b64 s[6:7], exec, s[8:9]
	s_cbranch_execnz .LBB8_3017
; %bb.969:
	s_or_saveexec_b64 s[6:7], s[6:7]
	v_mov_b32_e32 v2, s10
	s_xor_b64 exec, exec, s[6:7]
	s_cbranch_execnz .LBB8_3020
.LBB8_970:
	s_or_b64 exec, exec, s[6:7]
	s_and_saveexec_b64 s[6:7], s[4:5]
	s_cbranch_execz .LBB8_972
.LBB8_971:
	v_bfe_u32 v2, v8, 8, 3
	v_ffbh_u32_e32 v7, v2
	v_min_u32_e32 v7, 32, v7
	v_lshrrev_b16_e32 v6, 3, v3
	v_subrev_u32_e32 v12, 28, v7
	v_and_b32_e32 v6, 15, v6
	v_lshlrev_b32_e32 v3, v12, v3
	v_sub_u32_e32 v7, 29, v7
	v_and_b32_e32 v3, 7, v3
	v_cmp_eq_u16_e32 vcc, 0, v6
	v_cndmask_b32_e32 v2, v2, v3, vcc
	v_cndmask_b32_e32 v3, v6, v7, vcc
	v_lshlrev_b32_e32 v6, 16, v8
	v_mov_b32_e32 v7, 0x3b800000
	v_lshlrev_b32_e32 v2, 20, v2
	v_and_b32_e32 v6, 0x80000000, v6
	v_lshl_add_u32 v3, v3, 23, v7
	v_or3_b32 v2, v6, v3, v2
.LBB8_972:
	s_or_b64 exec, exec, s[6:7]
	v_lshrrev_b32_e32 v3, 8, v4
	s_movk_i32 s4, 0x7f
	v_cmp_gt_i16_sdwa s[6:7], v3, s4 src0_sel:BYTE_0 src1_sel:DWORD
	s_mov_b64 s[4:5], 0
                                        ; implicit-def: $sgpr10
	s_and_saveexec_b64 s[8:9], s[6:7]
	s_xor_b64 s[6:7], exec, s[8:9]
	s_cbranch_execnz .LBB8_3021
; %bb.973:
	s_or_saveexec_b64 s[6:7], s[6:7]
	v_mov_b32_e32 v6, s10
	s_xor_b64 exec, exec, s[6:7]
	s_cbranch_execnz .LBB8_3024
.LBB8_974:
	s_or_b64 exec, exec, s[6:7]
	s_and_saveexec_b64 s[6:7], s[4:5]
	s_cbranch_execz .LBB8_976
.LBB8_975:
	v_bfe_u32 v6, v4, 8, 3
	v_ffbh_u32_e32 v12, v6
	v_min_u32_e32 v12, 32, v12
	v_lshrrev_b16_e32 v7, 3, v3
	v_subrev_u32_e32 v13, 28, v12
	v_and_b32_e32 v7, 15, v7
	v_lshlrev_b32_e32 v3, v13, v3
	v_sub_u32_e32 v12, 29, v12
	v_and_b32_e32 v3, 7, v3
	v_cmp_eq_u16_e32 vcc, 0, v7
	v_cndmask_b32_e32 v3, v6, v3, vcc
	v_cndmask_b32_e32 v6, v7, v12, vcc
	v_lshlrev_b32_e32 v7, 16, v4
	v_mov_b32_e32 v12, 0x3b800000
	v_lshlrev_b32_e32 v3, 20, v3
	v_and_b32_e32 v7, 0x80000000, v7
	v_lshl_add_u32 v6, v6, 23, v12
	v_or3_b32 v6, v7, v6, v3
.LBB8_976:
	s_or_b64 exec, exec, s[6:7]
	s_nop 0
	v_mfma_f32_16x16x4f32 a[0:3], v2, v6, a[0:3]
	s_movk_i32 s4, 0xff
	v_and_b32_sdwa v3, v8, s4 dst_sel:DWORD dst_unused:UNUSED_PAD src0_sel:WORD_1 src1_sel:DWORD
	s_movk_i32 s4, 0x7f
	v_cmp_lt_i16_e32 vcc, s4, v3
	s_mov_b64 s[4:5], 0
                                        ; implicit-def: $sgpr10
	s_and_saveexec_b64 s[6:7], vcc
	s_xor_b64 s[6:7], exec, s[6:7]
	s_cbranch_execnz .LBB8_3025
; %bb.977:
	s_or_saveexec_b64 s[6:7], s[6:7]
	v_mov_b32_e32 v2, s10
	s_xor_b64 exec, exec, s[6:7]
	s_cbranch_execnz .LBB8_3028
.LBB8_978:
	s_or_b64 exec, exec, s[6:7]
	s_and_saveexec_b64 s[6:7], s[4:5]
	s_cbranch_execz .LBB8_980
.LBB8_979:
	v_bfe_u32 v2, v8, 16, 3
	v_ffbh_u32_e32 v7, v2
	v_min_u32_e32 v7, 32, v7
	v_lshrrev_b32_e32 v3, 19, v8
	v_subrev_u32_e32 v12, 28, v7
	v_and_b32_e32 v3, 15, v3
	v_lshlrev_b32_sdwa v12, v12, v8 dst_sel:DWORD dst_unused:UNUSED_PAD src0_sel:DWORD src1_sel:WORD_1
	v_bfe_u32 v6, v8, 19, 4
	v_sub_u32_e32 v7, 29, v7
	v_and_b32_e32 v12, 7, v12
	v_cmp_eq_u16_e32 vcc, 0, v3
	v_cndmask_b32_e32 v2, v2, v12, vcc
	v_cndmask_b32_e32 v3, v6, v7, vcc
	v_lshlrev_b32_e32 v6, 8, v8
	v_mov_b32_e32 v7, 0x3b800000
	v_lshlrev_b32_e32 v2, 20, v2
	v_and_b32_e32 v6, 0x80000000, v6
	v_lshl_add_u32 v3, v3, 23, v7
	v_or3_b32 v2, v6, v3, v2
.LBB8_980:
	s_or_b64 exec, exec, s[6:7]
	s_movk_i32 s4, 0xff
	v_and_b32_sdwa v3, v4, s4 dst_sel:DWORD dst_unused:UNUSED_PAD src0_sel:WORD_1 src1_sel:DWORD
	s_movk_i32 s4, 0x7f
	v_cmp_lt_i16_e32 vcc, s4, v3
	s_mov_b64 s[4:5], 0
                                        ; implicit-def: $sgpr10
	s_and_saveexec_b64 s[6:7], vcc
	s_xor_b64 s[6:7], exec, s[6:7]
	s_cbranch_execnz .LBB8_3029
; %bb.981:
	s_or_saveexec_b64 s[6:7], s[6:7]
	v_mov_b32_e32 v6, s10
	s_xor_b64 exec, exec, s[6:7]
	s_cbranch_execnz .LBB8_3032
.LBB8_982:
	s_or_b64 exec, exec, s[6:7]
	s_and_saveexec_b64 s[6:7], s[4:5]
	s_cbranch_execz .LBB8_984
.LBB8_983:
	v_bfe_u32 v3, v4, 16, 3
	v_ffbh_u32_e32 v12, v3
	v_min_u32_e32 v12, 32, v12
	v_lshrrev_b32_e32 v6, 19, v4
	v_subrev_u32_e32 v13, 28, v12
	v_and_b32_e32 v6, 15, v6
	v_lshlrev_b32_sdwa v13, v13, v4 dst_sel:DWORD dst_unused:UNUSED_PAD src0_sel:DWORD src1_sel:WORD_1
	v_bfe_u32 v7, v4, 19, 4
	v_sub_u32_e32 v12, 29, v12
	v_and_b32_e32 v13, 7, v13
	v_cmp_eq_u16_e32 vcc, 0, v6
	v_cndmask_b32_e32 v3, v3, v13, vcc
	v_cndmask_b32_e32 v6, v7, v12, vcc
	v_lshlrev_b32_e32 v7, 8, v4
	v_mov_b32_e32 v12, 0x3b800000
	v_lshlrev_b32_e32 v3, 20, v3
	v_and_b32_e32 v7, 0x80000000, v7
	v_lshl_add_u32 v6, v6, 23, v12
	v_or3_b32 v6, v7, v6, v3
.LBB8_984:
	s_or_b64 exec, exec, s[6:7]
	s_nop 0
	v_mfma_f32_16x16x4f32 a[0:3], v2, v6, a[0:3]
	s_movk_i32 s4, 0x7f
	v_cmp_gt_i16_sdwa s[6:7], v8, s4 src0_sel:BYTE_3 src1_sel:DWORD
	s_mov_b64 s[4:5], 0
                                        ; implicit-def: $sgpr10
	s_and_saveexec_b64 s[8:9], s[6:7]
	s_xor_b64 s[6:7], exec, s[8:9]
	s_cbranch_execnz .LBB8_3033
; %bb.985:
	s_or_saveexec_b64 s[6:7], s[6:7]
	v_mov_b32_e32 v2, s10
	s_xor_b64 exec, exec, s[6:7]
	s_cbranch_execnz .LBB8_3036
.LBB8_986:
	s_or_b64 exec, exec, s[6:7]
	s_and_saveexec_b64 s[6:7], s[4:5]
	s_cbranch_execz .LBB8_988
.LBB8_987:
	v_bfe_u32 v2, v8, 24, 3
	v_ffbh_u32_e32 v12, v2
	v_min_u32_e32 v12, 32, v12
	v_lshrrev_b32_e32 v6, 27, v8
	v_subrev_u32_e32 v13, 28, v12
	v_and_b32_e32 v3, 0x80000000, v8
	v_and_b32_e32 v6, 15, v6
	v_bfe_u32 v7, v8, 27, 4
	v_lshlrev_b32_sdwa v8, v13, v8 dst_sel:DWORD dst_unused:UNUSED_PAD src0_sel:DWORD src1_sel:BYTE_3
	v_sub_u32_e32 v12, 29, v12
	v_and_b32_e32 v8, 7, v8
	v_cmp_eq_u16_e32 vcc, 0, v6
	v_cndmask_b32_e32 v2, v2, v8, vcc
	v_cndmask_b32_e32 v6, v7, v12, vcc
	v_mov_b32_e32 v7, 0x3b800000
	v_lshlrev_b32_e32 v2, 20, v2
	v_lshl_add_u32 v6, v6, 23, v7
	v_or3_b32 v2, v3, v6, v2
.LBB8_988:
	s_or_b64 exec, exec, s[6:7]
	s_movk_i32 s4, 0x7f
	v_cmp_gt_i16_sdwa s[6:7], v4, s4 src0_sel:BYTE_3 src1_sel:DWORD
	s_mov_b64 s[4:5], 0
                                        ; implicit-def: $sgpr10
	s_and_saveexec_b64 s[8:9], s[6:7]
	s_xor_b64 s[6:7], exec, s[8:9]
	s_cbranch_execnz .LBB8_3037
; %bb.989:
	s_or_saveexec_b64 s[6:7], s[6:7]
	v_mov_b32_e32 v3, s10
	s_xor_b64 exec, exec, s[6:7]
	s_cbranch_execnz .LBB8_3040
.LBB8_990:
	s_or_b64 exec, exec, s[6:7]
	s_and_saveexec_b64 s[6:7], s[4:5]
	s_cbranch_execz .LBB8_992
.LBB8_991:
	v_bfe_u32 v3, v4, 24, 3
	v_ffbh_u32_e32 v12, v3
	v_min_u32_e32 v12, 32, v12
	v_lshrrev_b32_e32 v7, 27, v4
	v_subrev_u32_e32 v13, 28, v12
	v_and_b32_e32 v6, 0x80000000, v4
	v_and_b32_e32 v7, 15, v7
	v_bfe_u32 v8, v4, 27, 4
	v_lshlrev_b32_sdwa v4, v13, v4 dst_sel:DWORD dst_unused:UNUSED_PAD src0_sel:DWORD src1_sel:BYTE_3
	v_sub_u32_e32 v12, 29, v12
	v_and_b32_e32 v4, 7, v4
	v_cmp_eq_u16_e32 vcc, 0, v7
	v_cndmask_b32_e32 v3, v3, v4, vcc
	v_cndmask_b32_e32 v4, v8, v12, vcc
	v_mov_b32_e32 v7, 0x3b800000
	v_lshlrev_b32_e32 v3, 20, v3
	v_lshl_add_u32 v4, v4, 23, v7
	v_or3_b32 v3, v6, v4, v3
.LBB8_992:
	s_or_b64 exec, exec, s[6:7]
	s_nop 0
	v_mfma_f32_16x16x4f32 a[0:3], v2, v3, a[0:3]
	s_movk_i32 s4, 0x7f
	v_cmp_gt_i16_sdwa s[6:7], v9, s4 src0_sel:BYTE_0 src1_sel:DWORD
	s_mov_b64 s[4:5], 0
                                        ; implicit-def: $sgpr10
	s_and_saveexec_b64 s[8:9], s[6:7]
	s_xor_b64 s[6:7], exec, s[8:9]
	s_cbranch_execnz .LBB8_3041
; %bb.993:
	s_or_saveexec_b64 s[6:7], s[6:7]
	v_mov_b32_e32 v2, s10
	s_xor_b64 exec, exec, s[6:7]
	s_cbranch_execnz .LBB8_3044
.LBB8_994:
	s_or_b64 exec, exec, s[6:7]
	s_and_saveexec_b64 s[6:7], s[4:5]
	s_cbranch_execz .LBB8_996
.LBB8_995:
	v_mov_b32_e32 v2, 8
	v_and_b32_e32 v3, 7, v9
	v_lshrrev_b32_sdwa v2, v2, v9 dst_sel:BYTE_1 dst_unused:UNUSED_PAD src0_sel:DWORD src1_sel:DWORD
	v_ffbh_u32_e32 v4, v3
	v_or_b32_sdwa v2, v9, v2 dst_sel:DWORD dst_unused:UNUSED_PAD src0_sel:BYTE_0 src1_sel:DWORD
	v_min_u32_e32 v4, 32, v4
	v_lshrrev_b16_e32 v2, 3, v2
	v_subrev_u32_e32 v6, 28, v4
	v_and_b32_e32 v2, 15, v2
	v_lshlrev_b32_e32 v6, v6, v9
	v_sub_u32_e32 v4, 29, v4
	v_and_b32_e32 v6, 7, v6
	v_cmp_eq_u16_e32 vcc, 0, v2
	v_cndmask_b32_e32 v3, v3, v6, vcc
	v_cndmask_b32_e32 v2, v2, v4, vcc
	v_lshlrev_b32_e32 v4, 24, v9
	v_mov_b32_e32 v6, 0x3b800000
	v_lshlrev_b32_e32 v3, 20, v3
	v_and_b32_e32 v4, 0x80000000, v4
	v_lshl_add_u32 v2, v2, 23, v6
	v_or3_b32 v2, v4, v2, v3
.LBB8_996:
	s_or_b64 exec, exec, s[6:7]
	s_movk_i32 s4, 0x7f
	v_cmp_gt_i16_sdwa s[6:7], v5, s4 src0_sel:BYTE_0 src1_sel:DWORD
	s_mov_b64 s[4:5], 0
                                        ; implicit-def: $sgpr10
	s_and_saveexec_b64 s[8:9], s[6:7]
	s_xor_b64 s[6:7], exec, s[8:9]
	s_cbranch_execnz .LBB8_3045
; %bb.997:
	s_or_saveexec_b64 s[6:7], s[6:7]
	v_mov_b32_e32 v3, s10
	s_xor_b64 exec, exec, s[6:7]
	s_cbranch_execnz .LBB8_3048
.LBB8_998:
	s_or_b64 exec, exec, s[6:7]
	s_and_saveexec_b64 s[6:7], s[4:5]
	s_cbranch_execz .LBB8_1000
.LBB8_999:
	v_mov_b32_e32 v3, 8
	v_and_b32_e32 v4, 7, v5
	v_lshrrev_b32_sdwa v3, v3, v5 dst_sel:BYTE_1 dst_unused:UNUSED_PAD src0_sel:DWORD src1_sel:DWORD
	v_ffbh_u32_e32 v6, v4
	v_or_b32_sdwa v3, v5, v3 dst_sel:DWORD dst_unused:UNUSED_PAD src0_sel:BYTE_0 src1_sel:DWORD
	v_min_u32_e32 v6, 32, v6
	v_lshrrev_b16_e32 v3, 3, v3
	v_subrev_u32_e32 v7, 28, v6
	v_and_b32_e32 v3, 15, v3
	v_lshlrev_b32_e32 v7, v7, v5
	v_sub_u32_e32 v6, 29, v6
	v_and_b32_e32 v7, 7, v7
	v_cmp_eq_u16_e32 vcc, 0, v3
	v_cndmask_b32_e32 v4, v4, v7, vcc
	v_cndmask_b32_e32 v3, v3, v6, vcc
	v_lshlrev_b32_e32 v6, 24, v5
	v_mov_b32_e32 v7, 0x3b800000
	v_lshlrev_b32_e32 v4, 20, v4
	v_and_b32_e32 v6, 0x80000000, v6
	v_lshl_add_u32 v3, v3, 23, v7
	v_or3_b32 v3, v6, v3, v4
.LBB8_1000:
	s_or_b64 exec, exec, s[6:7]
	s_nop 0
	v_mfma_f32_16x16x4f32 a[0:3], v2, v3, a[0:3]
	v_lshrrev_b32_e32 v3, 8, v9
	s_movk_i32 s4, 0x7f
	v_cmp_gt_i16_sdwa s[6:7], v3, s4 src0_sel:BYTE_0 src1_sel:DWORD
	s_mov_b64 s[4:5], 0
                                        ; implicit-def: $sgpr10
	s_and_saveexec_b64 s[8:9], s[6:7]
	s_xor_b64 s[6:7], exec, s[8:9]
	s_cbranch_execnz .LBB8_3049
; %bb.1001:
	s_or_saveexec_b64 s[6:7], s[6:7]
	v_mov_b32_e32 v2, s10
	s_xor_b64 exec, exec, s[6:7]
	s_cbranch_execnz .LBB8_3052
.LBB8_1002:
	s_or_b64 exec, exec, s[6:7]
	s_and_saveexec_b64 s[6:7], s[4:5]
	s_cbranch_execz .LBB8_1004
.LBB8_1003:
	v_bfe_u32 v2, v9, 8, 3
	v_ffbh_u32_e32 v6, v2
	v_min_u32_e32 v6, 32, v6
	v_lshrrev_b16_e32 v4, 3, v3
	v_subrev_u32_e32 v7, 28, v6
	v_and_b32_e32 v4, 15, v4
	v_lshlrev_b32_e32 v3, v7, v3
	v_sub_u32_e32 v6, 29, v6
	v_and_b32_e32 v3, 7, v3
	v_cmp_eq_u16_e32 vcc, 0, v4
	v_cndmask_b32_e32 v2, v2, v3, vcc
	v_cndmask_b32_e32 v3, v4, v6, vcc
	v_lshlrev_b32_e32 v4, 16, v9
	v_mov_b32_e32 v6, 0x3b800000
	v_lshlrev_b32_e32 v2, 20, v2
	v_and_b32_e32 v4, 0x80000000, v4
	v_lshl_add_u32 v3, v3, 23, v6
	v_or3_b32 v2, v4, v3, v2
.LBB8_1004:
	s_or_b64 exec, exec, s[6:7]
	v_lshrrev_b32_e32 v3, 8, v5
	s_movk_i32 s4, 0x7f
	v_cmp_gt_i16_sdwa s[6:7], v3, s4 src0_sel:BYTE_0 src1_sel:DWORD
	s_mov_b64 s[4:5], 0
                                        ; implicit-def: $sgpr10
	s_and_saveexec_b64 s[8:9], s[6:7]
	s_xor_b64 s[6:7], exec, s[8:9]
	s_cbranch_execnz .LBB8_3053
; %bb.1005:
	s_or_saveexec_b64 s[6:7], s[6:7]
	v_mov_b32_e32 v4, s10
	s_xor_b64 exec, exec, s[6:7]
	s_cbranch_execnz .LBB8_3056
.LBB8_1006:
	s_or_b64 exec, exec, s[6:7]
	s_and_saveexec_b64 s[6:7], s[4:5]
	s_cbranch_execz .LBB8_1008
.LBB8_1007:
	v_bfe_u32 v4, v5, 8, 3
	v_ffbh_u32_e32 v7, v4
	v_min_u32_e32 v7, 32, v7
	v_lshrrev_b16_e32 v6, 3, v3
	v_subrev_u32_e32 v8, 28, v7
	v_and_b32_e32 v6, 15, v6
	v_lshlrev_b32_e32 v3, v8, v3
	v_sub_u32_e32 v7, 29, v7
	v_and_b32_e32 v3, 7, v3
	v_cmp_eq_u16_e32 vcc, 0, v6
	v_cndmask_b32_e32 v3, v4, v3, vcc
	v_cndmask_b32_e32 v4, v6, v7, vcc
	v_lshlrev_b32_e32 v6, 16, v5
	v_mov_b32_e32 v7, 0x3b800000
	v_lshlrev_b32_e32 v3, 20, v3
	v_and_b32_e32 v6, 0x80000000, v6
	v_lshl_add_u32 v4, v4, 23, v7
	v_or3_b32 v4, v6, v4, v3
.LBB8_1008:
	s_or_b64 exec, exec, s[6:7]
	s_nop 0
	v_mfma_f32_16x16x4f32 a[0:3], v2, v4, a[0:3]
	s_movk_i32 s4, 0xff
	v_and_b32_sdwa v3, v9, s4 dst_sel:DWORD dst_unused:UNUSED_PAD src0_sel:WORD_1 src1_sel:DWORD
	s_movk_i32 s4, 0x7f
	v_cmp_lt_i16_e32 vcc, s4, v3
	s_mov_b64 s[4:5], 0
                                        ; implicit-def: $sgpr10
	s_and_saveexec_b64 s[6:7], vcc
	s_xor_b64 s[6:7], exec, s[6:7]
	s_cbranch_execnz .LBB8_3057
; %bb.1009:
	s_or_saveexec_b64 s[6:7], s[6:7]
	v_mov_b32_e32 v2, s10
	s_xor_b64 exec, exec, s[6:7]
	s_cbranch_execnz .LBB8_3060
.LBB8_1010:
	s_or_b64 exec, exec, s[6:7]
	s_and_saveexec_b64 s[6:7], s[4:5]
	s_cbranch_execz .LBB8_1012
.LBB8_1011:
	v_bfe_u32 v2, v9, 16, 3
	v_ffbh_u32_e32 v6, v2
	v_min_u32_e32 v6, 32, v6
	v_lshrrev_b32_e32 v3, 19, v9
	v_subrev_u32_e32 v7, 28, v6
	v_and_b32_e32 v3, 15, v3
	v_lshlrev_b32_sdwa v7, v7, v9 dst_sel:DWORD dst_unused:UNUSED_PAD src0_sel:DWORD src1_sel:WORD_1
	v_bfe_u32 v4, v9, 19, 4
	v_sub_u32_e32 v6, 29, v6
	v_and_b32_e32 v7, 7, v7
	v_cmp_eq_u16_e32 vcc, 0, v3
	v_cndmask_b32_e32 v2, v2, v7, vcc
	v_cndmask_b32_e32 v3, v4, v6, vcc
	v_lshlrev_b32_e32 v4, 8, v9
	v_mov_b32_e32 v6, 0x3b800000
	v_lshlrev_b32_e32 v2, 20, v2
	v_and_b32_e32 v4, 0x80000000, v4
	v_lshl_add_u32 v3, v3, 23, v6
	v_or3_b32 v2, v4, v3, v2
.LBB8_1012:
	s_or_b64 exec, exec, s[6:7]
	s_movk_i32 s4, 0xff
	v_and_b32_sdwa v3, v5, s4 dst_sel:DWORD dst_unused:UNUSED_PAD src0_sel:WORD_1 src1_sel:DWORD
	s_movk_i32 s4, 0x7f
	v_cmp_lt_i16_e32 vcc, s4, v3
	s_mov_b64 s[4:5], 0
                                        ; implicit-def: $sgpr10
	s_and_saveexec_b64 s[6:7], vcc
	s_xor_b64 s[6:7], exec, s[6:7]
	s_cbranch_execnz .LBB8_3061
; %bb.1013:
	s_or_saveexec_b64 s[6:7], s[6:7]
	v_mov_b32_e32 v4, s10
	s_xor_b64 exec, exec, s[6:7]
	s_cbranch_execnz .LBB8_3064
.LBB8_1014:
	s_or_b64 exec, exec, s[6:7]
	s_and_saveexec_b64 s[6:7], s[4:5]
	s_cbranch_execz .LBB8_1016
.LBB8_1015:
	v_bfe_u32 v3, v5, 16, 3
	v_ffbh_u32_e32 v7, v3
	v_min_u32_e32 v7, 32, v7
	v_lshrrev_b32_e32 v4, 19, v5
	v_subrev_u32_e32 v8, 28, v7
	v_and_b32_e32 v4, 15, v4
	v_lshlrev_b32_sdwa v8, v8, v5 dst_sel:DWORD dst_unused:UNUSED_PAD src0_sel:DWORD src1_sel:WORD_1
	v_bfe_u32 v6, v5, 19, 4
	v_sub_u32_e32 v7, 29, v7
	v_and_b32_e32 v8, 7, v8
	v_cmp_eq_u16_e32 vcc, 0, v4
	v_cndmask_b32_e32 v3, v3, v8, vcc
	v_cndmask_b32_e32 v4, v6, v7, vcc
	v_lshlrev_b32_e32 v6, 8, v5
	v_mov_b32_e32 v7, 0x3b800000
	v_lshlrev_b32_e32 v3, 20, v3
	v_and_b32_e32 v6, 0x80000000, v6
	v_lshl_add_u32 v4, v4, 23, v7
	v_or3_b32 v4, v6, v4, v3
.LBB8_1016:
	s_or_b64 exec, exec, s[6:7]
	s_nop 0
	v_mfma_f32_16x16x4f32 a[0:3], v2, v4, a[0:3]
	s_movk_i32 s4, 0x7f
	v_cmp_gt_i16_sdwa s[6:7], v9, s4 src0_sel:BYTE_3 src1_sel:DWORD
	s_mov_b64 s[4:5], 0
                                        ; implicit-def: $sgpr10
	s_and_saveexec_b64 s[8:9], s[6:7]
	s_xor_b64 s[6:7], exec, s[8:9]
	s_cbranch_execnz .LBB8_3065
; %bb.1017:
	s_or_saveexec_b64 s[6:7], s[6:7]
	v_mov_b32_e32 v2, s10
	s_xor_b64 exec, exec, s[6:7]
	s_cbranch_execnz .LBB8_3068
.LBB8_1018:
	s_or_b64 exec, exec, s[6:7]
	s_and_saveexec_b64 s[6:7], s[4:5]
	s_cbranch_execz .LBB8_1020
.LBB8_1019:
	v_bfe_u32 v2, v9, 24, 3
	v_ffbh_u32_e32 v7, v2
	v_min_u32_e32 v7, 32, v7
	v_lshrrev_b32_e32 v4, 27, v9
	v_subrev_u32_e32 v8, 28, v7
	v_and_b32_e32 v4, 15, v4
	v_lshlrev_b32_sdwa v8, v8, v9 dst_sel:DWORD dst_unused:UNUSED_PAD src0_sel:DWORD src1_sel:BYTE_3
	v_bfe_u32 v6, v9, 27, 4
	v_sub_u32_e32 v7, 29, v7
	v_and_b32_e32 v8, 7, v8
	v_cmp_eq_u16_e32 vcc, 0, v4
	v_cndmask_b32_e32 v2, v2, v8, vcc
	v_cndmask_b32_e32 v4, v6, v7, vcc
	v_mov_b32_e32 v6, 0x3b800000
	v_and_b32_e32 v3, 0x80000000, v9
	v_lshlrev_b32_e32 v2, 20, v2
	v_lshl_add_u32 v4, v4, 23, v6
	v_or3_b32 v2, v3, v4, v2
.LBB8_1020:
	s_or_b64 exec, exec, s[6:7]
	s_movk_i32 s4, 0x7f
	v_cmp_gt_i16_sdwa s[6:7], v5, s4 src0_sel:BYTE_3 src1_sel:DWORD
	s_mov_b64 s[4:5], 0
                                        ; implicit-def: $sgpr10
	s_and_saveexec_b64 s[8:9], s[6:7]
	s_xor_b64 s[6:7], exec, s[8:9]
	s_cbranch_execnz .LBB8_3069
; %bb.1021:
	s_or_saveexec_b64 s[6:7], s[6:7]
	v_mov_b32_e32 v3, s10
	s_xor_b64 exec, exec, s[6:7]
	s_cbranch_execnz .LBB8_3072
.LBB8_1022:
	s_or_b64 exec, exec, s[6:7]
	s_and_saveexec_b64 s[6:7], s[4:5]
	s_cbranch_execz .LBB8_1024
.LBB8_1023:
	v_bfe_u32 v3, v5, 24, 3
	v_ffbh_u32_e32 v8, v3
	v_min_u32_e32 v8, 32, v8
	v_lshrrev_b32_e32 v6, 27, v5
	v_subrev_u32_e32 v9, 28, v8
	v_and_b32_e32 v4, 0x80000000, v5
	v_and_b32_e32 v6, 15, v6
	v_bfe_u32 v7, v5, 27, 4
	v_lshlrev_b32_sdwa v5, v9, v5 dst_sel:DWORD dst_unused:UNUSED_PAD src0_sel:DWORD src1_sel:BYTE_3
	v_sub_u32_e32 v8, 29, v8
	v_and_b32_e32 v5, 7, v5
	v_cmp_eq_u16_e32 vcc, 0, v6
	v_cndmask_b32_e32 v3, v3, v5, vcc
	v_cndmask_b32_e32 v5, v7, v8, vcc
	v_mov_b32_e32 v6, 0x3b800000
	v_lshlrev_b32_e32 v3, 20, v3
	v_lshl_add_u32 v5, v5, 23, v6
	v_or3_b32 v3, v4, v5, v3
.LBB8_1024:
	s_or_b64 exec, exec, s[6:7]
	s_nop 0
	v_mfma_f32_16x16x4f32 a[0:3], v2, v3, a[0:3]
	s_movk_i32 s4, 0x7f
                                        ; implicit-def: $sgpr10
	s_nop 7
	s_nop 1
	flat_store_dwordx4 v[10:11], a[0:3] offset:112
	flat_load_dwordx4 v[12:15], v[0:1] offset:8
	s_nop 0
	flat_load_dwordx2 v[10:11], v[0:1] offset:32
	s_waitcnt vmcnt(0) lgkmcnt(0)
	flat_load_dwordx4 v[6:9], v[12:13] offset:64
	flat_load_dwordx4 v[2:5], v[14:15]
	s_waitcnt vmcnt(0) lgkmcnt(0)
	v_cmp_gt_i16_sdwa s[6:7], v6, s4 src0_sel:BYTE_0 src1_sel:DWORD
	s_mov_b64 s[4:5], 0
	s_and_saveexec_b64 s[8:9], s[6:7]
	s_xor_b64 s[6:7], exec, s[8:9]
	s_cbranch_execnz .LBB8_3073
; %bb.1025:
	s_or_saveexec_b64 s[6:7], s[6:7]
	v_mov_b32_e32 v12, s10
	s_xor_b64 exec, exec, s[6:7]
	s_cbranch_execnz .LBB8_3076
.LBB8_1026:
	s_or_b64 exec, exec, s[6:7]
	s_and_saveexec_b64 s[6:7], s[4:5]
	s_cbranch_execz .LBB8_1028
.LBB8_1027:
	v_and_b32_e32 v12, 7, v6
	v_ffbh_u32_e32 v14, v12
	v_min_u32_e32 v14, 32, v14
	v_lshrrev_b16_e32 v13, 3, v6
	v_subrev_u32_e32 v15, 28, v14
	v_and_b32_e32 v13, 15, v13
	v_lshlrev_b32_e32 v15, v15, v6
	v_sub_u32_e32 v14, 29, v14
	v_and_b32_e32 v15, 7, v15
	v_cmp_eq_u16_e32 vcc, 0, v13
	v_cndmask_b32_e32 v12, v12, v15, vcc
	v_cndmask_b32_e32 v13, v13, v14, vcc
	v_lshlrev_b32_e32 v14, 24, v6
	v_mov_b32_e32 v15, 0x3b800000
	v_lshlrev_b32_e32 v12, 20, v12
	v_and_b32_e32 v14, 0x80000000, v14
	v_lshl_add_u32 v13, v13, 23, v15
	v_or3_b32 v12, v14, v13, v12
.LBB8_1028:
	s_or_b64 exec, exec, s[6:7]
	s_movk_i32 s4, 0x7f
	v_cmp_gt_i16_sdwa s[6:7], v2, s4 src0_sel:BYTE_0 src1_sel:DWORD
	s_mov_b64 s[4:5], 0
                                        ; implicit-def: $sgpr10
	s_and_saveexec_b64 s[8:9], s[6:7]
	s_xor_b64 s[6:7], exec, s[8:9]
	s_cbranch_execnz .LBB8_3077
; %bb.1029:
	s_or_saveexec_b64 s[6:7], s[6:7]
	v_mov_b32_e32 v13, s10
	s_xor_b64 exec, exec, s[6:7]
	s_cbranch_execnz .LBB8_3080
.LBB8_1030:
	s_or_b64 exec, exec, s[6:7]
	s_and_saveexec_b64 s[6:7], s[4:5]
	s_cbranch_execz .LBB8_1032
.LBB8_1031:
	v_and_b32_e32 v13, 7, v2
	v_ffbh_u32_e32 v15, v13
	v_min_u32_e32 v15, 32, v15
	v_lshrrev_b16_e32 v14, 3, v2
	v_subrev_u32_e32 v16, 28, v15
	v_and_b32_e32 v14, 15, v14
	v_lshlrev_b32_e32 v16, v16, v2
	v_sub_u32_e32 v15, 29, v15
	v_and_b32_e32 v16, 7, v16
	v_cmp_eq_u16_e32 vcc, 0, v14
	v_cndmask_b32_e32 v13, v13, v16, vcc
	v_cndmask_b32_e32 v14, v14, v15, vcc
	v_lshlrev_b32_e32 v15, 24, v2
	v_mov_b32_e32 v16, 0x3b800000
	v_lshlrev_b32_e32 v13, 20, v13
	v_and_b32_e32 v15, 0x80000000, v15
	v_lshl_add_u32 v14, v14, 23, v16
	v_or3_b32 v13, v15, v14, v13
.LBB8_1032:
	s_or_b64 exec, exec, s[6:7]
	flat_load_dwordx4 a[0:3], v[10:11] offset:128
	s_movk_i32 s4, 0x7f
                                        ; implicit-def: $sgpr10
	s_waitcnt vmcnt(0) lgkmcnt(0)
	v_mfma_f32_16x16x4f32 a[0:3], v12, v13, a[0:3]
	v_lshrrev_b32_e32 v13, 8, v6
	v_cmp_gt_i16_sdwa s[6:7], v13, s4 src0_sel:BYTE_0 src1_sel:DWORD
	s_mov_b64 s[4:5], 0
	s_and_saveexec_b64 s[8:9], s[6:7]
	s_xor_b64 s[6:7], exec, s[8:9]
	s_cbranch_execnz .LBB8_3081
; %bb.1033:
	s_or_saveexec_b64 s[6:7], s[6:7]
	v_mov_b32_e32 v12, s10
	s_xor_b64 exec, exec, s[6:7]
	s_cbranch_execnz .LBB8_3084
.LBB8_1034:
	s_or_b64 exec, exec, s[6:7]
	s_and_saveexec_b64 s[6:7], s[4:5]
	s_cbranch_execz .LBB8_1036
.LBB8_1035:
	v_bfe_u32 v12, v6, 8, 3
	v_ffbh_u32_e32 v15, v12
	v_min_u32_e32 v15, 32, v15
	v_lshrrev_b16_e32 v14, 3, v13
	v_subrev_u32_e32 v16, 28, v15
	v_and_b32_e32 v14, 15, v14
	v_lshlrev_b32_e32 v13, v16, v13
	v_sub_u32_e32 v15, 29, v15
	v_and_b32_e32 v13, 7, v13
	v_cmp_eq_u16_e32 vcc, 0, v14
	v_cndmask_b32_e32 v12, v12, v13, vcc
	v_cndmask_b32_e32 v13, v14, v15, vcc
	v_lshlrev_b32_e32 v14, 16, v6
	v_mov_b32_e32 v15, 0x3b800000
	v_lshlrev_b32_e32 v12, 20, v12
	v_and_b32_e32 v14, 0x80000000, v14
	v_lshl_add_u32 v13, v13, 23, v15
	v_or3_b32 v12, v14, v13, v12
.LBB8_1036:
	s_or_b64 exec, exec, s[6:7]
	v_lshrrev_b32_e32 v13, 8, v2
	s_movk_i32 s4, 0x7f
	v_cmp_gt_i16_sdwa s[6:7], v13, s4 src0_sel:BYTE_0 src1_sel:DWORD
	s_mov_b64 s[4:5], 0
                                        ; implicit-def: $sgpr10
	s_and_saveexec_b64 s[8:9], s[6:7]
	s_xor_b64 s[6:7], exec, s[8:9]
	s_cbranch_execnz .LBB8_3085
; %bb.1037:
	s_or_saveexec_b64 s[6:7], s[6:7]
	v_mov_b32_e32 v14, s10
	s_xor_b64 exec, exec, s[6:7]
	s_cbranch_execnz .LBB8_3088
.LBB8_1038:
	s_or_b64 exec, exec, s[6:7]
	s_and_saveexec_b64 s[6:7], s[4:5]
	s_cbranch_execz .LBB8_1040
.LBB8_1039:
	v_bfe_u32 v14, v2, 8, 3
	v_ffbh_u32_e32 v16, v14
	v_min_u32_e32 v16, 32, v16
	v_lshrrev_b16_e32 v15, 3, v13
	v_subrev_u32_e32 v17, 28, v16
	v_and_b32_e32 v15, 15, v15
	v_lshlrev_b32_e32 v13, v17, v13
	v_sub_u32_e32 v16, 29, v16
	v_and_b32_e32 v13, 7, v13
	v_cmp_eq_u16_e32 vcc, 0, v15
	v_cndmask_b32_e32 v13, v14, v13, vcc
	v_cndmask_b32_e32 v14, v15, v16, vcc
	v_lshlrev_b32_e32 v15, 16, v2
	v_mov_b32_e32 v16, 0x3b800000
	v_lshlrev_b32_e32 v13, 20, v13
	v_and_b32_e32 v15, 0x80000000, v15
	v_lshl_add_u32 v14, v14, 23, v16
	v_or3_b32 v14, v15, v14, v13
.LBB8_1040:
	s_or_b64 exec, exec, s[6:7]
	s_nop 0
	v_mfma_f32_16x16x4f32 a[0:3], v12, v14, a[0:3]
	s_movk_i32 s4, 0xff
	v_and_b32_sdwa v13, v6, s4 dst_sel:DWORD dst_unused:UNUSED_PAD src0_sel:WORD_1 src1_sel:DWORD
	s_movk_i32 s4, 0x7f
	v_cmp_lt_i16_e32 vcc, s4, v13
	s_mov_b64 s[4:5], 0
                                        ; implicit-def: $sgpr10
	s_and_saveexec_b64 s[6:7], vcc
	s_xor_b64 s[6:7], exec, s[6:7]
	s_cbranch_execnz .LBB8_3089
; %bb.1041:
	s_or_saveexec_b64 s[6:7], s[6:7]
	v_mov_b32_e32 v12, s10
	s_xor_b64 exec, exec, s[6:7]
	s_cbranch_execnz .LBB8_3092
.LBB8_1042:
	s_or_b64 exec, exec, s[6:7]
	s_and_saveexec_b64 s[6:7], s[4:5]
	s_cbranch_execz .LBB8_1044
.LBB8_1043:
	v_bfe_u32 v12, v6, 16, 3
	v_ffbh_u32_e32 v15, v12
	v_min_u32_e32 v15, 32, v15
	v_lshrrev_b32_e32 v13, 19, v6
	v_subrev_u32_e32 v16, 28, v15
	v_and_b32_e32 v13, 15, v13
	v_lshlrev_b32_sdwa v16, v16, v6 dst_sel:DWORD dst_unused:UNUSED_PAD src0_sel:DWORD src1_sel:WORD_1
	v_bfe_u32 v14, v6, 19, 4
	v_sub_u32_e32 v15, 29, v15
	v_and_b32_e32 v16, 7, v16
	v_cmp_eq_u16_e32 vcc, 0, v13
	v_cndmask_b32_e32 v12, v12, v16, vcc
	v_cndmask_b32_e32 v13, v14, v15, vcc
	v_lshlrev_b32_e32 v14, 8, v6
	v_mov_b32_e32 v15, 0x3b800000
	v_lshlrev_b32_e32 v12, 20, v12
	v_and_b32_e32 v14, 0x80000000, v14
	v_lshl_add_u32 v13, v13, 23, v15
	v_or3_b32 v12, v14, v13, v12
.LBB8_1044:
	s_or_b64 exec, exec, s[6:7]
	s_movk_i32 s4, 0xff
	v_and_b32_sdwa v13, v2, s4 dst_sel:DWORD dst_unused:UNUSED_PAD src0_sel:WORD_1 src1_sel:DWORD
	s_movk_i32 s4, 0x7f
	v_cmp_lt_i16_e32 vcc, s4, v13
	s_mov_b64 s[4:5], 0
                                        ; implicit-def: $sgpr10
	s_and_saveexec_b64 s[6:7], vcc
	s_xor_b64 s[6:7], exec, s[6:7]
	s_cbranch_execnz .LBB8_3093
; %bb.1045:
	s_or_saveexec_b64 s[6:7], s[6:7]
	v_mov_b32_e32 v14, s10
	s_xor_b64 exec, exec, s[6:7]
	s_cbranch_execnz .LBB8_3096
.LBB8_1046:
	s_or_b64 exec, exec, s[6:7]
	s_and_saveexec_b64 s[6:7], s[4:5]
	s_cbranch_execz .LBB8_1048
.LBB8_1047:
	v_bfe_u32 v13, v2, 16, 3
	v_ffbh_u32_e32 v16, v13
	v_min_u32_e32 v16, 32, v16
	v_lshrrev_b32_e32 v14, 19, v2
	v_subrev_u32_e32 v17, 28, v16
	v_and_b32_e32 v14, 15, v14
	v_lshlrev_b32_sdwa v17, v17, v2 dst_sel:DWORD dst_unused:UNUSED_PAD src0_sel:DWORD src1_sel:WORD_1
	v_bfe_u32 v15, v2, 19, 4
	v_sub_u32_e32 v16, 29, v16
	v_and_b32_e32 v17, 7, v17
	v_cmp_eq_u16_e32 vcc, 0, v14
	v_cndmask_b32_e32 v13, v13, v17, vcc
	v_cndmask_b32_e32 v14, v15, v16, vcc
	v_lshlrev_b32_e32 v15, 8, v2
	v_mov_b32_e32 v16, 0x3b800000
	v_lshlrev_b32_e32 v13, 20, v13
	v_and_b32_e32 v15, 0x80000000, v15
	v_lshl_add_u32 v14, v14, 23, v16
	v_or3_b32 v14, v15, v14, v13
.LBB8_1048:
	s_or_b64 exec, exec, s[6:7]
	s_nop 0
	v_mfma_f32_16x16x4f32 a[0:3], v12, v14, a[0:3]
	s_movk_i32 s4, 0x7f
	v_cmp_gt_i16_sdwa s[6:7], v6, s4 src0_sel:BYTE_3 src1_sel:DWORD
	s_mov_b64 s[4:5], 0
                                        ; implicit-def: $sgpr10
	s_and_saveexec_b64 s[8:9], s[6:7]
	s_xor_b64 s[6:7], exec, s[8:9]
	s_cbranch_execnz .LBB8_3097
; %bb.1049:
	s_or_saveexec_b64 s[6:7], s[6:7]
	v_mov_b32_e32 v12, s10
	s_xor_b64 exec, exec, s[6:7]
	s_cbranch_execnz .LBB8_3100
.LBB8_1050:
	s_or_b64 exec, exec, s[6:7]
	s_and_saveexec_b64 s[6:7], s[4:5]
	s_cbranch_execz .LBB8_1052
.LBB8_1051:
	v_bfe_u32 v12, v6, 24, 3
	v_ffbh_u32_e32 v16, v12
	v_min_u32_e32 v16, 32, v16
	v_lshrrev_b32_e32 v14, 27, v6
	v_subrev_u32_e32 v17, 28, v16
	v_and_b32_e32 v13, 0x80000000, v6
	v_and_b32_e32 v14, 15, v14
	v_bfe_u32 v15, v6, 27, 4
	v_lshlrev_b32_sdwa v6, v17, v6 dst_sel:DWORD dst_unused:UNUSED_PAD src0_sel:DWORD src1_sel:BYTE_3
	v_sub_u32_e32 v16, 29, v16
	v_and_b32_e32 v6, 7, v6
	v_cmp_eq_u16_e32 vcc, 0, v14
	v_cndmask_b32_e32 v6, v12, v6, vcc
	v_cndmask_b32_e32 v12, v15, v16, vcc
	v_mov_b32_e32 v14, 0x3b800000
	v_lshlrev_b32_e32 v6, 20, v6
	v_lshl_add_u32 v12, v12, 23, v14
	v_or3_b32 v12, v13, v12, v6
.LBB8_1052:
	s_or_b64 exec, exec, s[6:7]
	s_movk_i32 s4, 0x7f
	v_cmp_gt_i16_sdwa s[6:7], v2, s4 src0_sel:BYTE_3 src1_sel:DWORD
	s_mov_b64 s[4:5], 0
                                        ; implicit-def: $sgpr10
	s_and_saveexec_b64 s[8:9], s[6:7]
	s_xor_b64 s[6:7], exec, s[8:9]
	s_cbranch_execnz .LBB8_3101
; %bb.1053:
	s_or_saveexec_b64 s[6:7], s[6:7]
	v_mov_b32_e32 v6, s10
	s_xor_b64 exec, exec, s[6:7]
	s_cbranch_execnz .LBB8_3104
.LBB8_1054:
	s_or_b64 exec, exec, s[6:7]
	s_and_saveexec_b64 s[6:7], s[4:5]
	s_cbranch_execz .LBB8_1056
.LBB8_1055:
	v_bfe_u32 v6, v2, 24, 3
	v_ffbh_u32_e32 v16, v6
	v_min_u32_e32 v16, 32, v16
	v_lshrrev_b32_e32 v14, 27, v2
	v_subrev_u32_e32 v17, 28, v16
	v_and_b32_e32 v13, 0x80000000, v2
	v_and_b32_e32 v14, 15, v14
	v_bfe_u32 v15, v2, 27, 4
	v_lshlrev_b32_sdwa v2, v17, v2 dst_sel:DWORD dst_unused:UNUSED_PAD src0_sel:DWORD src1_sel:BYTE_3
	v_sub_u32_e32 v16, 29, v16
	v_and_b32_e32 v2, 7, v2
	v_cmp_eq_u16_e32 vcc, 0, v14
	v_cndmask_b32_e32 v2, v6, v2, vcc
	v_cndmask_b32_e32 v6, v15, v16, vcc
	v_mov_b32_e32 v14, 0x3b800000
	v_lshlrev_b32_e32 v2, 20, v2
	v_lshl_add_u32 v6, v6, 23, v14
	v_or3_b32 v6, v13, v6, v2
.LBB8_1056:
	s_or_b64 exec, exec, s[6:7]
	s_nop 0
	v_mfma_f32_16x16x4f32 a[0:3], v12, v6, a[0:3]
	s_movk_i32 s4, 0x7f
	v_cmp_gt_i16_sdwa s[6:7], v7, s4 src0_sel:BYTE_0 src1_sel:DWORD
	s_mov_b64 s[4:5], 0
                                        ; implicit-def: $sgpr10
	s_and_saveexec_b64 s[8:9], s[6:7]
	s_xor_b64 s[6:7], exec, s[8:9]
	s_cbranch_execnz .LBB8_3105
; %bb.1057:
	s_or_saveexec_b64 s[6:7], s[6:7]
	v_mov_b32_e32 v2, s10
	s_xor_b64 exec, exec, s[6:7]
	s_cbranch_execnz .LBB8_3108
.LBB8_1058:
	s_or_b64 exec, exec, s[6:7]
	s_and_saveexec_b64 s[6:7], s[4:5]
	s_cbranch_execz .LBB8_1060
.LBB8_1059:
	v_and_b32_e32 v2, 7, v7
	v_ffbh_u32_e32 v12, v2
	v_min_u32_e32 v12, 32, v12
	v_lshrrev_b16_e32 v6, 3, v7
	v_subrev_u32_e32 v13, 28, v12
	v_and_b32_e32 v6, 15, v6
	v_lshlrev_b32_e32 v13, v13, v7
	v_sub_u32_e32 v12, 29, v12
	v_and_b32_e32 v13, 7, v13
	v_cmp_eq_u16_e32 vcc, 0, v6
	v_cndmask_b32_e32 v2, v2, v13, vcc
	v_cndmask_b32_e32 v6, v6, v12, vcc
	v_lshlrev_b32_e32 v12, 24, v7
	v_mov_b32_e32 v13, 0x3b800000
	v_lshlrev_b32_e32 v2, 20, v2
	v_and_b32_e32 v12, 0x80000000, v12
	v_lshl_add_u32 v6, v6, 23, v13
	v_or3_b32 v2, v12, v6, v2
.LBB8_1060:
	s_or_b64 exec, exec, s[6:7]
	s_movk_i32 s4, 0x7f
	v_cmp_gt_i16_sdwa s[6:7], v3, s4 src0_sel:BYTE_0 src1_sel:DWORD
	s_mov_b64 s[4:5], 0
                                        ; implicit-def: $sgpr10
	s_and_saveexec_b64 s[8:9], s[6:7]
	s_xor_b64 s[6:7], exec, s[8:9]
	s_cbranch_execnz .LBB8_3109
; %bb.1061:
	s_or_saveexec_b64 s[6:7], s[6:7]
	v_mov_b32_e32 v6, s10
	s_xor_b64 exec, exec, s[6:7]
	s_cbranch_execnz .LBB8_3112
.LBB8_1062:
	s_or_b64 exec, exec, s[6:7]
	s_and_saveexec_b64 s[6:7], s[4:5]
	s_cbranch_execz .LBB8_1064
.LBB8_1063:
	v_and_b32_e32 v6, 7, v3
	v_ffbh_u32_e32 v13, v6
	v_min_u32_e32 v13, 32, v13
	v_lshrrev_b16_e32 v12, 3, v3
	v_subrev_u32_e32 v14, 28, v13
	v_and_b32_e32 v12, 15, v12
	v_lshlrev_b32_e32 v14, v14, v3
	v_sub_u32_e32 v13, 29, v13
	v_and_b32_e32 v14, 7, v14
	v_cmp_eq_u16_e32 vcc, 0, v12
	v_cndmask_b32_e32 v6, v6, v14, vcc
	v_cndmask_b32_e32 v12, v12, v13, vcc
	v_lshlrev_b32_e32 v13, 24, v3
	v_mov_b32_e32 v14, 0x3b800000
	v_lshlrev_b32_e32 v6, 20, v6
	v_and_b32_e32 v13, 0x80000000, v13
	v_lshl_add_u32 v12, v12, 23, v14
	v_or3_b32 v6, v13, v12, v6
.LBB8_1064:
	s_or_b64 exec, exec, s[6:7]
	s_nop 0
	v_mfma_f32_16x16x4f32 a[0:3], v2, v6, a[0:3]
	v_lshrrev_b32_e32 v6, 8, v7
	s_movk_i32 s4, 0x7f
	v_cmp_gt_i16_sdwa s[6:7], v6, s4 src0_sel:BYTE_0 src1_sel:DWORD
	s_mov_b64 s[4:5], 0
                                        ; implicit-def: $sgpr10
	s_and_saveexec_b64 s[8:9], s[6:7]
	s_xor_b64 s[6:7], exec, s[8:9]
	s_cbranch_execnz .LBB8_3113
; %bb.1065:
	s_or_saveexec_b64 s[6:7], s[6:7]
	v_mov_b32_e32 v2, s10
	s_xor_b64 exec, exec, s[6:7]
	s_cbranch_execnz .LBB8_3116
.LBB8_1066:
	s_or_b64 exec, exec, s[6:7]
	s_and_saveexec_b64 s[6:7], s[4:5]
	s_cbranch_execz .LBB8_1068
.LBB8_1067:
	v_bfe_u32 v2, v7, 8, 3
	v_ffbh_u32_e32 v13, v2
	v_min_u32_e32 v13, 32, v13
	v_lshrrev_b16_e32 v12, 3, v6
	v_subrev_u32_e32 v14, 28, v13
	v_and_b32_e32 v12, 15, v12
	v_lshlrev_b32_e32 v6, v14, v6
	v_sub_u32_e32 v13, 29, v13
	v_and_b32_e32 v6, 7, v6
	v_cmp_eq_u16_e32 vcc, 0, v12
	v_cndmask_b32_e32 v2, v2, v6, vcc
	v_cndmask_b32_e32 v6, v12, v13, vcc
	v_lshlrev_b32_e32 v12, 16, v7
	v_mov_b32_e32 v13, 0x3b800000
	v_lshlrev_b32_e32 v2, 20, v2
	v_and_b32_e32 v12, 0x80000000, v12
	v_lshl_add_u32 v6, v6, 23, v13
	v_or3_b32 v2, v12, v6, v2
.LBB8_1068:
	s_or_b64 exec, exec, s[6:7]
	v_lshrrev_b32_e32 v6, 8, v3
	s_movk_i32 s4, 0x7f
	v_cmp_gt_i16_sdwa s[6:7], v6, s4 src0_sel:BYTE_0 src1_sel:DWORD
	s_mov_b64 s[4:5], 0
                                        ; implicit-def: $sgpr10
	s_and_saveexec_b64 s[8:9], s[6:7]
	s_xor_b64 s[6:7], exec, s[8:9]
	s_cbranch_execnz .LBB8_3117
; %bb.1069:
	s_or_saveexec_b64 s[6:7], s[6:7]
	v_mov_b32_e32 v12, s10
	s_xor_b64 exec, exec, s[6:7]
	s_cbranch_execnz .LBB8_3120
.LBB8_1070:
	s_or_b64 exec, exec, s[6:7]
	s_and_saveexec_b64 s[6:7], s[4:5]
	s_cbranch_execz .LBB8_1072
.LBB8_1071:
	v_bfe_u32 v12, v3, 8, 3
	v_ffbh_u32_e32 v14, v12
	v_min_u32_e32 v14, 32, v14
	v_lshrrev_b16_e32 v13, 3, v6
	v_subrev_u32_e32 v15, 28, v14
	v_and_b32_e32 v13, 15, v13
	v_lshlrev_b32_e32 v6, v15, v6
	v_sub_u32_e32 v14, 29, v14
	v_and_b32_e32 v6, 7, v6
	v_cmp_eq_u16_e32 vcc, 0, v13
	v_cndmask_b32_e32 v6, v12, v6, vcc
	v_cndmask_b32_e32 v12, v13, v14, vcc
	v_lshlrev_b32_e32 v13, 16, v3
	v_mov_b32_e32 v14, 0x3b800000
	v_lshlrev_b32_e32 v6, 20, v6
	v_and_b32_e32 v13, 0x80000000, v13
	v_lshl_add_u32 v12, v12, 23, v14
	v_or3_b32 v12, v13, v12, v6
.LBB8_1072:
	s_or_b64 exec, exec, s[6:7]
	s_nop 0
	v_mfma_f32_16x16x4f32 a[0:3], v2, v12, a[0:3]
	s_movk_i32 s4, 0xff
	v_and_b32_sdwa v6, v7, s4 dst_sel:DWORD dst_unused:UNUSED_PAD src0_sel:WORD_1 src1_sel:DWORD
	s_movk_i32 s4, 0x7f
	v_cmp_lt_i16_e32 vcc, s4, v6
	s_mov_b64 s[4:5], 0
                                        ; implicit-def: $sgpr10
	s_and_saveexec_b64 s[6:7], vcc
	s_xor_b64 s[6:7], exec, s[6:7]
	s_cbranch_execnz .LBB8_3121
; %bb.1073:
	s_or_saveexec_b64 s[6:7], s[6:7]
	v_mov_b32_e32 v2, s10
	s_xor_b64 exec, exec, s[6:7]
	s_cbranch_execnz .LBB8_3124
.LBB8_1074:
	s_or_b64 exec, exec, s[6:7]
	s_and_saveexec_b64 s[6:7], s[4:5]
	s_cbranch_execz .LBB8_1076
.LBB8_1075:
	v_bfe_u32 v2, v7, 16, 3
	v_ffbh_u32_e32 v13, v2
	v_min_u32_e32 v13, 32, v13
	v_lshrrev_b32_e32 v6, 19, v7
	v_subrev_u32_e32 v14, 28, v13
	v_and_b32_e32 v6, 15, v6
	v_lshlrev_b32_sdwa v14, v14, v7 dst_sel:DWORD dst_unused:UNUSED_PAD src0_sel:DWORD src1_sel:WORD_1
	v_bfe_u32 v12, v7, 19, 4
	v_sub_u32_e32 v13, 29, v13
	v_and_b32_e32 v14, 7, v14
	v_cmp_eq_u16_e32 vcc, 0, v6
	v_cndmask_b32_e32 v2, v2, v14, vcc
	v_cndmask_b32_e32 v6, v12, v13, vcc
	v_lshlrev_b32_e32 v12, 8, v7
	v_mov_b32_e32 v13, 0x3b800000
	v_lshlrev_b32_e32 v2, 20, v2
	v_and_b32_e32 v12, 0x80000000, v12
	v_lshl_add_u32 v6, v6, 23, v13
	v_or3_b32 v2, v12, v6, v2
.LBB8_1076:
	s_or_b64 exec, exec, s[6:7]
	s_movk_i32 s4, 0xff
	v_and_b32_sdwa v6, v3, s4 dst_sel:DWORD dst_unused:UNUSED_PAD src0_sel:WORD_1 src1_sel:DWORD
	s_movk_i32 s4, 0x7f
	v_cmp_lt_i16_e32 vcc, s4, v6
	s_mov_b64 s[4:5], 0
                                        ; implicit-def: $sgpr10
	s_and_saveexec_b64 s[6:7], vcc
	s_xor_b64 s[6:7], exec, s[6:7]
	s_cbranch_execnz .LBB8_3125
; %bb.1077:
	s_or_saveexec_b64 s[6:7], s[6:7]
	v_mov_b32_e32 v12, s10
	s_xor_b64 exec, exec, s[6:7]
	s_cbranch_execnz .LBB8_3128
.LBB8_1078:
	s_or_b64 exec, exec, s[6:7]
	s_and_saveexec_b64 s[6:7], s[4:5]
	s_cbranch_execz .LBB8_1080
.LBB8_1079:
	v_bfe_u32 v6, v3, 16, 3
	v_ffbh_u32_e32 v14, v6
	v_min_u32_e32 v14, 32, v14
	v_lshrrev_b32_e32 v12, 19, v3
	v_subrev_u32_e32 v15, 28, v14
	v_and_b32_e32 v12, 15, v12
	v_lshlrev_b32_sdwa v15, v15, v3 dst_sel:DWORD dst_unused:UNUSED_PAD src0_sel:DWORD src1_sel:WORD_1
	v_bfe_u32 v13, v3, 19, 4
	v_sub_u32_e32 v14, 29, v14
	v_and_b32_e32 v15, 7, v15
	v_cmp_eq_u16_e32 vcc, 0, v12
	v_cndmask_b32_e32 v6, v6, v15, vcc
	v_cndmask_b32_e32 v12, v13, v14, vcc
	v_lshlrev_b32_e32 v13, 8, v3
	v_mov_b32_e32 v14, 0x3b800000
	v_lshlrev_b32_e32 v6, 20, v6
	v_and_b32_e32 v13, 0x80000000, v13
	v_lshl_add_u32 v12, v12, 23, v14
	v_or3_b32 v12, v13, v12, v6
.LBB8_1080:
	s_or_b64 exec, exec, s[6:7]
	s_nop 0
	v_mfma_f32_16x16x4f32 a[0:3], v2, v12, a[0:3]
	s_movk_i32 s4, 0x7f
	v_cmp_gt_i16_sdwa s[6:7], v7, s4 src0_sel:BYTE_3 src1_sel:DWORD
	s_mov_b64 s[4:5], 0
                                        ; implicit-def: $sgpr10
	s_and_saveexec_b64 s[8:9], s[6:7]
	s_xor_b64 s[6:7], exec, s[8:9]
	s_cbranch_execnz .LBB8_3129
; %bb.1081:
	s_or_saveexec_b64 s[6:7], s[6:7]
	v_mov_b32_e32 v2, s10
	s_xor_b64 exec, exec, s[6:7]
	s_cbranch_execnz .LBB8_3132
.LBB8_1082:
	s_or_b64 exec, exec, s[6:7]
	s_and_saveexec_b64 s[6:7], s[4:5]
	s_cbranch_execz .LBB8_1084
.LBB8_1083:
	v_bfe_u32 v2, v7, 24, 3
	v_ffbh_u32_e32 v14, v2
	v_min_u32_e32 v14, 32, v14
	v_lshrrev_b32_e32 v12, 27, v7
	v_subrev_u32_e32 v15, 28, v14
	v_and_b32_e32 v6, 0x80000000, v7
	v_and_b32_e32 v12, 15, v12
	v_bfe_u32 v13, v7, 27, 4
	v_lshlrev_b32_sdwa v7, v15, v7 dst_sel:DWORD dst_unused:UNUSED_PAD src0_sel:DWORD src1_sel:BYTE_3
	v_sub_u32_e32 v14, 29, v14
	v_and_b32_e32 v7, 7, v7
	v_cmp_eq_u16_e32 vcc, 0, v12
	v_cndmask_b32_e32 v2, v2, v7, vcc
	v_cndmask_b32_e32 v7, v13, v14, vcc
	v_mov_b32_e32 v12, 0x3b800000
	v_lshlrev_b32_e32 v2, 20, v2
	v_lshl_add_u32 v7, v7, 23, v12
	v_or3_b32 v2, v6, v7, v2
.LBB8_1084:
	s_or_b64 exec, exec, s[6:7]
	s_movk_i32 s4, 0x7f
	v_cmp_gt_i16_sdwa s[6:7], v3, s4 src0_sel:BYTE_3 src1_sel:DWORD
	s_mov_b64 s[4:5], 0
                                        ; implicit-def: $sgpr10
	s_and_saveexec_b64 s[8:9], s[6:7]
	s_xor_b64 s[6:7], exec, s[8:9]
	s_cbranch_execnz .LBB8_3133
; %bb.1085:
	s_or_saveexec_b64 s[6:7], s[6:7]
	v_mov_b32_e32 v6, s10
	s_xor_b64 exec, exec, s[6:7]
	s_cbranch_execnz .LBB8_3136
.LBB8_1086:
	s_or_b64 exec, exec, s[6:7]
	s_and_saveexec_b64 s[6:7], s[4:5]
	s_cbranch_execz .LBB8_1088
.LBB8_1087:
	v_bfe_u32 v6, v3, 24, 3
	v_ffbh_u32_e32 v14, v6
	v_min_u32_e32 v14, 32, v14
	v_lshrrev_b32_e32 v12, 27, v3
	v_subrev_u32_e32 v15, 28, v14
	v_and_b32_e32 v7, 0x80000000, v3
	v_and_b32_e32 v12, 15, v12
	v_bfe_u32 v13, v3, 27, 4
	v_lshlrev_b32_sdwa v3, v15, v3 dst_sel:DWORD dst_unused:UNUSED_PAD src0_sel:DWORD src1_sel:BYTE_3
	v_sub_u32_e32 v14, 29, v14
	v_and_b32_e32 v3, 7, v3
	v_cmp_eq_u16_e32 vcc, 0, v12
	v_cndmask_b32_e32 v3, v6, v3, vcc
	v_cndmask_b32_e32 v6, v13, v14, vcc
	v_mov_b32_e32 v12, 0x3b800000
	v_lshlrev_b32_e32 v3, 20, v3
	v_lshl_add_u32 v6, v6, 23, v12
	v_or3_b32 v6, v7, v6, v3
.LBB8_1088:
	s_or_b64 exec, exec, s[6:7]
	s_nop 0
	v_mfma_f32_16x16x4f32 a[0:3], v2, v6, a[0:3]
	s_movk_i32 s4, 0x7f
	v_cmp_gt_i16_sdwa s[6:7], v8, s4 src0_sel:BYTE_0 src1_sel:DWORD
	s_mov_b64 s[4:5], 0
                                        ; implicit-def: $sgpr10
	s_and_saveexec_b64 s[8:9], s[6:7]
	s_xor_b64 s[6:7], exec, s[8:9]
	s_cbranch_execnz .LBB8_3137
; %bb.1089:
	s_or_saveexec_b64 s[6:7], s[6:7]
	v_mov_b32_e32 v2, s10
	s_xor_b64 exec, exec, s[6:7]
	s_cbranch_execnz .LBB8_3140
.LBB8_1090:
	s_or_b64 exec, exec, s[6:7]
	s_and_saveexec_b64 s[6:7], s[4:5]
	s_cbranch_execz .LBB8_1092
.LBB8_1091:
	v_and_b32_e32 v2, 7, v8
	v_ffbh_u32_e32 v6, v2
	v_min_u32_e32 v6, 32, v6
	v_lshrrev_b16_e32 v3, 3, v8
	v_subrev_u32_e32 v7, 28, v6
	v_and_b32_e32 v3, 15, v3
	v_lshlrev_b32_e32 v7, v7, v8
	v_sub_u32_e32 v6, 29, v6
	v_and_b32_e32 v7, 7, v7
	v_cmp_eq_u16_e32 vcc, 0, v3
	v_cndmask_b32_e32 v2, v2, v7, vcc
	v_cndmask_b32_e32 v3, v3, v6, vcc
	v_lshlrev_b32_e32 v6, 24, v8
	v_mov_b32_e32 v7, 0x3b800000
	v_lshlrev_b32_e32 v2, 20, v2
	v_and_b32_e32 v6, 0x80000000, v6
	v_lshl_add_u32 v3, v3, 23, v7
	v_or3_b32 v2, v6, v3, v2
.LBB8_1092:
	s_or_b64 exec, exec, s[6:7]
	s_movk_i32 s4, 0x7f
	v_cmp_gt_i16_sdwa s[6:7], v4, s4 src0_sel:BYTE_0 src1_sel:DWORD
	s_mov_b64 s[4:5], 0
                                        ; implicit-def: $sgpr10
	s_and_saveexec_b64 s[8:9], s[6:7]
	s_xor_b64 s[6:7], exec, s[8:9]
	s_cbranch_execnz .LBB8_3141
; %bb.1093:
	s_or_saveexec_b64 s[6:7], s[6:7]
	v_mov_b32_e32 v3, s10
	s_xor_b64 exec, exec, s[6:7]
	s_cbranch_execnz .LBB8_3144
.LBB8_1094:
	s_or_b64 exec, exec, s[6:7]
	s_and_saveexec_b64 s[6:7], s[4:5]
	s_cbranch_execz .LBB8_1096
.LBB8_1095:
	v_and_b32_e32 v3, 7, v4
	v_ffbh_u32_e32 v7, v3
	v_min_u32_e32 v7, 32, v7
	v_lshrrev_b16_e32 v6, 3, v4
	v_subrev_u32_e32 v12, 28, v7
	v_and_b32_e32 v6, 15, v6
	v_lshlrev_b32_e32 v12, v12, v4
	v_sub_u32_e32 v7, 29, v7
	v_and_b32_e32 v12, 7, v12
	v_cmp_eq_u16_e32 vcc, 0, v6
	v_cndmask_b32_e32 v3, v3, v12, vcc
	v_cndmask_b32_e32 v6, v6, v7, vcc
	v_lshlrev_b32_e32 v7, 24, v4
	v_mov_b32_e32 v12, 0x3b800000
	v_lshlrev_b32_e32 v3, 20, v3
	v_and_b32_e32 v7, 0x80000000, v7
	v_lshl_add_u32 v6, v6, 23, v12
	v_or3_b32 v3, v7, v6, v3
.LBB8_1096:
	s_or_b64 exec, exec, s[6:7]
	s_nop 0
	v_mfma_f32_16x16x4f32 a[0:3], v2, v3, a[0:3]
	v_lshrrev_b32_e32 v3, 8, v8
	s_movk_i32 s4, 0x7f
	v_cmp_gt_i16_sdwa s[6:7], v3, s4 src0_sel:BYTE_0 src1_sel:DWORD
	s_mov_b64 s[4:5], 0
                                        ; implicit-def: $sgpr10
	s_and_saveexec_b64 s[8:9], s[6:7]
	s_xor_b64 s[6:7], exec, s[8:9]
	s_cbranch_execnz .LBB8_3145
; %bb.1097:
	s_or_saveexec_b64 s[6:7], s[6:7]
	v_mov_b32_e32 v2, s10
	s_xor_b64 exec, exec, s[6:7]
	s_cbranch_execnz .LBB8_3148
.LBB8_1098:
	s_or_b64 exec, exec, s[6:7]
	s_and_saveexec_b64 s[6:7], s[4:5]
	s_cbranch_execz .LBB8_1100
.LBB8_1099:
	v_bfe_u32 v2, v8, 8, 3
	v_ffbh_u32_e32 v7, v2
	v_min_u32_e32 v7, 32, v7
	v_lshrrev_b16_e32 v6, 3, v3
	v_subrev_u32_e32 v12, 28, v7
	v_and_b32_e32 v6, 15, v6
	v_lshlrev_b32_e32 v3, v12, v3
	v_sub_u32_e32 v7, 29, v7
	v_and_b32_e32 v3, 7, v3
	v_cmp_eq_u16_e32 vcc, 0, v6
	v_cndmask_b32_e32 v2, v2, v3, vcc
	v_cndmask_b32_e32 v3, v6, v7, vcc
	v_lshlrev_b32_e32 v6, 16, v8
	v_mov_b32_e32 v7, 0x3b800000
	v_lshlrev_b32_e32 v2, 20, v2
	v_and_b32_e32 v6, 0x80000000, v6
	v_lshl_add_u32 v3, v3, 23, v7
	v_or3_b32 v2, v6, v3, v2
.LBB8_1100:
	s_or_b64 exec, exec, s[6:7]
	v_lshrrev_b32_e32 v3, 8, v4
	s_movk_i32 s4, 0x7f
	v_cmp_gt_i16_sdwa s[6:7], v3, s4 src0_sel:BYTE_0 src1_sel:DWORD
	s_mov_b64 s[4:5], 0
                                        ; implicit-def: $sgpr10
	s_and_saveexec_b64 s[8:9], s[6:7]
	s_xor_b64 s[6:7], exec, s[8:9]
	s_cbranch_execnz .LBB8_3149
; %bb.1101:
	s_or_saveexec_b64 s[6:7], s[6:7]
	v_mov_b32_e32 v6, s10
	s_xor_b64 exec, exec, s[6:7]
	s_cbranch_execnz .LBB8_3152
.LBB8_1102:
	s_or_b64 exec, exec, s[6:7]
	s_and_saveexec_b64 s[6:7], s[4:5]
	s_cbranch_execz .LBB8_1104
.LBB8_1103:
	v_bfe_u32 v6, v4, 8, 3
	v_ffbh_u32_e32 v12, v6
	v_min_u32_e32 v12, 32, v12
	v_lshrrev_b16_e32 v7, 3, v3
	v_subrev_u32_e32 v13, 28, v12
	v_and_b32_e32 v7, 15, v7
	v_lshlrev_b32_e32 v3, v13, v3
	v_sub_u32_e32 v12, 29, v12
	v_and_b32_e32 v3, 7, v3
	v_cmp_eq_u16_e32 vcc, 0, v7
	v_cndmask_b32_e32 v3, v6, v3, vcc
	v_cndmask_b32_e32 v6, v7, v12, vcc
	v_lshlrev_b32_e32 v7, 16, v4
	v_mov_b32_e32 v12, 0x3b800000
	v_lshlrev_b32_e32 v3, 20, v3
	v_and_b32_e32 v7, 0x80000000, v7
	v_lshl_add_u32 v6, v6, 23, v12
	v_or3_b32 v6, v7, v6, v3
.LBB8_1104:
	s_or_b64 exec, exec, s[6:7]
	s_nop 0
	v_mfma_f32_16x16x4f32 a[0:3], v2, v6, a[0:3]
	s_movk_i32 s4, 0xff
	v_and_b32_sdwa v3, v8, s4 dst_sel:DWORD dst_unused:UNUSED_PAD src0_sel:WORD_1 src1_sel:DWORD
	s_movk_i32 s4, 0x7f
	v_cmp_lt_i16_e32 vcc, s4, v3
	s_mov_b64 s[4:5], 0
                                        ; implicit-def: $sgpr10
	s_and_saveexec_b64 s[6:7], vcc
	s_xor_b64 s[6:7], exec, s[6:7]
	s_cbranch_execnz .LBB8_3153
; %bb.1105:
	s_or_saveexec_b64 s[6:7], s[6:7]
	v_mov_b32_e32 v2, s10
	s_xor_b64 exec, exec, s[6:7]
	s_cbranch_execnz .LBB8_3156
.LBB8_1106:
	s_or_b64 exec, exec, s[6:7]
	s_and_saveexec_b64 s[6:7], s[4:5]
	s_cbranch_execz .LBB8_1108
.LBB8_1107:
	v_bfe_u32 v2, v8, 16, 3
	v_ffbh_u32_e32 v7, v2
	v_min_u32_e32 v7, 32, v7
	v_lshrrev_b32_e32 v3, 19, v8
	v_subrev_u32_e32 v12, 28, v7
	v_and_b32_e32 v3, 15, v3
	v_lshlrev_b32_sdwa v12, v12, v8 dst_sel:DWORD dst_unused:UNUSED_PAD src0_sel:DWORD src1_sel:WORD_1
	v_bfe_u32 v6, v8, 19, 4
	v_sub_u32_e32 v7, 29, v7
	v_and_b32_e32 v12, 7, v12
	v_cmp_eq_u16_e32 vcc, 0, v3
	v_cndmask_b32_e32 v2, v2, v12, vcc
	v_cndmask_b32_e32 v3, v6, v7, vcc
	v_lshlrev_b32_e32 v6, 8, v8
	v_mov_b32_e32 v7, 0x3b800000
	v_lshlrev_b32_e32 v2, 20, v2
	v_and_b32_e32 v6, 0x80000000, v6
	v_lshl_add_u32 v3, v3, 23, v7
	v_or3_b32 v2, v6, v3, v2
.LBB8_1108:
	s_or_b64 exec, exec, s[6:7]
	s_movk_i32 s4, 0xff
	v_and_b32_sdwa v3, v4, s4 dst_sel:DWORD dst_unused:UNUSED_PAD src0_sel:WORD_1 src1_sel:DWORD
	s_movk_i32 s4, 0x7f
	v_cmp_lt_i16_e32 vcc, s4, v3
	s_mov_b64 s[4:5], 0
                                        ; implicit-def: $sgpr10
	s_and_saveexec_b64 s[6:7], vcc
	s_xor_b64 s[6:7], exec, s[6:7]
	s_cbranch_execnz .LBB8_3157
; %bb.1109:
	s_or_saveexec_b64 s[6:7], s[6:7]
	v_mov_b32_e32 v6, s10
	s_xor_b64 exec, exec, s[6:7]
	s_cbranch_execnz .LBB8_3160
.LBB8_1110:
	s_or_b64 exec, exec, s[6:7]
	s_and_saveexec_b64 s[6:7], s[4:5]
	s_cbranch_execz .LBB8_1112
.LBB8_1111:
	v_bfe_u32 v3, v4, 16, 3
	v_ffbh_u32_e32 v12, v3
	v_min_u32_e32 v12, 32, v12
	v_lshrrev_b32_e32 v6, 19, v4
	v_subrev_u32_e32 v13, 28, v12
	v_and_b32_e32 v6, 15, v6
	v_lshlrev_b32_sdwa v13, v13, v4 dst_sel:DWORD dst_unused:UNUSED_PAD src0_sel:DWORD src1_sel:WORD_1
	v_bfe_u32 v7, v4, 19, 4
	v_sub_u32_e32 v12, 29, v12
	v_and_b32_e32 v13, 7, v13
	v_cmp_eq_u16_e32 vcc, 0, v6
	v_cndmask_b32_e32 v3, v3, v13, vcc
	v_cndmask_b32_e32 v6, v7, v12, vcc
	v_lshlrev_b32_e32 v7, 8, v4
	v_mov_b32_e32 v12, 0x3b800000
	v_lshlrev_b32_e32 v3, 20, v3
	v_and_b32_e32 v7, 0x80000000, v7
	v_lshl_add_u32 v6, v6, 23, v12
	v_or3_b32 v6, v7, v6, v3
.LBB8_1112:
	s_or_b64 exec, exec, s[6:7]
	s_nop 0
	v_mfma_f32_16x16x4f32 a[0:3], v2, v6, a[0:3]
	s_movk_i32 s4, 0x7f
	v_cmp_gt_i16_sdwa s[6:7], v8, s4 src0_sel:BYTE_3 src1_sel:DWORD
	s_mov_b64 s[4:5], 0
                                        ; implicit-def: $sgpr10
	s_and_saveexec_b64 s[8:9], s[6:7]
	s_xor_b64 s[6:7], exec, s[8:9]
	s_cbranch_execnz .LBB8_3161
; %bb.1113:
	s_or_saveexec_b64 s[6:7], s[6:7]
	v_mov_b32_e32 v2, s10
	s_xor_b64 exec, exec, s[6:7]
	s_cbranch_execnz .LBB8_3164
.LBB8_1114:
	s_or_b64 exec, exec, s[6:7]
	s_and_saveexec_b64 s[6:7], s[4:5]
	s_cbranch_execz .LBB8_1116
.LBB8_1115:
	v_bfe_u32 v2, v8, 24, 3
	v_ffbh_u32_e32 v12, v2
	v_min_u32_e32 v12, 32, v12
	v_lshrrev_b32_e32 v6, 27, v8
	v_subrev_u32_e32 v13, 28, v12
	v_and_b32_e32 v3, 0x80000000, v8
	v_and_b32_e32 v6, 15, v6
	v_bfe_u32 v7, v8, 27, 4
	v_lshlrev_b32_sdwa v8, v13, v8 dst_sel:DWORD dst_unused:UNUSED_PAD src0_sel:DWORD src1_sel:BYTE_3
	v_sub_u32_e32 v12, 29, v12
	v_and_b32_e32 v8, 7, v8
	v_cmp_eq_u16_e32 vcc, 0, v6
	v_cndmask_b32_e32 v2, v2, v8, vcc
	v_cndmask_b32_e32 v6, v7, v12, vcc
	v_mov_b32_e32 v7, 0x3b800000
	v_lshlrev_b32_e32 v2, 20, v2
	v_lshl_add_u32 v6, v6, 23, v7
	v_or3_b32 v2, v3, v6, v2
.LBB8_1116:
	s_or_b64 exec, exec, s[6:7]
	s_movk_i32 s4, 0x7f
	v_cmp_gt_i16_sdwa s[6:7], v4, s4 src0_sel:BYTE_3 src1_sel:DWORD
	s_mov_b64 s[4:5], 0
                                        ; implicit-def: $sgpr10
	s_and_saveexec_b64 s[8:9], s[6:7]
	s_xor_b64 s[6:7], exec, s[8:9]
	s_cbranch_execnz .LBB8_3165
; %bb.1117:
	s_or_saveexec_b64 s[6:7], s[6:7]
	v_mov_b32_e32 v3, s10
	s_xor_b64 exec, exec, s[6:7]
	s_cbranch_execnz .LBB8_3168
.LBB8_1118:
	s_or_b64 exec, exec, s[6:7]
	s_and_saveexec_b64 s[6:7], s[4:5]
	s_cbranch_execz .LBB8_1120
.LBB8_1119:
	v_bfe_u32 v3, v4, 24, 3
	v_ffbh_u32_e32 v12, v3
	v_min_u32_e32 v12, 32, v12
	v_lshrrev_b32_e32 v7, 27, v4
	v_subrev_u32_e32 v13, 28, v12
	v_and_b32_e32 v6, 0x80000000, v4
	v_and_b32_e32 v7, 15, v7
	v_bfe_u32 v8, v4, 27, 4
	v_lshlrev_b32_sdwa v4, v13, v4 dst_sel:DWORD dst_unused:UNUSED_PAD src0_sel:DWORD src1_sel:BYTE_3
	v_sub_u32_e32 v12, 29, v12
	v_and_b32_e32 v4, 7, v4
	v_cmp_eq_u16_e32 vcc, 0, v7
	v_cndmask_b32_e32 v3, v3, v4, vcc
	v_cndmask_b32_e32 v4, v8, v12, vcc
	v_mov_b32_e32 v7, 0x3b800000
	v_lshlrev_b32_e32 v3, 20, v3
	v_lshl_add_u32 v4, v4, 23, v7
	v_or3_b32 v3, v6, v4, v3
.LBB8_1120:
	s_or_b64 exec, exec, s[6:7]
	s_nop 0
	v_mfma_f32_16x16x4f32 a[0:3], v2, v3, a[0:3]
	s_movk_i32 s4, 0x7f
	v_cmp_gt_i16_sdwa s[6:7], v9, s4 src0_sel:BYTE_0 src1_sel:DWORD
	s_mov_b64 s[4:5], 0
                                        ; implicit-def: $sgpr10
	s_and_saveexec_b64 s[8:9], s[6:7]
	s_xor_b64 s[6:7], exec, s[8:9]
	s_cbranch_execnz .LBB8_3169
; %bb.1121:
	s_or_saveexec_b64 s[6:7], s[6:7]
	v_mov_b32_e32 v2, s10
	s_xor_b64 exec, exec, s[6:7]
	s_cbranch_execnz .LBB8_3172
.LBB8_1122:
	s_or_b64 exec, exec, s[6:7]
	s_and_saveexec_b64 s[6:7], s[4:5]
	s_cbranch_execz .LBB8_1124
.LBB8_1123:
	v_mov_b32_e32 v2, 8
	v_and_b32_e32 v3, 7, v9
	v_lshrrev_b32_sdwa v2, v2, v9 dst_sel:BYTE_1 dst_unused:UNUSED_PAD src0_sel:DWORD src1_sel:DWORD
	v_ffbh_u32_e32 v4, v3
	v_or_b32_sdwa v2, v9, v2 dst_sel:DWORD dst_unused:UNUSED_PAD src0_sel:BYTE_0 src1_sel:DWORD
	v_min_u32_e32 v4, 32, v4
	v_lshrrev_b16_e32 v2, 3, v2
	v_subrev_u32_e32 v6, 28, v4
	v_and_b32_e32 v2, 15, v2
	v_lshlrev_b32_e32 v6, v6, v9
	v_sub_u32_e32 v4, 29, v4
	v_and_b32_e32 v6, 7, v6
	v_cmp_eq_u16_e32 vcc, 0, v2
	v_cndmask_b32_e32 v3, v3, v6, vcc
	v_cndmask_b32_e32 v2, v2, v4, vcc
	v_lshlrev_b32_e32 v4, 24, v9
	v_mov_b32_e32 v6, 0x3b800000
	v_lshlrev_b32_e32 v3, 20, v3
	v_and_b32_e32 v4, 0x80000000, v4
	v_lshl_add_u32 v2, v2, 23, v6
	v_or3_b32 v2, v4, v2, v3
.LBB8_1124:
	s_or_b64 exec, exec, s[6:7]
	s_movk_i32 s4, 0x7f
	v_cmp_gt_i16_sdwa s[6:7], v5, s4 src0_sel:BYTE_0 src1_sel:DWORD
	s_mov_b64 s[4:5], 0
                                        ; implicit-def: $sgpr10
	s_and_saveexec_b64 s[8:9], s[6:7]
	s_xor_b64 s[6:7], exec, s[8:9]
	s_cbranch_execnz .LBB8_3173
; %bb.1125:
	s_or_saveexec_b64 s[6:7], s[6:7]
	v_mov_b32_e32 v3, s10
	s_xor_b64 exec, exec, s[6:7]
	s_cbranch_execnz .LBB8_3176
.LBB8_1126:
	s_or_b64 exec, exec, s[6:7]
	s_and_saveexec_b64 s[6:7], s[4:5]
	s_cbranch_execz .LBB8_1128
.LBB8_1127:
	v_mov_b32_e32 v3, 8
	v_and_b32_e32 v4, 7, v5
	v_lshrrev_b32_sdwa v3, v3, v5 dst_sel:BYTE_1 dst_unused:UNUSED_PAD src0_sel:DWORD src1_sel:DWORD
	v_ffbh_u32_e32 v6, v4
	v_or_b32_sdwa v3, v5, v3 dst_sel:DWORD dst_unused:UNUSED_PAD src0_sel:BYTE_0 src1_sel:DWORD
	v_min_u32_e32 v6, 32, v6
	v_lshrrev_b16_e32 v3, 3, v3
	v_subrev_u32_e32 v7, 28, v6
	v_and_b32_e32 v3, 15, v3
	v_lshlrev_b32_e32 v7, v7, v5
	v_sub_u32_e32 v6, 29, v6
	v_and_b32_e32 v7, 7, v7
	v_cmp_eq_u16_e32 vcc, 0, v3
	v_cndmask_b32_e32 v4, v4, v7, vcc
	v_cndmask_b32_e32 v3, v3, v6, vcc
	v_lshlrev_b32_e32 v6, 24, v5
	v_mov_b32_e32 v7, 0x3b800000
	v_lshlrev_b32_e32 v4, 20, v4
	v_and_b32_e32 v6, 0x80000000, v6
	v_lshl_add_u32 v3, v3, 23, v7
	v_or3_b32 v3, v6, v3, v4
.LBB8_1128:
	s_or_b64 exec, exec, s[6:7]
	s_nop 0
	v_mfma_f32_16x16x4f32 a[0:3], v2, v3, a[0:3]
	v_lshrrev_b32_e32 v3, 8, v9
	s_movk_i32 s4, 0x7f
	v_cmp_gt_i16_sdwa s[6:7], v3, s4 src0_sel:BYTE_0 src1_sel:DWORD
	s_mov_b64 s[4:5], 0
                                        ; implicit-def: $sgpr10
	s_and_saveexec_b64 s[8:9], s[6:7]
	s_xor_b64 s[6:7], exec, s[8:9]
	s_cbranch_execnz .LBB8_3177
; %bb.1129:
	s_or_saveexec_b64 s[6:7], s[6:7]
	v_mov_b32_e32 v2, s10
	s_xor_b64 exec, exec, s[6:7]
	s_cbranch_execnz .LBB8_3180
.LBB8_1130:
	s_or_b64 exec, exec, s[6:7]
	s_and_saveexec_b64 s[6:7], s[4:5]
	s_cbranch_execz .LBB8_1132
.LBB8_1131:
	v_bfe_u32 v2, v9, 8, 3
	v_ffbh_u32_e32 v6, v2
	v_min_u32_e32 v6, 32, v6
	v_lshrrev_b16_e32 v4, 3, v3
	v_subrev_u32_e32 v7, 28, v6
	v_and_b32_e32 v4, 15, v4
	v_lshlrev_b32_e32 v3, v7, v3
	v_sub_u32_e32 v6, 29, v6
	v_and_b32_e32 v3, 7, v3
	v_cmp_eq_u16_e32 vcc, 0, v4
	v_cndmask_b32_e32 v2, v2, v3, vcc
	v_cndmask_b32_e32 v3, v4, v6, vcc
	v_lshlrev_b32_e32 v4, 16, v9
	v_mov_b32_e32 v6, 0x3b800000
	v_lshlrev_b32_e32 v2, 20, v2
	v_and_b32_e32 v4, 0x80000000, v4
	v_lshl_add_u32 v3, v3, 23, v6
	v_or3_b32 v2, v4, v3, v2
.LBB8_1132:
	s_or_b64 exec, exec, s[6:7]
	v_lshrrev_b32_e32 v3, 8, v5
	s_movk_i32 s4, 0x7f
	v_cmp_gt_i16_sdwa s[6:7], v3, s4 src0_sel:BYTE_0 src1_sel:DWORD
	s_mov_b64 s[4:5], 0
                                        ; implicit-def: $sgpr10
	s_and_saveexec_b64 s[8:9], s[6:7]
	s_xor_b64 s[6:7], exec, s[8:9]
	s_cbranch_execnz .LBB8_3181
; %bb.1133:
	s_or_saveexec_b64 s[6:7], s[6:7]
	v_mov_b32_e32 v4, s10
	s_xor_b64 exec, exec, s[6:7]
	s_cbranch_execnz .LBB8_3184
.LBB8_1134:
	s_or_b64 exec, exec, s[6:7]
	s_and_saveexec_b64 s[6:7], s[4:5]
	s_cbranch_execz .LBB8_1136
.LBB8_1135:
	v_bfe_u32 v4, v5, 8, 3
	v_ffbh_u32_e32 v7, v4
	v_min_u32_e32 v7, 32, v7
	v_lshrrev_b16_e32 v6, 3, v3
	v_subrev_u32_e32 v8, 28, v7
	v_and_b32_e32 v6, 15, v6
	v_lshlrev_b32_e32 v3, v8, v3
	v_sub_u32_e32 v7, 29, v7
	v_and_b32_e32 v3, 7, v3
	v_cmp_eq_u16_e32 vcc, 0, v6
	v_cndmask_b32_e32 v3, v4, v3, vcc
	v_cndmask_b32_e32 v4, v6, v7, vcc
	v_lshlrev_b32_e32 v6, 16, v5
	v_mov_b32_e32 v7, 0x3b800000
	v_lshlrev_b32_e32 v3, 20, v3
	v_and_b32_e32 v6, 0x80000000, v6
	v_lshl_add_u32 v4, v4, 23, v7
	v_or3_b32 v4, v6, v4, v3
.LBB8_1136:
	s_or_b64 exec, exec, s[6:7]
	s_nop 0
	v_mfma_f32_16x16x4f32 a[0:3], v2, v4, a[0:3]
	s_movk_i32 s4, 0xff
	v_and_b32_sdwa v3, v9, s4 dst_sel:DWORD dst_unused:UNUSED_PAD src0_sel:WORD_1 src1_sel:DWORD
	s_movk_i32 s4, 0x7f
	v_cmp_lt_i16_e32 vcc, s4, v3
	s_mov_b64 s[4:5], 0
                                        ; implicit-def: $sgpr10
	s_and_saveexec_b64 s[6:7], vcc
	s_xor_b64 s[6:7], exec, s[6:7]
	s_cbranch_execnz .LBB8_3185
; %bb.1137:
	s_or_saveexec_b64 s[6:7], s[6:7]
	v_mov_b32_e32 v2, s10
	s_xor_b64 exec, exec, s[6:7]
	s_cbranch_execnz .LBB8_3188
.LBB8_1138:
	s_or_b64 exec, exec, s[6:7]
	s_and_saveexec_b64 s[6:7], s[4:5]
	s_cbranch_execz .LBB8_1140
.LBB8_1139:
	v_bfe_u32 v2, v9, 16, 3
	v_ffbh_u32_e32 v6, v2
	v_min_u32_e32 v6, 32, v6
	v_lshrrev_b32_e32 v3, 19, v9
	v_subrev_u32_e32 v7, 28, v6
	v_and_b32_e32 v3, 15, v3
	v_lshlrev_b32_sdwa v7, v7, v9 dst_sel:DWORD dst_unused:UNUSED_PAD src0_sel:DWORD src1_sel:WORD_1
	v_bfe_u32 v4, v9, 19, 4
	v_sub_u32_e32 v6, 29, v6
	v_and_b32_e32 v7, 7, v7
	v_cmp_eq_u16_e32 vcc, 0, v3
	v_cndmask_b32_e32 v2, v2, v7, vcc
	v_cndmask_b32_e32 v3, v4, v6, vcc
	v_lshlrev_b32_e32 v4, 8, v9
	v_mov_b32_e32 v6, 0x3b800000
	v_lshlrev_b32_e32 v2, 20, v2
	v_and_b32_e32 v4, 0x80000000, v4
	v_lshl_add_u32 v3, v3, 23, v6
	v_or3_b32 v2, v4, v3, v2
.LBB8_1140:
	s_or_b64 exec, exec, s[6:7]
	s_movk_i32 s4, 0xff
	v_and_b32_sdwa v3, v5, s4 dst_sel:DWORD dst_unused:UNUSED_PAD src0_sel:WORD_1 src1_sel:DWORD
	s_movk_i32 s4, 0x7f
	v_cmp_lt_i16_e32 vcc, s4, v3
	s_mov_b64 s[4:5], 0
                                        ; implicit-def: $sgpr10
	s_and_saveexec_b64 s[6:7], vcc
	s_xor_b64 s[6:7], exec, s[6:7]
	s_cbranch_execnz .LBB8_3189
; %bb.1141:
	s_or_saveexec_b64 s[6:7], s[6:7]
	v_mov_b32_e32 v4, s10
	s_xor_b64 exec, exec, s[6:7]
	s_cbranch_execnz .LBB8_3192
.LBB8_1142:
	s_or_b64 exec, exec, s[6:7]
	s_and_saveexec_b64 s[6:7], s[4:5]
	s_cbranch_execz .LBB8_1144
.LBB8_1143:
	v_bfe_u32 v3, v5, 16, 3
	v_ffbh_u32_e32 v7, v3
	v_min_u32_e32 v7, 32, v7
	v_lshrrev_b32_e32 v4, 19, v5
	v_subrev_u32_e32 v8, 28, v7
	v_and_b32_e32 v4, 15, v4
	v_lshlrev_b32_sdwa v8, v8, v5 dst_sel:DWORD dst_unused:UNUSED_PAD src0_sel:DWORD src1_sel:WORD_1
	v_bfe_u32 v6, v5, 19, 4
	v_sub_u32_e32 v7, 29, v7
	v_and_b32_e32 v8, 7, v8
	v_cmp_eq_u16_e32 vcc, 0, v4
	v_cndmask_b32_e32 v3, v3, v8, vcc
	v_cndmask_b32_e32 v4, v6, v7, vcc
	v_lshlrev_b32_e32 v6, 8, v5
	v_mov_b32_e32 v7, 0x3b800000
	v_lshlrev_b32_e32 v3, 20, v3
	v_and_b32_e32 v6, 0x80000000, v6
	v_lshl_add_u32 v4, v4, 23, v7
	v_or3_b32 v4, v6, v4, v3
.LBB8_1144:
	s_or_b64 exec, exec, s[6:7]
	s_nop 0
	v_mfma_f32_16x16x4f32 a[0:3], v2, v4, a[0:3]
	s_movk_i32 s4, 0x7f
	v_cmp_gt_i16_sdwa s[6:7], v9, s4 src0_sel:BYTE_3 src1_sel:DWORD
	s_mov_b64 s[4:5], 0
                                        ; implicit-def: $sgpr10
	s_and_saveexec_b64 s[8:9], s[6:7]
	s_xor_b64 s[6:7], exec, s[8:9]
	s_cbranch_execnz .LBB8_3193
; %bb.1145:
	s_or_saveexec_b64 s[6:7], s[6:7]
	v_mov_b32_e32 v2, s10
	s_xor_b64 exec, exec, s[6:7]
	s_cbranch_execnz .LBB8_3196
.LBB8_1146:
	s_or_b64 exec, exec, s[6:7]
	s_and_saveexec_b64 s[6:7], s[4:5]
	s_cbranch_execz .LBB8_1148
.LBB8_1147:
	v_bfe_u32 v2, v9, 24, 3
	v_ffbh_u32_e32 v7, v2
	v_min_u32_e32 v7, 32, v7
	v_lshrrev_b32_e32 v4, 27, v9
	v_subrev_u32_e32 v8, 28, v7
	v_and_b32_e32 v4, 15, v4
	v_lshlrev_b32_sdwa v8, v8, v9 dst_sel:DWORD dst_unused:UNUSED_PAD src0_sel:DWORD src1_sel:BYTE_3
	v_bfe_u32 v6, v9, 27, 4
	v_sub_u32_e32 v7, 29, v7
	v_and_b32_e32 v8, 7, v8
	v_cmp_eq_u16_e32 vcc, 0, v4
	v_cndmask_b32_e32 v2, v2, v8, vcc
	v_cndmask_b32_e32 v4, v6, v7, vcc
	v_mov_b32_e32 v6, 0x3b800000
	v_and_b32_e32 v3, 0x80000000, v9
	v_lshlrev_b32_e32 v2, 20, v2
	v_lshl_add_u32 v4, v4, 23, v6
	v_or3_b32 v2, v3, v4, v2
.LBB8_1148:
	s_or_b64 exec, exec, s[6:7]
	s_movk_i32 s4, 0x7f
	v_cmp_gt_i16_sdwa s[6:7], v5, s4 src0_sel:BYTE_3 src1_sel:DWORD
	s_mov_b64 s[4:5], 0
                                        ; implicit-def: $sgpr10
	s_and_saveexec_b64 s[8:9], s[6:7]
	s_xor_b64 s[6:7], exec, s[8:9]
	s_cbranch_execnz .LBB8_3197
; %bb.1149:
	s_or_saveexec_b64 s[6:7], s[6:7]
	v_mov_b32_e32 v3, s10
	s_xor_b64 exec, exec, s[6:7]
	s_cbranch_execnz .LBB8_3200
.LBB8_1150:
	s_or_b64 exec, exec, s[6:7]
	s_and_saveexec_b64 s[6:7], s[4:5]
	s_cbranch_execz .LBB8_1152
.LBB8_1151:
	v_bfe_u32 v3, v5, 24, 3
	v_ffbh_u32_e32 v8, v3
	v_min_u32_e32 v8, 32, v8
	v_lshrrev_b32_e32 v6, 27, v5
	v_subrev_u32_e32 v9, 28, v8
	v_and_b32_e32 v4, 0x80000000, v5
	v_and_b32_e32 v6, 15, v6
	v_bfe_u32 v7, v5, 27, 4
	v_lshlrev_b32_sdwa v5, v9, v5 dst_sel:DWORD dst_unused:UNUSED_PAD src0_sel:DWORD src1_sel:BYTE_3
	v_sub_u32_e32 v8, 29, v8
	v_and_b32_e32 v5, 7, v5
	v_cmp_eq_u16_e32 vcc, 0, v6
	v_cndmask_b32_e32 v3, v3, v5, vcc
	v_cndmask_b32_e32 v5, v7, v8, vcc
	v_mov_b32_e32 v6, 0x3b800000
	v_lshlrev_b32_e32 v3, 20, v3
	v_lshl_add_u32 v5, v5, 23, v6
	v_or3_b32 v3, v4, v5, v3
.LBB8_1152:
	s_or_b64 exec, exec, s[6:7]
	s_nop 0
	v_mfma_f32_16x16x4f32 a[0:3], v2, v3, a[0:3]
	s_movk_i32 s4, 0x7f
                                        ; implicit-def: $sgpr10
	s_nop 7
	s_nop 1
	flat_store_dwordx4 v[10:11], a[0:3] offset:128
	flat_load_dwordx4 v[12:15], v[0:1] offset:8
	s_nop 0
	flat_load_dwordx2 v[10:11], v[0:1] offset:32
	s_waitcnt vmcnt(0) lgkmcnt(0)
	flat_load_dwordx4 v[6:9], v[12:13] offset:64
	flat_load_dwordx4 v[2:5], v[14:15] offset:32
	s_waitcnt vmcnt(0) lgkmcnt(0)
	v_cmp_gt_i16_sdwa s[6:7], v6, s4 src0_sel:BYTE_0 src1_sel:DWORD
	s_mov_b64 s[4:5], 0
	s_and_saveexec_b64 s[8:9], s[6:7]
	s_xor_b64 s[6:7], exec, s[8:9]
	s_cbranch_execnz .LBB8_3201
; %bb.1153:
	s_or_saveexec_b64 s[6:7], s[6:7]
	v_mov_b32_e32 v12, s10
	s_xor_b64 exec, exec, s[6:7]
	s_cbranch_execnz .LBB8_3204
.LBB8_1154:
	s_or_b64 exec, exec, s[6:7]
	s_and_saveexec_b64 s[6:7], s[4:5]
	s_cbranch_execz .LBB8_1156
.LBB8_1155:
	v_and_b32_e32 v12, 7, v6
	v_ffbh_u32_e32 v14, v12
	v_min_u32_e32 v14, 32, v14
	v_lshrrev_b16_e32 v13, 3, v6
	v_subrev_u32_e32 v15, 28, v14
	v_and_b32_e32 v13, 15, v13
	v_lshlrev_b32_e32 v15, v15, v6
	v_sub_u32_e32 v14, 29, v14
	v_and_b32_e32 v15, 7, v15
	v_cmp_eq_u16_e32 vcc, 0, v13
	v_cndmask_b32_e32 v12, v12, v15, vcc
	v_cndmask_b32_e32 v13, v13, v14, vcc
	v_lshlrev_b32_e32 v14, 24, v6
	v_mov_b32_e32 v15, 0x3b800000
	v_lshlrev_b32_e32 v12, 20, v12
	v_and_b32_e32 v14, 0x80000000, v14
	v_lshl_add_u32 v13, v13, 23, v15
	v_or3_b32 v12, v14, v13, v12
.LBB8_1156:
	s_or_b64 exec, exec, s[6:7]
	s_movk_i32 s4, 0x7f
	v_cmp_gt_i16_sdwa s[6:7], v2, s4 src0_sel:BYTE_0 src1_sel:DWORD
	s_mov_b64 s[4:5], 0
                                        ; implicit-def: $sgpr10
	s_and_saveexec_b64 s[8:9], s[6:7]
	s_xor_b64 s[6:7], exec, s[8:9]
	s_cbranch_execnz .LBB8_3205
; %bb.1157:
	s_or_saveexec_b64 s[6:7], s[6:7]
	v_mov_b32_e32 v13, s10
	s_xor_b64 exec, exec, s[6:7]
	s_cbranch_execnz .LBB8_3208
.LBB8_1158:
	s_or_b64 exec, exec, s[6:7]
	s_and_saveexec_b64 s[6:7], s[4:5]
	s_cbranch_execz .LBB8_1160
.LBB8_1159:
	v_and_b32_e32 v13, 7, v2
	v_ffbh_u32_e32 v15, v13
	v_min_u32_e32 v15, 32, v15
	v_lshrrev_b16_e32 v14, 3, v2
	v_subrev_u32_e32 v16, 28, v15
	v_and_b32_e32 v14, 15, v14
	v_lshlrev_b32_e32 v16, v16, v2
	v_sub_u32_e32 v15, 29, v15
	v_and_b32_e32 v16, 7, v16
	v_cmp_eq_u16_e32 vcc, 0, v14
	v_cndmask_b32_e32 v13, v13, v16, vcc
	v_cndmask_b32_e32 v14, v14, v15, vcc
	v_lshlrev_b32_e32 v15, 24, v2
	v_mov_b32_e32 v16, 0x3b800000
	v_lshlrev_b32_e32 v13, 20, v13
	v_and_b32_e32 v15, 0x80000000, v15
	v_lshl_add_u32 v14, v14, 23, v16
	v_or3_b32 v13, v15, v14, v13
.LBB8_1160:
	s_or_b64 exec, exec, s[6:7]
	flat_load_dwordx4 a[0:3], v[10:11] offset:144
	s_movk_i32 s4, 0x7f
                                        ; implicit-def: $sgpr10
	s_waitcnt vmcnt(0) lgkmcnt(0)
	v_mfma_f32_16x16x4f32 a[0:3], v12, v13, a[0:3]
	v_lshrrev_b32_e32 v13, 8, v6
	v_cmp_gt_i16_sdwa s[6:7], v13, s4 src0_sel:BYTE_0 src1_sel:DWORD
	s_mov_b64 s[4:5], 0
	s_and_saveexec_b64 s[8:9], s[6:7]
	s_xor_b64 s[6:7], exec, s[8:9]
	s_cbranch_execnz .LBB8_3209
; %bb.1161:
	s_or_saveexec_b64 s[6:7], s[6:7]
	v_mov_b32_e32 v12, s10
	s_xor_b64 exec, exec, s[6:7]
	s_cbranch_execnz .LBB8_3212
.LBB8_1162:
	s_or_b64 exec, exec, s[6:7]
	s_and_saveexec_b64 s[6:7], s[4:5]
	s_cbranch_execz .LBB8_1164
.LBB8_1163:
	v_bfe_u32 v12, v6, 8, 3
	v_ffbh_u32_e32 v15, v12
	v_min_u32_e32 v15, 32, v15
	v_lshrrev_b16_e32 v14, 3, v13
	v_subrev_u32_e32 v16, 28, v15
	v_and_b32_e32 v14, 15, v14
	v_lshlrev_b32_e32 v13, v16, v13
	v_sub_u32_e32 v15, 29, v15
	v_and_b32_e32 v13, 7, v13
	v_cmp_eq_u16_e32 vcc, 0, v14
	v_cndmask_b32_e32 v12, v12, v13, vcc
	v_cndmask_b32_e32 v13, v14, v15, vcc
	v_lshlrev_b32_e32 v14, 16, v6
	v_mov_b32_e32 v15, 0x3b800000
	v_lshlrev_b32_e32 v12, 20, v12
	v_and_b32_e32 v14, 0x80000000, v14
	v_lshl_add_u32 v13, v13, 23, v15
	v_or3_b32 v12, v14, v13, v12
.LBB8_1164:
	s_or_b64 exec, exec, s[6:7]
	v_lshrrev_b32_e32 v13, 8, v2
	s_movk_i32 s4, 0x7f
	v_cmp_gt_i16_sdwa s[6:7], v13, s4 src0_sel:BYTE_0 src1_sel:DWORD
	s_mov_b64 s[4:5], 0
                                        ; implicit-def: $sgpr10
	s_and_saveexec_b64 s[8:9], s[6:7]
	s_xor_b64 s[6:7], exec, s[8:9]
	s_cbranch_execnz .LBB8_3213
; %bb.1165:
	s_or_saveexec_b64 s[6:7], s[6:7]
	v_mov_b32_e32 v14, s10
	s_xor_b64 exec, exec, s[6:7]
	s_cbranch_execnz .LBB8_3216
.LBB8_1166:
	s_or_b64 exec, exec, s[6:7]
	s_and_saveexec_b64 s[6:7], s[4:5]
	s_cbranch_execz .LBB8_1168
.LBB8_1167:
	v_bfe_u32 v14, v2, 8, 3
	v_ffbh_u32_e32 v16, v14
	v_min_u32_e32 v16, 32, v16
	v_lshrrev_b16_e32 v15, 3, v13
	v_subrev_u32_e32 v17, 28, v16
	v_and_b32_e32 v15, 15, v15
	v_lshlrev_b32_e32 v13, v17, v13
	v_sub_u32_e32 v16, 29, v16
	v_and_b32_e32 v13, 7, v13
	v_cmp_eq_u16_e32 vcc, 0, v15
	v_cndmask_b32_e32 v13, v14, v13, vcc
	v_cndmask_b32_e32 v14, v15, v16, vcc
	v_lshlrev_b32_e32 v15, 16, v2
	v_mov_b32_e32 v16, 0x3b800000
	v_lshlrev_b32_e32 v13, 20, v13
	v_and_b32_e32 v15, 0x80000000, v15
	v_lshl_add_u32 v14, v14, 23, v16
	v_or3_b32 v14, v15, v14, v13
.LBB8_1168:
	s_or_b64 exec, exec, s[6:7]
	s_nop 0
	v_mfma_f32_16x16x4f32 a[0:3], v12, v14, a[0:3]
	s_movk_i32 s4, 0xff
	v_and_b32_sdwa v13, v6, s4 dst_sel:DWORD dst_unused:UNUSED_PAD src0_sel:WORD_1 src1_sel:DWORD
	s_movk_i32 s4, 0x7f
	v_cmp_lt_i16_e32 vcc, s4, v13
	s_mov_b64 s[4:5], 0
                                        ; implicit-def: $sgpr10
	s_and_saveexec_b64 s[6:7], vcc
	s_xor_b64 s[6:7], exec, s[6:7]
	s_cbranch_execnz .LBB8_3217
; %bb.1169:
	s_or_saveexec_b64 s[6:7], s[6:7]
	v_mov_b32_e32 v12, s10
	s_xor_b64 exec, exec, s[6:7]
	s_cbranch_execnz .LBB8_3220
.LBB8_1170:
	s_or_b64 exec, exec, s[6:7]
	s_and_saveexec_b64 s[6:7], s[4:5]
	s_cbranch_execz .LBB8_1172
.LBB8_1171:
	v_bfe_u32 v12, v6, 16, 3
	v_ffbh_u32_e32 v15, v12
	v_min_u32_e32 v15, 32, v15
	v_lshrrev_b32_e32 v13, 19, v6
	v_subrev_u32_e32 v16, 28, v15
	v_and_b32_e32 v13, 15, v13
	v_lshlrev_b32_sdwa v16, v16, v6 dst_sel:DWORD dst_unused:UNUSED_PAD src0_sel:DWORD src1_sel:WORD_1
	v_bfe_u32 v14, v6, 19, 4
	v_sub_u32_e32 v15, 29, v15
	v_and_b32_e32 v16, 7, v16
	v_cmp_eq_u16_e32 vcc, 0, v13
	v_cndmask_b32_e32 v12, v12, v16, vcc
	v_cndmask_b32_e32 v13, v14, v15, vcc
	v_lshlrev_b32_e32 v14, 8, v6
	v_mov_b32_e32 v15, 0x3b800000
	v_lshlrev_b32_e32 v12, 20, v12
	v_and_b32_e32 v14, 0x80000000, v14
	v_lshl_add_u32 v13, v13, 23, v15
	v_or3_b32 v12, v14, v13, v12
.LBB8_1172:
	s_or_b64 exec, exec, s[6:7]
	s_movk_i32 s4, 0xff
	v_and_b32_sdwa v13, v2, s4 dst_sel:DWORD dst_unused:UNUSED_PAD src0_sel:WORD_1 src1_sel:DWORD
	s_movk_i32 s4, 0x7f
	v_cmp_lt_i16_e32 vcc, s4, v13
	s_mov_b64 s[4:5], 0
                                        ; implicit-def: $sgpr10
	s_and_saveexec_b64 s[6:7], vcc
	s_xor_b64 s[6:7], exec, s[6:7]
	s_cbranch_execnz .LBB8_3221
; %bb.1173:
	s_or_saveexec_b64 s[6:7], s[6:7]
	v_mov_b32_e32 v14, s10
	s_xor_b64 exec, exec, s[6:7]
	s_cbranch_execnz .LBB8_3224
.LBB8_1174:
	s_or_b64 exec, exec, s[6:7]
	s_and_saveexec_b64 s[6:7], s[4:5]
	s_cbranch_execz .LBB8_1176
.LBB8_1175:
	v_bfe_u32 v13, v2, 16, 3
	v_ffbh_u32_e32 v16, v13
	v_min_u32_e32 v16, 32, v16
	v_lshrrev_b32_e32 v14, 19, v2
	v_subrev_u32_e32 v17, 28, v16
	v_and_b32_e32 v14, 15, v14
	v_lshlrev_b32_sdwa v17, v17, v2 dst_sel:DWORD dst_unused:UNUSED_PAD src0_sel:DWORD src1_sel:WORD_1
	v_bfe_u32 v15, v2, 19, 4
	v_sub_u32_e32 v16, 29, v16
	v_and_b32_e32 v17, 7, v17
	v_cmp_eq_u16_e32 vcc, 0, v14
	v_cndmask_b32_e32 v13, v13, v17, vcc
	v_cndmask_b32_e32 v14, v15, v16, vcc
	v_lshlrev_b32_e32 v15, 8, v2
	v_mov_b32_e32 v16, 0x3b800000
	v_lshlrev_b32_e32 v13, 20, v13
	v_and_b32_e32 v15, 0x80000000, v15
	v_lshl_add_u32 v14, v14, 23, v16
	v_or3_b32 v14, v15, v14, v13
.LBB8_1176:
	s_or_b64 exec, exec, s[6:7]
	s_nop 0
	v_mfma_f32_16x16x4f32 a[0:3], v12, v14, a[0:3]
	s_movk_i32 s4, 0x7f
	v_cmp_gt_i16_sdwa s[6:7], v6, s4 src0_sel:BYTE_3 src1_sel:DWORD
	s_mov_b64 s[4:5], 0
                                        ; implicit-def: $sgpr10
	s_and_saveexec_b64 s[8:9], s[6:7]
	s_xor_b64 s[6:7], exec, s[8:9]
	s_cbranch_execnz .LBB8_3225
; %bb.1177:
	s_or_saveexec_b64 s[6:7], s[6:7]
	v_mov_b32_e32 v12, s10
	s_xor_b64 exec, exec, s[6:7]
	s_cbranch_execnz .LBB8_3228
.LBB8_1178:
	s_or_b64 exec, exec, s[6:7]
	s_and_saveexec_b64 s[6:7], s[4:5]
	s_cbranch_execz .LBB8_1180
.LBB8_1179:
	v_bfe_u32 v12, v6, 24, 3
	v_ffbh_u32_e32 v16, v12
	v_min_u32_e32 v16, 32, v16
	v_lshrrev_b32_e32 v14, 27, v6
	v_subrev_u32_e32 v17, 28, v16
	v_and_b32_e32 v13, 0x80000000, v6
	v_and_b32_e32 v14, 15, v14
	v_bfe_u32 v15, v6, 27, 4
	v_lshlrev_b32_sdwa v6, v17, v6 dst_sel:DWORD dst_unused:UNUSED_PAD src0_sel:DWORD src1_sel:BYTE_3
	v_sub_u32_e32 v16, 29, v16
	v_and_b32_e32 v6, 7, v6
	v_cmp_eq_u16_e32 vcc, 0, v14
	v_cndmask_b32_e32 v6, v12, v6, vcc
	v_cndmask_b32_e32 v12, v15, v16, vcc
	v_mov_b32_e32 v14, 0x3b800000
	v_lshlrev_b32_e32 v6, 20, v6
	v_lshl_add_u32 v12, v12, 23, v14
	v_or3_b32 v12, v13, v12, v6
.LBB8_1180:
	s_or_b64 exec, exec, s[6:7]
	s_movk_i32 s4, 0x7f
	v_cmp_gt_i16_sdwa s[6:7], v2, s4 src0_sel:BYTE_3 src1_sel:DWORD
	s_mov_b64 s[4:5], 0
                                        ; implicit-def: $sgpr10
	s_and_saveexec_b64 s[8:9], s[6:7]
	s_xor_b64 s[6:7], exec, s[8:9]
	s_cbranch_execnz .LBB8_3229
; %bb.1181:
	s_or_saveexec_b64 s[6:7], s[6:7]
	v_mov_b32_e32 v6, s10
	s_xor_b64 exec, exec, s[6:7]
	s_cbranch_execnz .LBB8_3232
.LBB8_1182:
	s_or_b64 exec, exec, s[6:7]
	s_and_saveexec_b64 s[6:7], s[4:5]
	s_cbranch_execz .LBB8_1184
.LBB8_1183:
	v_bfe_u32 v6, v2, 24, 3
	v_ffbh_u32_e32 v16, v6
	v_min_u32_e32 v16, 32, v16
	v_lshrrev_b32_e32 v14, 27, v2
	v_subrev_u32_e32 v17, 28, v16
	v_and_b32_e32 v13, 0x80000000, v2
	v_and_b32_e32 v14, 15, v14
	v_bfe_u32 v15, v2, 27, 4
	v_lshlrev_b32_sdwa v2, v17, v2 dst_sel:DWORD dst_unused:UNUSED_PAD src0_sel:DWORD src1_sel:BYTE_3
	v_sub_u32_e32 v16, 29, v16
	v_and_b32_e32 v2, 7, v2
	v_cmp_eq_u16_e32 vcc, 0, v14
	v_cndmask_b32_e32 v2, v6, v2, vcc
	v_cndmask_b32_e32 v6, v15, v16, vcc
	v_mov_b32_e32 v14, 0x3b800000
	v_lshlrev_b32_e32 v2, 20, v2
	v_lshl_add_u32 v6, v6, 23, v14
	v_or3_b32 v6, v13, v6, v2
.LBB8_1184:
	s_or_b64 exec, exec, s[6:7]
	s_nop 0
	v_mfma_f32_16x16x4f32 a[0:3], v12, v6, a[0:3]
	s_movk_i32 s4, 0x7f
	v_cmp_gt_i16_sdwa s[6:7], v7, s4 src0_sel:BYTE_0 src1_sel:DWORD
	s_mov_b64 s[4:5], 0
                                        ; implicit-def: $sgpr10
	s_and_saveexec_b64 s[8:9], s[6:7]
	s_xor_b64 s[6:7], exec, s[8:9]
	s_cbranch_execnz .LBB8_3233
; %bb.1185:
	s_or_saveexec_b64 s[6:7], s[6:7]
	v_mov_b32_e32 v2, s10
	s_xor_b64 exec, exec, s[6:7]
	s_cbranch_execnz .LBB8_3236
.LBB8_1186:
	s_or_b64 exec, exec, s[6:7]
	s_and_saveexec_b64 s[6:7], s[4:5]
	s_cbranch_execz .LBB8_1188
.LBB8_1187:
	v_and_b32_e32 v2, 7, v7
	v_ffbh_u32_e32 v12, v2
	v_min_u32_e32 v12, 32, v12
	v_lshrrev_b16_e32 v6, 3, v7
	v_subrev_u32_e32 v13, 28, v12
	v_and_b32_e32 v6, 15, v6
	v_lshlrev_b32_e32 v13, v13, v7
	v_sub_u32_e32 v12, 29, v12
	v_and_b32_e32 v13, 7, v13
	v_cmp_eq_u16_e32 vcc, 0, v6
	v_cndmask_b32_e32 v2, v2, v13, vcc
	v_cndmask_b32_e32 v6, v6, v12, vcc
	v_lshlrev_b32_e32 v12, 24, v7
	v_mov_b32_e32 v13, 0x3b800000
	v_lshlrev_b32_e32 v2, 20, v2
	v_and_b32_e32 v12, 0x80000000, v12
	v_lshl_add_u32 v6, v6, 23, v13
	v_or3_b32 v2, v12, v6, v2
.LBB8_1188:
	s_or_b64 exec, exec, s[6:7]
	s_movk_i32 s4, 0x7f
	v_cmp_gt_i16_sdwa s[6:7], v3, s4 src0_sel:BYTE_0 src1_sel:DWORD
	s_mov_b64 s[4:5], 0
                                        ; implicit-def: $sgpr10
	s_and_saveexec_b64 s[8:9], s[6:7]
	s_xor_b64 s[6:7], exec, s[8:9]
	s_cbranch_execnz .LBB8_3237
; %bb.1189:
	s_or_saveexec_b64 s[6:7], s[6:7]
	v_mov_b32_e32 v6, s10
	s_xor_b64 exec, exec, s[6:7]
	s_cbranch_execnz .LBB8_3240
.LBB8_1190:
	s_or_b64 exec, exec, s[6:7]
	s_and_saveexec_b64 s[6:7], s[4:5]
	s_cbranch_execz .LBB8_1192
.LBB8_1191:
	v_and_b32_e32 v6, 7, v3
	v_ffbh_u32_e32 v13, v6
	v_min_u32_e32 v13, 32, v13
	v_lshrrev_b16_e32 v12, 3, v3
	v_subrev_u32_e32 v14, 28, v13
	v_and_b32_e32 v12, 15, v12
	v_lshlrev_b32_e32 v14, v14, v3
	v_sub_u32_e32 v13, 29, v13
	v_and_b32_e32 v14, 7, v14
	v_cmp_eq_u16_e32 vcc, 0, v12
	v_cndmask_b32_e32 v6, v6, v14, vcc
	v_cndmask_b32_e32 v12, v12, v13, vcc
	v_lshlrev_b32_e32 v13, 24, v3
	v_mov_b32_e32 v14, 0x3b800000
	v_lshlrev_b32_e32 v6, 20, v6
	v_and_b32_e32 v13, 0x80000000, v13
	v_lshl_add_u32 v12, v12, 23, v14
	v_or3_b32 v6, v13, v12, v6
.LBB8_1192:
	s_or_b64 exec, exec, s[6:7]
	s_nop 0
	v_mfma_f32_16x16x4f32 a[0:3], v2, v6, a[0:3]
	v_lshrrev_b32_e32 v6, 8, v7
	s_movk_i32 s4, 0x7f
	v_cmp_gt_i16_sdwa s[6:7], v6, s4 src0_sel:BYTE_0 src1_sel:DWORD
	s_mov_b64 s[4:5], 0
                                        ; implicit-def: $sgpr10
	s_and_saveexec_b64 s[8:9], s[6:7]
	s_xor_b64 s[6:7], exec, s[8:9]
	s_cbranch_execnz .LBB8_3241
; %bb.1193:
	s_or_saveexec_b64 s[6:7], s[6:7]
	v_mov_b32_e32 v2, s10
	s_xor_b64 exec, exec, s[6:7]
	s_cbranch_execnz .LBB8_3244
.LBB8_1194:
	s_or_b64 exec, exec, s[6:7]
	s_and_saveexec_b64 s[6:7], s[4:5]
	s_cbranch_execz .LBB8_1196
.LBB8_1195:
	v_bfe_u32 v2, v7, 8, 3
	v_ffbh_u32_e32 v13, v2
	v_min_u32_e32 v13, 32, v13
	v_lshrrev_b16_e32 v12, 3, v6
	v_subrev_u32_e32 v14, 28, v13
	v_and_b32_e32 v12, 15, v12
	v_lshlrev_b32_e32 v6, v14, v6
	v_sub_u32_e32 v13, 29, v13
	v_and_b32_e32 v6, 7, v6
	v_cmp_eq_u16_e32 vcc, 0, v12
	v_cndmask_b32_e32 v2, v2, v6, vcc
	v_cndmask_b32_e32 v6, v12, v13, vcc
	v_lshlrev_b32_e32 v12, 16, v7
	v_mov_b32_e32 v13, 0x3b800000
	v_lshlrev_b32_e32 v2, 20, v2
	v_and_b32_e32 v12, 0x80000000, v12
	v_lshl_add_u32 v6, v6, 23, v13
	v_or3_b32 v2, v12, v6, v2
.LBB8_1196:
	s_or_b64 exec, exec, s[6:7]
	v_lshrrev_b32_e32 v6, 8, v3
	s_movk_i32 s4, 0x7f
	v_cmp_gt_i16_sdwa s[6:7], v6, s4 src0_sel:BYTE_0 src1_sel:DWORD
	s_mov_b64 s[4:5], 0
                                        ; implicit-def: $sgpr10
	s_and_saveexec_b64 s[8:9], s[6:7]
	s_xor_b64 s[6:7], exec, s[8:9]
	s_cbranch_execnz .LBB8_3245
; %bb.1197:
	s_or_saveexec_b64 s[6:7], s[6:7]
	v_mov_b32_e32 v12, s10
	s_xor_b64 exec, exec, s[6:7]
	s_cbranch_execnz .LBB8_3248
.LBB8_1198:
	s_or_b64 exec, exec, s[6:7]
	s_and_saveexec_b64 s[6:7], s[4:5]
	s_cbranch_execz .LBB8_1200
.LBB8_1199:
	v_bfe_u32 v12, v3, 8, 3
	v_ffbh_u32_e32 v14, v12
	v_min_u32_e32 v14, 32, v14
	v_lshrrev_b16_e32 v13, 3, v6
	v_subrev_u32_e32 v15, 28, v14
	v_and_b32_e32 v13, 15, v13
	v_lshlrev_b32_e32 v6, v15, v6
	v_sub_u32_e32 v14, 29, v14
	v_and_b32_e32 v6, 7, v6
	v_cmp_eq_u16_e32 vcc, 0, v13
	v_cndmask_b32_e32 v6, v12, v6, vcc
	v_cndmask_b32_e32 v12, v13, v14, vcc
	v_lshlrev_b32_e32 v13, 16, v3
	v_mov_b32_e32 v14, 0x3b800000
	v_lshlrev_b32_e32 v6, 20, v6
	v_and_b32_e32 v13, 0x80000000, v13
	v_lshl_add_u32 v12, v12, 23, v14
	v_or3_b32 v12, v13, v12, v6
.LBB8_1200:
	s_or_b64 exec, exec, s[6:7]
	s_nop 0
	v_mfma_f32_16x16x4f32 a[0:3], v2, v12, a[0:3]
	s_movk_i32 s4, 0xff
	v_and_b32_sdwa v6, v7, s4 dst_sel:DWORD dst_unused:UNUSED_PAD src0_sel:WORD_1 src1_sel:DWORD
	s_movk_i32 s4, 0x7f
	v_cmp_lt_i16_e32 vcc, s4, v6
	s_mov_b64 s[4:5], 0
                                        ; implicit-def: $sgpr10
	s_and_saveexec_b64 s[6:7], vcc
	s_xor_b64 s[6:7], exec, s[6:7]
	s_cbranch_execnz .LBB8_3249
; %bb.1201:
	s_or_saveexec_b64 s[6:7], s[6:7]
	v_mov_b32_e32 v2, s10
	s_xor_b64 exec, exec, s[6:7]
	s_cbranch_execnz .LBB8_3252
.LBB8_1202:
	s_or_b64 exec, exec, s[6:7]
	s_and_saveexec_b64 s[6:7], s[4:5]
	s_cbranch_execz .LBB8_1204
.LBB8_1203:
	v_bfe_u32 v2, v7, 16, 3
	v_ffbh_u32_e32 v13, v2
	v_min_u32_e32 v13, 32, v13
	v_lshrrev_b32_e32 v6, 19, v7
	v_subrev_u32_e32 v14, 28, v13
	v_and_b32_e32 v6, 15, v6
	v_lshlrev_b32_sdwa v14, v14, v7 dst_sel:DWORD dst_unused:UNUSED_PAD src0_sel:DWORD src1_sel:WORD_1
	v_bfe_u32 v12, v7, 19, 4
	v_sub_u32_e32 v13, 29, v13
	v_and_b32_e32 v14, 7, v14
	v_cmp_eq_u16_e32 vcc, 0, v6
	v_cndmask_b32_e32 v2, v2, v14, vcc
	v_cndmask_b32_e32 v6, v12, v13, vcc
	v_lshlrev_b32_e32 v12, 8, v7
	v_mov_b32_e32 v13, 0x3b800000
	v_lshlrev_b32_e32 v2, 20, v2
	v_and_b32_e32 v12, 0x80000000, v12
	v_lshl_add_u32 v6, v6, 23, v13
	v_or3_b32 v2, v12, v6, v2
.LBB8_1204:
	s_or_b64 exec, exec, s[6:7]
	s_movk_i32 s4, 0xff
	v_and_b32_sdwa v6, v3, s4 dst_sel:DWORD dst_unused:UNUSED_PAD src0_sel:WORD_1 src1_sel:DWORD
	s_movk_i32 s4, 0x7f
	v_cmp_lt_i16_e32 vcc, s4, v6
	s_mov_b64 s[4:5], 0
                                        ; implicit-def: $sgpr10
	s_and_saveexec_b64 s[6:7], vcc
	s_xor_b64 s[6:7], exec, s[6:7]
	s_cbranch_execnz .LBB8_3253
; %bb.1205:
	s_or_saveexec_b64 s[6:7], s[6:7]
	v_mov_b32_e32 v12, s10
	s_xor_b64 exec, exec, s[6:7]
	s_cbranch_execnz .LBB8_3256
.LBB8_1206:
	s_or_b64 exec, exec, s[6:7]
	s_and_saveexec_b64 s[6:7], s[4:5]
	s_cbranch_execz .LBB8_1208
.LBB8_1207:
	v_bfe_u32 v6, v3, 16, 3
	v_ffbh_u32_e32 v14, v6
	v_min_u32_e32 v14, 32, v14
	v_lshrrev_b32_e32 v12, 19, v3
	v_subrev_u32_e32 v15, 28, v14
	v_and_b32_e32 v12, 15, v12
	v_lshlrev_b32_sdwa v15, v15, v3 dst_sel:DWORD dst_unused:UNUSED_PAD src0_sel:DWORD src1_sel:WORD_1
	v_bfe_u32 v13, v3, 19, 4
	v_sub_u32_e32 v14, 29, v14
	v_and_b32_e32 v15, 7, v15
	v_cmp_eq_u16_e32 vcc, 0, v12
	v_cndmask_b32_e32 v6, v6, v15, vcc
	v_cndmask_b32_e32 v12, v13, v14, vcc
	v_lshlrev_b32_e32 v13, 8, v3
	v_mov_b32_e32 v14, 0x3b800000
	v_lshlrev_b32_e32 v6, 20, v6
	v_and_b32_e32 v13, 0x80000000, v13
	v_lshl_add_u32 v12, v12, 23, v14
	v_or3_b32 v12, v13, v12, v6
.LBB8_1208:
	s_or_b64 exec, exec, s[6:7]
	s_nop 0
	v_mfma_f32_16x16x4f32 a[0:3], v2, v12, a[0:3]
	s_movk_i32 s4, 0x7f
	v_cmp_gt_i16_sdwa s[6:7], v7, s4 src0_sel:BYTE_3 src1_sel:DWORD
	s_mov_b64 s[4:5], 0
                                        ; implicit-def: $sgpr10
	s_and_saveexec_b64 s[8:9], s[6:7]
	s_xor_b64 s[6:7], exec, s[8:9]
	s_cbranch_execnz .LBB8_3257
; %bb.1209:
	s_or_saveexec_b64 s[6:7], s[6:7]
	v_mov_b32_e32 v2, s10
	s_xor_b64 exec, exec, s[6:7]
	s_cbranch_execnz .LBB8_3260
.LBB8_1210:
	s_or_b64 exec, exec, s[6:7]
	s_and_saveexec_b64 s[6:7], s[4:5]
	s_cbranch_execz .LBB8_1212
.LBB8_1211:
	v_bfe_u32 v2, v7, 24, 3
	v_ffbh_u32_e32 v14, v2
	v_min_u32_e32 v14, 32, v14
	v_lshrrev_b32_e32 v12, 27, v7
	v_subrev_u32_e32 v15, 28, v14
	v_and_b32_e32 v6, 0x80000000, v7
	v_and_b32_e32 v12, 15, v12
	v_bfe_u32 v13, v7, 27, 4
	v_lshlrev_b32_sdwa v7, v15, v7 dst_sel:DWORD dst_unused:UNUSED_PAD src0_sel:DWORD src1_sel:BYTE_3
	v_sub_u32_e32 v14, 29, v14
	v_and_b32_e32 v7, 7, v7
	v_cmp_eq_u16_e32 vcc, 0, v12
	v_cndmask_b32_e32 v2, v2, v7, vcc
	v_cndmask_b32_e32 v7, v13, v14, vcc
	v_mov_b32_e32 v12, 0x3b800000
	v_lshlrev_b32_e32 v2, 20, v2
	v_lshl_add_u32 v7, v7, 23, v12
	v_or3_b32 v2, v6, v7, v2
.LBB8_1212:
	s_or_b64 exec, exec, s[6:7]
	s_movk_i32 s4, 0x7f
	v_cmp_gt_i16_sdwa s[6:7], v3, s4 src0_sel:BYTE_3 src1_sel:DWORD
	s_mov_b64 s[4:5], 0
                                        ; implicit-def: $sgpr10
	s_and_saveexec_b64 s[8:9], s[6:7]
	s_xor_b64 s[6:7], exec, s[8:9]
	s_cbranch_execnz .LBB8_3261
; %bb.1213:
	s_or_saveexec_b64 s[6:7], s[6:7]
	v_mov_b32_e32 v6, s10
	s_xor_b64 exec, exec, s[6:7]
	s_cbranch_execnz .LBB8_3264
.LBB8_1214:
	s_or_b64 exec, exec, s[6:7]
	s_and_saveexec_b64 s[6:7], s[4:5]
	s_cbranch_execz .LBB8_1216
.LBB8_1215:
	v_bfe_u32 v6, v3, 24, 3
	v_ffbh_u32_e32 v14, v6
	v_min_u32_e32 v14, 32, v14
	v_lshrrev_b32_e32 v12, 27, v3
	v_subrev_u32_e32 v15, 28, v14
	v_and_b32_e32 v7, 0x80000000, v3
	v_and_b32_e32 v12, 15, v12
	v_bfe_u32 v13, v3, 27, 4
	v_lshlrev_b32_sdwa v3, v15, v3 dst_sel:DWORD dst_unused:UNUSED_PAD src0_sel:DWORD src1_sel:BYTE_3
	v_sub_u32_e32 v14, 29, v14
	v_and_b32_e32 v3, 7, v3
	v_cmp_eq_u16_e32 vcc, 0, v12
	v_cndmask_b32_e32 v3, v6, v3, vcc
	v_cndmask_b32_e32 v6, v13, v14, vcc
	v_mov_b32_e32 v12, 0x3b800000
	v_lshlrev_b32_e32 v3, 20, v3
	v_lshl_add_u32 v6, v6, 23, v12
	v_or3_b32 v6, v7, v6, v3
.LBB8_1216:
	s_or_b64 exec, exec, s[6:7]
	s_nop 0
	v_mfma_f32_16x16x4f32 a[0:3], v2, v6, a[0:3]
	s_movk_i32 s4, 0x7f
	v_cmp_gt_i16_sdwa s[6:7], v8, s4 src0_sel:BYTE_0 src1_sel:DWORD
	s_mov_b64 s[4:5], 0
                                        ; implicit-def: $sgpr10
	s_and_saveexec_b64 s[8:9], s[6:7]
	s_xor_b64 s[6:7], exec, s[8:9]
	s_cbranch_execnz .LBB8_3265
; %bb.1217:
	s_or_saveexec_b64 s[6:7], s[6:7]
	v_mov_b32_e32 v2, s10
	s_xor_b64 exec, exec, s[6:7]
	s_cbranch_execnz .LBB8_3268
.LBB8_1218:
	s_or_b64 exec, exec, s[6:7]
	s_and_saveexec_b64 s[6:7], s[4:5]
	s_cbranch_execz .LBB8_1220
.LBB8_1219:
	v_and_b32_e32 v2, 7, v8
	v_ffbh_u32_e32 v6, v2
	v_min_u32_e32 v6, 32, v6
	v_lshrrev_b16_e32 v3, 3, v8
	v_subrev_u32_e32 v7, 28, v6
	v_and_b32_e32 v3, 15, v3
	v_lshlrev_b32_e32 v7, v7, v8
	v_sub_u32_e32 v6, 29, v6
	v_and_b32_e32 v7, 7, v7
	v_cmp_eq_u16_e32 vcc, 0, v3
	v_cndmask_b32_e32 v2, v2, v7, vcc
	v_cndmask_b32_e32 v3, v3, v6, vcc
	v_lshlrev_b32_e32 v6, 24, v8
	v_mov_b32_e32 v7, 0x3b800000
	v_lshlrev_b32_e32 v2, 20, v2
	v_and_b32_e32 v6, 0x80000000, v6
	v_lshl_add_u32 v3, v3, 23, v7
	v_or3_b32 v2, v6, v3, v2
.LBB8_1220:
	s_or_b64 exec, exec, s[6:7]
	s_movk_i32 s4, 0x7f
	v_cmp_gt_i16_sdwa s[6:7], v4, s4 src0_sel:BYTE_0 src1_sel:DWORD
	s_mov_b64 s[4:5], 0
                                        ; implicit-def: $sgpr10
	s_and_saveexec_b64 s[8:9], s[6:7]
	s_xor_b64 s[6:7], exec, s[8:9]
	s_cbranch_execnz .LBB8_3269
; %bb.1221:
	s_or_saveexec_b64 s[6:7], s[6:7]
	v_mov_b32_e32 v3, s10
	s_xor_b64 exec, exec, s[6:7]
	s_cbranch_execnz .LBB8_3272
.LBB8_1222:
	s_or_b64 exec, exec, s[6:7]
	s_and_saveexec_b64 s[6:7], s[4:5]
	s_cbranch_execz .LBB8_1224
.LBB8_1223:
	v_and_b32_e32 v3, 7, v4
	v_ffbh_u32_e32 v7, v3
	v_min_u32_e32 v7, 32, v7
	v_lshrrev_b16_e32 v6, 3, v4
	v_subrev_u32_e32 v12, 28, v7
	v_and_b32_e32 v6, 15, v6
	v_lshlrev_b32_e32 v12, v12, v4
	v_sub_u32_e32 v7, 29, v7
	v_and_b32_e32 v12, 7, v12
	v_cmp_eq_u16_e32 vcc, 0, v6
	v_cndmask_b32_e32 v3, v3, v12, vcc
	v_cndmask_b32_e32 v6, v6, v7, vcc
	v_lshlrev_b32_e32 v7, 24, v4
	v_mov_b32_e32 v12, 0x3b800000
	v_lshlrev_b32_e32 v3, 20, v3
	v_and_b32_e32 v7, 0x80000000, v7
	v_lshl_add_u32 v6, v6, 23, v12
	v_or3_b32 v3, v7, v6, v3
.LBB8_1224:
	s_or_b64 exec, exec, s[6:7]
	s_nop 0
	v_mfma_f32_16x16x4f32 a[0:3], v2, v3, a[0:3]
	v_lshrrev_b32_e32 v3, 8, v8
	s_movk_i32 s4, 0x7f
	v_cmp_gt_i16_sdwa s[6:7], v3, s4 src0_sel:BYTE_0 src1_sel:DWORD
	s_mov_b64 s[4:5], 0
                                        ; implicit-def: $sgpr10
	s_and_saveexec_b64 s[8:9], s[6:7]
	s_xor_b64 s[6:7], exec, s[8:9]
	s_cbranch_execnz .LBB8_3273
; %bb.1225:
	s_or_saveexec_b64 s[6:7], s[6:7]
	v_mov_b32_e32 v2, s10
	s_xor_b64 exec, exec, s[6:7]
	s_cbranch_execnz .LBB8_3276
.LBB8_1226:
	s_or_b64 exec, exec, s[6:7]
	s_and_saveexec_b64 s[6:7], s[4:5]
	s_cbranch_execz .LBB8_1228
.LBB8_1227:
	v_bfe_u32 v2, v8, 8, 3
	v_ffbh_u32_e32 v7, v2
	v_min_u32_e32 v7, 32, v7
	v_lshrrev_b16_e32 v6, 3, v3
	v_subrev_u32_e32 v12, 28, v7
	v_and_b32_e32 v6, 15, v6
	v_lshlrev_b32_e32 v3, v12, v3
	v_sub_u32_e32 v7, 29, v7
	v_and_b32_e32 v3, 7, v3
	v_cmp_eq_u16_e32 vcc, 0, v6
	v_cndmask_b32_e32 v2, v2, v3, vcc
	v_cndmask_b32_e32 v3, v6, v7, vcc
	v_lshlrev_b32_e32 v6, 16, v8
	v_mov_b32_e32 v7, 0x3b800000
	v_lshlrev_b32_e32 v2, 20, v2
	v_and_b32_e32 v6, 0x80000000, v6
	v_lshl_add_u32 v3, v3, 23, v7
	v_or3_b32 v2, v6, v3, v2
.LBB8_1228:
	s_or_b64 exec, exec, s[6:7]
	v_lshrrev_b32_e32 v3, 8, v4
	s_movk_i32 s4, 0x7f
	v_cmp_gt_i16_sdwa s[6:7], v3, s4 src0_sel:BYTE_0 src1_sel:DWORD
	s_mov_b64 s[4:5], 0
                                        ; implicit-def: $sgpr10
	s_and_saveexec_b64 s[8:9], s[6:7]
	s_xor_b64 s[6:7], exec, s[8:9]
	s_cbranch_execnz .LBB8_3277
; %bb.1229:
	s_or_saveexec_b64 s[6:7], s[6:7]
	v_mov_b32_e32 v6, s10
	s_xor_b64 exec, exec, s[6:7]
	s_cbranch_execnz .LBB8_3280
.LBB8_1230:
	s_or_b64 exec, exec, s[6:7]
	s_and_saveexec_b64 s[6:7], s[4:5]
	s_cbranch_execz .LBB8_1232
.LBB8_1231:
	v_bfe_u32 v6, v4, 8, 3
	v_ffbh_u32_e32 v12, v6
	v_min_u32_e32 v12, 32, v12
	v_lshrrev_b16_e32 v7, 3, v3
	v_subrev_u32_e32 v13, 28, v12
	v_and_b32_e32 v7, 15, v7
	v_lshlrev_b32_e32 v3, v13, v3
	v_sub_u32_e32 v12, 29, v12
	v_and_b32_e32 v3, 7, v3
	v_cmp_eq_u16_e32 vcc, 0, v7
	v_cndmask_b32_e32 v3, v6, v3, vcc
	v_cndmask_b32_e32 v6, v7, v12, vcc
	v_lshlrev_b32_e32 v7, 16, v4
	v_mov_b32_e32 v12, 0x3b800000
	v_lshlrev_b32_e32 v3, 20, v3
	v_and_b32_e32 v7, 0x80000000, v7
	v_lshl_add_u32 v6, v6, 23, v12
	v_or3_b32 v6, v7, v6, v3
.LBB8_1232:
	s_or_b64 exec, exec, s[6:7]
	s_nop 0
	v_mfma_f32_16x16x4f32 a[0:3], v2, v6, a[0:3]
	s_movk_i32 s4, 0xff
	v_and_b32_sdwa v3, v8, s4 dst_sel:DWORD dst_unused:UNUSED_PAD src0_sel:WORD_1 src1_sel:DWORD
	s_movk_i32 s4, 0x7f
	v_cmp_lt_i16_e32 vcc, s4, v3
	s_mov_b64 s[4:5], 0
                                        ; implicit-def: $sgpr10
	s_and_saveexec_b64 s[6:7], vcc
	s_xor_b64 s[6:7], exec, s[6:7]
	s_cbranch_execnz .LBB8_3281
; %bb.1233:
	s_or_saveexec_b64 s[6:7], s[6:7]
	v_mov_b32_e32 v2, s10
	s_xor_b64 exec, exec, s[6:7]
	s_cbranch_execnz .LBB8_3284
.LBB8_1234:
	s_or_b64 exec, exec, s[6:7]
	s_and_saveexec_b64 s[6:7], s[4:5]
	s_cbranch_execz .LBB8_1236
.LBB8_1235:
	v_bfe_u32 v2, v8, 16, 3
	v_ffbh_u32_e32 v7, v2
	v_min_u32_e32 v7, 32, v7
	v_lshrrev_b32_e32 v3, 19, v8
	v_subrev_u32_e32 v12, 28, v7
	v_and_b32_e32 v3, 15, v3
	v_lshlrev_b32_sdwa v12, v12, v8 dst_sel:DWORD dst_unused:UNUSED_PAD src0_sel:DWORD src1_sel:WORD_1
	v_bfe_u32 v6, v8, 19, 4
	v_sub_u32_e32 v7, 29, v7
	v_and_b32_e32 v12, 7, v12
	v_cmp_eq_u16_e32 vcc, 0, v3
	v_cndmask_b32_e32 v2, v2, v12, vcc
	v_cndmask_b32_e32 v3, v6, v7, vcc
	v_lshlrev_b32_e32 v6, 8, v8
	v_mov_b32_e32 v7, 0x3b800000
	v_lshlrev_b32_e32 v2, 20, v2
	v_and_b32_e32 v6, 0x80000000, v6
	v_lshl_add_u32 v3, v3, 23, v7
	v_or3_b32 v2, v6, v3, v2
.LBB8_1236:
	s_or_b64 exec, exec, s[6:7]
	s_movk_i32 s4, 0xff
	v_and_b32_sdwa v3, v4, s4 dst_sel:DWORD dst_unused:UNUSED_PAD src0_sel:WORD_1 src1_sel:DWORD
	s_movk_i32 s4, 0x7f
	v_cmp_lt_i16_e32 vcc, s4, v3
	s_mov_b64 s[4:5], 0
                                        ; implicit-def: $sgpr10
	s_and_saveexec_b64 s[6:7], vcc
	s_xor_b64 s[6:7], exec, s[6:7]
	s_cbranch_execnz .LBB8_3285
; %bb.1237:
	s_or_saveexec_b64 s[6:7], s[6:7]
	v_mov_b32_e32 v6, s10
	s_xor_b64 exec, exec, s[6:7]
	s_cbranch_execnz .LBB8_3288
.LBB8_1238:
	s_or_b64 exec, exec, s[6:7]
	s_and_saveexec_b64 s[6:7], s[4:5]
	s_cbranch_execz .LBB8_1240
.LBB8_1239:
	v_bfe_u32 v3, v4, 16, 3
	v_ffbh_u32_e32 v12, v3
	v_min_u32_e32 v12, 32, v12
	v_lshrrev_b32_e32 v6, 19, v4
	v_subrev_u32_e32 v13, 28, v12
	v_and_b32_e32 v6, 15, v6
	v_lshlrev_b32_sdwa v13, v13, v4 dst_sel:DWORD dst_unused:UNUSED_PAD src0_sel:DWORD src1_sel:WORD_1
	v_bfe_u32 v7, v4, 19, 4
	v_sub_u32_e32 v12, 29, v12
	v_and_b32_e32 v13, 7, v13
	v_cmp_eq_u16_e32 vcc, 0, v6
	v_cndmask_b32_e32 v3, v3, v13, vcc
	v_cndmask_b32_e32 v6, v7, v12, vcc
	v_lshlrev_b32_e32 v7, 8, v4
	v_mov_b32_e32 v12, 0x3b800000
	v_lshlrev_b32_e32 v3, 20, v3
	v_and_b32_e32 v7, 0x80000000, v7
	v_lshl_add_u32 v6, v6, 23, v12
	v_or3_b32 v6, v7, v6, v3
.LBB8_1240:
	s_or_b64 exec, exec, s[6:7]
	s_nop 0
	v_mfma_f32_16x16x4f32 a[0:3], v2, v6, a[0:3]
	s_movk_i32 s4, 0x7f
	v_cmp_gt_i16_sdwa s[6:7], v8, s4 src0_sel:BYTE_3 src1_sel:DWORD
	s_mov_b64 s[4:5], 0
                                        ; implicit-def: $sgpr10
	s_and_saveexec_b64 s[8:9], s[6:7]
	s_xor_b64 s[6:7], exec, s[8:9]
	s_cbranch_execnz .LBB8_3289
; %bb.1241:
	s_or_saveexec_b64 s[6:7], s[6:7]
	v_mov_b32_e32 v2, s10
	s_xor_b64 exec, exec, s[6:7]
	s_cbranch_execnz .LBB8_3292
.LBB8_1242:
	s_or_b64 exec, exec, s[6:7]
	s_and_saveexec_b64 s[6:7], s[4:5]
	s_cbranch_execz .LBB8_1244
.LBB8_1243:
	v_bfe_u32 v2, v8, 24, 3
	v_ffbh_u32_e32 v12, v2
	v_min_u32_e32 v12, 32, v12
	v_lshrrev_b32_e32 v6, 27, v8
	v_subrev_u32_e32 v13, 28, v12
	v_and_b32_e32 v3, 0x80000000, v8
	v_and_b32_e32 v6, 15, v6
	v_bfe_u32 v7, v8, 27, 4
	v_lshlrev_b32_sdwa v8, v13, v8 dst_sel:DWORD dst_unused:UNUSED_PAD src0_sel:DWORD src1_sel:BYTE_3
	v_sub_u32_e32 v12, 29, v12
	v_and_b32_e32 v8, 7, v8
	v_cmp_eq_u16_e32 vcc, 0, v6
	v_cndmask_b32_e32 v2, v2, v8, vcc
	v_cndmask_b32_e32 v6, v7, v12, vcc
	v_mov_b32_e32 v7, 0x3b800000
	v_lshlrev_b32_e32 v2, 20, v2
	v_lshl_add_u32 v6, v6, 23, v7
	v_or3_b32 v2, v3, v6, v2
.LBB8_1244:
	s_or_b64 exec, exec, s[6:7]
	s_movk_i32 s4, 0x7f
	v_cmp_gt_i16_sdwa s[6:7], v4, s4 src0_sel:BYTE_3 src1_sel:DWORD
	s_mov_b64 s[4:5], 0
                                        ; implicit-def: $sgpr10
	s_and_saveexec_b64 s[8:9], s[6:7]
	s_xor_b64 s[6:7], exec, s[8:9]
	s_cbranch_execnz .LBB8_3293
; %bb.1245:
	s_or_saveexec_b64 s[6:7], s[6:7]
	v_mov_b32_e32 v3, s10
	s_xor_b64 exec, exec, s[6:7]
	s_cbranch_execnz .LBB8_3296
.LBB8_1246:
	s_or_b64 exec, exec, s[6:7]
	s_and_saveexec_b64 s[6:7], s[4:5]
	s_cbranch_execz .LBB8_1248
.LBB8_1247:
	v_bfe_u32 v3, v4, 24, 3
	v_ffbh_u32_e32 v12, v3
	v_min_u32_e32 v12, 32, v12
	v_lshrrev_b32_e32 v7, 27, v4
	v_subrev_u32_e32 v13, 28, v12
	v_and_b32_e32 v6, 0x80000000, v4
	v_and_b32_e32 v7, 15, v7
	v_bfe_u32 v8, v4, 27, 4
	v_lshlrev_b32_sdwa v4, v13, v4 dst_sel:DWORD dst_unused:UNUSED_PAD src0_sel:DWORD src1_sel:BYTE_3
	v_sub_u32_e32 v12, 29, v12
	v_and_b32_e32 v4, 7, v4
	v_cmp_eq_u16_e32 vcc, 0, v7
	v_cndmask_b32_e32 v3, v3, v4, vcc
	v_cndmask_b32_e32 v4, v8, v12, vcc
	v_mov_b32_e32 v7, 0x3b800000
	v_lshlrev_b32_e32 v3, 20, v3
	v_lshl_add_u32 v4, v4, 23, v7
	v_or3_b32 v3, v6, v4, v3
.LBB8_1248:
	s_or_b64 exec, exec, s[6:7]
	s_nop 0
	v_mfma_f32_16x16x4f32 a[0:3], v2, v3, a[0:3]
	s_movk_i32 s4, 0x7f
	v_cmp_gt_i16_sdwa s[6:7], v9, s4 src0_sel:BYTE_0 src1_sel:DWORD
	s_mov_b64 s[4:5], 0
                                        ; implicit-def: $sgpr10
	s_and_saveexec_b64 s[8:9], s[6:7]
	s_xor_b64 s[6:7], exec, s[8:9]
	s_cbranch_execnz .LBB8_3297
; %bb.1249:
	s_or_saveexec_b64 s[6:7], s[6:7]
	v_mov_b32_e32 v2, s10
	s_xor_b64 exec, exec, s[6:7]
	s_cbranch_execnz .LBB8_3300
.LBB8_1250:
	s_or_b64 exec, exec, s[6:7]
	s_and_saveexec_b64 s[6:7], s[4:5]
	s_cbranch_execz .LBB8_1252
.LBB8_1251:
	v_mov_b32_e32 v2, 8
	v_and_b32_e32 v3, 7, v9
	v_lshrrev_b32_sdwa v2, v2, v9 dst_sel:BYTE_1 dst_unused:UNUSED_PAD src0_sel:DWORD src1_sel:DWORD
	v_ffbh_u32_e32 v4, v3
	v_or_b32_sdwa v2, v9, v2 dst_sel:DWORD dst_unused:UNUSED_PAD src0_sel:BYTE_0 src1_sel:DWORD
	v_min_u32_e32 v4, 32, v4
	v_lshrrev_b16_e32 v2, 3, v2
	v_subrev_u32_e32 v6, 28, v4
	v_and_b32_e32 v2, 15, v2
	v_lshlrev_b32_e32 v6, v6, v9
	v_sub_u32_e32 v4, 29, v4
	v_and_b32_e32 v6, 7, v6
	v_cmp_eq_u16_e32 vcc, 0, v2
	v_cndmask_b32_e32 v3, v3, v6, vcc
	v_cndmask_b32_e32 v2, v2, v4, vcc
	v_lshlrev_b32_e32 v4, 24, v9
	v_mov_b32_e32 v6, 0x3b800000
	v_lshlrev_b32_e32 v3, 20, v3
	v_and_b32_e32 v4, 0x80000000, v4
	v_lshl_add_u32 v2, v2, 23, v6
	v_or3_b32 v2, v4, v2, v3
.LBB8_1252:
	s_or_b64 exec, exec, s[6:7]
	s_movk_i32 s4, 0x7f
	v_cmp_gt_i16_sdwa s[6:7], v5, s4 src0_sel:BYTE_0 src1_sel:DWORD
	s_mov_b64 s[4:5], 0
                                        ; implicit-def: $sgpr10
	s_and_saveexec_b64 s[8:9], s[6:7]
	s_xor_b64 s[6:7], exec, s[8:9]
	s_cbranch_execnz .LBB8_3301
; %bb.1253:
	s_or_saveexec_b64 s[6:7], s[6:7]
	v_mov_b32_e32 v3, s10
	s_xor_b64 exec, exec, s[6:7]
	s_cbranch_execnz .LBB8_3304
.LBB8_1254:
	s_or_b64 exec, exec, s[6:7]
	s_and_saveexec_b64 s[6:7], s[4:5]
	s_cbranch_execz .LBB8_1256
.LBB8_1255:
	v_mov_b32_e32 v3, 8
	v_and_b32_e32 v4, 7, v5
	v_lshrrev_b32_sdwa v3, v3, v5 dst_sel:BYTE_1 dst_unused:UNUSED_PAD src0_sel:DWORD src1_sel:DWORD
	v_ffbh_u32_e32 v6, v4
	v_or_b32_sdwa v3, v5, v3 dst_sel:DWORD dst_unused:UNUSED_PAD src0_sel:BYTE_0 src1_sel:DWORD
	v_min_u32_e32 v6, 32, v6
	v_lshrrev_b16_e32 v3, 3, v3
	v_subrev_u32_e32 v7, 28, v6
	v_and_b32_e32 v3, 15, v3
	v_lshlrev_b32_e32 v7, v7, v5
	v_sub_u32_e32 v6, 29, v6
	v_and_b32_e32 v7, 7, v7
	v_cmp_eq_u16_e32 vcc, 0, v3
	v_cndmask_b32_e32 v4, v4, v7, vcc
	v_cndmask_b32_e32 v3, v3, v6, vcc
	v_lshlrev_b32_e32 v6, 24, v5
	v_mov_b32_e32 v7, 0x3b800000
	v_lshlrev_b32_e32 v4, 20, v4
	v_and_b32_e32 v6, 0x80000000, v6
	v_lshl_add_u32 v3, v3, 23, v7
	v_or3_b32 v3, v6, v3, v4
.LBB8_1256:
	s_or_b64 exec, exec, s[6:7]
	s_nop 0
	v_mfma_f32_16x16x4f32 a[0:3], v2, v3, a[0:3]
	v_lshrrev_b32_e32 v3, 8, v9
	s_movk_i32 s4, 0x7f
	v_cmp_gt_i16_sdwa s[6:7], v3, s4 src0_sel:BYTE_0 src1_sel:DWORD
	s_mov_b64 s[4:5], 0
                                        ; implicit-def: $sgpr10
	s_and_saveexec_b64 s[8:9], s[6:7]
	s_xor_b64 s[6:7], exec, s[8:9]
	s_cbranch_execnz .LBB8_3305
; %bb.1257:
	s_or_saveexec_b64 s[6:7], s[6:7]
	v_mov_b32_e32 v2, s10
	s_xor_b64 exec, exec, s[6:7]
	s_cbranch_execnz .LBB8_3308
.LBB8_1258:
	s_or_b64 exec, exec, s[6:7]
	s_and_saveexec_b64 s[6:7], s[4:5]
	s_cbranch_execz .LBB8_1260
.LBB8_1259:
	v_bfe_u32 v2, v9, 8, 3
	v_ffbh_u32_e32 v6, v2
	v_min_u32_e32 v6, 32, v6
	v_lshrrev_b16_e32 v4, 3, v3
	v_subrev_u32_e32 v7, 28, v6
	v_and_b32_e32 v4, 15, v4
	v_lshlrev_b32_e32 v3, v7, v3
	v_sub_u32_e32 v6, 29, v6
	v_and_b32_e32 v3, 7, v3
	v_cmp_eq_u16_e32 vcc, 0, v4
	v_cndmask_b32_e32 v2, v2, v3, vcc
	v_cndmask_b32_e32 v3, v4, v6, vcc
	v_lshlrev_b32_e32 v4, 16, v9
	v_mov_b32_e32 v6, 0x3b800000
	v_lshlrev_b32_e32 v2, 20, v2
	v_and_b32_e32 v4, 0x80000000, v4
	v_lshl_add_u32 v3, v3, 23, v6
	v_or3_b32 v2, v4, v3, v2
.LBB8_1260:
	s_or_b64 exec, exec, s[6:7]
	v_lshrrev_b32_e32 v3, 8, v5
	s_movk_i32 s4, 0x7f
	v_cmp_gt_i16_sdwa s[6:7], v3, s4 src0_sel:BYTE_0 src1_sel:DWORD
	s_mov_b64 s[4:5], 0
                                        ; implicit-def: $sgpr10
	s_and_saveexec_b64 s[8:9], s[6:7]
	s_xor_b64 s[6:7], exec, s[8:9]
	s_cbranch_execnz .LBB8_3309
; %bb.1261:
	s_or_saveexec_b64 s[6:7], s[6:7]
	v_mov_b32_e32 v4, s10
	s_xor_b64 exec, exec, s[6:7]
	s_cbranch_execnz .LBB8_3312
.LBB8_1262:
	s_or_b64 exec, exec, s[6:7]
	s_and_saveexec_b64 s[6:7], s[4:5]
	s_cbranch_execz .LBB8_1264
.LBB8_1263:
	v_bfe_u32 v4, v5, 8, 3
	v_ffbh_u32_e32 v7, v4
	v_min_u32_e32 v7, 32, v7
	v_lshrrev_b16_e32 v6, 3, v3
	v_subrev_u32_e32 v8, 28, v7
	v_and_b32_e32 v6, 15, v6
	v_lshlrev_b32_e32 v3, v8, v3
	v_sub_u32_e32 v7, 29, v7
	v_and_b32_e32 v3, 7, v3
	v_cmp_eq_u16_e32 vcc, 0, v6
	v_cndmask_b32_e32 v3, v4, v3, vcc
	v_cndmask_b32_e32 v4, v6, v7, vcc
	v_lshlrev_b32_e32 v6, 16, v5
	v_mov_b32_e32 v7, 0x3b800000
	v_lshlrev_b32_e32 v3, 20, v3
	v_and_b32_e32 v6, 0x80000000, v6
	v_lshl_add_u32 v4, v4, 23, v7
	v_or3_b32 v4, v6, v4, v3
.LBB8_1264:
	s_or_b64 exec, exec, s[6:7]
	s_nop 0
	v_mfma_f32_16x16x4f32 a[0:3], v2, v4, a[0:3]
	s_movk_i32 s4, 0xff
	v_and_b32_sdwa v3, v9, s4 dst_sel:DWORD dst_unused:UNUSED_PAD src0_sel:WORD_1 src1_sel:DWORD
	s_movk_i32 s4, 0x7f
	v_cmp_lt_i16_e32 vcc, s4, v3
	s_mov_b64 s[4:5], 0
                                        ; implicit-def: $sgpr10
	s_and_saveexec_b64 s[6:7], vcc
	s_xor_b64 s[6:7], exec, s[6:7]
	s_cbranch_execnz .LBB8_3313
; %bb.1265:
	s_or_saveexec_b64 s[6:7], s[6:7]
	v_mov_b32_e32 v2, s10
	s_xor_b64 exec, exec, s[6:7]
	s_cbranch_execnz .LBB8_3316
.LBB8_1266:
	s_or_b64 exec, exec, s[6:7]
	s_and_saveexec_b64 s[6:7], s[4:5]
	s_cbranch_execz .LBB8_1268
.LBB8_1267:
	v_bfe_u32 v2, v9, 16, 3
	v_ffbh_u32_e32 v6, v2
	v_min_u32_e32 v6, 32, v6
	v_lshrrev_b32_e32 v3, 19, v9
	v_subrev_u32_e32 v7, 28, v6
	v_and_b32_e32 v3, 15, v3
	v_lshlrev_b32_sdwa v7, v7, v9 dst_sel:DWORD dst_unused:UNUSED_PAD src0_sel:DWORD src1_sel:WORD_1
	v_bfe_u32 v4, v9, 19, 4
	v_sub_u32_e32 v6, 29, v6
	v_and_b32_e32 v7, 7, v7
	v_cmp_eq_u16_e32 vcc, 0, v3
	v_cndmask_b32_e32 v2, v2, v7, vcc
	v_cndmask_b32_e32 v3, v4, v6, vcc
	v_lshlrev_b32_e32 v4, 8, v9
	v_mov_b32_e32 v6, 0x3b800000
	v_lshlrev_b32_e32 v2, 20, v2
	v_and_b32_e32 v4, 0x80000000, v4
	v_lshl_add_u32 v3, v3, 23, v6
	v_or3_b32 v2, v4, v3, v2
.LBB8_1268:
	s_or_b64 exec, exec, s[6:7]
	s_movk_i32 s4, 0xff
	v_and_b32_sdwa v3, v5, s4 dst_sel:DWORD dst_unused:UNUSED_PAD src0_sel:WORD_1 src1_sel:DWORD
	s_movk_i32 s4, 0x7f
	v_cmp_lt_i16_e32 vcc, s4, v3
	s_mov_b64 s[4:5], 0
                                        ; implicit-def: $sgpr10
	s_and_saveexec_b64 s[6:7], vcc
	s_xor_b64 s[6:7], exec, s[6:7]
	s_cbranch_execnz .LBB8_3317
; %bb.1269:
	s_or_saveexec_b64 s[6:7], s[6:7]
	v_mov_b32_e32 v4, s10
	s_xor_b64 exec, exec, s[6:7]
	s_cbranch_execnz .LBB8_3320
.LBB8_1270:
	s_or_b64 exec, exec, s[6:7]
	s_and_saveexec_b64 s[6:7], s[4:5]
	s_cbranch_execz .LBB8_1272
.LBB8_1271:
	v_bfe_u32 v3, v5, 16, 3
	v_ffbh_u32_e32 v7, v3
	v_min_u32_e32 v7, 32, v7
	v_lshrrev_b32_e32 v4, 19, v5
	v_subrev_u32_e32 v8, 28, v7
	v_and_b32_e32 v4, 15, v4
	v_lshlrev_b32_sdwa v8, v8, v5 dst_sel:DWORD dst_unused:UNUSED_PAD src0_sel:DWORD src1_sel:WORD_1
	v_bfe_u32 v6, v5, 19, 4
	v_sub_u32_e32 v7, 29, v7
	v_and_b32_e32 v8, 7, v8
	v_cmp_eq_u16_e32 vcc, 0, v4
	v_cndmask_b32_e32 v3, v3, v8, vcc
	v_cndmask_b32_e32 v4, v6, v7, vcc
	v_lshlrev_b32_e32 v6, 8, v5
	v_mov_b32_e32 v7, 0x3b800000
	v_lshlrev_b32_e32 v3, 20, v3
	v_and_b32_e32 v6, 0x80000000, v6
	v_lshl_add_u32 v4, v4, 23, v7
	v_or3_b32 v4, v6, v4, v3
.LBB8_1272:
	s_or_b64 exec, exec, s[6:7]
	s_nop 0
	v_mfma_f32_16x16x4f32 a[0:3], v2, v4, a[0:3]
	s_movk_i32 s4, 0x7f
	v_cmp_gt_i16_sdwa s[6:7], v9, s4 src0_sel:BYTE_3 src1_sel:DWORD
	s_mov_b64 s[4:5], 0
                                        ; implicit-def: $sgpr10
	s_and_saveexec_b64 s[8:9], s[6:7]
	s_xor_b64 s[6:7], exec, s[8:9]
	s_cbranch_execnz .LBB8_3321
; %bb.1273:
	s_or_saveexec_b64 s[6:7], s[6:7]
	v_mov_b32_e32 v2, s10
	s_xor_b64 exec, exec, s[6:7]
	s_cbranch_execnz .LBB8_3324
.LBB8_1274:
	s_or_b64 exec, exec, s[6:7]
	s_and_saveexec_b64 s[6:7], s[4:5]
	s_cbranch_execz .LBB8_1276
.LBB8_1275:
	v_bfe_u32 v2, v9, 24, 3
	v_ffbh_u32_e32 v7, v2
	v_min_u32_e32 v7, 32, v7
	v_lshrrev_b32_e32 v4, 27, v9
	v_subrev_u32_e32 v8, 28, v7
	v_and_b32_e32 v4, 15, v4
	v_lshlrev_b32_sdwa v8, v8, v9 dst_sel:DWORD dst_unused:UNUSED_PAD src0_sel:DWORD src1_sel:BYTE_3
	v_bfe_u32 v6, v9, 27, 4
	v_sub_u32_e32 v7, 29, v7
	v_and_b32_e32 v8, 7, v8
	v_cmp_eq_u16_e32 vcc, 0, v4
	v_cndmask_b32_e32 v2, v2, v8, vcc
	v_cndmask_b32_e32 v4, v6, v7, vcc
	v_mov_b32_e32 v6, 0x3b800000
	v_and_b32_e32 v3, 0x80000000, v9
	v_lshlrev_b32_e32 v2, 20, v2
	v_lshl_add_u32 v4, v4, 23, v6
	v_or3_b32 v2, v3, v4, v2
.LBB8_1276:
	s_or_b64 exec, exec, s[6:7]
	s_movk_i32 s4, 0x7f
	v_cmp_gt_i16_sdwa s[6:7], v5, s4 src0_sel:BYTE_3 src1_sel:DWORD
	s_mov_b64 s[4:5], 0
                                        ; implicit-def: $sgpr10
	s_and_saveexec_b64 s[8:9], s[6:7]
	s_xor_b64 s[6:7], exec, s[8:9]
	s_cbranch_execnz .LBB8_3325
; %bb.1277:
	s_or_saveexec_b64 s[6:7], s[6:7]
	v_mov_b32_e32 v3, s10
	s_xor_b64 exec, exec, s[6:7]
	s_cbranch_execnz .LBB8_3328
.LBB8_1278:
	s_or_b64 exec, exec, s[6:7]
	s_and_saveexec_b64 s[6:7], s[4:5]
	s_cbranch_execz .LBB8_1280
.LBB8_1279:
	v_bfe_u32 v3, v5, 24, 3
	v_ffbh_u32_e32 v8, v3
	v_min_u32_e32 v8, 32, v8
	v_lshrrev_b32_e32 v6, 27, v5
	v_subrev_u32_e32 v9, 28, v8
	v_and_b32_e32 v4, 0x80000000, v5
	v_and_b32_e32 v6, 15, v6
	v_bfe_u32 v7, v5, 27, 4
	v_lshlrev_b32_sdwa v5, v9, v5 dst_sel:DWORD dst_unused:UNUSED_PAD src0_sel:DWORD src1_sel:BYTE_3
	v_sub_u32_e32 v8, 29, v8
	v_and_b32_e32 v5, 7, v5
	v_cmp_eq_u16_e32 vcc, 0, v6
	v_cndmask_b32_e32 v3, v3, v5, vcc
	v_cndmask_b32_e32 v5, v7, v8, vcc
	v_mov_b32_e32 v6, 0x3b800000
	v_lshlrev_b32_e32 v3, 20, v3
	v_lshl_add_u32 v5, v5, 23, v6
	v_or3_b32 v3, v4, v5, v3
.LBB8_1280:
	s_or_b64 exec, exec, s[6:7]
	s_nop 0
	v_mfma_f32_16x16x4f32 a[0:3], v2, v3, a[0:3]
	s_movk_i32 s4, 0x7f
                                        ; implicit-def: $sgpr10
	s_nop 7
	s_nop 1
	flat_store_dwordx4 v[10:11], a[0:3] offset:144
	flat_load_dwordx4 v[12:15], v[0:1] offset:8
	s_nop 0
	flat_load_dwordx2 v[10:11], v[0:1] offset:32
	s_waitcnt vmcnt(0) lgkmcnt(0)
	flat_load_dwordx4 v[6:9], v[12:13] offset:64
	flat_load_dwordx4 v[2:5], v[14:15] offset:64
	s_waitcnt vmcnt(0) lgkmcnt(0)
	v_cmp_gt_i16_sdwa s[6:7], v6, s4 src0_sel:BYTE_0 src1_sel:DWORD
	s_mov_b64 s[4:5], 0
	s_and_saveexec_b64 s[8:9], s[6:7]
	s_xor_b64 s[6:7], exec, s[8:9]
	s_cbranch_execnz .LBB8_3329
; %bb.1281:
	s_or_saveexec_b64 s[6:7], s[6:7]
	v_mov_b32_e32 v12, s10
	s_xor_b64 exec, exec, s[6:7]
	s_cbranch_execnz .LBB8_3332
.LBB8_1282:
	s_or_b64 exec, exec, s[6:7]
	s_and_saveexec_b64 s[6:7], s[4:5]
	s_cbranch_execz .LBB8_1284
.LBB8_1283:
	v_and_b32_e32 v12, 7, v6
	v_ffbh_u32_e32 v14, v12
	v_min_u32_e32 v14, 32, v14
	v_lshrrev_b16_e32 v13, 3, v6
	v_subrev_u32_e32 v15, 28, v14
	v_and_b32_e32 v13, 15, v13
	v_lshlrev_b32_e32 v15, v15, v6
	v_sub_u32_e32 v14, 29, v14
	v_and_b32_e32 v15, 7, v15
	v_cmp_eq_u16_e32 vcc, 0, v13
	v_cndmask_b32_e32 v12, v12, v15, vcc
	v_cndmask_b32_e32 v13, v13, v14, vcc
	v_lshlrev_b32_e32 v14, 24, v6
	v_mov_b32_e32 v15, 0x3b800000
	v_lshlrev_b32_e32 v12, 20, v12
	v_and_b32_e32 v14, 0x80000000, v14
	v_lshl_add_u32 v13, v13, 23, v15
	v_or3_b32 v12, v14, v13, v12
.LBB8_1284:
	s_or_b64 exec, exec, s[6:7]
	s_movk_i32 s4, 0x7f
	v_cmp_gt_i16_sdwa s[6:7], v2, s4 src0_sel:BYTE_0 src1_sel:DWORD
	s_mov_b64 s[4:5], 0
                                        ; implicit-def: $sgpr10
	s_and_saveexec_b64 s[8:9], s[6:7]
	s_xor_b64 s[6:7], exec, s[8:9]
	s_cbranch_execnz .LBB8_3333
; %bb.1285:
	s_or_saveexec_b64 s[6:7], s[6:7]
	v_mov_b32_e32 v13, s10
	s_xor_b64 exec, exec, s[6:7]
	s_cbranch_execnz .LBB8_3336
.LBB8_1286:
	s_or_b64 exec, exec, s[6:7]
	s_and_saveexec_b64 s[6:7], s[4:5]
	s_cbranch_execz .LBB8_1288
.LBB8_1287:
	v_and_b32_e32 v13, 7, v2
	v_ffbh_u32_e32 v15, v13
	v_min_u32_e32 v15, 32, v15
	v_lshrrev_b16_e32 v14, 3, v2
	v_subrev_u32_e32 v16, 28, v15
	v_and_b32_e32 v14, 15, v14
	v_lshlrev_b32_e32 v16, v16, v2
	v_sub_u32_e32 v15, 29, v15
	v_and_b32_e32 v16, 7, v16
	v_cmp_eq_u16_e32 vcc, 0, v14
	v_cndmask_b32_e32 v13, v13, v16, vcc
	v_cndmask_b32_e32 v14, v14, v15, vcc
	v_lshlrev_b32_e32 v15, 24, v2
	v_mov_b32_e32 v16, 0x3b800000
	v_lshlrev_b32_e32 v13, 20, v13
	v_and_b32_e32 v15, 0x80000000, v15
	v_lshl_add_u32 v14, v14, 23, v16
	v_or3_b32 v13, v15, v14, v13
.LBB8_1288:
	s_or_b64 exec, exec, s[6:7]
	flat_load_dwordx4 a[0:3], v[10:11] offset:160
	s_movk_i32 s4, 0x7f
                                        ; implicit-def: $sgpr10
	s_waitcnt vmcnt(0) lgkmcnt(0)
	v_mfma_f32_16x16x4f32 a[0:3], v12, v13, a[0:3]
	v_lshrrev_b32_e32 v13, 8, v6
	v_cmp_gt_i16_sdwa s[6:7], v13, s4 src0_sel:BYTE_0 src1_sel:DWORD
	s_mov_b64 s[4:5], 0
	s_and_saveexec_b64 s[8:9], s[6:7]
	s_xor_b64 s[6:7], exec, s[8:9]
	s_cbranch_execnz .LBB8_3337
; %bb.1289:
	s_or_saveexec_b64 s[6:7], s[6:7]
	v_mov_b32_e32 v12, s10
	s_xor_b64 exec, exec, s[6:7]
	s_cbranch_execnz .LBB8_3340
.LBB8_1290:
	s_or_b64 exec, exec, s[6:7]
	s_and_saveexec_b64 s[6:7], s[4:5]
	s_cbranch_execz .LBB8_1292
.LBB8_1291:
	v_bfe_u32 v12, v6, 8, 3
	v_ffbh_u32_e32 v15, v12
	v_min_u32_e32 v15, 32, v15
	v_lshrrev_b16_e32 v14, 3, v13
	v_subrev_u32_e32 v16, 28, v15
	v_and_b32_e32 v14, 15, v14
	v_lshlrev_b32_e32 v13, v16, v13
	v_sub_u32_e32 v15, 29, v15
	v_and_b32_e32 v13, 7, v13
	v_cmp_eq_u16_e32 vcc, 0, v14
	v_cndmask_b32_e32 v12, v12, v13, vcc
	v_cndmask_b32_e32 v13, v14, v15, vcc
	v_lshlrev_b32_e32 v14, 16, v6
	v_mov_b32_e32 v15, 0x3b800000
	v_lshlrev_b32_e32 v12, 20, v12
	v_and_b32_e32 v14, 0x80000000, v14
	v_lshl_add_u32 v13, v13, 23, v15
	v_or3_b32 v12, v14, v13, v12
.LBB8_1292:
	s_or_b64 exec, exec, s[6:7]
	v_lshrrev_b32_e32 v13, 8, v2
	s_movk_i32 s4, 0x7f
	v_cmp_gt_i16_sdwa s[6:7], v13, s4 src0_sel:BYTE_0 src1_sel:DWORD
	s_mov_b64 s[4:5], 0
                                        ; implicit-def: $sgpr10
	s_and_saveexec_b64 s[8:9], s[6:7]
	s_xor_b64 s[6:7], exec, s[8:9]
	s_cbranch_execnz .LBB8_3341
; %bb.1293:
	s_or_saveexec_b64 s[6:7], s[6:7]
	v_mov_b32_e32 v14, s10
	s_xor_b64 exec, exec, s[6:7]
	s_cbranch_execnz .LBB8_3344
.LBB8_1294:
	s_or_b64 exec, exec, s[6:7]
	s_and_saveexec_b64 s[6:7], s[4:5]
	s_cbranch_execz .LBB8_1296
.LBB8_1295:
	v_bfe_u32 v14, v2, 8, 3
	v_ffbh_u32_e32 v16, v14
	v_min_u32_e32 v16, 32, v16
	v_lshrrev_b16_e32 v15, 3, v13
	v_subrev_u32_e32 v17, 28, v16
	v_and_b32_e32 v15, 15, v15
	v_lshlrev_b32_e32 v13, v17, v13
	v_sub_u32_e32 v16, 29, v16
	v_and_b32_e32 v13, 7, v13
	v_cmp_eq_u16_e32 vcc, 0, v15
	v_cndmask_b32_e32 v13, v14, v13, vcc
	v_cndmask_b32_e32 v14, v15, v16, vcc
	v_lshlrev_b32_e32 v15, 16, v2
	v_mov_b32_e32 v16, 0x3b800000
	v_lshlrev_b32_e32 v13, 20, v13
	v_and_b32_e32 v15, 0x80000000, v15
	v_lshl_add_u32 v14, v14, 23, v16
	v_or3_b32 v14, v15, v14, v13
.LBB8_1296:
	s_or_b64 exec, exec, s[6:7]
	s_nop 0
	v_mfma_f32_16x16x4f32 a[0:3], v12, v14, a[0:3]
	s_movk_i32 s4, 0xff
	v_and_b32_sdwa v13, v6, s4 dst_sel:DWORD dst_unused:UNUSED_PAD src0_sel:WORD_1 src1_sel:DWORD
	s_movk_i32 s4, 0x7f
	v_cmp_lt_i16_e32 vcc, s4, v13
	s_mov_b64 s[4:5], 0
                                        ; implicit-def: $sgpr10
	s_and_saveexec_b64 s[6:7], vcc
	s_xor_b64 s[6:7], exec, s[6:7]
	s_cbranch_execnz .LBB8_3345
; %bb.1297:
	s_or_saveexec_b64 s[6:7], s[6:7]
	v_mov_b32_e32 v12, s10
	s_xor_b64 exec, exec, s[6:7]
	s_cbranch_execnz .LBB8_3348
.LBB8_1298:
	s_or_b64 exec, exec, s[6:7]
	s_and_saveexec_b64 s[6:7], s[4:5]
	s_cbranch_execz .LBB8_1300
.LBB8_1299:
	v_bfe_u32 v12, v6, 16, 3
	v_ffbh_u32_e32 v15, v12
	v_min_u32_e32 v15, 32, v15
	v_lshrrev_b32_e32 v13, 19, v6
	v_subrev_u32_e32 v16, 28, v15
	v_and_b32_e32 v13, 15, v13
	v_lshlrev_b32_sdwa v16, v16, v6 dst_sel:DWORD dst_unused:UNUSED_PAD src0_sel:DWORD src1_sel:WORD_1
	v_bfe_u32 v14, v6, 19, 4
	v_sub_u32_e32 v15, 29, v15
	v_and_b32_e32 v16, 7, v16
	v_cmp_eq_u16_e32 vcc, 0, v13
	v_cndmask_b32_e32 v12, v12, v16, vcc
	v_cndmask_b32_e32 v13, v14, v15, vcc
	v_lshlrev_b32_e32 v14, 8, v6
	v_mov_b32_e32 v15, 0x3b800000
	v_lshlrev_b32_e32 v12, 20, v12
	v_and_b32_e32 v14, 0x80000000, v14
	v_lshl_add_u32 v13, v13, 23, v15
	v_or3_b32 v12, v14, v13, v12
.LBB8_1300:
	s_or_b64 exec, exec, s[6:7]
	s_movk_i32 s4, 0xff
	v_and_b32_sdwa v13, v2, s4 dst_sel:DWORD dst_unused:UNUSED_PAD src0_sel:WORD_1 src1_sel:DWORD
	s_movk_i32 s4, 0x7f
	v_cmp_lt_i16_e32 vcc, s4, v13
	s_mov_b64 s[4:5], 0
                                        ; implicit-def: $sgpr10
	s_and_saveexec_b64 s[6:7], vcc
	s_xor_b64 s[6:7], exec, s[6:7]
	s_cbranch_execnz .LBB8_3349
; %bb.1301:
	s_or_saveexec_b64 s[6:7], s[6:7]
	v_mov_b32_e32 v14, s10
	s_xor_b64 exec, exec, s[6:7]
	s_cbranch_execnz .LBB8_3352
.LBB8_1302:
	s_or_b64 exec, exec, s[6:7]
	s_and_saveexec_b64 s[6:7], s[4:5]
	s_cbranch_execz .LBB8_1304
.LBB8_1303:
	v_bfe_u32 v13, v2, 16, 3
	v_ffbh_u32_e32 v16, v13
	v_min_u32_e32 v16, 32, v16
	v_lshrrev_b32_e32 v14, 19, v2
	v_subrev_u32_e32 v17, 28, v16
	v_and_b32_e32 v14, 15, v14
	v_lshlrev_b32_sdwa v17, v17, v2 dst_sel:DWORD dst_unused:UNUSED_PAD src0_sel:DWORD src1_sel:WORD_1
	v_bfe_u32 v15, v2, 19, 4
	v_sub_u32_e32 v16, 29, v16
	v_and_b32_e32 v17, 7, v17
	v_cmp_eq_u16_e32 vcc, 0, v14
	v_cndmask_b32_e32 v13, v13, v17, vcc
	v_cndmask_b32_e32 v14, v15, v16, vcc
	v_lshlrev_b32_e32 v15, 8, v2
	v_mov_b32_e32 v16, 0x3b800000
	v_lshlrev_b32_e32 v13, 20, v13
	v_and_b32_e32 v15, 0x80000000, v15
	v_lshl_add_u32 v14, v14, 23, v16
	v_or3_b32 v14, v15, v14, v13
.LBB8_1304:
	s_or_b64 exec, exec, s[6:7]
	s_nop 0
	v_mfma_f32_16x16x4f32 a[0:3], v12, v14, a[0:3]
	s_movk_i32 s4, 0x7f
	v_cmp_gt_i16_sdwa s[6:7], v6, s4 src0_sel:BYTE_3 src1_sel:DWORD
	s_mov_b64 s[4:5], 0
                                        ; implicit-def: $sgpr10
	s_and_saveexec_b64 s[8:9], s[6:7]
	s_xor_b64 s[6:7], exec, s[8:9]
	s_cbranch_execnz .LBB8_3353
; %bb.1305:
	s_or_saveexec_b64 s[6:7], s[6:7]
	v_mov_b32_e32 v12, s10
	s_xor_b64 exec, exec, s[6:7]
	s_cbranch_execnz .LBB8_3356
.LBB8_1306:
	s_or_b64 exec, exec, s[6:7]
	s_and_saveexec_b64 s[6:7], s[4:5]
	s_cbranch_execz .LBB8_1308
.LBB8_1307:
	v_bfe_u32 v12, v6, 24, 3
	v_ffbh_u32_e32 v16, v12
	v_min_u32_e32 v16, 32, v16
	v_lshrrev_b32_e32 v14, 27, v6
	v_subrev_u32_e32 v17, 28, v16
	v_and_b32_e32 v13, 0x80000000, v6
	v_and_b32_e32 v14, 15, v14
	v_bfe_u32 v15, v6, 27, 4
	v_lshlrev_b32_sdwa v6, v17, v6 dst_sel:DWORD dst_unused:UNUSED_PAD src0_sel:DWORD src1_sel:BYTE_3
	v_sub_u32_e32 v16, 29, v16
	v_and_b32_e32 v6, 7, v6
	v_cmp_eq_u16_e32 vcc, 0, v14
	v_cndmask_b32_e32 v6, v12, v6, vcc
	v_cndmask_b32_e32 v12, v15, v16, vcc
	v_mov_b32_e32 v14, 0x3b800000
	v_lshlrev_b32_e32 v6, 20, v6
	v_lshl_add_u32 v12, v12, 23, v14
	v_or3_b32 v12, v13, v12, v6
.LBB8_1308:
	s_or_b64 exec, exec, s[6:7]
	s_movk_i32 s4, 0x7f
	v_cmp_gt_i16_sdwa s[6:7], v2, s4 src0_sel:BYTE_3 src1_sel:DWORD
	s_mov_b64 s[4:5], 0
                                        ; implicit-def: $sgpr10
	s_and_saveexec_b64 s[8:9], s[6:7]
	s_xor_b64 s[6:7], exec, s[8:9]
	s_cbranch_execnz .LBB8_3357
; %bb.1309:
	s_or_saveexec_b64 s[6:7], s[6:7]
	v_mov_b32_e32 v6, s10
	s_xor_b64 exec, exec, s[6:7]
	s_cbranch_execnz .LBB8_3360
.LBB8_1310:
	s_or_b64 exec, exec, s[6:7]
	s_and_saveexec_b64 s[6:7], s[4:5]
	s_cbranch_execz .LBB8_1312
.LBB8_1311:
	v_bfe_u32 v6, v2, 24, 3
	v_ffbh_u32_e32 v16, v6
	v_min_u32_e32 v16, 32, v16
	v_lshrrev_b32_e32 v14, 27, v2
	v_subrev_u32_e32 v17, 28, v16
	v_and_b32_e32 v13, 0x80000000, v2
	v_and_b32_e32 v14, 15, v14
	v_bfe_u32 v15, v2, 27, 4
	v_lshlrev_b32_sdwa v2, v17, v2 dst_sel:DWORD dst_unused:UNUSED_PAD src0_sel:DWORD src1_sel:BYTE_3
	v_sub_u32_e32 v16, 29, v16
	v_and_b32_e32 v2, 7, v2
	v_cmp_eq_u16_e32 vcc, 0, v14
	v_cndmask_b32_e32 v2, v6, v2, vcc
	v_cndmask_b32_e32 v6, v15, v16, vcc
	v_mov_b32_e32 v14, 0x3b800000
	v_lshlrev_b32_e32 v2, 20, v2
	v_lshl_add_u32 v6, v6, 23, v14
	v_or3_b32 v6, v13, v6, v2
.LBB8_1312:
	s_or_b64 exec, exec, s[6:7]
	s_nop 0
	v_mfma_f32_16x16x4f32 a[0:3], v12, v6, a[0:3]
	s_movk_i32 s4, 0x7f
	v_cmp_gt_i16_sdwa s[6:7], v7, s4 src0_sel:BYTE_0 src1_sel:DWORD
	s_mov_b64 s[4:5], 0
                                        ; implicit-def: $sgpr10
	s_and_saveexec_b64 s[8:9], s[6:7]
	s_xor_b64 s[6:7], exec, s[8:9]
	s_cbranch_execnz .LBB8_3361
; %bb.1313:
	s_or_saveexec_b64 s[6:7], s[6:7]
	v_mov_b32_e32 v2, s10
	s_xor_b64 exec, exec, s[6:7]
	s_cbranch_execnz .LBB8_3364
.LBB8_1314:
	s_or_b64 exec, exec, s[6:7]
	s_and_saveexec_b64 s[6:7], s[4:5]
	s_cbranch_execz .LBB8_1316
.LBB8_1315:
	v_and_b32_e32 v2, 7, v7
	v_ffbh_u32_e32 v12, v2
	v_min_u32_e32 v12, 32, v12
	v_lshrrev_b16_e32 v6, 3, v7
	v_subrev_u32_e32 v13, 28, v12
	v_and_b32_e32 v6, 15, v6
	v_lshlrev_b32_e32 v13, v13, v7
	v_sub_u32_e32 v12, 29, v12
	v_and_b32_e32 v13, 7, v13
	v_cmp_eq_u16_e32 vcc, 0, v6
	v_cndmask_b32_e32 v2, v2, v13, vcc
	v_cndmask_b32_e32 v6, v6, v12, vcc
	v_lshlrev_b32_e32 v12, 24, v7
	v_mov_b32_e32 v13, 0x3b800000
	v_lshlrev_b32_e32 v2, 20, v2
	v_and_b32_e32 v12, 0x80000000, v12
	v_lshl_add_u32 v6, v6, 23, v13
	v_or3_b32 v2, v12, v6, v2
.LBB8_1316:
	s_or_b64 exec, exec, s[6:7]
	s_movk_i32 s4, 0x7f
	v_cmp_gt_i16_sdwa s[6:7], v3, s4 src0_sel:BYTE_0 src1_sel:DWORD
	s_mov_b64 s[4:5], 0
                                        ; implicit-def: $sgpr10
	s_and_saveexec_b64 s[8:9], s[6:7]
	s_xor_b64 s[6:7], exec, s[8:9]
	s_cbranch_execnz .LBB8_3365
; %bb.1317:
	s_or_saveexec_b64 s[6:7], s[6:7]
	v_mov_b32_e32 v6, s10
	s_xor_b64 exec, exec, s[6:7]
	s_cbranch_execnz .LBB8_3368
.LBB8_1318:
	s_or_b64 exec, exec, s[6:7]
	s_and_saveexec_b64 s[6:7], s[4:5]
	s_cbranch_execz .LBB8_1320
.LBB8_1319:
	v_and_b32_e32 v6, 7, v3
	v_ffbh_u32_e32 v13, v6
	v_min_u32_e32 v13, 32, v13
	v_lshrrev_b16_e32 v12, 3, v3
	v_subrev_u32_e32 v14, 28, v13
	v_and_b32_e32 v12, 15, v12
	v_lshlrev_b32_e32 v14, v14, v3
	v_sub_u32_e32 v13, 29, v13
	v_and_b32_e32 v14, 7, v14
	v_cmp_eq_u16_e32 vcc, 0, v12
	v_cndmask_b32_e32 v6, v6, v14, vcc
	v_cndmask_b32_e32 v12, v12, v13, vcc
	v_lshlrev_b32_e32 v13, 24, v3
	v_mov_b32_e32 v14, 0x3b800000
	v_lshlrev_b32_e32 v6, 20, v6
	v_and_b32_e32 v13, 0x80000000, v13
	v_lshl_add_u32 v12, v12, 23, v14
	v_or3_b32 v6, v13, v12, v6
.LBB8_1320:
	s_or_b64 exec, exec, s[6:7]
	s_nop 0
	v_mfma_f32_16x16x4f32 a[0:3], v2, v6, a[0:3]
	v_lshrrev_b32_e32 v6, 8, v7
	s_movk_i32 s4, 0x7f
	v_cmp_gt_i16_sdwa s[6:7], v6, s4 src0_sel:BYTE_0 src1_sel:DWORD
	s_mov_b64 s[4:5], 0
                                        ; implicit-def: $sgpr10
	s_and_saveexec_b64 s[8:9], s[6:7]
	s_xor_b64 s[6:7], exec, s[8:9]
	s_cbranch_execnz .LBB8_3369
; %bb.1321:
	s_or_saveexec_b64 s[6:7], s[6:7]
	v_mov_b32_e32 v2, s10
	s_xor_b64 exec, exec, s[6:7]
	s_cbranch_execnz .LBB8_3372
.LBB8_1322:
	s_or_b64 exec, exec, s[6:7]
	s_and_saveexec_b64 s[6:7], s[4:5]
	s_cbranch_execz .LBB8_1324
.LBB8_1323:
	v_bfe_u32 v2, v7, 8, 3
	v_ffbh_u32_e32 v13, v2
	v_min_u32_e32 v13, 32, v13
	v_lshrrev_b16_e32 v12, 3, v6
	v_subrev_u32_e32 v14, 28, v13
	v_and_b32_e32 v12, 15, v12
	v_lshlrev_b32_e32 v6, v14, v6
	v_sub_u32_e32 v13, 29, v13
	v_and_b32_e32 v6, 7, v6
	v_cmp_eq_u16_e32 vcc, 0, v12
	v_cndmask_b32_e32 v2, v2, v6, vcc
	v_cndmask_b32_e32 v6, v12, v13, vcc
	v_lshlrev_b32_e32 v12, 16, v7
	v_mov_b32_e32 v13, 0x3b800000
	v_lshlrev_b32_e32 v2, 20, v2
	v_and_b32_e32 v12, 0x80000000, v12
	v_lshl_add_u32 v6, v6, 23, v13
	v_or3_b32 v2, v12, v6, v2
.LBB8_1324:
	s_or_b64 exec, exec, s[6:7]
	v_lshrrev_b32_e32 v6, 8, v3
	s_movk_i32 s4, 0x7f
	v_cmp_gt_i16_sdwa s[6:7], v6, s4 src0_sel:BYTE_0 src1_sel:DWORD
	s_mov_b64 s[4:5], 0
                                        ; implicit-def: $sgpr10
	s_and_saveexec_b64 s[8:9], s[6:7]
	s_xor_b64 s[6:7], exec, s[8:9]
	s_cbranch_execnz .LBB8_3373
; %bb.1325:
	s_or_saveexec_b64 s[6:7], s[6:7]
	v_mov_b32_e32 v12, s10
	s_xor_b64 exec, exec, s[6:7]
	s_cbranch_execnz .LBB8_3376
.LBB8_1326:
	s_or_b64 exec, exec, s[6:7]
	s_and_saveexec_b64 s[6:7], s[4:5]
	s_cbranch_execz .LBB8_1328
.LBB8_1327:
	v_bfe_u32 v12, v3, 8, 3
	v_ffbh_u32_e32 v14, v12
	v_min_u32_e32 v14, 32, v14
	v_lshrrev_b16_e32 v13, 3, v6
	v_subrev_u32_e32 v15, 28, v14
	v_and_b32_e32 v13, 15, v13
	v_lshlrev_b32_e32 v6, v15, v6
	v_sub_u32_e32 v14, 29, v14
	v_and_b32_e32 v6, 7, v6
	v_cmp_eq_u16_e32 vcc, 0, v13
	v_cndmask_b32_e32 v6, v12, v6, vcc
	v_cndmask_b32_e32 v12, v13, v14, vcc
	v_lshlrev_b32_e32 v13, 16, v3
	v_mov_b32_e32 v14, 0x3b800000
	v_lshlrev_b32_e32 v6, 20, v6
	v_and_b32_e32 v13, 0x80000000, v13
	v_lshl_add_u32 v12, v12, 23, v14
	v_or3_b32 v12, v13, v12, v6
.LBB8_1328:
	s_or_b64 exec, exec, s[6:7]
	s_nop 0
	v_mfma_f32_16x16x4f32 a[0:3], v2, v12, a[0:3]
	s_movk_i32 s4, 0xff
	v_and_b32_sdwa v6, v7, s4 dst_sel:DWORD dst_unused:UNUSED_PAD src0_sel:WORD_1 src1_sel:DWORD
	s_movk_i32 s4, 0x7f
	v_cmp_lt_i16_e32 vcc, s4, v6
	s_mov_b64 s[4:5], 0
                                        ; implicit-def: $sgpr10
	s_and_saveexec_b64 s[6:7], vcc
	s_xor_b64 s[6:7], exec, s[6:7]
	s_cbranch_execnz .LBB8_3377
; %bb.1329:
	s_or_saveexec_b64 s[6:7], s[6:7]
	v_mov_b32_e32 v2, s10
	s_xor_b64 exec, exec, s[6:7]
	s_cbranch_execnz .LBB8_3380
.LBB8_1330:
	s_or_b64 exec, exec, s[6:7]
	s_and_saveexec_b64 s[6:7], s[4:5]
	s_cbranch_execz .LBB8_1332
.LBB8_1331:
	v_bfe_u32 v2, v7, 16, 3
	v_ffbh_u32_e32 v13, v2
	v_min_u32_e32 v13, 32, v13
	v_lshrrev_b32_e32 v6, 19, v7
	v_subrev_u32_e32 v14, 28, v13
	v_and_b32_e32 v6, 15, v6
	v_lshlrev_b32_sdwa v14, v14, v7 dst_sel:DWORD dst_unused:UNUSED_PAD src0_sel:DWORD src1_sel:WORD_1
	v_bfe_u32 v12, v7, 19, 4
	v_sub_u32_e32 v13, 29, v13
	v_and_b32_e32 v14, 7, v14
	v_cmp_eq_u16_e32 vcc, 0, v6
	v_cndmask_b32_e32 v2, v2, v14, vcc
	v_cndmask_b32_e32 v6, v12, v13, vcc
	v_lshlrev_b32_e32 v12, 8, v7
	v_mov_b32_e32 v13, 0x3b800000
	v_lshlrev_b32_e32 v2, 20, v2
	v_and_b32_e32 v12, 0x80000000, v12
	v_lshl_add_u32 v6, v6, 23, v13
	v_or3_b32 v2, v12, v6, v2
.LBB8_1332:
	s_or_b64 exec, exec, s[6:7]
	s_movk_i32 s4, 0xff
	v_and_b32_sdwa v6, v3, s4 dst_sel:DWORD dst_unused:UNUSED_PAD src0_sel:WORD_1 src1_sel:DWORD
	s_movk_i32 s4, 0x7f
	v_cmp_lt_i16_e32 vcc, s4, v6
	s_mov_b64 s[4:5], 0
                                        ; implicit-def: $sgpr10
	s_and_saveexec_b64 s[6:7], vcc
	s_xor_b64 s[6:7], exec, s[6:7]
	s_cbranch_execnz .LBB8_3381
; %bb.1333:
	s_or_saveexec_b64 s[6:7], s[6:7]
	v_mov_b32_e32 v12, s10
	s_xor_b64 exec, exec, s[6:7]
	s_cbranch_execnz .LBB8_3384
.LBB8_1334:
	s_or_b64 exec, exec, s[6:7]
	s_and_saveexec_b64 s[6:7], s[4:5]
	s_cbranch_execz .LBB8_1336
.LBB8_1335:
	v_bfe_u32 v6, v3, 16, 3
	v_ffbh_u32_e32 v14, v6
	v_min_u32_e32 v14, 32, v14
	v_lshrrev_b32_e32 v12, 19, v3
	v_subrev_u32_e32 v15, 28, v14
	v_and_b32_e32 v12, 15, v12
	v_lshlrev_b32_sdwa v15, v15, v3 dst_sel:DWORD dst_unused:UNUSED_PAD src0_sel:DWORD src1_sel:WORD_1
	v_bfe_u32 v13, v3, 19, 4
	v_sub_u32_e32 v14, 29, v14
	v_and_b32_e32 v15, 7, v15
	v_cmp_eq_u16_e32 vcc, 0, v12
	v_cndmask_b32_e32 v6, v6, v15, vcc
	v_cndmask_b32_e32 v12, v13, v14, vcc
	v_lshlrev_b32_e32 v13, 8, v3
	v_mov_b32_e32 v14, 0x3b800000
	v_lshlrev_b32_e32 v6, 20, v6
	v_and_b32_e32 v13, 0x80000000, v13
	v_lshl_add_u32 v12, v12, 23, v14
	v_or3_b32 v12, v13, v12, v6
.LBB8_1336:
	s_or_b64 exec, exec, s[6:7]
	s_nop 0
	v_mfma_f32_16x16x4f32 a[0:3], v2, v12, a[0:3]
	s_movk_i32 s4, 0x7f
	v_cmp_gt_i16_sdwa s[6:7], v7, s4 src0_sel:BYTE_3 src1_sel:DWORD
	s_mov_b64 s[4:5], 0
                                        ; implicit-def: $sgpr10
	s_and_saveexec_b64 s[8:9], s[6:7]
	s_xor_b64 s[6:7], exec, s[8:9]
	s_cbranch_execnz .LBB8_3385
; %bb.1337:
	s_or_saveexec_b64 s[6:7], s[6:7]
	v_mov_b32_e32 v2, s10
	s_xor_b64 exec, exec, s[6:7]
	s_cbranch_execnz .LBB8_3388
.LBB8_1338:
	s_or_b64 exec, exec, s[6:7]
	s_and_saveexec_b64 s[6:7], s[4:5]
	s_cbranch_execz .LBB8_1340
.LBB8_1339:
	v_bfe_u32 v2, v7, 24, 3
	v_ffbh_u32_e32 v14, v2
	v_min_u32_e32 v14, 32, v14
	v_lshrrev_b32_e32 v12, 27, v7
	v_subrev_u32_e32 v15, 28, v14
	v_and_b32_e32 v6, 0x80000000, v7
	v_and_b32_e32 v12, 15, v12
	v_bfe_u32 v13, v7, 27, 4
	v_lshlrev_b32_sdwa v7, v15, v7 dst_sel:DWORD dst_unused:UNUSED_PAD src0_sel:DWORD src1_sel:BYTE_3
	v_sub_u32_e32 v14, 29, v14
	v_and_b32_e32 v7, 7, v7
	v_cmp_eq_u16_e32 vcc, 0, v12
	v_cndmask_b32_e32 v2, v2, v7, vcc
	v_cndmask_b32_e32 v7, v13, v14, vcc
	v_mov_b32_e32 v12, 0x3b800000
	v_lshlrev_b32_e32 v2, 20, v2
	v_lshl_add_u32 v7, v7, 23, v12
	v_or3_b32 v2, v6, v7, v2
.LBB8_1340:
	s_or_b64 exec, exec, s[6:7]
	s_movk_i32 s4, 0x7f
	v_cmp_gt_i16_sdwa s[6:7], v3, s4 src0_sel:BYTE_3 src1_sel:DWORD
	s_mov_b64 s[4:5], 0
                                        ; implicit-def: $sgpr10
	s_and_saveexec_b64 s[8:9], s[6:7]
	s_xor_b64 s[6:7], exec, s[8:9]
	s_cbranch_execnz .LBB8_3389
; %bb.1341:
	s_or_saveexec_b64 s[6:7], s[6:7]
	v_mov_b32_e32 v6, s10
	s_xor_b64 exec, exec, s[6:7]
	s_cbranch_execnz .LBB8_3392
.LBB8_1342:
	s_or_b64 exec, exec, s[6:7]
	s_and_saveexec_b64 s[6:7], s[4:5]
	s_cbranch_execz .LBB8_1344
.LBB8_1343:
	v_bfe_u32 v6, v3, 24, 3
	v_ffbh_u32_e32 v14, v6
	v_min_u32_e32 v14, 32, v14
	v_lshrrev_b32_e32 v12, 27, v3
	v_subrev_u32_e32 v15, 28, v14
	v_and_b32_e32 v7, 0x80000000, v3
	v_and_b32_e32 v12, 15, v12
	v_bfe_u32 v13, v3, 27, 4
	v_lshlrev_b32_sdwa v3, v15, v3 dst_sel:DWORD dst_unused:UNUSED_PAD src0_sel:DWORD src1_sel:BYTE_3
	v_sub_u32_e32 v14, 29, v14
	v_and_b32_e32 v3, 7, v3
	v_cmp_eq_u16_e32 vcc, 0, v12
	v_cndmask_b32_e32 v3, v6, v3, vcc
	v_cndmask_b32_e32 v6, v13, v14, vcc
	v_mov_b32_e32 v12, 0x3b800000
	v_lshlrev_b32_e32 v3, 20, v3
	v_lshl_add_u32 v6, v6, 23, v12
	v_or3_b32 v6, v7, v6, v3
.LBB8_1344:
	s_or_b64 exec, exec, s[6:7]
	s_nop 0
	v_mfma_f32_16x16x4f32 a[0:3], v2, v6, a[0:3]
	s_movk_i32 s4, 0x7f
	v_cmp_gt_i16_sdwa s[6:7], v8, s4 src0_sel:BYTE_0 src1_sel:DWORD
	s_mov_b64 s[4:5], 0
                                        ; implicit-def: $sgpr10
	s_and_saveexec_b64 s[8:9], s[6:7]
	s_xor_b64 s[6:7], exec, s[8:9]
	s_cbranch_execnz .LBB8_3393
; %bb.1345:
	s_or_saveexec_b64 s[6:7], s[6:7]
	v_mov_b32_e32 v2, s10
	s_xor_b64 exec, exec, s[6:7]
	s_cbranch_execnz .LBB8_3396
.LBB8_1346:
	s_or_b64 exec, exec, s[6:7]
	s_and_saveexec_b64 s[6:7], s[4:5]
	s_cbranch_execz .LBB8_1348
.LBB8_1347:
	v_and_b32_e32 v2, 7, v8
	v_ffbh_u32_e32 v6, v2
	v_min_u32_e32 v6, 32, v6
	v_lshrrev_b16_e32 v3, 3, v8
	v_subrev_u32_e32 v7, 28, v6
	v_and_b32_e32 v3, 15, v3
	v_lshlrev_b32_e32 v7, v7, v8
	v_sub_u32_e32 v6, 29, v6
	v_and_b32_e32 v7, 7, v7
	v_cmp_eq_u16_e32 vcc, 0, v3
	v_cndmask_b32_e32 v2, v2, v7, vcc
	v_cndmask_b32_e32 v3, v3, v6, vcc
	v_lshlrev_b32_e32 v6, 24, v8
	v_mov_b32_e32 v7, 0x3b800000
	v_lshlrev_b32_e32 v2, 20, v2
	v_and_b32_e32 v6, 0x80000000, v6
	v_lshl_add_u32 v3, v3, 23, v7
	v_or3_b32 v2, v6, v3, v2
.LBB8_1348:
	s_or_b64 exec, exec, s[6:7]
	s_movk_i32 s4, 0x7f
	v_cmp_gt_i16_sdwa s[6:7], v4, s4 src0_sel:BYTE_0 src1_sel:DWORD
	s_mov_b64 s[4:5], 0
                                        ; implicit-def: $sgpr10
	s_and_saveexec_b64 s[8:9], s[6:7]
	s_xor_b64 s[6:7], exec, s[8:9]
	s_cbranch_execnz .LBB8_3397
; %bb.1349:
	s_or_saveexec_b64 s[6:7], s[6:7]
	v_mov_b32_e32 v3, s10
	s_xor_b64 exec, exec, s[6:7]
	s_cbranch_execnz .LBB8_3400
.LBB8_1350:
	s_or_b64 exec, exec, s[6:7]
	s_and_saveexec_b64 s[6:7], s[4:5]
	s_cbranch_execz .LBB8_1352
.LBB8_1351:
	v_and_b32_e32 v3, 7, v4
	v_ffbh_u32_e32 v7, v3
	v_min_u32_e32 v7, 32, v7
	v_lshrrev_b16_e32 v6, 3, v4
	v_subrev_u32_e32 v12, 28, v7
	v_and_b32_e32 v6, 15, v6
	v_lshlrev_b32_e32 v12, v12, v4
	v_sub_u32_e32 v7, 29, v7
	v_and_b32_e32 v12, 7, v12
	v_cmp_eq_u16_e32 vcc, 0, v6
	v_cndmask_b32_e32 v3, v3, v12, vcc
	v_cndmask_b32_e32 v6, v6, v7, vcc
	v_lshlrev_b32_e32 v7, 24, v4
	v_mov_b32_e32 v12, 0x3b800000
	v_lshlrev_b32_e32 v3, 20, v3
	v_and_b32_e32 v7, 0x80000000, v7
	v_lshl_add_u32 v6, v6, 23, v12
	v_or3_b32 v3, v7, v6, v3
.LBB8_1352:
	s_or_b64 exec, exec, s[6:7]
	s_nop 0
	v_mfma_f32_16x16x4f32 a[0:3], v2, v3, a[0:3]
	v_lshrrev_b32_e32 v3, 8, v8
	s_movk_i32 s4, 0x7f
	v_cmp_gt_i16_sdwa s[6:7], v3, s4 src0_sel:BYTE_0 src1_sel:DWORD
	s_mov_b64 s[4:5], 0
                                        ; implicit-def: $sgpr10
	s_and_saveexec_b64 s[8:9], s[6:7]
	s_xor_b64 s[6:7], exec, s[8:9]
	s_cbranch_execnz .LBB8_3401
; %bb.1353:
	s_or_saveexec_b64 s[6:7], s[6:7]
	v_mov_b32_e32 v2, s10
	s_xor_b64 exec, exec, s[6:7]
	s_cbranch_execnz .LBB8_3404
.LBB8_1354:
	s_or_b64 exec, exec, s[6:7]
	s_and_saveexec_b64 s[6:7], s[4:5]
	s_cbranch_execz .LBB8_1356
.LBB8_1355:
	v_bfe_u32 v2, v8, 8, 3
	v_ffbh_u32_e32 v7, v2
	v_min_u32_e32 v7, 32, v7
	v_lshrrev_b16_e32 v6, 3, v3
	v_subrev_u32_e32 v12, 28, v7
	v_and_b32_e32 v6, 15, v6
	v_lshlrev_b32_e32 v3, v12, v3
	v_sub_u32_e32 v7, 29, v7
	v_and_b32_e32 v3, 7, v3
	v_cmp_eq_u16_e32 vcc, 0, v6
	v_cndmask_b32_e32 v2, v2, v3, vcc
	v_cndmask_b32_e32 v3, v6, v7, vcc
	v_lshlrev_b32_e32 v6, 16, v8
	v_mov_b32_e32 v7, 0x3b800000
	v_lshlrev_b32_e32 v2, 20, v2
	v_and_b32_e32 v6, 0x80000000, v6
	v_lshl_add_u32 v3, v3, 23, v7
	v_or3_b32 v2, v6, v3, v2
.LBB8_1356:
	s_or_b64 exec, exec, s[6:7]
	v_lshrrev_b32_e32 v3, 8, v4
	s_movk_i32 s4, 0x7f
	v_cmp_gt_i16_sdwa s[6:7], v3, s4 src0_sel:BYTE_0 src1_sel:DWORD
	s_mov_b64 s[4:5], 0
                                        ; implicit-def: $sgpr10
	s_and_saveexec_b64 s[8:9], s[6:7]
	s_xor_b64 s[6:7], exec, s[8:9]
	s_cbranch_execnz .LBB8_3405
; %bb.1357:
	s_or_saveexec_b64 s[6:7], s[6:7]
	v_mov_b32_e32 v6, s10
	s_xor_b64 exec, exec, s[6:7]
	s_cbranch_execnz .LBB8_3408
.LBB8_1358:
	s_or_b64 exec, exec, s[6:7]
	s_and_saveexec_b64 s[6:7], s[4:5]
	s_cbranch_execz .LBB8_1360
.LBB8_1359:
	v_bfe_u32 v6, v4, 8, 3
	v_ffbh_u32_e32 v12, v6
	v_min_u32_e32 v12, 32, v12
	v_lshrrev_b16_e32 v7, 3, v3
	v_subrev_u32_e32 v13, 28, v12
	v_and_b32_e32 v7, 15, v7
	v_lshlrev_b32_e32 v3, v13, v3
	v_sub_u32_e32 v12, 29, v12
	v_and_b32_e32 v3, 7, v3
	v_cmp_eq_u16_e32 vcc, 0, v7
	v_cndmask_b32_e32 v3, v6, v3, vcc
	v_cndmask_b32_e32 v6, v7, v12, vcc
	v_lshlrev_b32_e32 v7, 16, v4
	v_mov_b32_e32 v12, 0x3b800000
	v_lshlrev_b32_e32 v3, 20, v3
	v_and_b32_e32 v7, 0x80000000, v7
	v_lshl_add_u32 v6, v6, 23, v12
	v_or3_b32 v6, v7, v6, v3
.LBB8_1360:
	s_or_b64 exec, exec, s[6:7]
	s_nop 0
	v_mfma_f32_16x16x4f32 a[0:3], v2, v6, a[0:3]
	s_movk_i32 s4, 0xff
	v_and_b32_sdwa v3, v8, s4 dst_sel:DWORD dst_unused:UNUSED_PAD src0_sel:WORD_1 src1_sel:DWORD
	s_movk_i32 s4, 0x7f
	v_cmp_lt_i16_e32 vcc, s4, v3
	s_mov_b64 s[4:5], 0
                                        ; implicit-def: $sgpr10
	s_and_saveexec_b64 s[6:7], vcc
	s_xor_b64 s[6:7], exec, s[6:7]
	s_cbranch_execnz .LBB8_3409
; %bb.1361:
	s_or_saveexec_b64 s[6:7], s[6:7]
	v_mov_b32_e32 v2, s10
	s_xor_b64 exec, exec, s[6:7]
	s_cbranch_execnz .LBB8_3412
.LBB8_1362:
	s_or_b64 exec, exec, s[6:7]
	s_and_saveexec_b64 s[6:7], s[4:5]
	s_cbranch_execz .LBB8_1364
.LBB8_1363:
	v_bfe_u32 v2, v8, 16, 3
	v_ffbh_u32_e32 v7, v2
	v_min_u32_e32 v7, 32, v7
	v_lshrrev_b32_e32 v3, 19, v8
	v_subrev_u32_e32 v12, 28, v7
	v_and_b32_e32 v3, 15, v3
	v_lshlrev_b32_sdwa v12, v12, v8 dst_sel:DWORD dst_unused:UNUSED_PAD src0_sel:DWORD src1_sel:WORD_1
	v_bfe_u32 v6, v8, 19, 4
	v_sub_u32_e32 v7, 29, v7
	v_and_b32_e32 v12, 7, v12
	v_cmp_eq_u16_e32 vcc, 0, v3
	v_cndmask_b32_e32 v2, v2, v12, vcc
	v_cndmask_b32_e32 v3, v6, v7, vcc
	v_lshlrev_b32_e32 v6, 8, v8
	v_mov_b32_e32 v7, 0x3b800000
	v_lshlrev_b32_e32 v2, 20, v2
	v_and_b32_e32 v6, 0x80000000, v6
	v_lshl_add_u32 v3, v3, 23, v7
	v_or3_b32 v2, v6, v3, v2
.LBB8_1364:
	s_or_b64 exec, exec, s[6:7]
	s_movk_i32 s4, 0xff
	v_and_b32_sdwa v3, v4, s4 dst_sel:DWORD dst_unused:UNUSED_PAD src0_sel:WORD_1 src1_sel:DWORD
	s_movk_i32 s4, 0x7f
	v_cmp_lt_i16_e32 vcc, s4, v3
	s_mov_b64 s[4:5], 0
                                        ; implicit-def: $sgpr10
	s_and_saveexec_b64 s[6:7], vcc
	s_xor_b64 s[6:7], exec, s[6:7]
	s_cbranch_execnz .LBB8_3413
; %bb.1365:
	s_or_saveexec_b64 s[6:7], s[6:7]
	v_mov_b32_e32 v6, s10
	s_xor_b64 exec, exec, s[6:7]
	s_cbranch_execnz .LBB8_3416
.LBB8_1366:
	s_or_b64 exec, exec, s[6:7]
	s_and_saveexec_b64 s[6:7], s[4:5]
	s_cbranch_execz .LBB8_1368
.LBB8_1367:
	v_bfe_u32 v3, v4, 16, 3
	v_ffbh_u32_e32 v12, v3
	v_min_u32_e32 v12, 32, v12
	v_lshrrev_b32_e32 v6, 19, v4
	v_subrev_u32_e32 v13, 28, v12
	v_and_b32_e32 v6, 15, v6
	v_lshlrev_b32_sdwa v13, v13, v4 dst_sel:DWORD dst_unused:UNUSED_PAD src0_sel:DWORD src1_sel:WORD_1
	v_bfe_u32 v7, v4, 19, 4
	v_sub_u32_e32 v12, 29, v12
	v_and_b32_e32 v13, 7, v13
	v_cmp_eq_u16_e32 vcc, 0, v6
	v_cndmask_b32_e32 v3, v3, v13, vcc
	v_cndmask_b32_e32 v6, v7, v12, vcc
	v_lshlrev_b32_e32 v7, 8, v4
	v_mov_b32_e32 v12, 0x3b800000
	v_lshlrev_b32_e32 v3, 20, v3
	v_and_b32_e32 v7, 0x80000000, v7
	v_lshl_add_u32 v6, v6, 23, v12
	v_or3_b32 v6, v7, v6, v3
.LBB8_1368:
	s_or_b64 exec, exec, s[6:7]
	s_nop 0
	v_mfma_f32_16x16x4f32 a[0:3], v2, v6, a[0:3]
	s_movk_i32 s4, 0x7f
	v_cmp_gt_i16_sdwa s[6:7], v8, s4 src0_sel:BYTE_3 src1_sel:DWORD
	s_mov_b64 s[4:5], 0
                                        ; implicit-def: $sgpr10
	s_and_saveexec_b64 s[8:9], s[6:7]
	s_xor_b64 s[6:7], exec, s[8:9]
	s_cbranch_execnz .LBB8_3417
; %bb.1369:
	s_or_saveexec_b64 s[6:7], s[6:7]
	v_mov_b32_e32 v2, s10
	s_xor_b64 exec, exec, s[6:7]
	s_cbranch_execnz .LBB8_3420
.LBB8_1370:
	s_or_b64 exec, exec, s[6:7]
	s_and_saveexec_b64 s[6:7], s[4:5]
	s_cbranch_execz .LBB8_1372
.LBB8_1371:
	v_bfe_u32 v2, v8, 24, 3
	v_ffbh_u32_e32 v12, v2
	v_min_u32_e32 v12, 32, v12
	v_lshrrev_b32_e32 v6, 27, v8
	v_subrev_u32_e32 v13, 28, v12
	v_and_b32_e32 v3, 0x80000000, v8
	v_and_b32_e32 v6, 15, v6
	v_bfe_u32 v7, v8, 27, 4
	v_lshlrev_b32_sdwa v8, v13, v8 dst_sel:DWORD dst_unused:UNUSED_PAD src0_sel:DWORD src1_sel:BYTE_3
	v_sub_u32_e32 v12, 29, v12
	v_and_b32_e32 v8, 7, v8
	v_cmp_eq_u16_e32 vcc, 0, v6
	v_cndmask_b32_e32 v2, v2, v8, vcc
	v_cndmask_b32_e32 v6, v7, v12, vcc
	v_mov_b32_e32 v7, 0x3b800000
	v_lshlrev_b32_e32 v2, 20, v2
	v_lshl_add_u32 v6, v6, 23, v7
	v_or3_b32 v2, v3, v6, v2
.LBB8_1372:
	s_or_b64 exec, exec, s[6:7]
	s_movk_i32 s4, 0x7f
	v_cmp_gt_i16_sdwa s[6:7], v4, s4 src0_sel:BYTE_3 src1_sel:DWORD
	s_mov_b64 s[4:5], 0
                                        ; implicit-def: $sgpr10
	s_and_saveexec_b64 s[8:9], s[6:7]
	s_xor_b64 s[6:7], exec, s[8:9]
	s_cbranch_execnz .LBB8_3421
; %bb.1373:
	s_or_saveexec_b64 s[6:7], s[6:7]
	v_mov_b32_e32 v3, s10
	s_xor_b64 exec, exec, s[6:7]
	s_cbranch_execnz .LBB8_3424
.LBB8_1374:
	s_or_b64 exec, exec, s[6:7]
	s_and_saveexec_b64 s[6:7], s[4:5]
	s_cbranch_execz .LBB8_1376
.LBB8_1375:
	v_bfe_u32 v3, v4, 24, 3
	v_ffbh_u32_e32 v12, v3
	v_min_u32_e32 v12, 32, v12
	v_lshrrev_b32_e32 v7, 27, v4
	v_subrev_u32_e32 v13, 28, v12
	v_and_b32_e32 v6, 0x80000000, v4
	v_and_b32_e32 v7, 15, v7
	v_bfe_u32 v8, v4, 27, 4
	v_lshlrev_b32_sdwa v4, v13, v4 dst_sel:DWORD dst_unused:UNUSED_PAD src0_sel:DWORD src1_sel:BYTE_3
	v_sub_u32_e32 v12, 29, v12
	v_and_b32_e32 v4, 7, v4
	v_cmp_eq_u16_e32 vcc, 0, v7
	v_cndmask_b32_e32 v3, v3, v4, vcc
	v_cndmask_b32_e32 v4, v8, v12, vcc
	v_mov_b32_e32 v7, 0x3b800000
	v_lshlrev_b32_e32 v3, 20, v3
	v_lshl_add_u32 v4, v4, 23, v7
	v_or3_b32 v3, v6, v4, v3
.LBB8_1376:
	s_or_b64 exec, exec, s[6:7]
	s_nop 0
	v_mfma_f32_16x16x4f32 a[0:3], v2, v3, a[0:3]
	s_movk_i32 s4, 0x7f
	v_cmp_gt_i16_sdwa s[6:7], v9, s4 src0_sel:BYTE_0 src1_sel:DWORD
	s_mov_b64 s[4:5], 0
                                        ; implicit-def: $sgpr10
	s_and_saveexec_b64 s[8:9], s[6:7]
	s_xor_b64 s[6:7], exec, s[8:9]
	s_cbranch_execnz .LBB8_3425
; %bb.1377:
	s_or_saveexec_b64 s[6:7], s[6:7]
	v_mov_b32_e32 v2, s10
	s_xor_b64 exec, exec, s[6:7]
	s_cbranch_execnz .LBB8_3428
.LBB8_1378:
	s_or_b64 exec, exec, s[6:7]
	s_and_saveexec_b64 s[6:7], s[4:5]
	s_cbranch_execz .LBB8_1380
.LBB8_1379:
	v_mov_b32_e32 v2, 8
	v_and_b32_e32 v3, 7, v9
	v_lshrrev_b32_sdwa v2, v2, v9 dst_sel:BYTE_1 dst_unused:UNUSED_PAD src0_sel:DWORD src1_sel:DWORD
	v_ffbh_u32_e32 v4, v3
	v_or_b32_sdwa v2, v9, v2 dst_sel:DWORD dst_unused:UNUSED_PAD src0_sel:BYTE_0 src1_sel:DWORD
	v_min_u32_e32 v4, 32, v4
	v_lshrrev_b16_e32 v2, 3, v2
	v_subrev_u32_e32 v6, 28, v4
	v_and_b32_e32 v2, 15, v2
	v_lshlrev_b32_e32 v6, v6, v9
	v_sub_u32_e32 v4, 29, v4
	v_and_b32_e32 v6, 7, v6
	v_cmp_eq_u16_e32 vcc, 0, v2
	v_cndmask_b32_e32 v3, v3, v6, vcc
	v_cndmask_b32_e32 v2, v2, v4, vcc
	v_lshlrev_b32_e32 v4, 24, v9
	v_mov_b32_e32 v6, 0x3b800000
	v_lshlrev_b32_e32 v3, 20, v3
	v_and_b32_e32 v4, 0x80000000, v4
	v_lshl_add_u32 v2, v2, 23, v6
	v_or3_b32 v2, v4, v2, v3
.LBB8_1380:
	s_or_b64 exec, exec, s[6:7]
	s_movk_i32 s4, 0x7f
	v_cmp_gt_i16_sdwa s[6:7], v5, s4 src0_sel:BYTE_0 src1_sel:DWORD
	s_mov_b64 s[4:5], 0
                                        ; implicit-def: $sgpr10
	s_and_saveexec_b64 s[8:9], s[6:7]
	s_xor_b64 s[6:7], exec, s[8:9]
	s_cbranch_execnz .LBB8_3429
; %bb.1381:
	s_or_saveexec_b64 s[6:7], s[6:7]
	v_mov_b32_e32 v3, s10
	s_xor_b64 exec, exec, s[6:7]
	s_cbranch_execnz .LBB8_3432
.LBB8_1382:
	s_or_b64 exec, exec, s[6:7]
	s_and_saveexec_b64 s[6:7], s[4:5]
	s_cbranch_execz .LBB8_1384
.LBB8_1383:
	v_mov_b32_e32 v3, 8
	v_and_b32_e32 v4, 7, v5
	v_lshrrev_b32_sdwa v3, v3, v5 dst_sel:BYTE_1 dst_unused:UNUSED_PAD src0_sel:DWORD src1_sel:DWORD
	v_ffbh_u32_e32 v6, v4
	v_or_b32_sdwa v3, v5, v3 dst_sel:DWORD dst_unused:UNUSED_PAD src0_sel:BYTE_0 src1_sel:DWORD
	v_min_u32_e32 v6, 32, v6
	v_lshrrev_b16_e32 v3, 3, v3
	v_subrev_u32_e32 v7, 28, v6
	v_and_b32_e32 v3, 15, v3
	v_lshlrev_b32_e32 v7, v7, v5
	v_sub_u32_e32 v6, 29, v6
	v_and_b32_e32 v7, 7, v7
	v_cmp_eq_u16_e32 vcc, 0, v3
	v_cndmask_b32_e32 v4, v4, v7, vcc
	v_cndmask_b32_e32 v3, v3, v6, vcc
	v_lshlrev_b32_e32 v6, 24, v5
	v_mov_b32_e32 v7, 0x3b800000
	v_lshlrev_b32_e32 v4, 20, v4
	v_and_b32_e32 v6, 0x80000000, v6
	v_lshl_add_u32 v3, v3, 23, v7
	v_or3_b32 v3, v6, v3, v4
.LBB8_1384:
	s_or_b64 exec, exec, s[6:7]
	s_nop 0
	v_mfma_f32_16x16x4f32 a[0:3], v2, v3, a[0:3]
	v_lshrrev_b32_e32 v3, 8, v9
	s_movk_i32 s4, 0x7f
	v_cmp_gt_i16_sdwa s[6:7], v3, s4 src0_sel:BYTE_0 src1_sel:DWORD
	s_mov_b64 s[4:5], 0
                                        ; implicit-def: $sgpr10
	s_and_saveexec_b64 s[8:9], s[6:7]
	s_xor_b64 s[6:7], exec, s[8:9]
	s_cbranch_execnz .LBB8_3433
; %bb.1385:
	s_or_saveexec_b64 s[6:7], s[6:7]
	v_mov_b32_e32 v2, s10
	s_xor_b64 exec, exec, s[6:7]
	s_cbranch_execnz .LBB8_3436
.LBB8_1386:
	s_or_b64 exec, exec, s[6:7]
	s_and_saveexec_b64 s[6:7], s[4:5]
	s_cbranch_execz .LBB8_1388
.LBB8_1387:
	v_bfe_u32 v2, v9, 8, 3
	v_ffbh_u32_e32 v6, v2
	v_min_u32_e32 v6, 32, v6
	v_lshrrev_b16_e32 v4, 3, v3
	v_subrev_u32_e32 v7, 28, v6
	v_and_b32_e32 v4, 15, v4
	v_lshlrev_b32_e32 v3, v7, v3
	v_sub_u32_e32 v6, 29, v6
	v_and_b32_e32 v3, 7, v3
	v_cmp_eq_u16_e32 vcc, 0, v4
	v_cndmask_b32_e32 v2, v2, v3, vcc
	v_cndmask_b32_e32 v3, v4, v6, vcc
	v_lshlrev_b32_e32 v4, 16, v9
	v_mov_b32_e32 v6, 0x3b800000
	v_lshlrev_b32_e32 v2, 20, v2
	v_and_b32_e32 v4, 0x80000000, v4
	v_lshl_add_u32 v3, v3, 23, v6
	v_or3_b32 v2, v4, v3, v2
.LBB8_1388:
	s_or_b64 exec, exec, s[6:7]
	v_lshrrev_b32_e32 v3, 8, v5
	s_movk_i32 s4, 0x7f
	v_cmp_gt_i16_sdwa s[6:7], v3, s4 src0_sel:BYTE_0 src1_sel:DWORD
	s_mov_b64 s[4:5], 0
                                        ; implicit-def: $sgpr10
	s_and_saveexec_b64 s[8:9], s[6:7]
	s_xor_b64 s[6:7], exec, s[8:9]
	s_cbranch_execnz .LBB8_3437
; %bb.1389:
	s_or_saveexec_b64 s[6:7], s[6:7]
	v_mov_b32_e32 v4, s10
	s_xor_b64 exec, exec, s[6:7]
	s_cbranch_execnz .LBB8_3440
.LBB8_1390:
	s_or_b64 exec, exec, s[6:7]
	s_and_saveexec_b64 s[6:7], s[4:5]
	s_cbranch_execz .LBB8_1392
.LBB8_1391:
	v_bfe_u32 v4, v5, 8, 3
	v_ffbh_u32_e32 v7, v4
	v_min_u32_e32 v7, 32, v7
	v_lshrrev_b16_e32 v6, 3, v3
	v_subrev_u32_e32 v8, 28, v7
	v_and_b32_e32 v6, 15, v6
	v_lshlrev_b32_e32 v3, v8, v3
	v_sub_u32_e32 v7, 29, v7
	v_and_b32_e32 v3, 7, v3
	v_cmp_eq_u16_e32 vcc, 0, v6
	v_cndmask_b32_e32 v3, v4, v3, vcc
	v_cndmask_b32_e32 v4, v6, v7, vcc
	v_lshlrev_b32_e32 v6, 16, v5
	v_mov_b32_e32 v7, 0x3b800000
	v_lshlrev_b32_e32 v3, 20, v3
	v_and_b32_e32 v6, 0x80000000, v6
	v_lshl_add_u32 v4, v4, 23, v7
	v_or3_b32 v4, v6, v4, v3
.LBB8_1392:
	s_or_b64 exec, exec, s[6:7]
	s_nop 0
	v_mfma_f32_16x16x4f32 a[0:3], v2, v4, a[0:3]
	s_movk_i32 s4, 0xff
	v_and_b32_sdwa v3, v9, s4 dst_sel:DWORD dst_unused:UNUSED_PAD src0_sel:WORD_1 src1_sel:DWORD
	s_movk_i32 s4, 0x7f
	v_cmp_lt_i16_e32 vcc, s4, v3
	s_mov_b64 s[4:5], 0
                                        ; implicit-def: $sgpr10
	s_and_saveexec_b64 s[6:7], vcc
	s_xor_b64 s[6:7], exec, s[6:7]
	s_cbranch_execnz .LBB8_3441
; %bb.1393:
	s_or_saveexec_b64 s[6:7], s[6:7]
	v_mov_b32_e32 v2, s10
	s_xor_b64 exec, exec, s[6:7]
	s_cbranch_execnz .LBB8_3444
.LBB8_1394:
	s_or_b64 exec, exec, s[6:7]
	s_and_saveexec_b64 s[6:7], s[4:5]
	s_cbranch_execz .LBB8_1396
.LBB8_1395:
	v_bfe_u32 v2, v9, 16, 3
	v_ffbh_u32_e32 v6, v2
	v_min_u32_e32 v6, 32, v6
	v_lshrrev_b32_e32 v3, 19, v9
	v_subrev_u32_e32 v7, 28, v6
	v_and_b32_e32 v3, 15, v3
	v_lshlrev_b32_sdwa v7, v7, v9 dst_sel:DWORD dst_unused:UNUSED_PAD src0_sel:DWORD src1_sel:WORD_1
	v_bfe_u32 v4, v9, 19, 4
	v_sub_u32_e32 v6, 29, v6
	v_and_b32_e32 v7, 7, v7
	v_cmp_eq_u16_e32 vcc, 0, v3
	v_cndmask_b32_e32 v2, v2, v7, vcc
	v_cndmask_b32_e32 v3, v4, v6, vcc
	v_lshlrev_b32_e32 v4, 8, v9
	v_mov_b32_e32 v6, 0x3b800000
	v_lshlrev_b32_e32 v2, 20, v2
	v_and_b32_e32 v4, 0x80000000, v4
	v_lshl_add_u32 v3, v3, 23, v6
	v_or3_b32 v2, v4, v3, v2
.LBB8_1396:
	s_or_b64 exec, exec, s[6:7]
	s_movk_i32 s4, 0xff
	v_and_b32_sdwa v3, v5, s4 dst_sel:DWORD dst_unused:UNUSED_PAD src0_sel:WORD_1 src1_sel:DWORD
	s_movk_i32 s4, 0x7f
	v_cmp_lt_i16_e32 vcc, s4, v3
	s_mov_b64 s[4:5], 0
                                        ; implicit-def: $sgpr10
	s_and_saveexec_b64 s[6:7], vcc
	s_xor_b64 s[6:7], exec, s[6:7]
	s_cbranch_execnz .LBB8_3445
; %bb.1397:
	s_or_saveexec_b64 s[6:7], s[6:7]
	v_mov_b32_e32 v4, s10
	s_xor_b64 exec, exec, s[6:7]
	s_cbranch_execnz .LBB8_3448
.LBB8_1398:
	s_or_b64 exec, exec, s[6:7]
	s_and_saveexec_b64 s[6:7], s[4:5]
	s_cbranch_execz .LBB8_1400
.LBB8_1399:
	v_bfe_u32 v3, v5, 16, 3
	v_ffbh_u32_e32 v7, v3
	v_min_u32_e32 v7, 32, v7
	v_lshrrev_b32_e32 v4, 19, v5
	v_subrev_u32_e32 v8, 28, v7
	v_and_b32_e32 v4, 15, v4
	v_lshlrev_b32_sdwa v8, v8, v5 dst_sel:DWORD dst_unused:UNUSED_PAD src0_sel:DWORD src1_sel:WORD_1
	v_bfe_u32 v6, v5, 19, 4
	v_sub_u32_e32 v7, 29, v7
	v_and_b32_e32 v8, 7, v8
	v_cmp_eq_u16_e32 vcc, 0, v4
	v_cndmask_b32_e32 v3, v3, v8, vcc
	v_cndmask_b32_e32 v4, v6, v7, vcc
	v_lshlrev_b32_e32 v6, 8, v5
	v_mov_b32_e32 v7, 0x3b800000
	v_lshlrev_b32_e32 v3, 20, v3
	v_and_b32_e32 v6, 0x80000000, v6
	v_lshl_add_u32 v4, v4, 23, v7
	v_or3_b32 v4, v6, v4, v3
.LBB8_1400:
	s_or_b64 exec, exec, s[6:7]
	s_nop 0
	v_mfma_f32_16x16x4f32 a[0:3], v2, v4, a[0:3]
	s_movk_i32 s4, 0x7f
	v_cmp_gt_i16_sdwa s[6:7], v9, s4 src0_sel:BYTE_3 src1_sel:DWORD
	s_mov_b64 s[4:5], 0
                                        ; implicit-def: $sgpr10
	s_and_saveexec_b64 s[8:9], s[6:7]
	s_xor_b64 s[6:7], exec, s[8:9]
	s_cbranch_execnz .LBB8_3449
; %bb.1401:
	s_or_saveexec_b64 s[6:7], s[6:7]
	v_mov_b32_e32 v2, s10
	s_xor_b64 exec, exec, s[6:7]
	s_cbranch_execnz .LBB8_3452
.LBB8_1402:
	s_or_b64 exec, exec, s[6:7]
	s_and_saveexec_b64 s[6:7], s[4:5]
	s_cbranch_execz .LBB8_1404
.LBB8_1403:
	v_bfe_u32 v2, v9, 24, 3
	v_ffbh_u32_e32 v7, v2
	v_min_u32_e32 v7, 32, v7
	v_lshrrev_b32_e32 v4, 27, v9
	v_subrev_u32_e32 v8, 28, v7
	v_and_b32_e32 v4, 15, v4
	v_lshlrev_b32_sdwa v8, v8, v9 dst_sel:DWORD dst_unused:UNUSED_PAD src0_sel:DWORD src1_sel:BYTE_3
	v_bfe_u32 v6, v9, 27, 4
	v_sub_u32_e32 v7, 29, v7
	v_and_b32_e32 v8, 7, v8
	v_cmp_eq_u16_e32 vcc, 0, v4
	v_cndmask_b32_e32 v2, v2, v8, vcc
	v_cndmask_b32_e32 v4, v6, v7, vcc
	v_mov_b32_e32 v6, 0x3b800000
	v_and_b32_e32 v3, 0x80000000, v9
	v_lshlrev_b32_e32 v2, 20, v2
	v_lshl_add_u32 v4, v4, 23, v6
	v_or3_b32 v2, v3, v4, v2
.LBB8_1404:
	s_or_b64 exec, exec, s[6:7]
	s_movk_i32 s4, 0x7f
	v_cmp_gt_i16_sdwa s[6:7], v5, s4 src0_sel:BYTE_3 src1_sel:DWORD
	s_mov_b64 s[4:5], 0
                                        ; implicit-def: $sgpr10
	s_and_saveexec_b64 s[8:9], s[6:7]
	s_xor_b64 s[6:7], exec, s[8:9]
	s_cbranch_execnz .LBB8_3453
; %bb.1405:
	s_or_saveexec_b64 s[6:7], s[6:7]
	v_mov_b32_e32 v3, s10
	s_xor_b64 exec, exec, s[6:7]
	s_cbranch_execnz .LBB8_3456
.LBB8_1406:
	s_or_b64 exec, exec, s[6:7]
	s_and_saveexec_b64 s[6:7], s[4:5]
	s_cbranch_execz .LBB8_1408
.LBB8_1407:
	v_bfe_u32 v3, v5, 24, 3
	v_ffbh_u32_e32 v8, v3
	v_min_u32_e32 v8, 32, v8
	v_lshrrev_b32_e32 v6, 27, v5
	v_subrev_u32_e32 v9, 28, v8
	v_and_b32_e32 v4, 0x80000000, v5
	v_and_b32_e32 v6, 15, v6
	v_bfe_u32 v7, v5, 27, 4
	v_lshlrev_b32_sdwa v5, v9, v5 dst_sel:DWORD dst_unused:UNUSED_PAD src0_sel:DWORD src1_sel:BYTE_3
	v_sub_u32_e32 v8, 29, v8
	v_and_b32_e32 v5, 7, v5
	v_cmp_eq_u16_e32 vcc, 0, v6
	v_cndmask_b32_e32 v3, v3, v5, vcc
	v_cndmask_b32_e32 v5, v7, v8, vcc
	v_mov_b32_e32 v6, 0x3b800000
	v_lshlrev_b32_e32 v3, 20, v3
	v_lshl_add_u32 v5, v5, 23, v6
	v_or3_b32 v3, v4, v5, v3
.LBB8_1408:
	s_or_b64 exec, exec, s[6:7]
	s_nop 0
	v_mfma_f32_16x16x4f32 a[0:3], v2, v3, a[0:3]
	s_movk_i32 s4, 0x7f
                                        ; implicit-def: $sgpr10
	s_nop 7
	s_nop 1
	flat_store_dwordx4 v[10:11], a[0:3] offset:160
	flat_load_dwordx4 v[12:15], v[0:1] offset:8
	s_nop 0
	flat_load_dwordx2 v[10:11], v[0:1] offset:32
	s_waitcnt vmcnt(0) lgkmcnt(0)
	flat_load_dwordx4 v[6:9], v[12:13] offset:64
	flat_load_dwordx4 v[2:5], v[14:15] offset:96
	s_waitcnt vmcnt(0) lgkmcnt(0)
	v_cmp_gt_i16_sdwa s[6:7], v6, s4 src0_sel:BYTE_0 src1_sel:DWORD
	s_mov_b64 s[4:5], 0
	s_and_saveexec_b64 s[8:9], s[6:7]
	s_xor_b64 s[6:7], exec, s[8:9]
	s_cbranch_execnz .LBB8_3457
; %bb.1409:
	s_or_saveexec_b64 s[6:7], s[6:7]
	v_mov_b32_e32 v12, s10
	s_xor_b64 exec, exec, s[6:7]
	s_cbranch_execnz .LBB8_3460
.LBB8_1410:
	s_or_b64 exec, exec, s[6:7]
	s_and_saveexec_b64 s[6:7], s[4:5]
	s_cbranch_execz .LBB8_1412
.LBB8_1411:
	v_and_b32_e32 v12, 7, v6
	v_ffbh_u32_e32 v14, v12
	v_min_u32_e32 v14, 32, v14
	v_lshrrev_b16_e32 v13, 3, v6
	v_subrev_u32_e32 v15, 28, v14
	v_and_b32_e32 v13, 15, v13
	v_lshlrev_b32_e32 v15, v15, v6
	v_sub_u32_e32 v14, 29, v14
	v_and_b32_e32 v15, 7, v15
	v_cmp_eq_u16_e32 vcc, 0, v13
	v_cndmask_b32_e32 v12, v12, v15, vcc
	v_cndmask_b32_e32 v13, v13, v14, vcc
	v_lshlrev_b32_e32 v14, 24, v6
	v_mov_b32_e32 v15, 0x3b800000
	v_lshlrev_b32_e32 v12, 20, v12
	v_and_b32_e32 v14, 0x80000000, v14
	v_lshl_add_u32 v13, v13, 23, v15
	v_or3_b32 v12, v14, v13, v12
.LBB8_1412:
	s_or_b64 exec, exec, s[6:7]
	s_movk_i32 s4, 0x7f
	v_cmp_gt_i16_sdwa s[6:7], v2, s4 src0_sel:BYTE_0 src1_sel:DWORD
	s_mov_b64 s[4:5], 0
                                        ; implicit-def: $sgpr10
	s_and_saveexec_b64 s[8:9], s[6:7]
	s_xor_b64 s[6:7], exec, s[8:9]
	s_cbranch_execnz .LBB8_3461
; %bb.1413:
	s_or_saveexec_b64 s[6:7], s[6:7]
	v_mov_b32_e32 v13, s10
	s_xor_b64 exec, exec, s[6:7]
	s_cbranch_execnz .LBB8_3464
.LBB8_1414:
	s_or_b64 exec, exec, s[6:7]
	s_and_saveexec_b64 s[6:7], s[4:5]
	s_cbranch_execz .LBB8_1416
.LBB8_1415:
	v_and_b32_e32 v13, 7, v2
	v_ffbh_u32_e32 v15, v13
	v_min_u32_e32 v15, 32, v15
	v_lshrrev_b16_e32 v14, 3, v2
	v_subrev_u32_e32 v16, 28, v15
	v_and_b32_e32 v14, 15, v14
	v_lshlrev_b32_e32 v16, v16, v2
	v_sub_u32_e32 v15, 29, v15
	v_and_b32_e32 v16, 7, v16
	v_cmp_eq_u16_e32 vcc, 0, v14
	v_cndmask_b32_e32 v13, v13, v16, vcc
	v_cndmask_b32_e32 v14, v14, v15, vcc
	v_lshlrev_b32_e32 v15, 24, v2
	v_mov_b32_e32 v16, 0x3b800000
	v_lshlrev_b32_e32 v13, 20, v13
	v_and_b32_e32 v15, 0x80000000, v15
	v_lshl_add_u32 v14, v14, 23, v16
	v_or3_b32 v13, v15, v14, v13
.LBB8_1416:
	s_or_b64 exec, exec, s[6:7]
	flat_load_dwordx4 a[0:3], v[10:11] offset:176
	s_movk_i32 s4, 0x7f
                                        ; implicit-def: $sgpr10
	s_waitcnt vmcnt(0) lgkmcnt(0)
	v_mfma_f32_16x16x4f32 a[0:3], v12, v13, a[0:3]
	v_lshrrev_b32_e32 v13, 8, v6
	v_cmp_gt_i16_sdwa s[6:7], v13, s4 src0_sel:BYTE_0 src1_sel:DWORD
	s_mov_b64 s[4:5], 0
	s_and_saveexec_b64 s[8:9], s[6:7]
	s_xor_b64 s[6:7], exec, s[8:9]
	s_cbranch_execnz .LBB8_3465
; %bb.1417:
	s_or_saveexec_b64 s[6:7], s[6:7]
	v_mov_b32_e32 v12, s10
	s_xor_b64 exec, exec, s[6:7]
	s_cbranch_execnz .LBB8_3468
.LBB8_1418:
	s_or_b64 exec, exec, s[6:7]
	s_and_saveexec_b64 s[6:7], s[4:5]
	s_cbranch_execz .LBB8_1420
.LBB8_1419:
	v_bfe_u32 v12, v6, 8, 3
	v_ffbh_u32_e32 v15, v12
	v_min_u32_e32 v15, 32, v15
	v_lshrrev_b16_e32 v14, 3, v13
	v_subrev_u32_e32 v16, 28, v15
	v_and_b32_e32 v14, 15, v14
	v_lshlrev_b32_e32 v13, v16, v13
	v_sub_u32_e32 v15, 29, v15
	v_and_b32_e32 v13, 7, v13
	v_cmp_eq_u16_e32 vcc, 0, v14
	v_cndmask_b32_e32 v12, v12, v13, vcc
	v_cndmask_b32_e32 v13, v14, v15, vcc
	v_lshlrev_b32_e32 v14, 16, v6
	v_mov_b32_e32 v15, 0x3b800000
	v_lshlrev_b32_e32 v12, 20, v12
	v_and_b32_e32 v14, 0x80000000, v14
	v_lshl_add_u32 v13, v13, 23, v15
	v_or3_b32 v12, v14, v13, v12
.LBB8_1420:
	s_or_b64 exec, exec, s[6:7]
	v_lshrrev_b32_e32 v13, 8, v2
	s_movk_i32 s4, 0x7f
	v_cmp_gt_i16_sdwa s[6:7], v13, s4 src0_sel:BYTE_0 src1_sel:DWORD
	s_mov_b64 s[4:5], 0
                                        ; implicit-def: $sgpr10
	s_and_saveexec_b64 s[8:9], s[6:7]
	s_xor_b64 s[6:7], exec, s[8:9]
	s_cbranch_execnz .LBB8_3469
; %bb.1421:
	s_or_saveexec_b64 s[6:7], s[6:7]
	v_mov_b32_e32 v14, s10
	s_xor_b64 exec, exec, s[6:7]
	s_cbranch_execnz .LBB8_3472
.LBB8_1422:
	s_or_b64 exec, exec, s[6:7]
	s_and_saveexec_b64 s[6:7], s[4:5]
	s_cbranch_execz .LBB8_1424
.LBB8_1423:
	v_bfe_u32 v14, v2, 8, 3
	v_ffbh_u32_e32 v16, v14
	v_min_u32_e32 v16, 32, v16
	v_lshrrev_b16_e32 v15, 3, v13
	v_subrev_u32_e32 v17, 28, v16
	v_and_b32_e32 v15, 15, v15
	v_lshlrev_b32_e32 v13, v17, v13
	v_sub_u32_e32 v16, 29, v16
	v_and_b32_e32 v13, 7, v13
	v_cmp_eq_u16_e32 vcc, 0, v15
	v_cndmask_b32_e32 v13, v14, v13, vcc
	v_cndmask_b32_e32 v14, v15, v16, vcc
	v_lshlrev_b32_e32 v15, 16, v2
	v_mov_b32_e32 v16, 0x3b800000
	v_lshlrev_b32_e32 v13, 20, v13
	v_and_b32_e32 v15, 0x80000000, v15
	v_lshl_add_u32 v14, v14, 23, v16
	v_or3_b32 v14, v15, v14, v13
.LBB8_1424:
	s_or_b64 exec, exec, s[6:7]
	s_nop 0
	v_mfma_f32_16x16x4f32 a[0:3], v12, v14, a[0:3]
	s_movk_i32 s4, 0xff
	v_and_b32_sdwa v13, v6, s4 dst_sel:DWORD dst_unused:UNUSED_PAD src0_sel:WORD_1 src1_sel:DWORD
	s_movk_i32 s4, 0x7f
	v_cmp_lt_i16_e32 vcc, s4, v13
	s_mov_b64 s[4:5], 0
                                        ; implicit-def: $sgpr10
	s_and_saveexec_b64 s[6:7], vcc
	s_xor_b64 s[6:7], exec, s[6:7]
	s_cbranch_execnz .LBB8_3473
; %bb.1425:
	s_or_saveexec_b64 s[6:7], s[6:7]
	v_mov_b32_e32 v12, s10
	s_xor_b64 exec, exec, s[6:7]
	s_cbranch_execnz .LBB8_3476
.LBB8_1426:
	s_or_b64 exec, exec, s[6:7]
	s_and_saveexec_b64 s[6:7], s[4:5]
	s_cbranch_execz .LBB8_1428
.LBB8_1427:
	v_bfe_u32 v12, v6, 16, 3
	v_ffbh_u32_e32 v15, v12
	v_min_u32_e32 v15, 32, v15
	v_lshrrev_b32_e32 v13, 19, v6
	v_subrev_u32_e32 v16, 28, v15
	v_and_b32_e32 v13, 15, v13
	v_lshlrev_b32_sdwa v16, v16, v6 dst_sel:DWORD dst_unused:UNUSED_PAD src0_sel:DWORD src1_sel:WORD_1
	v_bfe_u32 v14, v6, 19, 4
	v_sub_u32_e32 v15, 29, v15
	v_and_b32_e32 v16, 7, v16
	v_cmp_eq_u16_e32 vcc, 0, v13
	v_cndmask_b32_e32 v12, v12, v16, vcc
	v_cndmask_b32_e32 v13, v14, v15, vcc
	v_lshlrev_b32_e32 v14, 8, v6
	v_mov_b32_e32 v15, 0x3b800000
	v_lshlrev_b32_e32 v12, 20, v12
	v_and_b32_e32 v14, 0x80000000, v14
	v_lshl_add_u32 v13, v13, 23, v15
	v_or3_b32 v12, v14, v13, v12
.LBB8_1428:
	s_or_b64 exec, exec, s[6:7]
	s_movk_i32 s4, 0xff
	v_and_b32_sdwa v13, v2, s4 dst_sel:DWORD dst_unused:UNUSED_PAD src0_sel:WORD_1 src1_sel:DWORD
	s_movk_i32 s4, 0x7f
	v_cmp_lt_i16_e32 vcc, s4, v13
	s_mov_b64 s[4:5], 0
                                        ; implicit-def: $sgpr10
	s_and_saveexec_b64 s[6:7], vcc
	s_xor_b64 s[6:7], exec, s[6:7]
	s_cbranch_execnz .LBB8_3477
; %bb.1429:
	s_or_saveexec_b64 s[6:7], s[6:7]
	v_mov_b32_e32 v14, s10
	s_xor_b64 exec, exec, s[6:7]
	s_cbranch_execnz .LBB8_3480
.LBB8_1430:
	s_or_b64 exec, exec, s[6:7]
	s_and_saveexec_b64 s[6:7], s[4:5]
	s_cbranch_execz .LBB8_1432
.LBB8_1431:
	v_bfe_u32 v13, v2, 16, 3
	v_ffbh_u32_e32 v16, v13
	v_min_u32_e32 v16, 32, v16
	v_lshrrev_b32_e32 v14, 19, v2
	v_subrev_u32_e32 v17, 28, v16
	v_and_b32_e32 v14, 15, v14
	v_lshlrev_b32_sdwa v17, v17, v2 dst_sel:DWORD dst_unused:UNUSED_PAD src0_sel:DWORD src1_sel:WORD_1
	v_bfe_u32 v15, v2, 19, 4
	v_sub_u32_e32 v16, 29, v16
	v_and_b32_e32 v17, 7, v17
	v_cmp_eq_u16_e32 vcc, 0, v14
	v_cndmask_b32_e32 v13, v13, v17, vcc
	v_cndmask_b32_e32 v14, v15, v16, vcc
	v_lshlrev_b32_e32 v15, 8, v2
	v_mov_b32_e32 v16, 0x3b800000
	v_lshlrev_b32_e32 v13, 20, v13
	v_and_b32_e32 v15, 0x80000000, v15
	v_lshl_add_u32 v14, v14, 23, v16
	v_or3_b32 v14, v15, v14, v13
.LBB8_1432:
	s_or_b64 exec, exec, s[6:7]
	s_nop 0
	v_mfma_f32_16x16x4f32 a[0:3], v12, v14, a[0:3]
	s_movk_i32 s4, 0x7f
	v_cmp_gt_i16_sdwa s[6:7], v6, s4 src0_sel:BYTE_3 src1_sel:DWORD
	s_mov_b64 s[4:5], 0
                                        ; implicit-def: $sgpr10
	s_and_saveexec_b64 s[8:9], s[6:7]
	s_xor_b64 s[6:7], exec, s[8:9]
	s_cbranch_execnz .LBB8_3481
; %bb.1433:
	s_or_saveexec_b64 s[6:7], s[6:7]
	v_mov_b32_e32 v12, s10
	s_xor_b64 exec, exec, s[6:7]
	s_cbranch_execnz .LBB8_3484
.LBB8_1434:
	s_or_b64 exec, exec, s[6:7]
	s_and_saveexec_b64 s[6:7], s[4:5]
	s_cbranch_execz .LBB8_1436
.LBB8_1435:
	v_bfe_u32 v12, v6, 24, 3
	v_ffbh_u32_e32 v16, v12
	v_min_u32_e32 v16, 32, v16
	v_lshrrev_b32_e32 v14, 27, v6
	v_subrev_u32_e32 v17, 28, v16
	v_and_b32_e32 v13, 0x80000000, v6
	v_and_b32_e32 v14, 15, v14
	v_bfe_u32 v15, v6, 27, 4
	v_lshlrev_b32_sdwa v6, v17, v6 dst_sel:DWORD dst_unused:UNUSED_PAD src0_sel:DWORD src1_sel:BYTE_3
	v_sub_u32_e32 v16, 29, v16
	v_and_b32_e32 v6, 7, v6
	v_cmp_eq_u16_e32 vcc, 0, v14
	v_cndmask_b32_e32 v6, v12, v6, vcc
	v_cndmask_b32_e32 v12, v15, v16, vcc
	v_mov_b32_e32 v14, 0x3b800000
	v_lshlrev_b32_e32 v6, 20, v6
	v_lshl_add_u32 v12, v12, 23, v14
	v_or3_b32 v12, v13, v12, v6
.LBB8_1436:
	s_or_b64 exec, exec, s[6:7]
	s_movk_i32 s4, 0x7f
	v_cmp_gt_i16_sdwa s[6:7], v2, s4 src0_sel:BYTE_3 src1_sel:DWORD
	s_mov_b64 s[4:5], 0
                                        ; implicit-def: $sgpr10
	s_and_saveexec_b64 s[8:9], s[6:7]
	s_xor_b64 s[6:7], exec, s[8:9]
	s_cbranch_execnz .LBB8_3485
; %bb.1437:
	s_or_saveexec_b64 s[6:7], s[6:7]
	v_mov_b32_e32 v6, s10
	s_xor_b64 exec, exec, s[6:7]
	s_cbranch_execnz .LBB8_3488
.LBB8_1438:
	s_or_b64 exec, exec, s[6:7]
	s_and_saveexec_b64 s[6:7], s[4:5]
	s_cbranch_execz .LBB8_1440
.LBB8_1439:
	v_bfe_u32 v6, v2, 24, 3
	v_ffbh_u32_e32 v16, v6
	v_min_u32_e32 v16, 32, v16
	v_lshrrev_b32_e32 v14, 27, v2
	v_subrev_u32_e32 v17, 28, v16
	v_and_b32_e32 v13, 0x80000000, v2
	v_and_b32_e32 v14, 15, v14
	v_bfe_u32 v15, v2, 27, 4
	v_lshlrev_b32_sdwa v2, v17, v2 dst_sel:DWORD dst_unused:UNUSED_PAD src0_sel:DWORD src1_sel:BYTE_3
	v_sub_u32_e32 v16, 29, v16
	v_and_b32_e32 v2, 7, v2
	v_cmp_eq_u16_e32 vcc, 0, v14
	v_cndmask_b32_e32 v2, v6, v2, vcc
	v_cndmask_b32_e32 v6, v15, v16, vcc
	v_mov_b32_e32 v14, 0x3b800000
	v_lshlrev_b32_e32 v2, 20, v2
	v_lshl_add_u32 v6, v6, 23, v14
	v_or3_b32 v6, v13, v6, v2
.LBB8_1440:
	s_or_b64 exec, exec, s[6:7]
	s_nop 0
	v_mfma_f32_16x16x4f32 a[0:3], v12, v6, a[0:3]
	s_movk_i32 s4, 0x7f
	v_cmp_gt_i16_sdwa s[6:7], v7, s4 src0_sel:BYTE_0 src1_sel:DWORD
	s_mov_b64 s[4:5], 0
                                        ; implicit-def: $sgpr10
	s_and_saveexec_b64 s[8:9], s[6:7]
	s_xor_b64 s[6:7], exec, s[8:9]
	s_cbranch_execnz .LBB8_3489
; %bb.1441:
	s_or_saveexec_b64 s[6:7], s[6:7]
	v_mov_b32_e32 v2, s10
	s_xor_b64 exec, exec, s[6:7]
	s_cbranch_execnz .LBB8_3492
.LBB8_1442:
	s_or_b64 exec, exec, s[6:7]
	s_and_saveexec_b64 s[6:7], s[4:5]
	s_cbranch_execz .LBB8_1444
.LBB8_1443:
	v_and_b32_e32 v2, 7, v7
	v_ffbh_u32_e32 v12, v2
	v_min_u32_e32 v12, 32, v12
	v_lshrrev_b16_e32 v6, 3, v7
	v_subrev_u32_e32 v13, 28, v12
	v_and_b32_e32 v6, 15, v6
	v_lshlrev_b32_e32 v13, v13, v7
	v_sub_u32_e32 v12, 29, v12
	v_and_b32_e32 v13, 7, v13
	v_cmp_eq_u16_e32 vcc, 0, v6
	v_cndmask_b32_e32 v2, v2, v13, vcc
	v_cndmask_b32_e32 v6, v6, v12, vcc
	v_lshlrev_b32_e32 v12, 24, v7
	v_mov_b32_e32 v13, 0x3b800000
	v_lshlrev_b32_e32 v2, 20, v2
	v_and_b32_e32 v12, 0x80000000, v12
	v_lshl_add_u32 v6, v6, 23, v13
	v_or3_b32 v2, v12, v6, v2
.LBB8_1444:
	s_or_b64 exec, exec, s[6:7]
	s_movk_i32 s4, 0x7f
	v_cmp_gt_i16_sdwa s[6:7], v3, s4 src0_sel:BYTE_0 src1_sel:DWORD
	s_mov_b64 s[4:5], 0
                                        ; implicit-def: $sgpr10
	s_and_saveexec_b64 s[8:9], s[6:7]
	s_xor_b64 s[6:7], exec, s[8:9]
	s_cbranch_execnz .LBB8_3493
; %bb.1445:
	s_or_saveexec_b64 s[6:7], s[6:7]
	v_mov_b32_e32 v6, s10
	s_xor_b64 exec, exec, s[6:7]
	s_cbranch_execnz .LBB8_3496
.LBB8_1446:
	s_or_b64 exec, exec, s[6:7]
	s_and_saveexec_b64 s[6:7], s[4:5]
	s_cbranch_execz .LBB8_1448
.LBB8_1447:
	v_and_b32_e32 v6, 7, v3
	v_ffbh_u32_e32 v13, v6
	v_min_u32_e32 v13, 32, v13
	v_lshrrev_b16_e32 v12, 3, v3
	v_subrev_u32_e32 v14, 28, v13
	v_and_b32_e32 v12, 15, v12
	v_lshlrev_b32_e32 v14, v14, v3
	v_sub_u32_e32 v13, 29, v13
	v_and_b32_e32 v14, 7, v14
	v_cmp_eq_u16_e32 vcc, 0, v12
	v_cndmask_b32_e32 v6, v6, v14, vcc
	v_cndmask_b32_e32 v12, v12, v13, vcc
	v_lshlrev_b32_e32 v13, 24, v3
	v_mov_b32_e32 v14, 0x3b800000
	v_lshlrev_b32_e32 v6, 20, v6
	v_and_b32_e32 v13, 0x80000000, v13
	v_lshl_add_u32 v12, v12, 23, v14
	v_or3_b32 v6, v13, v12, v6
.LBB8_1448:
	s_or_b64 exec, exec, s[6:7]
	s_nop 0
	v_mfma_f32_16x16x4f32 a[0:3], v2, v6, a[0:3]
	v_lshrrev_b32_e32 v6, 8, v7
	s_movk_i32 s4, 0x7f
	v_cmp_gt_i16_sdwa s[6:7], v6, s4 src0_sel:BYTE_0 src1_sel:DWORD
	s_mov_b64 s[4:5], 0
                                        ; implicit-def: $sgpr10
	s_and_saveexec_b64 s[8:9], s[6:7]
	s_xor_b64 s[6:7], exec, s[8:9]
	s_cbranch_execnz .LBB8_3497
; %bb.1449:
	s_or_saveexec_b64 s[6:7], s[6:7]
	v_mov_b32_e32 v2, s10
	s_xor_b64 exec, exec, s[6:7]
	s_cbranch_execnz .LBB8_3500
.LBB8_1450:
	s_or_b64 exec, exec, s[6:7]
	s_and_saveexec_b64 s[6:7], s[4:5]
	s_cbranch_execz .LBB8_1452
.LBB8_1451:
	v_bfe_u32 v2, v7, 8, 3
	v_ffbh_u32_e32 v13, v2
	v_min_u32_e32 v13, 32, v13
	v_lshrrev_b16_e32 v12, 3, v6
	v_subrev_u32_e32 v14, 28, v13
	v_and_b32_e32 v12, 15, v12
	v_lshlrev_b32_e32 v6, v14, v6
	v_sub_u32_e32 v13, 29, v13
	v_and_b32_e32 v6, 7, v6
	v_cmp_eq_u16_e32 vcc, 0, v12
	v_cndmask_b32_e32 v2, v2, v6, vcc
	v_cndmask_b32_e32 v6, v12, v13, vcc
	v_lshlrev_b32_e32 v12, 16, v7
	v_mov_b32_e32 v13, 0x3b800000
	v_lshlrev_b32_e32 v2, 20, v2
	v_and_b32_e32 v12, 0x80000000, v12
	v_lshl_add_u32 v6, v6, 23, v13
	v_or3_b32 v2, v12, v6, v2
.LBB8_1452:
	s_or_b64 exec, exec, s[6:7]
	v_lshrrev_b32_e32 v6, 8, v3
	s_movk_i32 s4, 0x7f
	v_cmp_gt_i16_sdwa s[6:7], v6, s4 src0_sel:BYTE_0 src1_sel:DWORD
	s_mov_b64 s[4:5], 0
                                        ; implicit-def: $sgpr10
	s_and_saveexec_b64 s[8:9], s[6:7]
	s_xor_b64 s[6:7], exec, s[8:9]
	s_cbranch_execnz .LBB8_3501
; %bb.1453:
	s_or_saveexec_b64 s[6:7], s[6:7]
	v_mov_b32_e32 v12, s10
	s_xor_b64 exec, exec, s[6:7]
	s_cbranch_execnz .LBB8_3504
.LBB8_1454:
	s_or_b64 exec, exec, s[6:7]
	s_and_saveexec_b64 s[6:7], s[4:5]
	s_cbranch_execz .LBB8_1456
.LBB8_1455:
	v_bfe_u32 v12, v3, 8, 3
	v_ffbh_u32_e32 v14, v12
	v_min_u32_e32 v14, 32, v14
	v_lshrrev_b16_e32 v13, 3, v6
	v_subrev_u32_e32 v15, 28, v14
	v_and_b32_e32 v13, 15, v13
	v_lshlrev_b32_e32 v6, v15, v6
	v_sub_u32_e32 v14, 29, v14
	v_and_b32_e32 v6, 7, v6
	v_cmp_eq_u16_e32 vcc, 0, v13
	v_cndmask_b32_e32 v6, v12, v6, vcc
	v_cndmask_b32_e32 v12, v13, v14, vcc
	v_lshlrev_b32_e32 v13, 16, v3
	v_mov_b32_e32 v14, 0x3b800000
	v_lshlrev_b32_e32 v6, 20, v6
	v_and_b32_e32 v13, 0x80000000, v13
	v_lshl_add_u32 v12, v12, 23, v14
	v_or3_b32 v12, v13, v12, v6
.LBB8_1456:
	s_or_b64 exec, exec, s[6:7]
	s_nop 0
	v_mfma_f32_16x16x4f32 a[0:3], v2, v12, a[0:3]
	s_movk_i32 s4, 0xff
	v_and_b32_sdwa v6, v7, s4 dst_sel:DWORD dst_unused:UNUSED_PAD src0_sel:WORD_1 src1_sel:DWORD
	s_movk_i32 s4, 0x7f
	v_cmp_lt_i16_e32 vcc, s4, v6
	s_mov_b64 s[4:5], 0
                                        ; implicit-def: $sgpr10
	s_and_saveexec_b64 s[6:7], vcc
	s_xor_b64 s[6:7], exec, s[6:7]
	s_cbranch_execnz .LBB8_3505
; %bb.1457:
	s_or_saveexec_b64 s[6:7], s[6:7]
	v_mov_b32_e32 v2, s10
	s_xor_b64 exec, exec, s[6:7]
	s_cbranch_execnz .LBB8_3508
.LBB8_1458:
	s_or_b64 exec, exec, s[6:7]
	s_and_saveexec_b64 s[6:7], s[4:5]
	s_cbranch_execz .LBB8_1460
.LBB8_1459:
	v_bfe_u32 v2, v7, 16, 3
	v_ffbh_u32_e32 v13, v2
	v_min_u32_e32 v13, 32, v13
	v_lshrrev_b32_e32 v6, 19, v7
	v_subrev_u32_e32 v14, 28, v13
	v_and_b32_e32 v6, 15, v6
	v_lshlrev_b32_sdwa v14, v14, v7 dst_sel:DWORD dst_unused:UNUSED_PAD src0_sel:DWORD src1_sel:WORD_1
	v_bfe_u32 v12, v7, 19, 4
	v_sub_u32_e32 v13, 29, v13
	v_and_b32_e32 v14, 7, v14
	v_cmp_eq_u16_e32 vcc, 0, v6
	v_cndmask_b32_e32 v2, v2, v14, vcc
	v_cndmask_b32_e32 v6, v12, v13, vcc
	v_lshlrev_b32_e32 v12, 8, v7
	v_mov_b32_e32 v13, 0x3b800000
	v_lshlrev_b32_e32 v2, 20, v2
	v_and_b32_e32 v12, 0x80000000, v12
	v_lshl_add_u32 v6, v6, 23, v13
	v_or3_b32 v2, v12, v6, v2
.LBB8_1460:
	s_or_b64 exec, exec, s[6:7]
	s_movk_i32 s4, 0xff
	v_and_b32_sdwa v6, v3, s4 dst_sel:DWORD dst_unused:UNUSED_PAD src0_sel:WORD_1 src1_sel:DWORD
	s_movk_i32 s4, 0x7f
	v_cmp_lt_i16_e32 vcc, s4, v6
	s_mov_b64 s[4:5], 0
                                        ; implicit-def: $sgpr10
	s_and_saveexec_b64 s[6:7], vcc
	s_xor_b64 s[6:7], exec, s[6:7]
	s_cbranch_execnz .LBB8_3509
; %bb.1461:
	s_or_saveexec_b64 s[6:7], s[6:7]
	v_mov_b32_e32 v12, s10
	s_xor_b64 exec, exec, s[6:7]
	s_cbranch_execnz .LBB8_3512
.LBB8_1462:
	s_or_b64 exec, exec, s[6:7]
	s_and_saveexec_b64 s[6:7], s[4:5]
	s_cbranch_execz .LBB8_1464
.LBB8_1463:
	v_bfe_u32 v6, v3, 16, 3
	v_ffbh_u32_e32 v14, v6
	v_min_u32_e32 v14, 32, v14
	v_lshrrev_b32_e32 v12, 19, v3
	v_subrev_u32_e32 v15, 28, v14
	v_and_b32_e32 v12, 15, v12
	v_lshlrev_b32_sdwa v15, v15, v3 dst_sel:DWORD dst_unused:UNUSED_PAD src0_sel:DWORD src1_sel:WORD_1
	v_bfe_u32 v13, v3, 19, 4
	v_sub_u32_e32 v14, 29, v14
	v_and_b32_e32 v15, 7, v15
	v_cmp_eq_u16_e32 vcc, 0, v12
	v_cndmask_b32_e32 v6, v6, v15, vcc
	v_cndmask_b32_e32 v12, v13, v14, vcc
	v_lshlrev_b32_e32 v13, 8, v3
	v_mov_b32_e32 v14, 0x3b800000
	v_lshlrev_b32_e32 v6, 20, v6
	v_and_b32_e32 v13, 0x80000000, v13
	v_lshl_add_u32 v12, v12, 23, v14
	v_or3_b32 v12, v13, v12, v6
.LBB8_1464:
	s_or_b64 exec, exec, s[6:7]
	s_nop 0
	v_mfma_f32_16x16x4f32 a[0:3], v2, v12, a[0:3]
	s_movk_i32 s4, 0x7f
	v_cmp_gt_i16_sdwa s[6:7], v7, s4 src0_sel:BYTE_3 src1_sel:DWORD
	s_mov_b64 s[4:5], 0
                                        ; implicit-def: $sgpr10
	s_and_saveexec_b64 s[8:9], s[6:7]
	s_xor_b64 s[6:7], exec, s[8:9]
	s_cbranch_execnz .LBB8_3513
; %bb.1465:
	s_or_saveexec_b64 s[6:7], s[6:7]
	v_mov_b32_e32 v2, s10
	s_xor_b64 exec, exec, s[6:7]
	s_cbranch_execnz .LBB8_3516
.LBB8_1466:
	s_or_b64 exec, exec, s[6:7]
	s_and_saveexec_b64 s[6:7], s[4:5]
	s_cbranch_execz .LBB8_1468
.LBB8_1467:
	v_bfe_u32 v2, v7, 24, 3
	v_ffbh_u32_e32 v14, v2
	v_min_u32_e32 v14, 32, v14
	v_lshrrev_b32_e32 v12, 27, v7
	v_subrev_u32_e32 v15, 28, v14
	v_and_b32_e32 v6, 0x80000000, v7
	v_and_b32_e32 v12, 15, v12
	v_bfe_u32 v13, v7, 27, 4
	v_lshlrev_b32_sdwa v7, v15, v7 dst_sel:DWORD dst_unused:UNUSED_PAD src0_sel:DWORD src1_sel:BYTE_3
	v_sub_u32_e32 v14, 29, v14
	v_and_b32_e32 v7, 7, v7
	v_cmp_eq_u16_e32 vcc, 0, v12
	v_cndmask_b32_e32 v2, v2, v7, vcc
	v_cndmask_b32_e32 v7, v13, v14, vcc
	v_mov_b32_e32 v12, 0x3b800000
	v_lshlrev_b32_e32 v2, 20, v2
	v_lshl_add_u32 v7, v7, 23, v12
	v_or3_b32 v2, v6, v7, v2
.LBB8_1468:
	s_or_b64 exec, exec, s[6:7]
	s_movk_i32 s4, 0x7f
	v_cmp_gt_i16_sdwa s[6:7], v3, s4 src0_sel:BYTE_3 src1_sel:DWORD
	s_mov_b64 s[4:5], 0
                                        ; implicit-def: $sgpr10
	s_and_saveexec_b64 s[8:9], s[6:7]
	s_xor_b64 s[6:7], exec, s[8:9]
	s_cbranch_execnz .LBB8_3517
; %bb.1469:
	s_or_saveexec_b64 s[6:7], s[6:7]
	v_mov_b32_e32 v6, s10
	s_xor_b64 exec, exec, s[6:7]
	s_cbranch_execnz .LBB8_3520
.LBB8_1470:
	s_or_b64 exec, exec, s[6:7]
	s_and_saveexec_b64 s[6:7], s[4:5]
	s_cbranch_execz .LBB8_1472
.LBB8_1471:
	v_bfe_u32 v6, v3, 24, 3
	v_ffbh_u32_e32 v14, v6
	v_min_u32_e32 v14, 32, v14
	v_lshrrev_b32_e32 v12, 27, v3
	v_subrev_u32_e32 v15, 28, v14
	v_and_b32_e32 v7, 0x80000000, v3
	v_and_b32_e32 v12, 15, v12
	v_bfe_u32 v13, v3, 27, 4
	v_lshlrev_b32_sdwa v3, v15, v3 dst_sel:DWORD dst_unused:UNUSED_PAD src0_sel:DWORD src1_sel:BYTE_3
	v_sub_u32_e32 v14, 29, v14
	v_and_b32_e32 v3, 7, v3
	v_cmp_eq_u16_e32 vcc, 0, v12
	v_cndmask_b32_e32 v3, v6, v3, vcc
	v_cndmask_b32_e32 v6, v13, v14, vcc
	v_mov_b32_e32 v12, 0x3b800000
	v_lshlrev_b32_e32 v3, 20, v3
	v_lshl_add_u32 v6, v6, 23, v12
	v_or3_b32 v6, v7, v6, v3
.LBB8_1472:
	s_or_b64 exec, exec, s[6:7]
	s_nop 0
	v_mfma_f32_16x16x4f32 a[0:3], v2, v6, a[0:3]
	s_movk_i32 s4, 0x7f
	v_cmp_gt_i16_sdwa s[6:7], v8, s4 src0_sel:BYTE_0 src1_sel:DWORD
	s_mov_b64 s[4:5], 0
                                        ; implicit-def: $sgpr10
	s_and_saveexec_b64 s[8:9], s[6:7]
	s_xor_b64 s[6:7], exec, s[8:9]
	s_cbranch_execnz .LBB8_3521
; %bb.1473:
	s_or_saveexec_b64 s[6:7], s[6:7]
	v_mov_b32_e32 v2, s10
	s_xor_b64 exec, exec, s[6:7]
	s_cbranch_execnz .LBB8_3524
.LBB8_1474:
	s_or_b64 exec, exec, s[6:7]
	s_and_saveexec_b64 s[6:7], s[4:5]
	s_cbranch_execz .LBB8_1476
.LBB8_1475:
	v_and_b32_e32 v2, 7, v8
	v_ffbh_u32_e32 v6, v2
	v_min_u32_e32 v6, 32, v6
	v_lshrrev_b16_e32 v3, 3, v8
	v_subrev_u32_e32 v7, 28, v6
	v_and_b32_e32 v3, 15, v3
	v_lshlrev_b32_e32 v7, v7, v8
	v_sub_u32_e32 v6, 29, v6
	v_and_b32_e32 v7, 7, v7
	v_cmp_eq_u16_e32 vcc, 0, v3
	v_cndmask_b32_e32 v2, v2, v7, vcc
	v_cndmask_b32_e32 v3, v3, v6, vcc
	v_lshlrev_b32_e32 v6, 24, v8
	v_mov_b32_e32 v7, 0x3b800000
	v_lshlrev_b32_e32 v2, 20, v2
	v_and_b32_e32 v6, 0x80000000, v6
	v_lshl_add_u32 v3, v3, 23, v7
	v_or3_b32 v2, v6, v3, v2
.LBB8_1476:
	s_or_b64 exec, exec, s[6:7]
	s_movk_i32 s4, 0x7f
	v_cmp_gt_i16_sdwa s[6:7], v4, s4 src0_sel:BYTE_0 src1_sel:DWORD
	s_mov_b64 s[4:5], 0
                                        ; implicit-def: $sgpr10
	s_and_saveexec_b64 s[8:9], s[6:7]
	s_xor_b64 s[6:7], exec, s[8:9]
	s_cbranch_execnz .LBB8_3525
; %bb.1477:
	s_or_saveexec_b64 s[6:7], s[6:7]
	v_mov_b32_e32 v3, s10
	s_xor_b64 exec, exec, s[6:7]
	s_cbranch_execnz .LBB8_3528
.LBB8_1478:
	s_or_b64 exec, exec, s[6:7]
	s_and_saveexec_b64 s[6:7], s[4:5]
	s_cbranch_execz .LBB8_1480
.LBB8_1479:
	v_and_b32_e32 v3, 7, v4
	v_ffbh_u32_e32 v7, v3
	v_min_u32_e32 v7, 32, v7
	v_lshrrev_b16_e32 v6, 3, v4
	v_subrev_u32_e32 v12, 28, v7
	v_and_b32_e32 v6, 15, v6
	v_lshlrev_b32_e32 v12, v12, v4
	v_sub_u32_e32 v7, 29, v7
	v_and_b32_e32 v12, 7, v12
	v_cmp_eq_u16_e32 vcc, 0, v6
	v_cndmask_b32_e32 v3, v3, v12, vcc
	v_cndmask_b32_e32 v6, v6, v7, vcc
	v_lshlrev_b32_e32 v7, 24, v4
	v_mov_b32_e32 v12, 0x3b800000
	v_lshlrev_b32_e32 v3, 20, v3
	v_and_b32_e32 v7, 0x80000000, v7
	v_lshl_add_u32 v6, v6, 23, v12
	v_or3_b32 v3, v7, v6, v3
.LBB8_1480:
	s_or_b64 exec, exec, s[6:7]
	s_nop 0
	v_mfma_f32_16x16x4f32 a[0:3], v2, v3, a[0:3]
	v_lshrrev_b32_e32 v3, 8, v8
	s_movk_i32 s4, 0x7f
	v_cmp_gt_i16_sdwa s[6:7], v3, s4 src0_sel:BYTE_0 src1_sel:DWORD
	s_mov_b64 s[4:5], 0
                                        ; implicit-def: $sgpr10
	s_and_saveexec_b64 s[8:9], s[6:7]
	s_xor_b64 s[6:7], exec, s[8:9]
	s_cbranch_execnz .LBB8_3529
; %bb.1481:
	s_or_saveexec_b64 s[6:7], s[6:7]
	v_mov_b32_e32 v2, s10
	s_xor_b64 exec, exec, s[6:7]
	s_cbranch_execnz .LBB8_3532
.LBB8_1482:
	s_or_b64 exec, exec, s[6:7]
	s_and_saveexec_b64 s[6:7], s[4:5]
	s_cbranch_execz .LBB8_1484
.LBB8_1483:
	v_bfe_u32 v2, v8, 8, 3
	v_ffbh_u32_e32 v7, v2
	v_min_u32_e32 v7, 32, v7
	v_lshrrev_b16_e32 v6, 3, v3
	v_subrev_u32_e32 v12, 28, v7
	v_and_b32_e32 v6, 15, v6
	v_lshlrev_b32_e32 v3, v12, v3
	v_sub_u32_e32 v7, 29, v7
	v_and_b32_e32 v3, 7, v3
	v_cmp_eq_u16_e32 vcc, 0, v6
	v_cndmask_b32_e32 v2, v2, v3, vcc
	v_cndmask_b32_e32 v3, v6, v7, vcc
	v_lshlrev_b32_e32 v6, 16, v8
	v_mov_b32_e32 v7, 0x3b800000
	v_lshlrev_b32_e32 v2, 20, v2
	v_and_b32_e32 v6, 0x80000000, v6
	v_lshl_add_u32 v3, v3, 23, v7
	v_or3_b32 v2, v6, v3, v2
.LBB8_1484:
	s_or_b64 exec, exec, s[6:7]
	v_lshrrev_b32_e32 v3, 8, v4
	s_movk_i32 s4, 0x7f
	v_cmp_gt_i16_sdwa s[6:7], v3, s4 src0_sel:BYTE_0 src1_sel:DWORD
	s_mov_b64 s[4:5], 0
                                        ; implicit-def: $sgpr10
	s_and_saveexec_b64 s[8:9], s[6:7]
	s_xor_b64 s[6:7], exec, s[8:9]
	s_cbranch_execnz .LBB8_3533
; %bb.1485:
	s_or_saveexec_b64 s[6:7], s[6:7]
	v_mov_b32_e32 v6, s10
	s_xor_b64 exec, exec, s[6:7]
	s_cbranch_execnz .LBB8_3536
.LBB8_1486:
	s_or_b64 exec, exec, s[6:7]
	s_and_saveexec_b64 s[6:7], s[4:5]
	s_cbranch_execz .LBB8_1488
.LBB8_1487:
	v_bfe_u32 v6, v4, 8, 3
	v_ffbh_u32_e32 v12, v6
	v_min_u32_e32 v12, 32, v12
	v_lshrrev_b16_e32 v7, 3, v3
	v_subrev_u32_e32 v13, 28, v12
	v_and_b32_e32 v7, 15, v7
	v_lshlrev_b32_e32 v3, v13, v3
	v_sub_u32_e32 v12, 29, v12
	v_and_b32_e32 v3, 7, v3
	v_cmp_eq_u16_e32 vcc, 0, v7
	v_cndmask_b32_e32 v3, v6, v3, vcc
	v_cndmask_b32_e32 v6, v7, v12, vcc
	v_lshlrev_b32_e32 v7, 16, v4
	v_mov_b32_e32 v12, 0x3b800000
	v_lshlrev_b32_e32 v3, 20, v3
	v_and_b32_e32 v7, 0x80000000, v7
	v_lshl_add_u32 v6, v6, 23, v12
	v_or3_b32 v6, v7, v6, v3
.LBB8_1488:
	s_or_b64 exec, exec, s[6:7]
	s_nop 0
	v_mfma_f32_16x16x4f32 a[0:3], v2, v6, a[0:3]
	s_movk_i32 s4, 0xff
	v_and_b32_sdwa v3, v8, s4 dst_sel:DWORD dst_unused:UNUSED_PAD src0_sel:WORD_1 src1_sel:DWORD
	s_movk_i32 s4, 0x7f
	v_cmp_lt_i16_e32 vcc, s4, v3
	s_mov_b64 s[4:5], 0
                                        ; implicit-def: $sgpr10
	s_and_saveexec_b64 s[6:7], vcc
	s_xor_b64 s[6:7], exec, s[6:7]
	s_cbranch_execnz .LBB8_3537
; %bb.1489:
	s_or_saveexec_b64 s[6:7], s[6:7]
	v_mov_b32_e32 v2, s10
	s_xor_b64 exec, exec, s[6:7]
	s_cbranch_execnz .LBB8_3540
.LBB8_1490:
	s_or_b64 exec, exec, s[6:7]
	s_and_saveexec_b64 s[6:7], s[4:5]
	s_cbranch_execz .LBB8_1492
.LBB8_1491:
	v_bfe_u32 v2, v8, 16, 3
	v_ffbh_u32_e32 v7, v2
	v_min_u32_e32 v7, 32, v7
	v_lshrrev_b32_e32 v3, 19, v8
	v_subrev_u32_e32 v12, 28, v7
	v_and_b32_e32 v3, 15, v3
	v_lshlrev_b32_sdwa v12, v12, v8 dst_sel:DWORD dst_unused:UNUSED_PAD src0_sel:DWORD src1_sel:WORD_1
	v_bfe_u32 v6, v8, 19, 4
	v_sub_u32_e32 v7, 29, v7
	v_and_b32_e32 v12, 7, v12
	v_cmp_eq_u16_e32 vcc, 0, v3
	v_cndmask_b32_e32 v2, v2, v12, vcc
	v_cndmask_b32_e32 v3, v6, v7, vcc
	v_lshlrev_b32_e32 v6, 8, v8
	v_mov_b32_e32 v7, 0x3b800000
	v_lshlrev_b32_e32 v2, 20, v2
	v_and_b32_e32 v6, 0x80000000, v6
	v_lshl_add_u32 v3, v3, 23, v7
	v_or3_b32 v2, v6, v3, v2
.LBB8_1492:
	s_or_b64 exec, exec, s[6:7]
	s_movk_i32 s4, 0xff
	v_and_b32_sdwa v3, v4, s4 dst_sel:DWORD dst_unused:UNUSED_PAD src0_sel:WORD_1 src1_sel:DWORD
	s_movk_i32 s4, 0x7f
	v_cmp_lt_i16_e32 vcc, s4, v3
	s_mov_b64 s[4:5], 0
                                        ; implicit-def: $sgpr10
	s_and_saveexec_b64 s[6:7], vcc
	s_xor_b64 s[6:7], exec, s[6:7]
	s_cbranch_execnz .LBB8_3541
; %bb.1493:
	s_or_saveexec_b64 s[6:7], s[6:7]
	v_mov_b32_e32 v6, s10
	s_xor_b64 exec, exec, s[6:7]
	s_cbranch_execnz .LBB8_3544
.LBB8_1494:
	s_or_b64 exec, exec, s[6:7]
	s_and_saveexec_b64 s[6:7], s[4:5]
	s_cbranch_execz .LBB8_1496
.LBB8_1495:
	v_bfe_u32 v3, v4, 16, 3
	v_ffbh_u32_e32 v12, v3
	v_min_u32_e32 v12, 32, v12
	v_lshrrev_b32_e32 v6, 19, v4
	v_subrev_u32_e32 v13, 28, v12
	v_and_b32_e32 v6, 15, v6
	v_lshlrev_b32_sdwa v13, v13, v4 dst_sel:DWORD dst_unused:UNUSED_PAD src0_sel:DWORD src1_sel:WORD_1
	v_bfe_u32 v7, v4, 19, 4
	v_sub_u32_e32 v12, 29, v12
	v_and_b32_e32 v13, 7, v13
	v_cmp_eq_u16_e32 vcc, 0, v6
	v_cndmask_b32_e32 v3, v3, v13, vcc
	v_cndmask_b32_e32 v6, v7, v12, vcc
	v_lshlrev_b32_e32 v7, 8, v4
	v_mov_b32_e32 v12, 0x3b800000
	v_lshlrev_b32_e32 v3, 20, v3
	v_and_b32_e32 v7, 0x80000000, v7
	v_lshl_add_u32 v6, v6, 23, v12
	v_or3_b32 v6, v7, v6, v3
.LBB8_1496:
	s_or_b64 exec, exec, s[6:7]
	s_nop 0
	v_mfma_f32_16x16x4f32 a[0:3], v2, v6, a[0:3]
	s_movk_i32 s4, 0x7f
	v_cmp_gt_i16_sdwa s[6:7], v8, s4 src0_sel:BYTE_3 src1_sel:DWORD
	s_mov_b64 s[4:5], 0
                                        ; implicit-def: $sgpr10
	s_and_saveexec_b64 s[8:9], s[6:7]
	s_xor_b64 s[6:7], exec, s[8:9]
	s_cbranch_execnz .LBB8_3545
; %bb.1497:
	s_or_saveexec_b64 s[6:7], s[6:7]
	v_mov_b32_e32 v2, s10
	s_xor_b64 exec, exec, s[6:7]
	s_cbranch_execnz .LBB8_3548
.LBB8_1498:
	s_or_b64 exec, exec, s[6:7]
	s_and_saveexec_b64 s[6:7], s[4:5]
	s_cbranch_execz .LBB8_1500
.LBB8_1499:
	v_bfe_u32 v2, v8, 24, 3
	v_ffbh_u32_e32 v12, v2
	v_min_u32_e32 v12, 32, v12
	v_lshrrev_b32_e32 v6, 27, v8
	v_subrev_u32_e32 v13, 28, v12
	v_and_b32_e32 v3, 0x80000000, v8
	v_and_b32_e32 v6, 15, v6
	v_bfe_u32 v7, v8, 27, 4
	v_lshlrev_b32_sdwa v8, v13, v8 dst_sel:DWORD dst_unused:UNUSED_PAD src0_sel:DWORD src1_sel:BYTE_3
	v_sub_u32_e32 v12, 29, v12
	v_and_b32_e32 v8, 7, v8
	v_cmp_eq_u16_e32 vcc, 0, v6
	v_cndmask_b32_e32 v2, v2, v8, vcc
	v_cndmask_b32_e32 v6, v7, v12, vcc
	v_mov_b32_e32 v7, 0x3b800000
	v_lshlrev_b32_e32 v2, 20, v2
	v_lshl_add_u32 v6, v6, 23, v7
	v_or3_b32 v2, v3, v6, v2
.LBB8_1500:
	s_or_b64 exec, exec, s[6:7]
	s_movk_i32 s4, 0x7f
	v_cmp_gt_i16_sdwa s[6:7], v4, s4 src0_sel:BYTE_3 src1_sel:DWORD
	s_mov_b64 s[4:5], 0
                                        ; implicit-def: $sgpr10
	s_and_saveexec_b64 s[8:9], s[6:7]
	s_xor_b64 s[6:7], exec, s[8:9]
	s_cbranch_execnz .LBB8_3549
; %bb.1501:
	s_or_saveexec_b64 s[6:7], s[6:7]
	v_mov_b32_e32 v3, s10
	s_xor_b64 exec, exec, s[6:7]
	s_cbranch_execnz .LBB8_3552
.LBB8_1502:
	s_or_b64 exec, exec, s[6:7]
	s_and_saveexec_b64 s[6:7], s[4:5]
	s_cbranch_execz .LBB8_1504
.LBB8_1503:
	v_bfe_u32 v3, v4, 24, 3
	v_ffbh_u32_e32 v12, v3
	v_min_u32_e32 v12, 32, v12
	v_lshrrev_b32_e32 v7, 27, v4
	v_subrev_u32_e32 v13, 28, v12
	v_and_b32_e32 v6, 0x80000000, v4
	v_and_b32_e32 v7, 15, v7
	v_bfe_u32 v8, v4, 27, 4
	v_lshlrev_b32_sdwa v4, v13, v4 dst_sel:DWORD dst_unused:UNUSED_PAD src0_sel:DWORD src1_sel:BYTE_3
	v_sub_u32_e32 v12, 29, v12
	v_and_b32_e32 v4, 7, v4
	v_cmp_eq_u16_e32 vcc, 0, v7
	v_cndmask_b32_e32 v3, v3, v4, vcc
	v_cndmask_b32_e32 v4, v8, v12, vcc
	v_mov_b32_e32 v7, 0x3b800000
	v_lshlrev_b32_e32 v3, 20, v3
	v_lshl_add_u32 v4, v4, 23, v7
	v_or3_b32 v3, v6, v4, v3
.LBB8_1504:
	s_or_b64 exec, exec, s[6:7]
	s_nop 0
	v_mfma_f32_16x16x4f32 a[0:3], v2, v3, a[0:3]
	s_movk_i32 s4, 0x7f
	v_cmp_gt_i16_sdwa s[6:7], v9, s4 src0_sel:BYTE_0 src1_sel:DWORD
	s_mov_b64 s[4:5], 0
                                        ; implicit-def: $sgpr10
	s_and_saveexec_b64 s[8:9], s[6:7]
	s_xor_b64 s[6:7], exec, s[8:9]
	s_cbranch_execnz .LBB8_3553
; %bb.1505:
	s_or_saveexec_b64 s[6:7], s[6:7]
	v_mov_b32_e32 v2, s10
	s_xor_b64 exec, exec, s[6:7]
	s_cbranch_execnz .LBB8_3556
.LBB8_1506:
	s_or_b64 exec, exec, s[6:7]
	s_and_saveexec_b64 s[6:7], s[4:5]
	s_cbranch_execz .LBB8_1508
.LBB8_1507:
	v_mov_b32_e32 v2, 8
	v_and_b32_e32 v3, 7, v9
	v_lshrrev_b32_sdwa v2, v2, v9 dst_sel:BYTE_1 dst_unused:UNUSED_PAD src0_sel:DWORD src1_sel:DWORD
	v_ffbh_u32_e32 v4, v3
	v_or_b32_sdwa v2, v9, v2 dst_sel:DWORD dst_unused:UNUSED_PAD src0_sel:BYTE_0 src1_sel:DWORD
	v_min_u32_e32 v4, 32, v4
	v_lshrrev_b16_e32 v2, 3, v2
	v_subrev_u32_e32 v6, 28, v4
	v_and_b32_e32 v2, 15, v2
	v_lshlrev_b32_e32 v6, v6, v9
	v_sub_u32_e32 v4, 29, v4
	v_and_b32_e32 v6, 7, v6
	v_cmp_eq_u16_e32 vcc, 0, v2
	v_cndmask_b32_e32 v3, v3, v6, vcc
	v_cndmask_b32_e32 v2, v2, v4, vcc
	v_lshlrev_b32_e32 v4, 24, v9
	v_mov_b32_e32 v6, 0x3b800000
	v_lshlrev_b32_e32 v3, 20, v3
	v_and_b32_e32 v4, 0x80000000, v4
	v_lshl_add_u32 v2, v2, 23, v6
	v_or3_b32 v2, v4, v2, v3
.LBB8_1508:
	s_or_b64 exec, exec, s[6:7]
	s_movk_i32 s4, 0x7f
	v_cmp_gt_i16_sdwa s[6:7], v5, s4 src0_sel:BYTE_0 src1_sel:DWORD
	s_mov_b64 s[4:5], 0
                                        ; implicit-def: $sgpr10
	s_and_saveexec_b64 s[8:9], s[6:7]
	s_xor_b64 s[6:7], exec, s[8:9]
	s_cbranch_execnz .LBB8_3557
; %bb.1509:
	s_or_saveexec_b64 s[6:7], s[6:7]
	v_mov_b32_e32 v3, s10
	s_xor_b64 exec, exec, s[6:7]
	s_cbranch_execnz .LBB8_3560
.LBB8_1510:
	s_or_b64 exec, exec, s[6:7]
	s_and_saveexec_b64 s[6:7], s[4:5]
	s_cbranch_execz .LBB8_1512
.LBB8_1511:
	v_mov_b32_e32 v3, 8
	v_and_b32_e32 v4, 7, v5
	v_lshrrev_b32_sdwa v3, v3, v5 dst_sel:BYTE_1 dst_unused:UNUSED_PAD src0_sel:DWORD src1_sel:DWORD
	v_ffbh_u32_e32 v6, v4
	v_or_b32_sdwa v3, v5, v3 dst_sel:DWORD dst_unused:UNUSED_PAD src0_sel:BYTE_0 src1_sel:DWORD
	v_min_u32_e32 v6, 32, v6
	v_lshrrev_b16_e32 v3, 3, v3
	v_subrev_u32_e32 v7, 28, v6
	v_and_b32_e32 v3, 15, v3
	v_lshlrev_b32_e32 v7, v7, v5
	v_sub_u32_e32 v6, 29, v6
	v_and_b32_e32 v7, 7, v7
	v_cmp_eq_u16_e32 vcc, 0, v3
	v_cndmask_b32_e32 v4, v4, v7, vcc
	v_cndmask_b32_e32 v3, v3, v6, vcc
	v_lshlrev_b32_e32 v6, 24, v5
	v_mov_b32_e32 v7, 0x3b800000
	v_lshlrev_b32_e32 v4, 20, v4
	v_and_b32_e32 v6, 0x80000000, v6
	v_lshl_add_u32 v3, v3, 23, v7
	v_or3_b32 v3, v6, v3, v4
.LBB8_1512:
	s_or_b64 exec, exec, s[6:7]
	s_nop 0
	v_mfma_f32_16x16x4f32 a[0:3], v2, v3, a[0:3]
	v_lshrrev_b32_e32 v3, 8, v9
	s_movk_i32 s4, 0x7f
	v_cmp_gt_i16_sdwa s[6:7], v3, s4 src0_sel:BYTE_0 src1_sel:DWORD
	s_mov_b64 s[4:5], 0
                                        ; implicit-def: $sgpr10
	s_and_saveexec_b64 s[8:9], s[6:7]
	s_xor_b64 s[6:7], exec, s[8:9]
	s_cbranch_execnz .LBB8_3561
; %bb.1513:
	s_or_saveexec_b64 s[6:7], s[6:7]
	v_mov_b32_e32 v2, s10
	s_xor_b64 exec, exec, s[6:7]
	s_cbranch_execnz .LBB8_3564
.LBB8_1514:
	s_or_b64 exec, exec, s[6:7]
	s_and_saveexec_b64 s[6:7], s[4:5]
	s_cbranch_execz .LBB8_1516
.LBB8_1515:
	v_bfe_u32 v2, v9, 8, 3
	v_ffbh_u32_e32 v6, v2
	v_min_u32_e32 v6, 32, v6
	v_lshrrev_b16_e32 v4, 3, v3
	v_subrev_u32_e32 v7, 28, v6
	v_and_b32_e32 v4, 15, v4
	v_lshlrev_b32_e32 v3, v7, v3
	v_sub_u32_e32 v6, 29, v6
	v_and_b32_e32 v3, 7, v3
	v_cmp_eq_u16_e32 vcc, 0, v4
	v_cndmask_b32_e32 v2, v2, v3, vcc
	v_cndmask_b32_e32 v3, v4, v6, vcc
	v_lshlrev_b32_e32 v4, 16, v9
	v_mov_b32_e32 v6, 0x3b800000
	v_lshlrev_b32_e32 v2, 20, v2
	v_and_b32_e32 v4, 0x80000000, v4
	v_lshl_add_u32 v3, v3, 23, v6
	v_or3_b32 v2, v4, v3, v2
.LBB8_1516:
	s_or_b64 exec, exec, s[6:7]
	v_lshrrev_b32_e32 v3, 8, v5
	s_movk_i32 s4, 0x7f
	v_cmp_gt_i16_sdwa s[6:7], v3, s4 src0_sel:BYTE_0 src1_sel:DWORD
	s_mov_b64 s[4:5], 0
                                        ; implicit-def: $sgpr10
	s_and_saveexec_b64 s[8:9], s[6:7]
	s_xor_b64 s[6:7], exec, s[8:9]
	s_cbranch_execnz .LBB8_3565
; %bb.1517:
	s_or_saveexec_b64 s[6:7], s[6:7]
	v_mov_b32_e32 v4, s10
	s_xor_b64 exec, exec, s[6:7]
	s_cbranch_execnz .LBB8_3568
.LBB8_1518:
	s_or_b64 exec, exec, s[6:7]
	s_and_saveexec_b64 s[6:7], s[4:5]
	s_cbranch_execz .LBB8_1520
.LBB8_1519:
	v_bfe_u32 v4, v5, 8, 3
	v_ffbh_u32_e32 v7, v4
	v_min_u32_e32 v7, 32, v7
	v_lshrrev_b16_e32 v6, 3, v3
	v_subrev_u32_e32 v8, 28, v7
	v_and_b32_e32 v6, 15, v6
	v_lshlrev_b32_e32 v3, v8, v3
	v_sub_u32_e32 v7, 29, v7
	v_and_b32_e32 v3, 7, v3
	v_cmp_eq_u16_e32 vcc, 0, v6
	v_cndmask_b32_e32 v3, v4, v3, vcc
	v_cndmask_b32_e32 v4, v6, v7, vcc
	v_lshlrev_b32_e32 v6, 16, v5
	v_mov_b32_e32 v7, 0x3b800000
	v_lshlrev_b32_e32 v3, 20, v3
	v_and_b32_e32 v6, 0x80000000, v6
	v_lshl_add_u32 v4, v4, 23, v7
	v_or3_b32 v4, v6, v4, v3
.LBB8_1520:
	s_or_b64 exec, exec, s[6:7]
	s_nop 0
	v_mfma_f32_16x16x4f32 a[0:3], v2, v4, a[0:3]
	s_movk_i32 s4, 0xff
	v_and_b32_sdwa v3, v9, s4 dst_sel:DWORD dst_unused:UNUSED_PAD src0_sel:WORD_1 src1_sel:DWORD
	s_movk_i32 s4, 0x7f
	v_cmp_lt_i16_e32 vcc, s4, v3
	s_mov_b64 s[4:5], 0
                                        ; implicit-def: $sgpr10
	s_and_saveexec_b64 s[6:7], vcc
	s_xor_b64 s[6:7], exec, s[6:7]
	s_cbranch_execnz .LBB8_3569
; %bb.1521:
	s_or_saveexec_b64 s[6:7], s[6:7]
	v_mov_b32_e32 v2, s10
	s_xor_b64 exec, exec, s[6:7]
	s_cbranch_execnz .LBB8_3572
.LBB8_1522:
	s_or_b64 exec, exec, s[6:7]
	s_and_saveexec_b64 s[6:7], s[4:5]
	s_cbranch_execz .LBB8_1524
.LBB8_1523:
	v_bfe_u32 v2, v9, 16, 3
	v_ffbh_u32_e32 v6, v2
	v_min_u32_e32 v6, 32, v6
	v_lshrrev_b32_e32 v3, 19, v9
	v_subrev_u32_e32 v7, 28, v6
	v_and_b32_e32 v3, 15, v3
	v_lshlrev_b32_sdwa v7, v7, v9 dst_sel:DWORD dst_unused:UNUSED_PAD src0_sel:DWORD src1_sel:WORD_1
	v_bfe_u32 v4, v9, 19, 4
	v_sub_u32_e32 v6, 29, v6
	v_and_b32_e32 v7, 7, v7
	v_cmp_eq_u16_e32 vcc, 0, v3
	v_cndmask_b32_e32 v2, v2, v7, vcc
	v_cndmask_b32_e32 v3, v4, v6, vcc
	v_lshlrev_b32_e32 v4, 8, v9
	v_mov_b32_e32 v6, 0x3b800000
	v_lshlrev_b32_e32 v2, 20, v2
	v_and_b32_e32 v4, 0x80000000, v4
	v_lshl_add_u32 v3, v3, 23, v6
	v_or3_b32 v2, v4, v3, v2
.LBB8_1524:
	s_or_b64 exec, exec, s[6:7]
	s_movk_i32 s4, 0xff
	v_and_b32_sdwa v3, v5, s4 dst_sel:DWORD dst_unused:UNUSED_PAD src0_sel:WORD_1 src1_sel:DWORD
	s_movk_i32 s4, 0x7f
	v_cmp_lt_i16_e32 vcc, s4, v3
	s_mov_b64 s[4:5], 0
                                        ; implicit-def: $sgpr10
	s_and_saveexec_b64 s[6:7], vcc
	s_xor_b64 s[6:7], exec, s[6:7]
	s_cbranch_execnz .LBB8_3573
; %bb.1525:
	s_or_saveexec_b64 s[6:7], s[6:7]
	v_mov_b32_e32 v4, s10
	s_xor_b64 exec, exec, s[6:7]
	s_cbranch_execnz .LBB8_3576
.LBB8_1526:
	s_or_b64 exec, exec, s[6:7]
	s_and_saveexec_b64 s[6:7], s[4:5]
	s_cbranch_execz .LBB8_1528
.LBB8_1527:
	v_bfe_u32 v3, v5, 16, 3
	v_ffbh_u32_e32 v7, v3
	v_min_u32_e32 v7, 32, v7
	v_lshrrev_b32_e32 v4, 19, v5
	v_subrev_u32_e32 v8, 28, v7
	v_and_b32_e32 v4, 15, v4
	v_lshlrev_b32_sdwa v8, v8, v5 dst_sel:DWORD dst_unused:UNUSED_PAD src0_sel:DWORD src1_sel:WORD_1
	v_bfe_u32 v6, v5, 19, 4
	v_sub_u32_e32 v7, 29, v7
	v_and_b32_e32 v8, 7, v8
	v_cmp_eq_u16_e32 vcc, 0, v4
	v_cndmask_b32_e32 v3, v3, v8, vcc
	v_cndmask_b32_e32 v4, v6, v7, vcc
	v_lshlrev_b32_e32 v6, 8, v5
	v_mov_b32_e32 v7, 0x3b800000
	v_lshlrev_b32_e32 v3, 20, v3
	v_and_b32_e32 v6, 0x80000000, v6
	v_lshl_add_u32 v4, v4, 23, v7
	v_or3_b32 v4, v6, v4, v3
.LBB8_1528:
	s_or_b64 exec, exec, s[6:7]
	s_nop 0
	v_mfma_f32_16x16x4f32 a[0:3], v2, v4, a[0:3]
	s_movk_i32 s4, 0x7f
	v_cmp_gt_i16_sdwa s[6:7], v9, s4 src0_sel:BYTE_3 src1_sel:DWORD
	s_mov_b64 s[4:5], 0
                                        ; implicit-def: $sgpr10
	s_and_saveexec_b64 s[8:9], s[6:7]
	s_xor_b64 s[6:7], exec, s[8:9]
	s_cbranch_execnz .LBB8_3577
; %bb.1529:
	s_or_saveexec_b64 s[6:7], s[6:7]
	v_mov_b32_e32 v2, s10
	s_xor_b64 exec, exec, s[6:7]
	s_cbranch_execnz .LBB8_3580
.LBB8_1530:
	s_or_b64 exec, exec, s[6:7]
	s_and_saveexec_b64 s[6:7], s[4:5]
	s_cbranch_execz .LBB8_1532
.LBB8_1531:
	v_bfe_u32 v2, v9, 24, 3
	v_ffbh_u32_e32 v7, v2
	v_min_u32_e32 v7, 32, v7
	v_lshrrev_b32_e32 v4, 27, v9
	v_subrev_u32_e32 v8, 28, v7
	v_and_b32_e32 v4, 15, v4
	v_lshlrev_b32_sdwa v8, v8, v9 dst_sel:DWORD dst_unused:UNUSED_PAD src0_sel:DWORD src1_sel:BYTE_3
	v_bfe_u32 v6, v9, 27, 4
	v_sub_u32_e32 v7, 29, v7
	v_and_b32_e32 v8, 7, v8
	v_cmp_eq_u16_e32 vcc, 0, v4
	v_cndmask_b32_e32 v2, v2, v8, vcc
	v_cndmask_b32_e32 v4, v6, v7, vcc
	v_mov_b32_e32 v6, 0x3b800000
	v_and_b32_e32 v3, 0x80000000, v9
	v_lshlrev_b32_e32 v2, 20, v2
	v_lshl_add_u32 v4, v4, 23, v6
	v_or3_b32 v2, v3, v4, v2
.LBB8_1532:
	s_or_b64 exec, exec, s[6:7]
	s_movk_i32 s4, 0x7f
	v_cmp_gt_i16_sdwa s[6:7], v5, s4 src0_sel:BYTE_3 src1_sel:DWORD
	s_mov_b64 s[4:5], 0
                                        ; implicit-def: $sgpr10
	s_and_saveexec_b64 s[8:9], s[6:7]
	s_xor_b64 s[6:7], exec, s[8:9]
	s_cbranch_execnz .LBB8_3581
; %bb.1533:
	s_or_saveexec_b64 s[6:7], s[6:7]
	v_mov_b32_e32 v3, s10
	s_xor_b64 exec, exec, s[6:7]
	s_cbranch_execnz .LBB8_3584
.LBB8_1534:
	s_or_b64 exec, exec, s[6:7]
	s_and_saveexec_b64 s[6:7], s[4:5]
	s_cbranch_execz .LBB8_1536
.LBB8_1535:
	v_bfe_u32 v3, v5, 24, 3
	v_ffbh_u32_e32 v8, v3
	v_min_u32_e32 v8, 32, v8
	v_lshrrev_b32_e32 v6, 27, v5
	v_subrev_u32_e32 v9, 28, v8
	v_and_b32_e32 v4, 0x80000000, v5
	v_and_b32_e32 v6, 15, v6
	v_bfe_u32 v7, v5, 27, 4
	v_lshlrev_b32_sdwa v5, v9, v5 dst_sel:DWORD dst_unused:UNUSED_PAD src0_sel:DWORD src1_sel:BYTE_3
	v_sub_u32_e32 v8, 29, v8
	v_and_b32_e32 v5, 7, v5
	v_cmp_eq_u16_e32 vcc, 0, v6
	v_cndmask_b32_e32 v3, v3, v5, vcc
	v_cndmask_b32_e32 v5, v7, v8, vcc
	v_mov_b32_e32 v6, 0x3b800000
	v_lshlrev_b32_e32 v3, 20, v3
	v_lshl_add_u32 v5, v5, 23, v6
	v_or3_b32 v3, v4, v5, v3
.LBB8_1536:
	s_or_b64 exec, exec, s[6:7]
	s_nop 0
	v_mfma_f32_16x16x4f32 a[0:3], v2, v3, a[0:3]
	s_movk_i32 s4, 0x7f
                                        ; implicit-def: $sgpr10
	s_nop 7
	s_nop 1
	flat_store_dwordx4 v[10:11], a[0:3] offset:176
	flat_load_dwordx4 v[12:15], v[0:1] offset:8
	s_nop 0
	flat_load_dwordx2 v[10:11], v[0:1] offset:32
	s_waitcnt vmcnt(0) lgkmcnt(0)
	flat_load_dwordx4 v[6:9], v[12:13] offset:96
	flat_load_dwordx4 v[2:5], v[14:15]
	s_waitcnt vmcnt(0) lgkmcnt(0)
	v_cmp_gt_i16_sdwa s[6:7], v6, s4 src0_sel:BYTE_0 src1_sel:DWORD
	s_mov_b64 s[4:5], 0
	s_and_saveexec_b64 s[8:9], s[6:7]
	s_xor_b64 s[6:7], exec, s[8:9]
	s_cbranch_execnz .LBB8_3585
; %bb.1537:
	s_or_saveexec_b64 s[6:7], s[6:7]
	v_mov_b32_e32 v12, s10
	s_xor_b64 exec, exec, s[6:7]
	s_cbranch_execnz .LBB8_3588
.LBB8_1538:
	s_or_b64 exec, exec, s[6:7]
	s_and_saveexec_b64 s[6:7], s[4:5]
	s_cbranch_execz .LBB8_1540
.LBB8_1539:
	v_and_b32_e32 v12, 7, v6
	v_ffbh_u32_e32 v14, v12
	v_min_u32_e32 v14, 32, v14
	v_lshrrev_b16_e32 v13, 3, v6
	v_subrev_u32_e32 v15, 28, v14
	v_and_b32_e32 v13, 15, v13
	v_lshlrev_b32_e32 v15, v15, v6
	v_sub_u32_e32 v14, 29, v14
	v_and_b32_e32 v15, 7, v15
	v_cmp_eq_u16_e32 vcc, 0, v13
	v_cndmask_b32_e32 v12, v12, v15, vcc
	v_cndmask_b32_e32 v13, v13, v14, vcc
	v_lshlrev_b32_e32 v14, 24, v6
	v_mov_b32_e32 v15, 0x3b800000
	v_lshlrev_b32_e32 v12, 20, v12
	v_and_b32_e32 v14, 0x80000000, v14
	v_lshl_add_u32 v13, v13, 23, v15
	v_or3_b32 v12, v14, v13, v12
.LBB8_1540:
	s_or_b64 exec, exec, s[6:7]
	s_movk_i32 s4, 0x7f
	v_cmp_gt_i16_sdwa s[6:7], v2, s4 src0_sel:BYTE_0 src1_sel:DWORD
	s_mov_b64 s[4:5], 0
                                        ; implicit-def: $sgpr10
	s_and_saveexec_b64 s[8:9], s[6:7]
	s_xor_b64 s[6:7], exec, s[8:9]
	s_cbranch_execnz .LBB8_3589
; %bb.1541:
	s_or_saveexec_b64 s[6:7], s[6:7]
	v_mov_b32_e32 v13, s10
	s_xor_b64 exec, exec, s[6:7]
	s_cbranch_execnz .LBB8_3592
.LBB8_1542:
	s_or_b64 exec, exec, s[6:7]
	s_and_saveexec_b64 s[6:7], s[4:5]
	s_cbranch_execz .LBB8_1544
.LBB8_1543:
	v_and_b32_e32 v13, 7, v2
	v_ffbh_u32_e32 v15, v13
	v_min_u32_e32 v15, 32, v15
	v_lshrrev_b16_e32 v14, 3, v2
	v_subrev_u32_e32 v16, 28, v15
	v_and_b32_e32 v14, 15, v14
	v_lshlrev_b32_e32 v16, v16, v2
	v_sub_u32_e32 v15, 29, v15
	v_and_b32_e32 v16, 7, v16
	v_cmp_eq_u16_e32 vcc, 0, v14
	v_cndmask_b32_e32 v13, v13, v16, vcc
	v_cndmask_b32_e32 v14, v14, v15, vcc
	v_lshlrev_b32_e32 v15, 24, v2
	v_mov_b32_e32 v16, 0x3b800000
	v_lshlrev_b32_e32 v13, 20, v13
	v_and_b32_e32 v15, 0x80000000, v15
	v_lshl_add_u32 v14, v14, 23, v16
	v_or3_b32 v13, v15, v14, v13
.LBB8_1544:
	s_or_b64 exec, exec, s[6:7]
	flat_load_dwordx4 a[0:3], v[10:11] offset:192
	s_movk_i32 s4, 0x7f
                                        ; implicit-def: $sgpr10
	s_waitcnt vmcnt(0) lgkmcnt(0)
	v_mfma_f32_16x16x4f32 a[0:3], v12, v13, a[0:3]
	v_lshrrev_b32_e32 v13, 8, v6
	v_cmp_gt_i16_sdwa s[6:7], v13, s4 src0_sel:BYTE_0 src1_sel:DWORD
	s_mov_b64 s[4:5], 0
	s_and_saveexec_b64 s[8:9], s[6:7]
	s_xor_b64 s[6:7], exec, s[8:9]
	s_cbranch_execnz .LBB8_3593
; %bb.1545:
	s_or_saveexec_b64 s[6:7], s[6:7]
	v_mov_b32_e32 v12, s10
	s_xor_b64 exec, exec, s[6:7]
	s_cbranch_execnz .LBB8_3596
.LBB8_1546:
	s_or_b64 exec, exec, s[6:7]
	s_and_saveexec_b64 s[6:7], s[4:5]
	s_cbranch_execz .LBB8_1548
.LBB8_1547:
	v_bfe_u32 v12, v6, 8, 3
	v_ffbh_u32_e32 v15, v12
	v_min_u32_e32 v15, 32, v15
	v_lshrrev_b16_e32 v14, 3, v13
	v_subrev_u32_e32 v16, 28, v15
	v_and_b32_e32 v14, 15, v14
	v_lshlrev_b32_e32 v13, v16, v13
	v_sub_u32_e32 v15, 29, v15
	v_and_b32_e32 v13, 7, v13
	v_cmp_eq_u16_e32 vcc, 0, v14
	v_cndmask_b32_e32 v12, v12, v13, vcc
	v_cndmask_b32_e32 v13, v14, v15, vcc
	v_lshlrev_b32_e32 v14, 16, v6
	v_mov_b32_e32 v15, 0x3b800000
	v_lshlrev_b32_e32 v12, 20, v12
	v_and_b32_e32 v14, 0x80000000, v14
	v_lshl_add_u32 v13, v13, 23, v15
	v_or3_b32 v12, v14, v13, v12
.LBB8_1548:
	s_or_b64 exec, exec, s[6:7]
	v_lshrrev_b32_e32 v13, 8, v2
	s_movk_i32 s4, 0x7f
	v_cmp_gt_i16_sdwa s[6:7], v13, s4 src0_sel:BYTE_0 src1_sel:DWORD
	s_mov_b64 s[4:5], 0
                                        ; implicit-def: $sgpr10
	s_and_saveexec_b64 s[8:9], s[6:7]
	s_xor_b64 s[6:7], exec, s[8:9]
	s_cbranch_execnz .LBB8_3597
; %bb.1549:
	s_or_saveexec_b64 s[6:7], s[6:7]
	v_mov_b32_e32 v14, s10
	s_xor_b64 exec, exec, s[6:7]
	s_cbranch_execnz .LBB8_3600
.LBB8_1550:
	s_or_b64 exec, exec, s[6:7]
	s_and_saveexec_b64 s[6:7], s[4:5]
	s_cbranch_execz .LBB8_1552
.LBB8_1551:
	v_bfe_u32 v14, v2, 8, 3
	v_ffbh_u32_e32 v16, v14
	v_min_u32_e32 v16, 32, v16
	v_lshrrev_b16_e32 v15, 3, v13
	v_subrev_u32_e32 v17, 28, v16
	v_and_b32_e32 v15, 15, v15
	v_lshlrev_b32_e32 v13, v17, v13
	v_sub_u32_e32 v16, 29, v16
	v_and_b32_e32 v13, 7, v13
	v_cmp_eq_u16_e32 vcc, 0, v15
	v_cndmask_b32_e32 v13, v14, v13, vcc
	v_cndmask_b32_e32 v14, v15, v16, vcc
	v_lshlrev_b32_e32 v15, 16, v2
	v_mov_b32_e32 v16, 0x3b800000
	v_lshlrev_b32_e32 v13, 20, v13
	v_and_b32_e32 v15, 0x80000000, v15
	v_lshl_add_u32 v14, v14, 23, v16
	v_or3_b32 v14, v15, v14, v13
.LBB8_1552:
	s_or_b64 exec, exec, s[6:7]
	s_nop 0
	v_mfma_f32_16x16x4f32 a[0:3], v12, v14, a[0:3]
	s_movk_i32 s4, 0xff
	v_and_b32_sdwa v13, v6, s4 dst_sel:DWORD dst_unused:UNUSED_PAD src0_sel:WORD_1 src1_sel:DWORD
	s_movk_i32 s4, 0x7f
	v_cmp_lt_i16_e32 vcc, s4, v13
	s_mov_b64 s[4:5], 0
                                        ; implicit-def: $sgpr10
	s_and_saveexec_b64 s[6:7], vcc
	s_xor_b64 s[6:7], exec, s[6:7]
	s_cbranch_execnz .LBB8_3601
; %bb.1553:
	s_or_saveexec_b64 s[6:7], s[6:7]
	v_mov_b32_e32 v12, s10
	s_xor_b64 exec, exec, s[6:7]
	s_cbranch_execnz .LBB8_3604
.LBB8_1554:
	s_or_b64 exec, exec, s[6:7]
	s_and_saveexec_b64 s[6:7], s[4:5]
	s_cbranch_execz .LBB8_1556
.LBB8_1555:
	v_bfe_u32 v12, v6, 16, 3
	v_ffbh_u32_e32 v15, v12
	v_min_u32_e32 v15, 32, v15
	v_lshrrev_b32_e32 v13, 19, v6
	v_subrev_u32_e32 v16, 28, v15
	v_and_b32_e32 v13, 15, v13
	v_lshlrev_b32_sdwa v16, v16, v6 dst_sel:DWORD dst_unused:UNUSED_PAD src0_sel:DWORD src1_sel:WORD_1
	v_bfe_u32 v14, v6, 19, 4
	v_sub_u32_e32 v15, 29, v15
	v_and_b32_e32 v16, 7, v16
	v_cmp_eq_u16_e32 vcc, 0, v13
	v_cndmask_b32_e32 v12, v12, v16, vcc
	v_cndmask_b32_e32 v13, v14, v15, vcc
	v_lshlrev_b32_e32 v14, 8, v6
	v_mov_b32_e32 v15, 0x3b800000
	v_lshlrev_b32_e32 v12, 20, v12
	v_and_b32_e32 v14, 0x80000000, v14
	v_lshl_add_u32 v13, v13, 23, v15
	v_or3_b32 v12, v14, v13, v12
.LBB8_1556:
	s_or_b64 exec, exec, s[6:7]
	s_movk_i32 s4, 0xff
	v_and_b32_sdwa v13, v2, s4 dst_sel:DWORD dst_unused:UNUSED_PAD src0_sel:WORD_1 src1_sel:DWORD
	s_movk_i32 s4, 0x7f
	v_cmp_lt_i16_e32 vcc, s4, v13
	s_mov_b64 s[4:5], 0
                                        ; implicit-def: $sgpr10
	s_and_saveexec_b64 s[6:7], vcc
	s_xor_b64 s[6:7], exec, s[6:7]
	s_cbranch_execnz .LBB8_3605
; %bb.1557:
	s_or_saveexec_b64 s[6:7], s[6:7]
	v_mov_b32_e32 v14, s10
	s_xor_b64 exec, exec, s[6:7]
	s_cbranch_execnz .LBB8_3608
.LBB8_1558:
	s_or_b64 exec, exec, s[6:7]
	s_and_saveexec_b64 s[6:7], s[4:5]
	s_cbranch_execz .LBB8_1560
.LBB8_1559:
	v_bfe_u32 v13, v2, 16, 3
	v_ffbh_u32_e32 v16, v13
	v_min_u32_e32 v16, 32, v16
	v_lshrrev_b32_e32 v14, 19, v2
	v_subrev_u32_e32 v17, 28, v16
	v_and_b32_e32 v14, 15, v14
	v_lshlrev_b32_sdwa v17, v17, v2 dst_sel:DWORD dst_unused:UNUSED_PAD src0_sel:DWORD src1_sel:WORD_1
	v_bfe_u32 v15, v2, 19, 4
	v_sub_u32_e32 v16, 29, v16
	v_and_b32_e32 v17, 7, v17
	v_cmp_eq_u16_e32 vcc, 0, v14
	v_cndmask_b32_e32 v13, v13, v17, vcc
	v_cndmask_b32_e32 v14, v15, v16, vcc
	v_lshlrev_b32_e32 v15, 8, v2
	v_mov_b32_e32 v16, 0x3b800000
	v_lshlrev_b32_e32 v13, 20, v13
	v_and_b32_e32 v15, 0x80000000, v15
	v_lshl_add_u32 v14, v14, 23, v16
	v_or3_b32 v14, v15, v14, v13
.LBB8_1560:
	s_or_b64 exec, exec, s[6:7]
	s_nop 0
	v_mfma_f32_16x16x4f32 a[0:3], v12, v14, a[0:3]
	s_movk_i32 s4, 0x7f
	v_cmp_gt_i16_sdwa s[6:7], v6, s4 src0_sel:BYTE_3 src1_sel:DWORD
	s_mov_b64 s[4:5], 0
                                        ; implicit-def: $sgpr10
	s_and_saveexec_b64 s[8:9], s[6:7]
	s_xor_b64 s[6:7], exec, s[8:9]
	s_cbranch_execnz .LBB8_3609
; %bb.1561:
	s_or_saveexec_b64 s[6:7], s[6:7]
	v_mov_b32_e32 v12, s10
	s_xor_b64 exec, exec, s[6:7]
	s_cbranch_execnz .LBB8_3612
.LBB8_1562:
	s_or_b64 exec, exec, s[6:7]
	s_and_saveexec_b64 s[6:7], s[4:5]
	s_cbranch_execz .LBB8_1564
.LBB8_1563:
	v_bfe_u32 v12, v6, 24, 3
	v_ffbh_u32_e32 v16, v12
	v_min_u32_e32 v16, 32, v16
	v_lshrrev_b32_e32 v14, 27, v6
	v_subrev_u32_e32 v17, 28, v16
	v_and_b32_e32 v13, 0x80000000, v6
	v_and_b32_e32 v14, 15, v14
	v_bfe_u32 v15, v6, 27, 4
	v_lshlrev_b32_sdwa v6, v17, v6 dst_sel:DWORD dst_unused:UNUSED_PAD src0_sel:DWORD src1_sel:BYTE_3
	v_sub_u32_e32 v16, 29, v16
	v_and_b32_e32 v6, 7, v6
	v_cmp_eq_u16_e32 vcc, 0, v14
	v_cndmask_b32_e32 v6, v12, v6, vcc
	v_cndmask_b32_e32 v12, v15, v16, vcc
	v_mov_b32_e32 v14, 0x3b800000
	v_lshlrev_b32_e32 v6, 20, v6
	v_lshl_add_u32 v12, v12, 23, v14
	v_or3_b32 v12, v13, v12, v6
.LBB8_1564:
	s_or_b64 exec, exec, s[6:7]
	s_movk_i32 s4, 0x7f
	v_cmp_gt_i16_sdwa s[6:7], v2, s4 src0_sel:BYTE_3 src1_sel:DWORD
	s_mov_b64 s[4:5], 0
                                        ; implicit-def: $sgpr10
	s_and_saveexec_b64 s[8:9], s[6:7]
	s_xor_b64 s[6:7], exec, s[8:9]
	s_cbranch_execnz .LBB8_3613
; %bb.1565:
	s_or_saveexec_b64 s[6:7], s[6:7]
	v_mov_b32_e32 v6, s10
	s_xor_b64 exec, exec, s[6:7]
	s_cbranch_execnz .LBB8_3616
.LBB8_1566:
	s_or_b64 exec, exec, s[6:7]
	s_and_saveexec_b64 s[6:7], s[4:5]
	s_cbranch_execz .LBB8_1568
.LBB8_1567:
	v_bfe_u32 v6, v2, 24, 3
	v_ffbh_u32_e32 v16, v6
	v_min_u32_e32 v16, 32, v16
	v_lshrrev_b32_e32 v14, 27, v2
	v_subrev_u32_e32 v17, 28, v16
	v_and_b32_e32 v13, 0x80000000, v2
	v_and_b32_e32 v14, 15, v14
	v_bfe_u32 v15, v2, 27, 4
	v_lshlrev_b32_sdwa v2, v17, v2 dst_sel:DWORD dst_unused:UNUSED_PAD src0_sel:DWORD src1_sel:BYTE_3
	v_sub_u32_e32 v16, 29, v16
	v_and_b32_e32 v2, 7, v2
	v_cmp_eq_u16_e32 vcc, 0, v14
	v_cndmask_b32_e32 v2, v6, v2, vcc
	v_cndmask_b32_e32 v6, v15, v16, vcc
	v_mov_b32_e32 v14, 0x3b800000
	v_lshlrev_b32_e32 v2, 20, v2
	v_lshl_add_u32 v6, v6, 23, v14
	v_or3_b32 v6, v13, v6, v2
.LBB8_1568:
	s_or_b64 exec, exec, s[6:7]
	s_nop 0
	v_mfma_f32_16x16x4f32 a[0:3], v12, v6, a[0:3]
	s_movk_i32 s4, 0x7f
	v_cmp_gt_i16_sdwa s[6:7], v7, s4 src0_sel:BYTE_0 src1_sel:DWORD
	s_mov_b64 s[4:5], 0
                                        ; implicit-def: $sgpr10
	s_and_saveexec_b64 s[8:9], s[6:7]
	s_xor_b64 s[6:7], exec, s[8:9]
	s_cbranch_execnz .LBB8_3617
; %bb.1569:
	s_or_saveexec_b64 s[6:7], s[6:7]
	v_mov_b32_e32 v2, s10
	s_xor_b64 exec, exec, s[6:7]
	s_cbranch_execnz .LBB8_3620
.LBB8_1570:
	s_or_b64 exec, exec, s[6:7]
	s_and_saveexec_b64 s[6:7], s[4:5]
	s_cbranch_execz .LBB8_1572
.LBB8_1571:
	v_and_b32_e32 v2, 7, v7
	v_ffbh_u32_e32 v12, v2
	v_min_u32_e32 v12, 32, v12
	v_lshrrev_b16_e32 v6, 3, v7
	v_subrev_u32_e32 v13, 28, v12
	v_and_b32_e32 v6, 15, v6
	v_lshlrev_b32_e32 v13, v13, v7
	v_sub_u32_e32 v12, 29, v12
	v_and_b32_e32 v13, 7, v13
	v_cmp_eq_u16_e32 vcc, 0, v6
	v_cndmask_b32_e32 v2, v2, v13, vcc
	v_cndmask_b32_e32 v6, v6, v12, vcc
	v_lshlrev_b32_e32 v12, 24, v7
	v_mov_b32_e32 v13, 0x3b800000
	v_lshlrev_b32_e32 v2, 20, v2
	v_and_b32_e32 v12, 0x80000000, v12
	v_lshl_add_u32 v6, v6, 23, v13
	v_or3_b32 v2, v12, v6, v2
.LBB8_1572:
	s_or_b64 exec, exec, s[6:7]
	s_movk_i32 s4, 0x7f
	v_cmp_gt_i16_sdwa s[6:7], v3, s4 src0_sel:BYTE_0 src1_sel:DWORD
	s_mov_b64 s[4:5], 0
                                        ; implicit-def: $sgpr10
	s_and_saveexec_b64 s[8:9], s[6:7]
	s_xor_b64 s[6:7], exec, s[8:9]
	s_cbranch_execnz .LBB8_3621
; %bb.1573:
	s_or_saveexec_b64 s[6:7], s[6:7]
	v_mov_b32_e32 v6, s10
	s_xor_b64 exec, exec, s[6:7]
	s_cbranch_execnz .LBB8_3624
.LBB8_1574:
	s_or_b64 exec, exec, s[6:7]
	s_and_saveexec_b64 s[6:7], s[4:5]
	s_cbranch_execz .LBB8_1576
.LBB8_1575:
	v_and_b32_e32 v6, 7, v3
	v_ffbh_u32_e32 v13, v6
	v_min_u32_e32 v13, 32, v13
	v_lshrrev_b16_e32 v12, 3, v3
	v_subrev_u32_e32 v14, 28, v13
	v_and_b32_e32 v12, 15, v12
	v_lshlrev_b32_e32 v14, v14, v3
	v_sub_u32_e32 v13, 29, v13
	v_and_b32_e32 v14, 7, v14
	v_cmp_eq_u16_e32 vcc, 0, v12
	v_cndmask_b32_e32 v6, v6, v14, vcc
	v_cndmask_b32_e32 v12, v12, v13, vcc
	v_lshlrev_b32_e32 v13, 24, v3
	v_mov_b32_e32 v14, 0x3b800000
	v_lshlrev_b32_e32 v6, 20, v6
	v_and_b32_e32 v13, 0x80000000, v13
	v_lshl_add_u32 v12, v12, 23, v14
	v_or3_b32 v6, v13, v12, v6
.LBB8_1576:
	s_or_b64 exec, exec, s[6:7]
	s_nop 0
	v_mfma_f32_16x16x4f32 a[0:3], v2, v6, a[0:3]
	v_lshrrev_b32_e32 v6, 8, v7
	s_movk_i32 s4, 0x7f
	v_cmp_gt_i16_sdwa s[6:7], v6, s4 src0_sel:BYTE_0 src1_sel:DWORD
	s_mov_b64 s[4:5], 0
                                        ; implicit-def: $sgpr10
	s_and_saveexec_b64 s[8:9], s[6:7]
	s_xor_b64 s[6:7], exec, s[8:9]
	s_cbranch_execnz .LBB8_3625
; %bb.1577:
	s_or_saveexec_b64 s[6:7], s[6:7]
	v_mov_b32_e32 v2, s10
	s_xor_b64 exec, exec, s[6:7]
	s_cbranch_execnz .LBB8_3628
.LBB8_1578:
	s_or_b64 exec, exec, s[6:7]
	s_and_saveexec_b64 s[6:7], s[4:5]
	s_cbranch_execz .LBB8_1580
.LBB8_1579:
	v_bfe_u32 v2, v7, 8, 3
	v_ffbh_u32_e32 v13, v2
	v_min_u32_e32 v13, 32, v13
	v_lshrrev_b16_e32 v12, 3, v6
	v_subrev_u32_e32 v14, 28, v13
	v_and_b32_e32 v12, 15, v12
	v_lshlrev_b32_e32 v6, v14, v6
	v_sub_u32_e32 v13, 29, v13
	v_and_b32_e32 v6, 7, v6
	v_cmp_eq_u16_e32 vcc, 0, v12
	v_cndmask_b32_e32 v2, v2, v6, vcc
	v_cndmask_b32_e32 v6, v12, v13, vcc
	v_lshlrev_b32_e32 v12, 16, v7
	v_mov_b32_e32 v13, 0x3b800000
	v_lshlrev_b32_e32 v2, 20, v2
	v_and_b32_e32 v12, 0x80000000, v12
	v_lshl_add_u32 v6, v6, 23, v13
	v_or3_b32 v2, v12, v6, v2
.LBB8_1580:
	s_or_b64 exec, exec, s[6:7]
	v_lshrrev_b32_e32 v6, 8, v3
	s_movk_i32 s4, 0x7f
	v_cmp_gt_i16_sdwa s[6:7], v6, s4 src0_sel:BYTE_0 src1_sel:DWORD
	s_mov_b64 s[4:5], 0
                                        ; implicit-def: $sgpr10
	s_and_saveexec_b64 s[8:9], s[6:7]
	s_xor_b64 s[6:7], exec, s[8:9]
	s_cbranch_execnz .LBB8_3629
; %bb.1581:
	s_or_saveexec_b64 s[6:7], s[6:7]
	v_mov_b32_e32 v12, s10
	s_xor_b64 exec, exec, s[6:7]
	s_cbranch_execnz .LBB8_3632
.LBB8_1582:
	s_or_b64 exec, exec, s[6:7]
	s_and_saveexec_b64 s[6:7], s[4:5]
	s_cbranch_execz .LBB8_1584
.LBB8_1583:
	v_bfe_u32 v12, v3, 8, 3
	v_ffbh_u32_e32 v14, v12
	v_min_u32_e32 v14, 32, v14
	v_lshrrev_b16_e32 v13, 3, v6
	v_subrev_u32_e32 v15, 28, v14
	v_and_b32_e32 v13, 15, v13
	v_lshlrev_b32_e32 v6, v15, v6
	v_sub_u32_e32 v14, 29, v14
	v_and_b32_e32 v6, 7, v6
	v_cmp_eq_u16_e32 vcc, 0, v13
	v_cndmask_b32_e32 v6, v12, v6, vcc
	v_cndmask_b32_e32 v12, v13, v14, vcc
	v_lshlrev_b32_e32 v13, 16, v3
	v_mov_b32_e32 v14, 0x3b800000
	v_lshlrev_b32_e32 v6, 20, v6
	v_and_b32_e32 v13, 0x80000000, v13
	v_lshl_add_u32 v12, v12, 23, v14
	v_or3_b32 v12, v13, v12, v6
.LBB8_1584:
	s_or_b64 exec, exec, s[6:7]
	s_nop 0
	v_mfma_f32_16x16x4f32 a[0:3], v2, v12, a[0:3]
	s_movk_i32 s4, 0xff
	v_and_b32_sdwa v6, v7, s4 dst_sel:DWORD dst_unused:UNUSED_PAD src0_sel:WORD_1 src1_sel:DWORD
	s_movk_i32 s4, 0x7f
	v_cmp_lt_i16_e32 vcc, s4, v6
	s_mov_b64 s[4:5], 0
                                        ; implicit-def: $sgpr10
	s_and_saveexec_b64 s[6:7], vcc
	s_xor_b64 s[6:7], exec, s[6:7]
	s_cbranch_execnz .LBB8_3633
; %bb.1585:
	s_or_saveexec_b64 s[6:7], s[6:7]
	v_mov_b32_e32 v2, s10
	s_xor_b64 exec, exec, s[6:7]
	s_cbranch_execnz .LBB8_3636
.LBB8_1586:
	s_or_b64 exec, exec, s[6:7]
	s_and_saveexec_b64 s[6:7], s[4:5]
	s_cbranch_execz .LBB8_1588
.LBB8_1587:
	v_bfe_u32 v2, v7, 16, 3
	v_ffbh_u32_e32 v13, v2
	v_min_u32_e32 v13, 32, v13
	v_lshrrev_b32_e32 v6, 19, v7
	v_subrev_u32_e32 v14, 28, v13
	v_and_b32_e32 v6, 15, v6
	v_lshlrev_b32_sdwa v14, v14, v7 dst_sel:DWORD dst_unused:UNUSED_PAD src0_sel:DWORD src1_sel:WORD_1
	v_bfe_u32 v12, v7, 19, 4
	v_sub_u32_e32 v13, 29, v13
	v_and_b32_e32 v14, 7, v14
	v_cmp_eq_u16_e32 vcc, 0, v6
	v_cndmask_b32_e32 v2, v2, v14, vcc
	v_cndmask_b32_e32 v6, v12, v13, vcc
	v_lshlrev_b32_e32 v12, 8, v7
	v_mov_b32_e32 v13, 0x3b800000
	v_lshlrev_b32_e32 v2, 20, v2
	v_and_b32_e32 v12, 0x80000000, v12
	v_lshl_add_u32 v6, v6, 23, v13
	v_or3_b32 v2, v12, v6, v2
.LBB8_1588:
	s_or_b64 exec, exec, s[6:7]
	s_movk_i32 s4, 0xff
	v_and_b32_sdwa v6, v3, s4 dst_sel:DWORD dst_unused:UNUSED_PAD src0_sel:WORD_1 src1_sel:DWORD
	s_movk_i32 s4, 0x7f
	v_cmp_lt_i16_e32 vcc, s4, v6
	s_mov_b64 s[4:5], 0
                                        ; implicit-def: $sgpr10
	s_and_saveexec_b64 s[6:7], vcc
	s_xor_b64 s[6:7], exec, s[6:7]
	s_cbranch_execnz .LBB8_3637
; %bb.1589:
	s_or_saveexec_b64 s[6:7], s[6:7]
	v_mov_b32_e32 v12, s10
	s_xor_b64 exec, exec, s[6:7]
	s_cbranch_execnz .LBB8_3640
.LBB8_1590:
	s_or_b64 exec, exec, s[6:7]
	s_and_saveexec_b64 s[6:7], s[4:5]
	s_cbranch_execz .LBB8_1592
.LBB8_1591:
	v_bfe_u32 v6, v3, 16, 3
	v_ffbh_u32_e32 v14, v6
	v_min_u32_e32 v14, 32, v14
	v_lshrrev_b32_e32 v12, 19, v3
	v_subrev_u32_e32 v15, 28, v14
	v_and_b32_e32 v12, 15, v12
	v_lshlrev_b32_sdwa v15, v15, v3 dst_sel:DWORD dst_unused:UNUSED_PAD src0_sel:DWORD src1_sel:WORD_1
	v_bfe_u32 v13, v3, 19, 4
	v_sub_u32_e32 v14, 29, v14
	v_and_b32_e32 v15, 7, v15
	v_cmp_eq_u16_e32 vcc, 0, v12
	v_cndmask_b32_e32 v6, v6, v15, vcc
	v_cndmask_b32_e32 v12, v13, v14, vcc
	v_lshlrev_b32_e32 v13, 8, v3
	v_mov_b32_e32 v14, 0x3b800000
	v_lshlrev_b32_e32 v6, 20, v6
	v_and_b32_e32 v13, 0x80000000, v13
	v_lshl_add_u32 v12, v12, 23, v14
	v_or3_b32 v12, v13, v12, v6
.LBB8_1592:
	s_or_b64 exec, exec, s[6:7]
	s_nop 0
	v_mfma_f32_16x16x4f32 a[0:3], v2, v12, a[0:3]
	s_movk_i32 s4, 0x7f
	v_cmp_gt_i16_sdwa s[6:7], v7, s4 src0_sel:BYTE_3 src1_sel:DWORD
	s_mov_b64 s[4:5], 0
                                        ; implicit-def: $sgpr10
	s_and_saveexec_b64 s[8:9], s[6:7]
	s_xor_b64 s[6:7], exec, s[8:9]
	s_cbranch_execnz .LBB8_3641
; %bb.1593:
	s_or_saveexec_b64 s[6:7], s[6:7]
	v_mov_b32_e32 v2, s10
	s_xor_b64 exec, exec, s[6:7]
	s_cbranch_execnz .LBB8_3644
.LBB8_1594:
	s_or_b64 exec, exec, s[6:7]
	s_and_saveexec_b64 s[6:7], s[4:5]
	s_cbranch_execz .LBB8_1596
.LBB8_1595:
	v_bfe_u32 v2, v7, 24, 3
	v_ffbh_u32_e32 v14, v2
	v_min_u32_e32 v14, 32, v14
	v_lshrrev_b32_e32 v12, 27, v7
	v_subrev_u32_e32 v15, 28, v14
	v_and_b32_e32 v6, 0x80000000, v7
	v_and_b32_e32 v12, 15, v12
	v_bfe_u32 v13, v7, 27, 4
	v_lshlrev_b32_sdwa v7, v15, v7 dst_sel:DWORD dst_unused:UNUSED_PAD src0_sel:DWORD src1_sel:BYTE_3
	v_sub_u32_e32 v14, 29, v14
	v_and_b32_e32 v7, 7, v7
	v_cmp_eq_u16_e32 vcc, 0, v12
	v_cndmask_b32_e32 v2, v2, v7, vcc
	v_cndmask_b32_e32 v7, v13, v14, vcc
	v_mov_b32_e32 v12, 0x3b800000
	v_lshlrev_b32_e32 v2, 20, v2
	v_lshl_add_u32 v7, v7, 23, v12
	v_or3_b32 v2, v6, v7, v2
.LBB8_1596:
	s_or_b64 exec, exec, s[6:7]
	s_movk_i32 s4, 0x7f
	v_cmp_gt_i16_sdwa s[6:7], v3, s4 src0_sel:BYTE_3 src1_sel:DWORD
	s_mov_b64 s[4:5], 0
                                        ; implicit-def: $sgpr10
	s_and_saveexec_b64 s[8:9], s[6:7]
	s_xor_b64 s[6:7], exec, s[8:9]
	s_cbranch_execnz .LBB8_3645
; %bb.1597:
	s_or_saveexec_b64 s[6:7], s[6:7]
	v_mov_b32_e32 v6, s10
	s_xor_b64 exec, exec, s[6:7]
	s_cbranch_execnz .LBB8_3648
.LBB8_1598:
	s_or_b64 exec, exec, s[6:7]
	s_and_saveexec_b64 s[6:7], s[4:5]
	s_cbranch_execz .LBB8_1600
.LBB8_1599:
	v_bfe_u32 v6, v3, 24, 3
	v_ffbh_u32_e32 v14, v6
	v_min_u32_e32 v14, 32, v14
	v_lshrrev_b32_e32 v12, 27, v3
	v_subrev_u32_e32 v15, 28, v14
	v_and_b32_e32 v7, 0x80000000, v3
	v_and_b32_e32 v12, 15, v12
	v_bfe_u32 v13, v3, 27, 4
	v_lshlrev_b32_sdwa v3, v15, v3 dst_sel:DWORD dst_unused:UNUSED_PAD src0_sel:DWORD src1_sel:BYTE_3
	v_sub_u32_e32 v14, 29, v14
	v_and_b32_e32 v3, 7, v3
	v_cmp_eq_u16_e32 vcc, 0, v12
	v_cndmask_b32_e32 v3, v6, v3, vcc
	v_cndmask_b32_e32 v6, v13, v14, vcc
	v_mov_b32_e32 v12, 0x3b800000
	v_lshlrev_b32_e32 v3, 20, v3
	v_lshl_add_u32 v6, v6, 23, v12
	v_or3_b32 v6, v7, v6, v3
.LBB8_1600:
	s_or_b64 exec, exec, s[6:7]
	s_nop 0
	v_mfma_f32_16x16x4f32 a[0:3], v2, v6, a[0:3]
	s_movk_i32 s4, 0x7f
	v_cmp_gt_i16_sdwa s[6:7], v8, s4 src0_sel:BYTE_0 src1_sel:DWORD
	s_mov_b64 s[4:5], 0
                                        ; implicit-def: $sgpr10
	s_and_saveexec_b64 s[8:9], s[6:7]
	s_xor_b64 s[6:7], exec, s[8:9]
	s_cbranch_execnz .LBB8_3649
; %bb.1601:
	s_or_saveexec_b64 s[6:7], s[6:7]
	v_mov_b32_e32 v2, s10
	s_xor_b64 exec, exec, s[6:7]
	s_cbranch_execnz .LBB8_3652
.LBB8_1602:
	s_or_b64 exec, exec, s[6:7]
	s_and_saveexec_b64 s[6:7], s[4:5]
	s_cbranch_execz .LBB8_1604
.LBB8_1603:
	v_and_b32_e32 v2, 7, v8
	v_ffbh_u32_e32 v6, v2
	v_min_u32_e32 v6, 32, v6
	v_lshrrev_b16_e32 v3, 3, v8
	v_subrev_u32_e32 v7, 28, v6
	v_and_b32_e32 v3, 15, v3
	v_lshlrev_b32_e32 v7, v7, v8
	v_sub_u32_e32 v6, 29, v6
	v_and_b32_e32 v7, 7, v7
	v_cmp_eq_u16_e32 vcc, 0, v3
	v_cndmask_b32_e32 v2, v2, v7, vcc
	v_cndmask_b32_e32 v3, v3, v6, vcc
	v_lshlrev_b32_e32 v6, 24, v8
	v_mov_b32_e32 v7, 0x3b800000
	v_lshlrev_b32_e32 v2, 20, v2
	v_and_b32_e32 v6, 0x80000000, v6
	v_lshl_add_u32 v3, v3, 23, v7
	v_or3_b32 v2, v6, v3, v2
.LBB8_1604:
	s_or_b64 exec, exec, s[6:7]
	s_movk_i32 s4, 0x7f
	v_cmp_gt_i16_sdwa s[6:7], v4, s4 src0_sel:BYTE_0 src1_sel:DWORD
	s_mov_b64 s[4:5], 0
                                        ; implicit-def: $sgpr10
	s_and_saveexec_b64 s[8:9], s[6:7]
	s_xor_b64 s[6:7], exec, s[8:9]
	s_cbranch_execnz .LBB8_3653
; %bb.1605:
	s_or_saveexec_b64 s[6:7], s[6:7]
	v_mov_b32_e32 v3, s10
	s_xor_b64 exec, exec, s[6:7]
	s_cbranch_execnz .LBB8_3656
.LBB8_1606:
	s_or_b64 exec, exec, s[6:7]
	s_and_saveexec_b64 s[6:7], s[4:5]
	s_cbranch_execz .LBB8_1608
.LBB8_1607:
	v_and_b32_e32 v3, 7, v4
	v_ffbh_u32_e32 v7, v3
	v_min_u32_e32 v7, 32, v7
	v_lshrrev_b16_e32 v6, 3, v4
	v_subrev_u32_e32 v12, 28, v7
	v_and_b32_e32 v6, 15, v6
	v_lshlrev_b32_e32 v12, v12, v4
	v_sub_u32_e32 v7, 29, v7
	v_and_b32_e32 v12, 7, v12
	v_cmp_eq_u16_e32 vcc, 0, v6
	v_cndmask_b32_e32 v3, v3, v12, vcc
	v_cndmask_b32_e32 v6, v6, v7, vcc
	v_lshlrev_b32_e32 v7, 24, v4
	v_mov_b32_e32 v12, 0x3b800000
	v_lshlrev_b32_e32 v3, 20, v3
	v_and_b32_e32 v7, 0x80000000, v7
	v_lshl_add_u32 v6, v6, 23, v12
	v_or3_b32 v3, v7, v6, v3
.LBB8_1608:
	s_or_b64 exec, exec, s[6:7]
	s_nop 0
	v_mfma_f32_16x16x4f32 a[0:3], v2, v3, a[0:3]
	v_lshrrev_b32_e32 v3, 8, v8
	s_movk_i32 s4, 0x7f
	v_cmp_gt_i16_sdwa s[6:7], v3, s4 src0_sel:BYTE_0 src1_sel:DWORD
	s_mov_b64 s[4:5], 0
                                        ; implicit-def: $sgpr10
	s_and_saveexec_b64 s[8:9], s[6:7]
	s_xor_b64 s[6:7], exec, s[8:9]
	s_cbranch_execnz .LBB8_3657
; %bb.1609:
	s_or_saveexec_b64 s[6:7], s[6:7]
	v_mov_b32_e32 v2, s10
	s_xor_b64 exec, exec, s[6:7]
	s_cbranch_execnz .LBB8_3660
.LBB8_1610:
	s_or_b64 exec, exec, s[6:7]
	s_and_saveexec_b64 s[6:7], s[4:5]
	s_cbranch_execz .LBB8_1612
.LBB8_1611:
	v_bfe_u32 v2, v8, 8, 3
	v_ffbh_u32_e32 v7, v2
	v_min_u32_e32 v7, 32, v7
	v_lshrrev_b16_e32 v6, 3, v3
	v_subrev_u32_e32 v12, 28, v7
	v_and_b32_e32 v6, 15, v6
	v_lshlrev_b32_e32 v3, v12, v3
	v_sub_u32_e32 v7, 29, v7
	v_and_b32_e32 v3, 7, v3
	v_cmp_eq_u16_e32 vcc, 0, v6
	v_cndmask_b32_e32 v2, v2, v3, vcc
	v_cndmask_b32_e32 v3, v6, v7, vcc
	v_lshlrev_b32_e32 v6, 16, v8
	v_mov_b32_e32 v7, 0x3b800000
	v_lshlrev_b32_e32 v2, 20, v2
	v_and_b32_e32 v6, 0x80000000, v6
	v_lshl_add_u32 v3, v3, 23, v7
	v_or3_b32 v2, v6, v3, v2
.LBB8_1612:
	s_or_b64 exec, exec, s[6:7]
	v_lshrrev_b32_e32 v3, 8, v4
	s_movk_i32 s4, 0x7f
	v_cmp_gt_i16_sdwa s[6:7], v3, s4 src0_sel:BYTE_0 src1_sel:DWORD
	s_mov_b64 s[4:5], 0
                                        ; implicit-def: $sgpr10
	s_and_saveexec_b64 s[8:9], s[6:7]
	s_xor_b64 s[6:7], exec, s[8:9]
	s_cbranch_execnz .LBB8_3661
; %bb.1613:
	s_or_saveexec_b64 s[6:7], s[6:7]
	v_mov_b32_e32 v6, s10
	s_xor_b64 exec, exec, s[6:7]
	s_cbranch_execnz .LBB8_3664
.LBB8_1614:
	s_or_b64 exec, exec, s[6:7]
	s_and_saveexec_b64 s[6:7], s[4:5]
	s_cbranch_execz .LBB8_1616
.LBB8_1615:
	v_bfe_u32 v6, v4, 8, 3
	v_ffbh_u32_e32 v12, v6
	v_min_u32_e32 v12, 32, v12
	v_lshrrev_b16_e32 v7, 3, v3
	v_subrev_u32_e32 v13, 28, v12
	v_and_b32_e32 v7, 15, v7
	v_lshlrev_b32_e32 v3, v13, v3
	v_sub_u32_e32 v12, 29, v12
	v_and_b32_e32 v3, 7, v3
	v_cmp_eq_u16_e32 vcc, 0, v7
	v_cndmask_b32_e32 v3, v6, v3, vcc
	v_cndmask_b32_e32 v6, v7, v12, vcc
	v_lshlrev_b32_e32 v7, 16, v4
	v_mov_b32_e32 v12, 0x3b800000
	v_lshlrev_b32_e32 v3, 20, v3
	v_and_b32_e32 v7, 0x80000000, v7
	v_lshl_add_u32 v6, v6, 23, v12
	v_or3_b32 v6, v7, v6, v3
.LBB8_1616:
	s_or_b64 exec, exec, s[6:7]
	s_nop 0
	v_mfma_f32_16x16x4f32 a[0:3], v2, v6, a[0:3]
	s_movk_i32 s4, 0xff
	v_and_b32_sdwa v3, v8, s4 dst_sel:DWORD dst_unused:UNUSED_PAD src0_sel:WORD_1 src1_sel:DWORD
	s_movk_i32 s4, 0x7f
	v_cmp_lt_i16_e32 vcc, s4, v3
	s_mov_b64 s[4:5], 0
                                        ; implicit-def: $sgpr10
	s_and_saveexec_b64 s[6:7], vcc
	s_xor_b64 s[6:7], exec, s[6:7]
	s_cbranch_execnz .LBB8_3665
; %bb.1617:
	s_or_saveexec_b64 s[6:7], s[6:7]
	v_mov_b32_e32 v2, s10
	s_xor_b64 exec, exec, s[6:7]
	s_cbranch_execnz .LBB8_3668
.LBB8_1618:
	s_or_b64 exec, exec, s[6:7]
	s_and_saveexec_b64 s[6:7], s[4:5]
	s_cbranch_execz .LBB8_1620
.LBB8_1619:
	v_bfe_u32 v2, v8, 16, 3
	v_ffbh_u32_e32 v7, v2
	v_min_u32_e32 v7, 32, v7
	v_lshrrev_b32_e32 v3, 19, v8
	v_subrev_u32_e32 v12, 28, v7
	v_and_b32_e32 v3, 15, v3
	v_lshlrev_b32_sdwa v12, v12, v8 dst_sel:DWORD dst_unused:UNUSED_PAD src0_sel:DWORD src1_sel:WORD_1
	v_bfe_u32 v6, v8, 19, 4
	v_sub_u32_e32 v7, 29, v7
	v_and_b32_e32 v12, 7, v12
	v_cmp_eq_u16_e32 vcc, 0, v3
	v_cndmask_b32_e32 v2, v2, v12, vcc
	v_cndmask_b32_e32 v3, v6, v7, vcc
	v_lshlrev_b32_e32 v6, 8, v8
	v_mov_b32_e32 v7, 0x3b800000
	v_lshlrev_b32_e32 v2, 20, v2
	v_and_b32_e32 v6, 0x80000000, v6
	v_lshl_add_u32 v3, v3, 23, v7
	v_or3_b32 v2, v6, v3, v2
.LBB8_1620:
	s_or_b64 exec, exec, s[6:7]
	s_movk_i32 s4, 0xff
	v_and_b32_sdwa v3, v4, s4 dst_sel:DWORD dst_unused:UNUSED_PAD src0_sel:WORD_1 src1_sel:DWORD
	s_movk_i32 s4, 0x7f
	v_cmp_lt_i16_e32 vcc, s4, v3
	s_mov_b64 s[4:5], 0
                                        ; implicit-def: $sgpr10
	s_and_saveexec_b64 s[6:7], vcc
	s_xor_b64 s[6:7], exec, s[6:7]
	s_cbranch_execnz .LBB8_3669
; %bb.1621:
	s_or_saveexec_b64 s[6:7], s[6:7]
	v_mov_b32_e32 v6, s10
	s_xor_b64 exec, exec, s[6:7]
	s_cbranch_execnz .LBB8_3672
.LBB8_1622:
	s_or_b64 exec, exec, s[6:7]
	s_and_saveexec_b64 s[6:7], s[4:5]
	s_cbranch_execz .LBB8_1624
.LBB8_1623:
	v_bfe_u32 v3, v4, 16, 3
	v_ffbh_u32_e32 v12, v3
	v_min_u32_e32 v12, 32, v12
	v_lshrrev_b32_e32 v6, 19, v4
	v_subrev_u32_e32 v13, 28, v12
	v_and_b32_e32 v6, 15, v6
	v_lshlrev_b32_sdwa v13, v13, v4 dst_sel:DWORD dst_unused:UNUSED_PAD src0_sel:DWORD src1_sel:WORD_1
	v_bfe_u32 v7, v4, 19, 4
	v_sub_u32_e32 v12, 29, v12
	v_and_b32_e32 v13, 7, v13
	v_cmp_eq_u16_e32 vcc, 0, v6
	v_cndmask_b32_e32 v3, v3, v13, vcc
	v_cndmask_b32_e32 v6, v7, v12, vcc
	v_lshlrev_b32_e32 v7, 8, v4
	v_mov_b32_e32 v12, 0x3b800000
	v_lshlrev_b32_e32 v3, 20, v3
	v_and_b32_e32 v7, 0x80000000, v7
	v_lshl_add_u32 v6, v6, 23, v12
	v_or3_b32 v6, v7, v6, v3
.LBB8_1624:
	s_or_b64 exec, exec, s[6:7]
	s_nop 0
	v_mfma_f32_16x16x4f32 a[0:3], v2, v6, a[0:3]
	s_movk_i32 s4, 0x7f
	v_cmp_gt_i16_sdwa s[6:7], v8, s4 src0_sel:BYTE_3 src1_sel:DWORD
	s_mov_b64 s[4:5], 0
                                        ; implicit-def: $sgpr10
	s_and_saveexec_b64 s[8:9], s[6:7]
	s_xor_b64 s[6:7], exec, s[8:9]
	s_cbranch_execnz .LBB8_3673
; %bb.1625:
	s_or_saveexec_b64 s[6:7], s[6:7]
	v_mov_b32_e32 v2, s10
	s_xor_b64 exec, exec, s[6:7]
	s_cbranch_execnz .LBB8_3676
.LBB8_1626:
	s_or_b64 exec, exec, s[6:7]
	s_and_saveexec_b64 s[6:7], s[4:5]
	s_cbranch_execz .LBB8_1628
.LBB8_1627:
	v_bfe_u32 v2, v8, 24, 3
	v_ffbh_u32_e32 v12, v2
	v_min_u32_e32 v12, 32, v12
	v_lshrrev_b32_e32 v6, 27, v8
	v_subrev_u32_e32 v13, 28, v12
	v_and_b32_e32 v3, 0x80000000, v8
	v_and_b32_e32 v6, 15, v6
	v_bfe_u32 v7, v8, 27, 4
	v_lshlrev_b32_sdwa v8, v13, v8 dst_sel:DWORD dst_unused:UNUSED_PAD src0_sel:DWORD src1_sel:BYTE_3
	v_sub_u32_e32 v12, 29, v12
	v_and_b32_e32 v8, 7, v8
	v_cmp_eq_u16_e32 vcc, 0, v6
	v_cndmask_b32_e32 v2, v2, v8, vcc
	v_cndmask_b32_e32 v6, v7, v12, vcc
	v_mov_b32_e32 v7, 0x3b800000
	v_lshlrev_b32_e32 v2, 20, v2
	v_lshl_add_u32 v6, v6, 23, v7
	v_or3_b32 v2, v3, v6, v2
.LBB8_1628:
	s_or_b64 exec, exec, s[6:7]
	s_movk_i32 s4, 0x7f
	v_cmp_gt_i16_sdwa s[6:7], v4, s4 src0_sel:BYTE_3 src1_sel:DWORD
	s_mov_b64 s[4:5], 0
                                        ; implicit-def: $sgpr10
	s_and_saveexec_b64 s[8:9], s[6:7]
	s_xor_b64 s[6:7], exec, s[8:9]
	s_cbranch_execnz .LBB8_3677
; %bb.1629:
	s_or_saveexec_b64 s[6:7], s[6:7]
	v_mov_b32_e32 v3, s10
	s_xor_b64 exec, exec, s[6:7]
	s_cbranch_execnz .LBB8_3680
.LBB8_1630:
	s_or_b64 exec, exec, s[6:7]
	s_and_saveexec_b64 s[6:7], s[4:5]
	s_cbranch_execz .LBB8_1632
.LBB8_1631:
	v_bfe_u32 v3, v4, 24, 3
	v_ffbh_u32_e32 v12, v3
	v_min_u32_e32 v12, 32, v12
	v_lshrrev_b32_e32 v7, 27, v4
	v_subrev_u32_e32 v13, 28, v12
	v_and_b32_e32 v6, 0x80000000, v4
	v_and_b32_e32 v7, 15, v7
	v_bfe_u32 v8, v4, 27, 4
	v_lshlrev_b32_sdwa v4, v13, v4 dst_sel:DWORD dst_unused:UNUSED_PAD src0_sel:DWORD src1_sel:BYTE_3
	v_sub_u32_e32 v12, 29, v12
	v_and_b32_e32 v4, 7, v4
	v_cmp_eq_u16_e32 vcc, 0, v7
	v_cndmask_b32_e32 v3, v3, v4, vcc
	v_cndmask_b32_e32 v4, v8, v12, vcc
	v_mov_b32_e32 v7, 0x3b800000
	v_lshlrev_b32_e32 v3, 20, v3
	v_lshl_add_u32 v4, v4, 23, v7
	v_or3_b32 v3, v6, v4, v3
.LBB8_1632:
	s_or_b64 exec, exec, s[6:7]
	s_nop 0
	v_mfma_f32_16x16x4f32 a[0:3], v2, v3, a[0:3]
	s_movk_i32 s4, 0x7f
	v_cmp_gt_i16_sdwa s[6:7], v9, s4 src0_sel:BYTE_0 src1_sel:DWORD
	s_mov_b64 s[4:5], 0
                                        ; implicit-def: $sgpr10
	s_and_saveexec_b64 s[8:9], s[6:7]
	s_xor_b64 s[6:7], exec, s[8:9]
	s_cbranch_execnz .LBB8_3681
; %bb.1633:
	s_or_saveexec_b64 s[6:7], s[6:7]
	v_mov_b32_e32 v2, s10
	s_xor_b64 exec, exec, s[6:7]
	s_cbranch_execnz .LBB8_3684
.LBB8_1634:
	s_or_b64 exec, exec, s[6:7]
	s_and_saveexec_b64 s[6:7], s[4:5]
	s_cbranch_execz .LBB8_1636
.LBB8_1635:
	v_mov_b32_e32 v2, 8
	v_and_b32_e32 v3, 7, v9
	v_lshrrev_b32_sdwa v2, v2, v9 dst_sel:BYTE_1 dst_unused:UNUSED_PAD src0_sel:DWORD src1_sel:DWORD
	v_ffbh_u32_e32 v4, v3
	v_or_b32_sdwa v2, v9, v2 dst_sel:DWORD dst_unused:UNUSED_PAD src0_sel:BYTE_0 src1_sel:DWORD
	v_min_u32_e32 v4, 32, v4
	v_lshrrev_b16_e32 v2, 3, v2
	v_subrev_u32_e32 v6, 28, v4
	v_and_b32_e32 v2, 15, v2
	v_lshlrev_b32_e32 v6, v6, v9
	v_sub_u32_e32 v4, 29, v4
	v_and_b32_e32 v6, 7, v6
	v_cmp_eq_u16_e32 vcc, 0, v2
	v_cndmask_b32_e32 v3, v3, v6, vcc
	v_cndmask_b32_e32 v2, v2, v4, vcc
	v_lshlrev_b32_e32 v4, 24, v9
	v_mov_b32_e32 v6, 0x3b800000
	v_lshlrev_b32_e32 v3, 20, v3
	v_and_b32_e32 v4, 0x80000000, v4
	v_lshl_add_u32 v2, v2, 23, v6
	v_or3_b32 v2, v4, v2, v3
.LBB8_1636:
	s_or_b64 exec, exec, s[6:7]
	s_movk_i32 s4, 0x7f
	v_cmp_gt_i16_sdwa s[6:7], v5, s4 src0_sel:BYTE_0 src1_sel:DWORD
	s_mov_b64 s[4:5], 0
                                        ; implicit-def: $sgpr10
	s_and_saveexec_b64 s[8:9], s[6:7]
	s_xor_b64 s[6:7], exec, s[8:9]
	s_cbranch_execnz .LBB8_3685
; %bb.1637:
	s_or_saveexec_b64 s[6:7], s[6:7]
	v_mov_b32_e32 v3, s10
	s_xor_b64 exec, exec, s[6:7]
	s_cbranch_execnz .LBB8_3688
.LBB8_1638:
	s_or_b64 exec, exec, s[6:7]
	s_and_saveexec_b64 s[6:7], s[4:5]
	s_cbranch_execz .LBB8_1640
.LBB8_1639:
	v_mov_b32_e32 v3, 8
	v_and_b32_e32 v4, 7, v5
	v_lshrrev_b32_sdwa v3, v3, v5 dst_sel:BYTE_1 dst_unused:UNUSED_PAD src0_sel:DWORD src1_sel:DWORD
	v_ffbh_u32_e32 v6, v4
	v_or_b32_sdwa v3, v5, v3 dst_sel:DWORD dst_unused:UNUSED_PAD src0_sel:BYTE_0 src1_sel:DWORD
	v_min_u32_e32 v6, 32, v6
	v_lshrrev_b16_e32 v3, 3, v3
	v_subrev_u32_e32 v7, 28, v6
	v_and_b32_e32 v3, 15, v3
	v_lshlrev_b32_e32 v7, v7, v5
	v_sub_u32_e32 v6, 29, v6
	v_and_b32_e32 v7, 7, v7
	v_cmp_eq_u16_e32 vcc, 0, v3
	v_cndmask_b32_e32 v4, v4, v7, vcc
	v_cndmask_b32_e32 v3, v3, v6, vcc
	v_lshlrev_b32_e32 v6, 24, v5
	v_mov_b32_e32 v7, 0x3b800000
	v_lshlrev_b32_e32 v4, 20, v4
	v_and_b32_e32 v6, 0x80000000, v6
	v_lshl_add_u32 v3, v3, 23, v7
	v_or3_b32 v3, v6, v3, v4
.LBB8_1640:
	s_or_b64 exec, exec, s[6:7]
	s_nop 0
	v_mfma_f32_16x16x4f32 a[0:3], v2, v3, a[0:3]
	v_lshrrev_b32_e32 v3, 8, v9
	s_movk_i32 s4, 0x7f
	v_cmp_gt_i16_sdwa s[6:7], v3, s4 src0_sel:BYTE_0 src1_sel:DWORD
	s_mov_b64 s[4:5], 0
                                        ; implicit-def: $sgpr10
	s_and_saveexec_b64 s[8:9], s[6:7]
	s_xor_b64 s[6:7], exec, s[8:9]
	s_cbranch_execnz .LBB8_3689
; %bb.1641:
	s_or_saveexec_b64 s[6:7], s[6:7]
	v_mov_b32_e32 v2, s10
	s_xor_b64 exec, exec, s[6:7]
	s_cbranch_execnz .LBB8_3692
.LBB8_1642:
	s_or_b64 exec, exec, s[6:7]
	s_and_saveexec_b64 s[6:7], s[4:5]
	s_cbranch_execz .LBB8_1644
.LBB8_1643:
	v_bfe_u32 v2, v9, 8, 3
	v_ffbh_u32_e32 v6, v2
	v_min_u32_e32 v6, 32, v6
	v_lshrrev_b16_e32 v4, 3, v3
	v_subrev_u32_e32 v7, 28, v6
	v_and_b32_e32 v4, 15, v4
	v_lshlrev_b32_e32 v3, v7, v3
	v_sub_u32_e32 v6, 29, v6
	v_and_b32_e32 v3, 7, v3
	v_cmp_eq_u16_e32 vcc, 0, v4
	v_cndmask_b32_e32 v2, v2, v3, vcc
	v_cndmask_b32_e32 v3, v4, v6, vcc
	v_lshlrev_b32_e32 v4, 16, v9
	v_mov_b32_e32 v6, 0x3b800000
	v_lshlrev_b32_e32 v2, 20, v2
	v_and_b32_e32 v4, 0x80000000, v4
	v_lshl_add_u32 v3, v3, 23, v6
	v_or3_b32 v2, v4, v3, v2
.LBB8_1644:
	s_or_b64 exec, exec, s[6:7]
	v_lshrrev_b32_e32 v3, 8, v5
	s_movk_i32 s4, 0x7f
	v_cmp_gt_i16_sdwa s[6:7], v3, s4 src0_sel:BYTE_0 src1_sel:DWORD
	s_mov_b64 s[4:5], 0
                                        ; implicit-def: $sgpr10
	s_and_saveexec_b64 s[8:9], s[6:7]
	s_xor_b64 s[6:7], exec, s[8:9]
	s_cbranch_execnz .LBB8_3693
; %bb.1645:
	s_or_saveexec_b64 s[6:7], s[6:7]
	v_mov_b32_e32 v4, s10
	s_xor_b64 exec, exec, s[6:7]
	s_cbranch_execnz .LBB8_3696
.LBB8_1646:
	s_or_b64 exec, exec, s[6:7]
	s_and_saveexec_b64 s[6:7], s[4:5]
	s_cbranch_execz .LBB8_1648
.LBB8_1647:
	v_bfe_u32 v4, v5, 8, 3
	v_ffbh_u32_e32 v7, v4
	v_min_u32_e32 v7, 32, v7
	v_lshrrev_b16_e32 v6, 3, v3
	v_subrev_u32_e32 v8, 28, v7
	v_and_b32_e32 v6, 15, v6
	v_lshlrev_b32_e32 v3, v8, v3
	v_sub_u32_e32 v7, 29, v7
	v_and_b32_e32 v3, 7, v3
	v_cmp_eq_u16_e32 vcc, 0, v6
	v_cndmask_b32_e32 v3, v4, v3, vcc
	v_cndmask_b32_e32 v4, v6, v7, vcc
	v_lshlrev_b32_e32 v6, 16, v5
	v_mov_b32_e32 v7, 0x3b800000
	v_lshlrev_b32_e32 v3, 20, v3
	v_and_b32_e32 v6, 0x80000000, v6
	v_lshl_add_u32 v4, v4, 23, v7
	v_or3_b32 v4, v6, v4, v3
.LBB8_1648:
	s_or_b64 exec, exec, s[6:7]
	s_nop 0
	v_mfma_f32_16x16x4f32 a[0:3], v2, v4, a[0:3]
	s_movk_i32 s4, 0xff
	v_and_b32_sdwa v3, v9, s4 dst_sel:DWORD dst_unused:UNUSED_PAD src0_sel:WORD_1 src1_sel:DWORD
	s_movk_i32 s4, 0x7f
	v_cmp_lt_i16_e32 vcc, s4, v3
	s_mov_b64 s[4:5], 0
                                        ; implicit-def: $sgpr10
	s_and_saveexec_b64 s[6:7], vcc
	s_xor_b64 s[6:7], exec, s[6:7]
	s_cbranch_execnz .LBB8_3697
; %bb.1649:
	s_or_saveexec_b64 s[6:7], s[6:7]
	v_mov_b32_e32 v2, s10
	s_xor_b64 exec, exec, s[6:7]
	s_cbranch_execnz .LBB8_3700
.LBB8_1650:
	s_or_b64 exec, exec, s[6:7]
	s_and_saveexec_b64 s[6:7], s[4:5]
	s_cbranch_execz .LBB8_1652
.LBB8_1651:
	v_bfe_u32 v2, v9, 16, 3
	v_ffbh_u32_e32 v6, v2
	v_min_u32_e32 v6, 32, v6
	v_lshrrev_b32_e32 v3, 19, v9
	v_subrev_u32_e32 v7, 28, v6
	v_and_b32_e32 v3, 15, v3
	v_lshlrev_b32_sdwa v7, v7, v9 dst_sel:DWORD dst_unused:UNUSED_PAD src0_sel:DWORD src1_sel:WORD_1
	v_bfe_u32 v4, v9, 19, 4
	v_sub_u32_e32 v6, 29, v6
	v_and_b32_e32 v7, 7, v7
	v_cmp_eq_u16_e32 vcc, 0, v3
	v_cndmask_b32_e32 v2, v2, v7, vcc
	v_cndmask_b32_e32 v3, v4, v6, vcc
	v_lshlrev_b32_e32 v4, 8, v9
	v_mov_b32_e32 v6, 0x3b800000
	v_lshlrev_b32_e32 v2, 20, v2
	v_and_b32_e32 v4, 0x80000000, v4
	v_lshl_add_u32 v3, v3, 23, v6
	v_or3_b32 v2, v4, v3, v2
.LBB8_1652:
	s_or_b64 exec, exec, s[6:7]
	s_movk_i32 s4, 0xff
	v_and_b32_sdwa v3, v5, s4 dst_sel:DWORD dst_unused:UNUSED_PAD src0_sel:WORD_1 src1_sel:DWORD
	s_movk_i32 s4, 0x7f
	v_cmp_lt_i16_e32 vcc, s4, v3
	s_mov_b64 s[4:5], 0
                                        ; implicit-def: $sgpr10
	s_and_saveexec_b64 s[6:7], vcc
	s_xor_b64 s[6:7], exec, s[6:7]
	s_cbranch_execnz .LBB8_3701
; %bb.1653:
	s_or_saveexec_b64 s[6:7], s[6:7]
	v_mov_b32_e32 v4, s10
	s_xor_b64 exec, exec, s[6:7]
	s_cbranch_execnz .LBB8_3704
.LBB8_1654:
	s_or_b64 exec, exec, s[6:7]
	s_and_saveexec_b64 s[6:7], s[4:5]
	s_cbranch_execz .LBB8_1656
.LBB8_1655:
	v_bfe_u32 v3, v5, 16, 3
	v_ffbh_u32_e32 v7, v3
	v_min_u32_e32 v7, 32, v7
	v_lshrrev_b32_e32 v4, 19, v5
	v_subrev_u32_e32 v8, 28, v7
	v_and_b32_e32 v4, 15, v4
	v_lshlrev_b32_sdwa v8, v8, v5 dst_sel:DWORD dst_unused:UNUSED_PAD src0_sel:DWORD src1_sel:WORD_1
	v_bfe_u32 v6, v5, 19, 4
	v_sub_u32_e32 v7, 29, v7
	v_and_b32_e32 v8, 7, v8
	v_cmp_eq_u16_e32 vcc, 0, v4
	v_cndmask_b32_e32 v3, v3, v8, vcc
	v_cndmask_b32_e32 v4, v6, v7, vcc
	v_lshlrev_b32_e32 v6, 8, v5
	v_mov_b32_e32 v7, 0x3b800000
	v_lshlrev_b32_e32 v3, 20, v3
	v_and_b32_e32 v6, 0x80000000, v6
	v_lshl_add_u32 v4, v4, 23, v7
	v_or3_b32 v4, v6, v4, v3
.LBB8_1656:
	s_or_b64 exec, exec, s[6:7]
	s_nop 0
	v_mfma_f32_16x16x4f32 a[0:3], v2, v4, a[0:3]
	s_movk_i32 s4, 0x7f
	v_cmp_gt_i16_sdwa s[6:7], v9, s4 src0_sel:BYTE_3 src1_sel:DWORD
	s_mov_b64 s[4:5], 0
                                        ; implicit-def: $sgpr10
	s_and_saveexec_b64 s[8:9], s[6:7]
	s_xor_b64 s[6:7], exec, s[8:9]
	s_cbranch_execnz .LBB8_3705
; %bb.1657:
	s_or_saveexec_b64 s[6:7], s[6:7]
	v_mov_b32_e32 v2, s10
	s_xor_b64 exec, exec, s[6:7]
	s_cbranch_execnz .LBB8_3708
.LBB8_1658:
	s_or_b64 exec, exec, s[6:7]
	s_and_saveexec_b64 s[6:7], s[4:5]
	s_cbranch_execz .LBB8_1660
.LBB8_1659:
	v_bfe_u32 v2, v9, 24, 3
	v_ffbh_u32_e32 v7, v2
	v_min_u32_e32 v7, 32, v7
	v_lshrrev_b32_e32 v4, 27, v9
	v_subrev_u32_e32 v8, 28, v7
	v_and_b32_e32 v4, 15, v4
	v_lshlrev_b32_sdwa v8, v8, v9 dst_sel:DWORD dst_unused:UNUSED_PAD src0_sel:DWORD src1_sel:BYTE_3
	v_bfe_u32 v6, v9, 27, 4
	v_sub_u32_e32 v7, 29, v7
	v_and_b32_e32 v8, 7, v8
	v_cmp_eq_u16_e32 vcc, 0, v4
	v_cndmask_b32_e32 v2, v2, v8, vcc
	v_cndmask_b32_e32 v4, v6, v7, vcc
	v_mov_b32_e32 v6, 0x3b800000
	v_and_b32_e32 v3, 0x80000000, v9
	v_lshlrev_b32_e32 v2, 20, v2
	v_lshl_add_u32 v4, v4, 23, v6
	v_or3_b32 v2, v3, v4, v2
.LBB8_1660:
	s_or_b64 exec, exec, s[6:7]
	s_movk_i32 s4, 0x7f
	v_cmp_gt_i16_sdwa s[6:7], v5, s4 src0_sel:BYTE_3 src1_sel:DWORD
	s_mov_b64 s[4:5], 0
                                        ; implicit-def: $sgpr10
	s_and_saveexec_b64 s[8:9], s[6:7]
	s_xor_b64 s[6:7], exec, s[8:9]
	s_cbranch_execnz .LBB8_3709
; %bb.1661:
	s_or_saveexec_b64 s[6:7], s[6:7]
	v_mov_b32_e32 v3, s10
	s_xor_b64 exec, exec, s[6:7]
	s_cbranch_execnz .LBB8_3712
.LBB8_1662:
	s_or_b64 exec, exec, s[6:7]
	s_and_saveexec_b64 s[6:7], s[4:5]
	s_cbranch_execz .LBB8_1664
.LBB8_1663:
	v_bfe_u32 v3, v5, 24, 3
	v_ffbh_u32_e32 v8, v3
	v_min_u32_e32 v8, 32, v8
	v_lshrrev_b32_e32 v6, 27, v5
	v_subrev_u32_e32 v9, 28, v8
	v_and_b32_e32 v4, 0x80000000, v5
	v_and_b32_e32 v6, 15, v6
	v_bfe_u32 v7, v5, 27, 4
	v_lshlrev_b32_sdwa v5, v9, v5 dst_sel:DWORD dst_unused:UNUSED_PAD src0_sel:DWORD src1_sel:BYTE_3
	v_sub_u32_e32 v8, 29, v8
	v_and_b32_e32 v5, 7, v5
	v_cmp_eq_u16_e32 vcc, 0, v6
	v_cndmask_b32_e32 v3, v3, v5, vcc
	v_cndmask_b32_e32 v5, v7, v8, vcc
	v_mov_b32_e32 v6, 0x3b800000
	v_lshlrev_b32_e32 v3, 20, v3
	v_lshl_add_u32 v5, v5, 23, v6
	v_or3_b32 v3, v4, v5, v3
.LBB8_1664:
	s_or_b64 exec, exec, s[6:7]
	s_nop 0
	v_mfma_f32_16x16x4f32 a[0:3], v2, v3, a[0:3]
	s_movk_i32 s4, 0x7f
                                        ; implicit-def: $sgpr10
	s_nop 7
	s_nop 1
	flat_store_dwordx4 v[10:11], a[0:3] offset:192
	flat_load_dwordx4 v[12:15], v[0:1] offset:8
	s_nop 0
	flat_load_dwordx2 v[10:11], v[0:1] offset:32
	s_waitcnt vmcnt(0) lgkmcnt(0)
	flat_load_dwordx4 v[6:9], v[12:13] offset:96
	flat_load_dwordx4 v[2:5], v[14:15] offset:32
	s_waitcnt vmcnt(0) lgkmcnt(0)
	v_cmp_gt_i16_sdwa s[6:7], v6, s4 src0_sel:BYTE_0 src1_sel:DWORD
	s_mov_b64 s[4:5], 0
	s_and_saveexec_b64 s[8:9], s[6:7]
	s_xor_b64 s[6:7], exec, s[8:9]
	s_cbranch_execnz .LBB8_3713
; %bb.1665:
	s_or_saveexec_b64 s[6:7], s[6:7]
	v_mov_b32_e32 v12, s10
	s_xor_b64 exec, exec, s[6:7]
	s_cbranch_execnz .LBB8_3716
.LBB8_1666:
	s_or_b64 exec, exec, s[6:7]
	s_and_saveexec_b64 s[6:7], s[4:5]
	s_cbranch_execz .LBB8_1668
.LBB8_1667:
	v_and_b32_e32 v12, 7, v6
	v_ffbh_u32_e32 v14, v12
	v_min_u32_e32 v14, 32, v14
	v_lshrrev_b16_e32 v13, 3, v6
	v_subrev_u32_e32 v15, 28, v14
	v_and_b32_e32 v13, 15, v13
	v_lshlrev_b32_e32 v15, v15, v6
	v_sub_u32_e32 v14, 29, v14
	v_and_b32_e32 v15, 7, v15
	v_cmp_eq_u16_e32 vcc, 0, v13
	v_cndmask_b32_e32 v12, v12, v15, vcc
	v_cndmask_b32_e32 v13, v13, v14, vcc
	v_lshlrev_b32_e32 v14, 24, v6
	v_mov_b32_e32 v15, 0x3b800000
	v_lshlrev_b32_e32 v12, 20, v12
	v_and_b32_e32 v14, 0x80000000, v14
	v_lshl_add_u32 v13, v13, 23, v15
	v_or3_b32 v12, v14, v13, v12
.LBB8_1668:
	s_or_b64 exec, exec, s[6:7]
	s_movk_i32 s4, 0x7f
	v_cmp_gt_i16_sdwa s[6:7], v2, s4 src0_sel:BYTE_0 src1_sel:DWORD
	s_mov_b64 s[4:5], 0
                                        ; implicit-def: $sgpr10
	s_and_saveexec_b64 s[8:9], s[6:7]
	s_xor_b64 s[6:7], exec, s[8:9]
	s_cbranch_execnz .LBB8_3717
; %bb.1669:
	s_or_saveexec_b64 s[6:7], s[6:7]
	v_mov_b32_e32 v13, s10
	s_xor_b64 exec, exec, s[6:7]
	s_cbranch_execnz .LBB8_3720
.LBB8_1670:
	s_or_b64 exec, exec, s[6:7]
	s_and_saveexec_b64 s[6:7], s[4:5]
	s_cbranch_execz .LBB8_1672
.LBB8_1671:
	v_and_b32_e32 v13, 7, v2
	v_ffbh_u32_e32 v15, v13
	v_min_u32_e32 v15, 32, v15
	v_lshrrev_b16_e32 v14, 3, v2
	v_subrev_u32_e32 v16, 28, v15
	v_and_b32_e32 v14, 15, v14
	v_lshlrev_b32_e32 v16, v16, v2
	v_sub_u32_e32 v15, 29, v15
	v_and_b32_e32 v16, 7, v16
	v_cmp_eq_u16_e32 vcc, 0, v14
	v_cndmask_b32_e32 v13, v13, v16, vcc
	v_cndmask_b32_e32 v14, v14, v15, vcc
	v_lshlrev_b32_e32 v15, 24, v2
	v_mov_b32_e32 v16, 0x3b800000
	v_lshlrev_b32_e32 v13, 20, v13
	v_and_b32_e32 v15, 0x80000000, v15
	v_lshl_add_u32 v14, v14, 23, v16
	v_or3_b32 v13, v15, v14, v13
.LBB8_1672:
	s_or_b64 exec, exec, s[6:7]
	flat_load_dwordx4 a[0:3], v[10:11] offset:208
	s_movk_i32 s4, 0x7f
                                        ; implicit-def: $sgpr10
	s_waitcnt vmcnt(0) lgkmcnt(0)
	v_mfma_f32_16x16x4f32 a[0:3], v12, v13, a[0:3]
	v_lshrrev_b32_e32 v13, 8, v6
	v_cmp_gt_i16_sdwa s[6:7], v13, s4 src0_sel:BYTE_0 src1_sel:DWORD
	s_mov_b64 s[4:5], 0
	s_and_saveexec_b64 s[8:9], s[6:7]
	s_xor_b64 s[6:7], exec, s[8:9]
	s_cbranch_execnz .LBB8_3721
; %bb.1673:
	s_or_saveexec_b64 s[6:7], s[6:7]
	v_mov_b32_e32 v12, s10
	s_xor_b64 exec, exec, s[6:7]
	s_cbranch_execnz .LBB8_3724
.LBB8_1674:
	s_or_b64 exec, exec, s[6:7]
	s_and_saveexec_b64 s[6:7], s[4:5]
	s_cbranch_execz .LBB8_1676
.LBB8_1675:
	v_bfe_u32 v12, v6, 8, 3
	v_ffbh_u32_e32 v15, v12
	v_min_u32_e32 v15, 32, v15
	v_lshrrev_b16_e32 v14, 3, v13
	v_subrev_u32_e32 v16, 28, v15
	v_and_b32_e32 v14, 15, v14
	v_lshlrev_b32_e32 v13, v16, v13
	v_sub_u32_e32 v15, 29, v15
	v_and_b32_e32 v13, 7, v13
	v_cmp_eq_u16_e32 vcc, 0, v14
	v_cndmask_b32_e32 v12, v12, v13, vcc
	v_cndmask_b32_e32 v13, v14, v15, vcc
	v_lshlrev_b32_e32 v14, 16, v6
	v_mov_b32_e32 v15, 0x3b800000
	v_lshlrev_b32_e32 v12, 20, v12
	v_and_b32_e32 v14, 0x80000000, v14
	v_lshl_add_u32 v13, v13, 23, v15
	v_or3_b32 v12, v14, v13, v12
.LBB8_1676:
	s_or_b64 exec, exec, s[6:7]
	v_lshrrev_b32_e32 v13, 8, v2
	s_movk_i32 s4, 0x7f
	v_cmp_gt_i16_sdwa s[6:7], v13, s4 src0_sel:BYTE_0 src1_sel:DWORD
	s_mov_b64 s[4:5], 0
                                        ; implicit-def: $sgpr10
	s_and_saveexec_b64 s[8:9], s[6:7]
	s_xor_b64 s[6:7], exec, s[8:9]
	s_cbranch_execnz .LBB8_3725
; %bb.1677:
	s_or_saveexec_b64 s[6:7], s[6:7]
	v_mov_b32_e32 v14, s10
	s_xor_b64 exec, exec, s[6:7]
	s_cbranch_execnz .LBB8_3728
.LBB8_1678:
	s_or_b64 exec, exec, s[6:7]
	s_and_saveexec_b64 s[6:7], s[4:5]
	s_cbranch_execz .LBB8_1680
.LBB8_1679:
	v_bfe_u32 v14, v2, 8, 3
	v_ffbh_u32_e32 v16, v14
	v_min_u32_e32 v16, 32, v16
	v_lshrrev_b16_e32 v15, 3, v13
	v_subrev_u32_e32 v17, 28, v16
	v_and_b32_e32 v15, 15, v15
	v_lshlrev_b32_e32 v13, v17, v13
	v_sub_u32_e32 v16, 29, v16
	v_and_b32_e32 v13, 7, v13
	v_cmp_eq_u16_e32 vcc, 0, v15
	v_cndmask_b32_e32 v13, v14, v13, vcc
	v_cndmask_b32_e32 v14, v15, v16, vcc
	v_lshlrev_b32_e32 v15, 16, v2
	v_mov_b32_e32 v16, 0x3b800000
	v_lshlrev_b32_e32 v13, 20, v13
	v_and_b32_e32 v15, 0x80000000, v15
	v_lshl_add_u32 v14, v14, 23, v16
	v_or3_b32 v14, v15, v14, v13
.LBB8_1680:
	s_or_b64 exec, exec, s[6:7]
	s_nop 0
	v_mfma_f32_16x16x4f32 a[0:3], v12, v14, a[0:3]
	s_movk_i32 s4, 0xff
	v_and_b32_sdwa v13, v6, s4 dst_sel:DWORD dst_unused:UNUSED_PAD src0_sel:WORD_1 src1_sel:DWORD
	s_movk_i32 s4, 0x7f
	v_cmp_lt_i16_e32 vcc, s4, v13
	s_mov_b64 s[4:5], 0
                                        ; implicit-def: $sgpr10
	s_and_saveexec_b64 s[6:7], vcc
	s_xor_b64 s[6:7], exec, s[6:7]
	s_cbranch_execnz .LBB8_3729
; %bb.1681:
	s_or_saveexec_b64 s[6:7], s[6:7]
	v_mov_b32_e32 v12, s10
	s_xor_b64 exec, exec, s[6:7]
	s_cbranch_execnz .LBB8_3732
.LBB8_1682:
	s_or_b64 exec, exec, s[6:7]
	s_and_saveexec_b64 s[6:7], s[4:5]
	s_cbranch_execz .LBB8_1684
.LBB8_1683:
	v_bfe_u32 v12, v6, 16, 3
	v_ffbh_u32_e32 v15, v12
	v_min_u32_e32 v15, 32, v15
	v_lshrrev_b32_e32 v13, 19, v6
	v_subrev_u32_e32 v16, 28, v15
	v_and_b32_e32 v13, 15, v13
	v_lshlrev_b32_sdwa v16, v16, v6 dst_sel:DWORD dst_unused:UNUSED_PAD src0_sel:DWORD src1_sel:WORD_1
	v_bfe_u32 v14, v6, 19, 4
	v_sub_u32_e32 v15, 29, v15
	v_and_b32_e32 v16, 7, v16
	v_cmp_eq_u16_e32 vcc, 0, v13
	v_cndmask_b32_e32 v12, v12, v16, vcc
	v_cndmask_b32_e32 v13, v14, v15, vcc
	v_lshlrev_b32_e32 v14, 8, v6
	v_mov_b32_e32 v15, 0x3b800000
	v_lshlrev_b32_e32 v12, 20, v12
	v_and_b32_e32 v14, 0x80000000, v14
	v_lshl_add_u32 v13, v13, 23, v15
	v_or3_b32 v12, v14, v13, v12
.LBB8_1684:
	s_or_b64 exec, exec, s[6:7]
	s_movk_i32 s4, 0xff
	v_and_b32_sdwa v13, v2, s4 dst_sel:DWORD dst_unused:UNUSED_PAD src0_sel:WORD_1 src1_sel:DWORD
	s_movk_i32 s4, 0x7f
	v_cmp_lt_i16_e32 vcc, s4, v13
	s_mov_b64 s[4:5], 0
                                        ; implicit-def: $sgpr10
	s_and_saveexec_b64 s[6:7], vcc
	s_xor_b64 s[6:7], exec, s[6:7]
	s_cbranch_execnz .LBB8_3733
; %bb.1685:
	s_or_saveexec_b64 s[6:7], s[6:7]
	v_mov_b32_e32 v14, s10
	s_xor_b64 exec, exec, s[6:7]
	s_cbranch_execnz .LBB8_3736
.LBB8_1686:
	s_or_b64 exec, exec, s[6:7]
	s_and_saveexec_b64 s[6:7], s[4:5]
	s_cbranch_execz .LBB8_1688
.LBB8_1687:
	v_bfe_u32 v13, v2, 16, 3
	v_ffbh_u32_e32 v16, v13
	v_min_u32_e32 v16, 32, v16
	v_lshrrev_b32_e32 v14, 19, v2
	v_subrev_u32_e32 v17, 28, v16
	v_and_b32_e32 v14, 15, v14
	v_lshlrev_b32_sdwa v17, v17, v2 dst_sel:DWORD dst_unused:UNUSED_PAD src0_sel:DWORD src1_sel:WORD_1
	v_bfe_u32 v15, v2, 19, 4
	v_sub_u32_e32 v16, 29, v16
	v_and_b32_e32 v17, 7, v17
	v_cmp_eq_u16_e32 vcc, 0, v14
	v_cndmask_b32_e32 v13, v13, v17, vcc
	v_cndmask_b32_e32 v14, v15, v16, vcc
	v_lshlrev_b32_e32 v15, 8, v2
	v_mov_b32_e32 v16, 0x3b800000
	v_lshlrev_b32_e32 v13, 20, v13
	v_and_b32_e32 v15, 0x80000000, v15
	v_lshl_add_u32 v14, v14, 23, v16
	v_or3_b32 v14, v15, v14, v13
.LBB8_1688:
	s_or_b64 exec, exec, s[6:7]
	s_nop 0
	v_mfma_f32_16x16x4f32 a[0:3], v12, v14, a[0:3]
	s_movk_i32 s4, 0x7f
	v_cmp_gt_i16_sdwa s[6:7], v6, s4 src0_sel:BYTE_3 src1_sel:DWORD
	s_mov_b64 s[4:5], 0
                                        ; implicit-def: $sgpr10
	s_and_saveexec_b64 s[8:9], s[6:7]
	s_xor_b64 s[6:7], exec, s[8:9]
	s_cbranch_execnz .LBB8_3737
; %bb.1689:
	s_or_saveexec_b64 s[6:7], s[6:7]
	v_mov_b32_e32 v12, s10
	s_xor_b64 exec, exec, s[6:7]
	s_cbranch_execnz .LBB8_3740
.LBB8_1690:
	s_or_b64 exec, exec, s[6:7]
	s_and_saveexec_b64 s[6:7], s[4:5]
	s_cbranch_execz .LBB8_1692
.LBB8_1691:
	v_bfe_u32 v12, v6, 24, 3
	v_ffbh_u32_e32 v16, v12
	v_min_u32_e32 v16, 32, v16
	v_lshrrev_b32_e32 v14, 27, v6
	v_subrev_u32_e32 v17, 28, v16
	v_and_b32_e32 v13, 0x80000000, v6
	v_and_b32_e32 v14, 15, v14
	v_bfe_u32 v15, v6, 27, 4
	v_lshlrev_b32_sdwa v6, v17, v6 dst_sel:DWORD dst_unused:UNUSED_PAD src0_sel:DWORD src1_sel:BYTE_3
	v_sub_u32_e32 v16, 29, v16
	v_and_b32_e32 v6, 7, v6
	v_cmp_eq_u16_e32 vcc, 0, v14
	v_cndmask_b32_e32 v6, v12, v6, vcc
	v_cndmask_b32_e32 v12, v15, v16, vcc
	v_mov_b32_e32 v14, 0x3b800000
	v_lshlrev_b32_e32 v6, 20, v6
	v_lshl_add_u32 v12, v12, 23, v14
	v_or3_b32 v12, v13, v12, v6
.LBB8_1692:
	s_or_b64 exec, exec, s[6:7]
	s_movk_i32 s4, 0x7f
	v_cmp_gt_i16_sdwa s[6:7], v2, s4 src0_sel:BYTE_3 src1_sel:DWORD
	s_mov_b64 s[4:5], 0
                                        ; implicit-def: $sgpr10
	s_and_saveexec_b64 s[8:9], s[6:7]
	s_xor_b64 s[6:7], exec, s[8:9]
	s_cbranch_execnz .LBB8_3741
; %bb.1693:
	s_or_saveexec_b64 s[6:7], s[6:7]
	v_mov_b32_e32 v6, s10
	s_xor_b64 exec, exec, s[6:7]
	s_cbranch_execnz .LBB8_3744
.LBB8_1694:
	s_or_b64 exec, exec, s[6:7]
	s_and_saveexec_b64 s[6:7], s[4:5]
	s_cbranch_execz .LBB8_1696
.LBB8_1695:
	v_bfe_u32 v6, v2, 24, 3
	v_ffbh_u32_e32 v16, v6
	v_min_u32_e32 v16, 32, v16
	v_lshrrev_b32_e32 v14, 27, v2
	v_subrev_u32_e32 v17, 28, v16
	v_and_b32_e32 v13, 0x80000000, v2
	v_and_b32_e32 v14, 15, v14
	v_bfe_u32 v15, v2, 27, 4
	v_lshlrev_b32_sdwa v2, v17, v2 dst_sel:DWORD dst_unused:UNUSED_PAD src0_sel:DWORD src1_sel:BYTE_3
	v_sub_u32_e32 v16, 29, v16
	v_and_b32_e32 v2, 7, v2
	v_cmp_eq_u16_e32 vcc, 0, v14
	v_cndmask_b32_e32 v2, v6, v2, vcc
	v_cndmask_b32_e32 v6, v15, v16, vcc
	v_mov_b32_e32 v14, 0x3b800000
	v_lshlrev_b32_e32 v2, 20, v2
	v_lshl_add_u32 v6, v6, 23, v14
	v_or3_b32 v6, v13, v6, v2
.LBB8_1696:
	s_or_b64 exec, exec, s[6:7]
	s_nop 0
	v_mfma_f32_16x16x4f32 a[0:3], v12, v6, a[0:3]
	s_movk_i32 s4, 0x7f
	v_cmp_gt_i16_sdwa s[6:7], v7, s4 src0_sel:BYTE_0 src1_sel:DWORD
	s_mov_b64 s[4:5], 0
                                        ; implicit-def: $sgpr10
	s_and_saveexec_b64 s[8:9], s[6:7]
	s_xor_b64 s[6:7], exec, s[8:9]
	s_cbranch_execnz .LBB8_3745
; %bb.1697:
	s_or_saveexec_b64 s[6:7], s[6:7]
	v_mov_b32_e32 v2, s10
	s_xor_b64 exec, exec, s[6:7]
	s_cbranch_execnz .LBB8_3748
.LBB8_1698:
	s_or_b64 exec, exec, s[6:7]
	s_and_saveexec_b64 s[6:7], s[4:5]
	s_cbranch_execz .LBB8_1700
.LBB8_1699:
	v_and_b32_e32 v2, 7, v7
	v_ffbh_u32_e32 v12, v2
	v_min_u32_e32 v12, 32, v12
	v_lshrrev_b16_e32 v6, 3, v7
	v_subrev_u32_e32 v13, 28, v12
	v_and_b32_e32 v6, 15, v6
	v_lshlrev_b32_e32 v13, v13, v7
	v_sub_u32_e32 v12, 29, v12
	v_and_b32_e32 v13, 7, v13
	v_cmp_eq_u16_e32 vcc, 0, v6
	v_cndmask_b32_e32 v2, v2, v13, vcc
	v_cndmask_b32_e32 v6, v6, v12, vcc
	v_lshlrev_b32_e32 v12, 24, v7
	v_mov_b32_e32 v13, 0x3b800000
	v_lshlrev_b32_e32 v2, 20, v2
	v_and_b32_e32 v12, 0x80000000, v12
	v_lshl_add_u32 v6, v6, 23, v13
	v_or3_b32 v2, v12, v6, v2
.LBB8_1700:
	s_or_b64 exec, exec, s[6:7]
	s_movk_i32 s4, 0x7f
	v_cmp_gt_i16_sdwa s[6:7], v3, s4 src0_sel:BYTE_0 src1_sel:DWORD
	s_mov_b64 s[4:5], 0
                                        ; implicit-def: $sgpr10
	s_and_saveexec_b64 s[8:9], s[6:7]
	s_xor_b64 s[6:7], exec, s[8:9]
	s_cbranch_execnz .LBB8_3749
; %bb.1701:
	s_or_saveexec_b64 s[6:7], s[6:7]
	v_mov_b32_e32 v6, s10
	s_xor_b64 exec, exec, s[6:7]
	s_cbranch_execnz .LBB8_3752
.LBB8_1702:
	s_or_b64 exec, exec, s[6:7]
	s_and_saveexec_b64 s[6:7], s[4:5]
	s_cbranch_execz .LBB8_1704
.LBB8_1703:
	v_and_b32_e32 v6, 7, v3
	v_ffbh_u32_e32 v13, v6
	v_min_u32_e32 v13, 32, v13
	v_lshrrev_b16_e32 v12, 3, v3
	v_subrev_u32_e32 v14, 28, v13
	v_and_b32_e32 v12, 15, v12
	v_lshlrev_b32_e32 v14, v14, v3
	v_sub_u32_e32 v13, 29, v13
	v_and_b32_e32 v14, 7, v14
	v_cmp_eq_u16_e32 vcc, 0, v12
	v_cndmask_b32_e32 v6, v6, v14, vcc
	v_cndmask_b32_e32 v12, v12, v13, vcc
	v_lshlrev_b32_e32 v13, 24, v3
	v_mov_b32_e32 v14, 0x3b800000
	v_lshlrev_b32_e32 v6, 20, v6
	v_and_b32_e32 v13, 0x80000000, v13
	v_lshl_add_u32 v12, v12, 23, v14
	v_or3_b32 v6, v13, v12, v6
.LBB8_1704:
	s_or_b64 exec, exec, s[6:7]
	s_nop 0
	v_mfma_f32_16x16x4f32 a[0:3], v2, v6, a[0:3]
	v_lshrrev_b32_e32 v6, 8, v7
	s_movk_i32 s4, 0x7f
	v_cmp_gt_i16_sdwa s[6:7], v6, s4 src0_sel:BYTE_0 src1_sel:DWORD
	s_mov_b64 s[4:5], 0
                                        ; implicit-def: $sgpr10
	s_and_saveexec_b64 s[8:9], s[6:7]
	s_xor_b64 s[6:7], exec, s[8:9]
	s_cbranch_execnz .LBB8_3753
; %bb.1705:
	s_or_saveexec_b64 s[6:7], s[6:7]
	v_mov_b32_e32 v2, s10
	s_xor_b64 exec, exec, s[6:7]
	s_cbranch_execnz .LBB8_3756
.LBB8_1706:
	s_or_b64 exec, exec, s[6:7]
	s_and_saveexec_b64 s[6:7], s[4:5]
	s_cbranch_execz .LBB8_1708
.LBB8_1707:
	v_bfe_u32 v2, v7, 8, 3
	v_ffbh_u32_e32 v13, v2
	v_min_u32_e32 v13, 32, v13
	v_lshrrev_b16_e32 v12, 3, v6
	v_subrev_u32_e32 v14, 28, v13
	v_and_b32_e32 v12, 15, v12
	v_lshlrev_b32_e32 v6, v14, v6
	v_sub_u32_e32 v13, 29, v13
	v_and_b32_e32 v6, 7, v6
	v_cmp_eq_u16_e32 vcc, 0, v12
	v_cndmask_b32_e32 v2, v2, v6, vcc
	v_cndmask_b32_e32 v6, v12, v13, vcc
	v_lshlrev_b32_e32 v12, 16, v7
	v_mov_b32_e32 v13, 0x3b800000
	v_lshlrev_b32_e32 v2, 20, v2
	v_and_b32_e32 v12, 0x80000000, v12
	v_lshl_add_u32 v6, v6, 23, v13
	v_or3_b32 v2, v12, v6, v2
.LBB8_1708:
	s_or_b64 exec, exec, s[6:7]
	v_lshrrev_b32_e32 v6, 8, v3
	s_movk_i32 s4, 0x7f
	v_cmp_gt_i16_sdwa s[6:7], v6, s4 src0_sel:BYTE_0 src1_sel:DWORD
	s_mov_b64 s[4:5], 0
                                        ; implicit-def: $sgpr10
	s_and_saveexec_b64 s[8:9], s[6:7]
	s_xor_b64 s[6:7], exec, s[8:9]
	s_cbranch_execnz .LBB8_3757
; %bb.1709:
	s_or_saveexec_b64 s[6:7], s[6:7]
	v_mov_b32_e32 v12, s10
	s_xor_b64 exec, exec, s[6:7]
	s_cbranch_execnz .LBB8_3760
.LBB8_1710:
	s_or_b64 exec, exec, s[6:7]
	s_and_saveexec_b64 s[6:7], s[4:5]
	s_cbranch_execz .LBB8_1712
.LBB8_1711:
	v_bfe_u32 v12, v3, 8, 3
	v_ffbh_u32_e32 v14, v12
	v_min_u32_e32 v14, 32, v14
	v_lshrrev_b16_e32 v13, 3, v6
	v_subrev_u32_e32 v15, 28, v14
	v_and_b32_e32 v13, 15, v13
	v_lshlrev_b32_e32 v6, v15, v6
	v_sub_u32_e32 v14, 29, v14
	v_and_b32_e32 v6, 7, v6
	v_cmp_eq_u16_e32 vcc, 0, v13
	v_cndmask_b32_e32 v6, v12, v6, vcc
	v_cndmask_b32_e32 v12, v13, v14, vcc
	v_lshlrev_b32_e32 v13, 16, v3
	v_mov_b32_e32 v14, 0x3b800000
	v_lshlrev_b32_e32 v6, 20, v6
	v_and_b32_e32 v13, 0x80000000, v13
	v_lshl_add_u32 v12, v12, 23, v14
	v_or3_b32 v12, v13, v12, v6
.LBB8_1712:
	s_or_b64 exec, exec, s[6:7]
	s_nop 0
	v_mfma_f32_16x16x4f32 a[0:3], v2, v12, a[0:3]
	s_movk_i32 s4, 0xff
	v_and_b32_sdwa v6, v7, s4 dst_sel:DWORD dst_unused:UNUSED_PAD src0_sel:WORD_1 src1_sel:DWORD
	s_movk_i32 s4, 0x7f
	v_cmp_lt_i16_e32 vcc, s4, v6
	s_mov_b64 s[4:5], 0
                                        ; implicit-def: $sgpr10
	s_and_saveexec_b64 s[6:7], vcc
	s_xor_b64 s[6:7], exec, s[6:7]
	s_cbranch_execnz .LBB8_3761
; %bb.1713:
	s_or_saveexec_b64 s[6:7], s[6:7]
	v_mov_b32_e32 v2, s10
	s_xor_b64 exec, exec, s[6:7]
	s_cbranch_execnz .LBB8_3764
.LBB8_1714:
	s_or_b64 exec, exec, s[6:7]
	s_and_saveexec_b64 s[6:7], s[4:5]
	s_cbranch_execz .LBB8_1716
.LBB8_1715:
	v_bfe_u32 v2, v7, 16, 3
	v_ffbh_u32_e32 v13, v2
	v_min_u32_e32 v13, 32, v13
	v_lshrrev_b32_e32 v6, 19, v7
	v_subrev_u32_e32 v14, 28, v13
	v_and_b32_e32 v6, 15, v6
	v_lshlrev_b32_sdwa v14, v14, v7 dst_sel:DWORD dst_unused:UNUSED_PAD src0_sel:DWORD src1_sel:WORD_1
	v_bfe_u32 v12, v7, 19, 4
	v_sub_u32_e32 v13, 29, v13
	v_and_b32_e32 v14, 7, v14
	v_cmp_eq_u16_e32 vcc, 0, v6
	v_cndmask_b32_e32 v2, v2, v14, vcc
	v_cndmask_b32_e32 v6, v12, v13, vcc
	v_lshlrev_b32_e32 v12, 8, v7
	v_mov_b32_e32 v13, 0x3b800000
	v_lshlrev_b32_e32 v2, 20, v2
	v_and_b32_e32 v12, 0x80000000, v12
	v_lshl_add_u32 v6, v6, 23, v13
	v_or3_b32 v2, v12, v6, v2
.LBB8_1716:
	s_or_b64 exec, exec, s[6:7]
	s_movk_i32 s4, 0xff
	v_and_b32_sdwa v6, v3, s4 dst_sel:DWORD dst_unused:UNUSED_PAD src0_sel:WORD_1 src1_sel:DWORD
	s_movk_i32 s4, 0x7f
	v_cmp_lt_i16_e32 vcc, s4, v6
	s_mov_b64 s[4:5], 0
                                        ; implicit-def: $sgpr10
	s_and_saveexec_b64 s[6:7], vcc
	s_xor_b64 s[6:7], exec, s[6:7]
	s_cbranch_execnz .LBB8_3765
; %bb.1717:
	s_or_saveexec_b64 s[6:7], s[6:7]
	v_mov_b32_e32 v12, s10
	s_xor_b64 exec, exec, s[6:7]
	s_cbranch_execnz .LBB8_3768
.LBB8_1718:
	s_or_b64 exec, exec, s[6:7]
	s_and_saveexec_b64 s[6:7], s[4:5]
	s_cbranch_execz .LBB8_1720
.LBB8_1719:
	v_bfe_u32 v6, v3, 16, 3
	v_ffbh_u32_e32 v14, v6
	v_min_u32_e32 v14, 32, v14
	v_lshrrev_b32_e32 v12, 19, v3
	v_subrev_u32_e32 v15, 28, v14
	v_and_b32_e32 v12, 15, v12
	v_lshlrev_b32_sdwa v15, v15, v3 dst_sel:DWORD dst_unused:UNUSED_PAD src0_sel:DWORD src1_sel:WORD_1
	v_bfe_u32 v13, v3, 19, 4
	v_sub_u32_e32 v14, 29, v14
	v_and_b32_e32 v15, 7, v15
	v_cmp_eq_u16_e32 vcc, 0, v12
	v_cndmask_b32_e32 v6, v6, v15, vcc
	v_cndmask_b32_e32 v12, v13, v14, vcc
	v_lshlrev_b32_e32 v13, 8, v3
	v_mov_b32_e32 v14, 0x3b800000
	v_lshlrev_b32_e32 v6, 20, v6
	v_and_b32_e32 v13, 0x80000000, v13
	v_lshl_add_u32 v12, v12, 23, v14
	v_or3_b32 v12, v13, v12, v6
.LBB8_1720:
	s_or_b64 exec, exec, s[6:7]
	s_nop 0
	v_mfma_f32_16x16x4f32 a[0:3], v2, v12, a[0:3]
	s_movk_i32 s4, 0x7f
	v_cmp_gt_i16_sdwa s[6:7], v7, s4 src0_sel:BYTE_3 src1_sel:DWORD
	s_mov_b64 s[4:5], 0
                                        ; implicit-def: $sgpr10
	s_and_saveexec_b64 s[8:9], s[6:7]
	s_xor_b64 s[6:7], exec, s[8:9]
	s_cbranch_execnz .LBB8_3769
; %bb.1721:
	s_or_saveexec_b64 s[6:7], s[6:7]
	v_mov_b32_e32 v2, s10
	s_xor_b64 exec, exec, s[6:7]
	s_cbranch_execnz .LBB8_3772
.LBB8_1722:
	s_or_b64 exec, exec, s[6:7]
	s_and_saveexec_b64 s[6:7], s[4:5]
	s_cbranch_execz .LBB8_1724
.LBB8_1723:
	v_bfe_u32 v2, v7, 24, 3
	v_ffbh_u32_e32 v14, v2
	v_min_u32_e32 v14, 32, v14
	v_lshrrev_b32_e32 v12, 27, v7
	v_subrev_u32_e32 v15, 28, v14
	v_and_b32_e32 v6, 0x80000000, v7
	v_and_b32_e32 v12, 15, v12
	v_bfe_u32 v13, v7, 27, 4
	v_lshlrev_b32_sdwa v7, v15, v7 dst_sel:DWORD dst_unused:UNUSED_PAD src0_sel:DWORD src1_sel:BYTE_3
	v_sub_u32_e32 v14, 29, v14
	v_and_b32_e32 v7, 7, v7
	v_cmp_eq_u16_e32 vcc, 0, v12
	v_cndmask_b32_e32 v2, v2, v7, vcc
	v_cndmask_b32_e32 v7, v13, v14, vcc
	v_mov_b32_e32 v12, 0x3b800000
	v_lshlrev_b32_e32 v2, 20, v2
	v_lshl_add_u32 v7, v7, 23, v12
	v_or3_b32 v2, v6, v7, v2
.LBB8_1724:
	s_or_b64 exec, exec, s[6:7]
	s_movk_i32 s4, 0x7f
	v_cmp_gt_i16_sdwa s[6:7], v3, s4 src0_sel:BYTE_3 src1_sel:DWORD
	s_mov_b64 s[4:5], 0
                                        ; implicit-def: $sgpr10
	s_and_saveexec_b64 s[8:9], s[6:7]
	s_xor_b64 s[6:7], exec, s[8:9]
	s_cbranch_execnz .LBB8_3773
; %bb.1725:
	s_or_saveexec_b64 s[6:7], s[6:7]
	v_mov_b32_e32 v6, s10
	s_xor_b64 exec, exec, s[6:7]
	s_cbranch_execnz .LBB8_3776
.LBB8_1726:
	s_or_b64 exec, exec, s[6:7]
	s_and_saveexec_b64 s[6:7], s[4:5]
	s_cbranch_execz .LBB8_1728
.LBB8_1727:
	v_bfe_u32 v6, v3, 24, 3
	v_ffbh_u32_e32 v14, v6
	v_min_u32_e32 v14, 32, v14
	v_lshrrev_b32_e32 v12, 27, v3
	v_subrev_u32_e32 v15, 28, v14
	v_and_b32_e32 v7, 0x80000000, v3
	v_and_b32_e32 v12, 15, v12
	v_bfe_u32 v13, v3, 27, 4
	v_lshlrev_b32_sdwa v3, v15, v3 dst_sel:DWORD dst_unused:UNUSED_PAD src0_sel:DWORD src1_sel:BYTE_3
	v_sub_u32_e32 v14, 29, v14
	v_and_b32_e32 v3, 7, v3
	v_cmp_eq_u16_e32 vcc, 0, v12
	v_cndmask_b32_e32 v3, v6, v3, vcc
	v_cndmask_b32_e32 v6, v13, v14, vcc
	v_mov_b32_e32 v12, 0x3b800000
	v_lshlrev_b32_e32 v3, 20, v3
	v_lshl_add_u32 v6, v6, 23, v12
	v_or3_b32 v6, v7, v6, v3
.LBB8_1728:
	s_or_b64 exec, exec, s[6:7]
	s_nop 0
	v_mfma_f32_16x16x4f32 a[0:3], v2, v6, a[0:3]
	s_movk_i32 s4, 0x7f
	v_cmp_gt_i16_sdwa s[6:7], v8, s4 src0_sel:BYTE_0 src1_sel:DWORD
	s_mov_b64 s[4:5], 0
                                        ; implicit-def: $sgpr10
	s_and_saveexec_b64 s[8:9], s[6:7]
	s_xor_b64 s[6:7], exec, s[8:9]
	s_cbranch_execnz .LBB8_3777
; %bb.1729:
	s_or_saveexec_b64 s[6:7], s[6:7]
	v_mov_b32_e32 v2, s10
	s_xor_b64 exec, exec, s[6:7]
	s_cbranch_execnz .LBB8_3780
.LBB8_1730:
	s_or_b64 exec, exec, s[6:7]
	s_and_saveexec_b64 s[6:7], s[4:5]
	s_cbranch_execz .LBB8_1732
.LBB8_1731:
	v_and_b32_e32 v2, 7, v8
	v_ffbh_u32_e32 v6, v2
	v_min_u32_e32 v6, 32, v6
	v_lshrrev_b16_e32 v3, 3, v8
	v_subrev_u32_e32 v7, 28, v6
	v_and_b32_e32 v3, 15, v3
	v_lshlrev_b32_e32 v7, v7, v8
	v_sub_u32_e32 v6, 29, v6
	v_and_b32_e32 v7, 7, v7
	v_cmp_eq_u16_e32 vcc, 0, v3
	v_cndmask_b32_e32 v2, v2, v7, vcc
	v_cndmask_b32_e32 v3, v3, v6, vcc
	v_lshlrev_b32_e32 v6, 24, v8
	v_mov_b32_e32 v7, 0x3b800000
	v_lshlrev_b32_e32 v2, 20, v2
	v_and_b32_e32 v6, 0x80000000, v6
	v_lshl_add_u32 v3, v3, 23, v7
	v_or3_b32 v2, v6, v3, v2
.LBB8_1732:
	s_or_b64 exec, exec, s[6:7]
	s_movk_i32 s4, 0x7f
	v_cmp_gt_i16_sdwa s[6:7], v4, s4 src0_sel:BYTE_0 src1_sel:DWORD
	s_mov_b64 s[4:5], 0
                                        ; implicit-def: $sgpr10
	s_and_saveexec_b64 s[8:9], s[6:7]
	s_xor_b64 s[6:7], exec, s[8:9]
	s_cbranch_execnz .LBB8_3781
; %bb.1733:
	s_or_saveexec_b64 s[6:7], s[6:7]
	v_mov_b32_e32 v3, s10
	s_xor_b64 exec, exec, s[6:7]
	s_cbranch_execnz .LBB8_3784
.LBB8_1734:
	s_or_b64 exec, exec, s[6:7]
	s_and_saveexec_b64 s[6:7], s[4:5]
	s_cbranch_execz .LBB8_1736
.LBB8_1735:
	v_and_b32_e32 v3, 7, v4
	v_ffbh_u32_e32 v7, v3
	v_min_u32_e32 v7, 32, v7
	v_lshrrev_b16_e32 v6, 3, v4
	v_subrev_u32_e32 v12, 28, v7
	v_and_b32_e32 v6, 15, v6
	v_lshlrev_b32_e32 v12, v12, v4
	v_sub_u32_e32 v7, 29, v7
	v_and_b32_e32 v12, 7, v12
	v_cmp_eq_u16_e32 vcc, 0, v6
	v_cndmask_b32_e32 v3, v3, v12, vcc
	v_cndmask_b32_e32 v6, v6, v7, vcc
	v_lshlrev_b32_e32 v7, 24, v4
	v_mov_b32_e32 v12, 0x3b800000
	v_lshlrev_b32_e32 v3, 20, v3
	v_and_b32_e32 v7, 0x80000000, v7
	v_lshl_add_u32 v6, v6, 23, v12
	v_or3_b32 v3, v7, v6, v3
.LBB8_1736:
	s_or_b64 exec, exec, s[6:7]
	s_nop 0
	v_mfma_f32_16x16x4f32 a[0:3], v2, v3, a[0:3]
	v_lshrrev_b32_e32 v3, 8, v8
	s_movk_i32 s4, 0x7f
	v_cmp_gt_i16_sdwa s[6:7], v3, s4 src0_sel:BYTE_0 src1_sel:DWORD
	s_mov_b64 s[4:5], 0
                                        ; implicit-def: $sgpr10
	s_and_saveexec_b64 s[8:9], s[6:7]
	s_xor_b64 s[6:7], exec, s[8:9]
	s_cbranch_execnz .LBB8_3785
; %bb.1737:
	s_or_saveexec_b64 s[6:7], s[6:7]
	v_mov_b32_e32 v2, s10
	s_xor_b64 exec, exec, s[6:7]
	s_cbranch_execnz .LBB8_3788
.LBB8_1738:
	s_or_b64 exec, exec, s[6:7]
	s_and_saveexec_b64 s[6:7], s[4:5]
	s_cbranch_execz .LBB8_1740
.LBB8_1739:
	v_bfe_u32 v2, v8, 8, 3
	v_ffbh_u32_e32 v7, v2
	v_min_u32_e32 v7, 32, v7
	v_lshrrev_b16_e32 v6, 3, v3
	v_subrev_u32_e32 v12, 28, v7
	v_and_b32_e32 v6, 15, v6
	v_lshlrev_b32_e32 v3, v12, v3
	v_sub_u32_e32 v7, 29, v7
	v_and_b32_e32 v3, 7, v3
	v_cmp_eq_u16_e32 vcc, 0, v6
	v_cndmask_b32_e32 v2, v2, v3, vcc
	v_cndmask_b32_e32 v3, v6, v7, vcc
	v_lshlrev_b32_e32 v6, 16, v8
	v_mov_b32_e32 v7, 0x3b800000
	v_lshlrev_b32_e32 v2, 20, v2
	v_and_b32_e32 v6, 0x80000000, v6
	v_lshl_add_u32 v3, v3, 23, v7
	v_or3_b32 v2, v6, v3, v2
.LBB8_1740:
	s_or_b64 exec, exec, s[6:7]
	v_lshrrev_b32_e32 v3, 8, v4
	s_movk_i32 s4, 0x7f
	v_cmp_gt_i16_sdwa s[6:7], v3, s4 src0_sel:BYTE_0 src1_sel:DWORD
	s_mov_b64 s[4:5], 0
                                        ; implicit-def: $sgpr10
	s_and_saveexec_b64 s[8:9], s[6:7]
	s_xor_b64 s[6:7], exec, s[8:9]
	s_cbranch_execnz .LBB8_3789
; %bb.1741:
	s_or_saveexec_b64 s[6:7], s[6:7]
	v_mov_b32_e32 v6, s10
	s_xor_b64 exec, exec, s[6:7]
	s_cbranch_execnz .LBB8_3792
.LBB8_1742:
	s_or_b64 exec, exec, s[6:7]
	s_and_saveexec_b64 s[6:7], s[4:5]
	s_cbranch_execz .LBB8_1744
.LBB8_1743:
	v_bfe_u32 v6, v4, 8, 3
	v_ffbh_u32_e32 v12, v6
	v_min_u32_e32 v12, 32, v12
	v_lshrrev_b16_e32 v7, 3, v3
	v_subrev_u32_e32 v13, 28, v12
	v_and_b32_e32 v7, 15, v7
	v_lshlrev_b32_e32 v3, v13, v3
	v_sub_u32_e32 v12, 29, v12
	v_and_b32_e32 v3, 7, v3
	v_cmp_eq_u16_e32 vcc, 0, v7
	v_cndmask_b32_e32 v3, v6, v3, vcc
	v_cndmask_b32_e32 v6, v7, v12, vcc
	v_lshlrev_b32_e32 v7, 16, v4
	v_mov_b32_e32 v12, 0x3b800000
	v_lshlrev_b32_e32 v3, 20, v3
	v_and_b32_e32 v7, 0x80000000, v7
	v_lshl_add_u32 v6, v6, 23, v12
	v_or3_b32 v6, v7, v6, v3
.LBB8_1744:
	s_or_b64 exec, exec, s[6:7]
	s_nop 0
	v_mfma_f32_16x16x4f32 a[0:3], v2, v6, a[0:3]
	s_movk_i32 s4, 0xff
	v_and_b32_sdwa v3, v8, s4 dst_sel:DWORD dst_unused:UNUSED_PAD src0_sel:WORD_1 src1_sel:DWORD
	s_movk_i32 s4, 0x7f
	v_cmp_lt_i16_e32 vcc, s4, v3
	s_mov_b64 s[4:5], 0
                                        ; implicit-def: $sgpr10
	s_and_saveexec_b64 s[6:7], vcc
	s_xor_b64 s[6:7], exec, s[6:7]
	s_cbranch_execnz .LBB8_3793
; %bb.1745:
	s_or_saveexec_b64 s[6:7], s[6:7]
	v_mov_b32_e32 v2, s10
	s_xor_b64 exec, exec, s[6:7]
	s_cbranch_execnz .LBB8_3796
.LBB8_1746:
	s_or_b64 exec, exec, s[6:7]
	s_and_saveexec_b64 s[6:7], s[4:5]
	s_cbranch_execz .LBB8_1748
.LBB8_1747:
	v_bfe_u32 v2, v8, 16, 3
	v_ffbh_u32_e32 v7, v2
	v_min_u32_e32 v7, 32, v7
	v_lshrrev_b32_e32 v3, 19, v8
	v_subrev_u32_e32 v12, 28, v7
	v_and_b32_e32 v3, 15, v3
	v_lshlrev_b32_sdwa v12, v12, v8 dst_sel:DWORD dst_unused:UNUSED_PAD src0_sel:DWORD src1_sel:WORD_1
	v_bfe_u32 v6, v8, 19, 4
	v_sub_u32_e32 v7, 29, v7
	v_and_b32_e32 v12, 7, v12
	v_cmp_eq_u16_e32 vcc, 0, v3
	v_cndmask_b32_e32 v2, v2, v12, vcc
	v_cndmask_b32_e32 v3, v6, v7, vcc
	v_lshlrev_b32_e32 v6, 8, v8
	v_mov_b32_e32 v7, 0x3b800000
	v_lshlrev_b32_e32 v2, 20, v2
	v_and_b32_e32 v6, 0x80000000, v6
	v_lshl_add_u32 v3, v3, 23, v7
	v_or3_b32 v2, v6, v3, v2
.LBB8_1748:
	s_or_b64 exec, exec, s[6:7]
	s_movk_i32 s4, 0xff
	v_and_b32_sdwa v3, v4, s4 dst_sel:DWORD dst_unused:UNUSED_PAD src0_sel:WORD_1 src1_sel:DWORD
	s_movk_i32 s4, 0x7f
	v_cmp_lt_i16_e32 vcc, s4, v3
	s_mov_b64 s[4:5], 0
                                        ; implicit-def: $sgpr10
	s_and_saveexec_b64 s[6:7], vcc
	s_xor_b64 s[6:7], exec, s[6:7]
	s_cbranch_execnz .LBB8_3797
; %bb.1749:
	s_or_saveexec_b64 s[6:7], s[6:7]
	v_mov_b32_e32 v6, s10
	s_xor_b64 exec, exec, s[6:7]
	s_cbranch_execnz .LBB8_3800
.LBB8_1750:
	s_or_b64 exec, exec, s[6:7]
	s_and_saveexec_b64 s[6:7], s[4:5]
	s_cbranch_execz .LBB8_1752
.LBB8_1751:
	v_bfe_u32 v3, v4, 16, 3
	v_ffbh_u32_e32 v12, v3
	v_min_u32_e32 v12, 32, v12
	v_lshrrev_b32_e32 v6, 19, v4
	v_subrev_u32_e32 v13, 28, v12
	v_and_b32_e32 v6, 15, v6
	v_lshlrev_b32_sdwa v13, v13, v4 dst_sel:DWORD dst_unused:UNUSED_PAD src0_sel:DWORD src1_sel:WORD_1
	v_bfe_u32 v7, v4, 19, 4
	v_sub_u32_e32 v12, 29, v12
	v_and_b32_e32 v13, 7, v13
	v_cmp_eq_u16_e32 vcc, 0, v6
	v_cndmask_b32_e32 v3, v3, v13, vcc
	v_cndmask_b32_e32 v6, v7, v12, vcc
	v_lshlrev_b32_e32 v7, 8, v4
	v_mov_b32_e32 v12, 0x3b800000
	v_lshlrev_b32_e32 v3, 20, v3
	v_and_b32_e32 v7, 0x80000000, v7
	v_lshl_add_u32 v6, v6, 23, v12
	v_or3_b32 v6, v7, v6, v3
.LBB8_1752:
	s_or_b64 exec, exec, s[6:7]
	s_nop 0
	v_mfma_f32_16x16x4f32 a[0:3], v2, v6, a[0:3]
	s_movk_i32 s4, 0x7f
	v_cmp_gt_i16_sdwa s[6:7], v8, s4 src0_sel:BYTE_3 src1_sel:DWORD
	s_mov_b64 s[4:5], 0
                                        ; implicit-def: $sgpr10
	s_and_saveexec_b64 s[8:9], s[6:7]
	s_xor_b64 s[6:7], exec, s[8:9]
	s_cbranch_execnz .LBB8_3801
; %bb.1753:
	s_or_saveexec_b64 s[6:7], s[6:7]
	v_mov_b32_e32 v2, s10
	s_xor_b64 exec, exec, s[6:7]
	s_cbranch_execnz .LBB8_3804
.LBB8_1754:
	s_or_b64 exec, exec, s[6:7]
	s_and_saveexec_b64 s[6:7], s[4:5]
	s_cbranch_execz .LBB8_1756
.LBB8_1755:
	v_bfe_u32 v2, v8, 24, 3
	v_ffbh_u32_e32 v12, v2
	v_min_u32_e32 v12, 32, v12
	v_lshrrev_b32_e32 v6, 27, v8
	v_subrev_u32_e32 v13, 28, v12
	v_and_b32_e32 v3, 0x80000000, v8
	v_and_b32_e32 v6, 15, v6
	v_bfe_u32 v7, v8, 27, 4
	v_lshlrev_b32_sdwa v8, v13, v8 dst_sel:DWORD dst_unused:UNUSED_PAD src0_sel:DWORD src1_sel:BYTE_3
	v_sub_u32_e32 v12, 29, v12
	v_and_b32_e32 v8, 7, v8
	v_cmp_eq_u16_e32 vcc, 0, v6
	v_cndmask_b32_e32 v2, v2, v8, vcc
	v_cndmask_b32_e32 v6, v7, v12, vcc
	v_mov_b32_e32 v7, 0x3b800000
	v_lshlrev_b32_e32 v2, 20, v2
	v_lshl_add_u32 v6, v6, 23, v7
	v_or3_b32 v2, v3, v6, v2
.LBB8_1756:
	s_or_b64 exec, exec, s[6:7]
	s_movk_i32 s4, 0x7f
	v_cmp_gt_i16_sdwa s[6:7], v4, s4 src0_sel:BYTE_3 src1_sel:DWORD
	s_mov_b64 s[4:5], 0
                                        ; implicit-def: $sgpr10
	s_and_saveexec_b64 s[8:9], s[6:7]
	s_xor_b64 s[6:7], exec, s[8:9]
	s_cbranch_execnz .LBB8_3805
; %bb.1757:
	s_or_saveexec_b64 s[6:7], s[6:7]
	v_mov_b32_e32 v3, s10
	s_xor_b64 exec, exec, s[6:7]
	s_cbranch_execnz .LBB8_3808
.LBB8_1758:
	s_or_b64 exec, exec, s[6:7]
	s_and_saveexec_b64 s[6:7], s[4:5]
	s_cbranch_execz .LBB8_1760
.LBB8_1759:
	v_bfe_u32 v3, v4, 24, 3
	v_ffbh_u32_e32 v12, v3
	v_min_u32_e32 v12, 32, v12
	v_lshrrev_b32_e32 v7, 27, v4
	v_subrev_u32_e32 v13, 28, v12
	v_and_b32_e32 v6, 0x80000000, v4
	v_and_b32_e32 v7, 15, v7
	v_bfe_u32 v8, v4, 27, 4
	v_lshlrev_b32_sdwa v4, v13, v4 dst_sel:DWORD dst_unused:UNUSED_PAD src0_sel:DWORD src1_sel:BYTE_3
	v_sub_u32_e32 v12, 29, v12
	v_and_b32_e32 v4, 7, v4
	v_cmp_eq_u16_e32 vcc, 0, v7
	v_cndmask_b32_e32 v3, v3, v4, vcc
	v_cndmask_b32_e32 v4, v8, v12, vcc
	v_mov_b32_e32 v7, 0x3b800000
	v_lshlrev_b32_e32 v3, 20, v3
	v_lshl_add_u32 v4, v4, 23, v7
	v_or3_b32 v3, v6, v4, v3
.LBB8_1760:
	s_or_b64 exec, exec, s[6:7]
	s_nop 0
	v_mfma_f32_16x16x4f32 a[0:3], v2, v3, a[0:3]
	s_movk_i32 s4, 0x7f
	v_cmp_gt_i16_sdwa s[6:7], v9, s4 src0_sel:BYTE_0 src1_sel:DWORD
	s_mov_b64 s[4:5], 0
                                        ; implicit-def: $sgpr10
	s_and_saveexec_b64 s[8:9], s[6:7]
	s_xor_b64 s[6:7], exec, s[8:9]
	s_cbranch_execnz .LBB8_3809
; %bb.1761:
	s_or_saveexec_b64 s[6:7], s[6:7]
	v_mov_b32_e32 v2, s10
	s_xor_b64 exec, exec, s[6:7]
	s_cbranch_execnz .LBB8_3812
.LBB8_1762:
	s_or_b64 exec, exec, s[6:7]
	s_and_saveexec_b64 s[6:7], s[4:5]
	s_cbranch_execz .LBB8_1764
.LBB8_1763:
	v_mov_b32_e32 v2, 8
	v_and_b32_e32 v3, 7, v9
	v_lshrrev_b32_sdwa v2, v2, v9 dst_sel:BYTE_1 dst_unused:UNUSED_PAD src0_sel:DWORD src1_sel:DWORD
	v_ffbh_u32_e32 v4, v3
	v_or_b32_sdwa v2, v9, v2 dst_sel:DWORD dst_unused:UNUSED_PAD src0_sel:BYTE_0 src1_sel:DWORD
	v_min_u32_e32 v4, 32, v4
	v_lshrrev_b16_e32 v2, 3, v2
	v_subrev_u32_e32 v6, 28, v4
	v_and_b32_e32 v2, 15, v2
	v_lshlrev_b32_e32 v6, v6, v9
	v_sub_u32_e32 v4, 29, v4
	v_and_b32_e32 v6, 7, v6
	v_cmp_eq_u16_e32 vcc, 0, v2
	v_cndmask_b32_e32 v3, v3, v6, vcc
	v_cndmask_b32_e32 v2, v2, v4, vcc
	v_lshlrev_b32_e32 v4, 24, v9
	v_mov_b32_e32 v6, 0x3b800000
	v_lshlrev_b32_e32 v3, 20, v3
	v_and_b32_e32 v4, 0x80000000, v4
	v_lshl_add_u32 v2, v2, 23, v6
	v_or3_b32 v2, v4, v2, v3
.LBB8_1764:
	s_or_b64 exec, exec, s[6:7]
	s_movk_i32 s4, 0x7f
	v_cmp_gt_i16_sdwa s[6:7], v5, s4 src0_sel:BYTE_0 src1_sel:DWORD
	s_mov_b64 s[4:5], 0
                                        ; implicit-def: $sgpr10
	s_and_saveexec_b64 s[8:9], s[6:7]
	s_xor_b64 s[6:7], exec, s[8:9]
	s_cbranch_execnz .LBB8_3813
; %bb.1765:
	s_or_saveexec_b64 s[6:7], s[6:7]
	v_mov_b32_e32 v3, s10
	s_xor_b64 exec, exec, s[6:7]
	s_cbranch_execnz .LBB8_3816
.LBB8_1766:
	s_or_b64 exec, exec, s[6:7]
	s_and_saveexec_b64 s[6:7], s[4:5]
	s_cbranch_execz .LBB8_1768
.LBB8_1767:
	v_mov_b32_e32 v3, 8
	v_and_b32_e32 v4, 7, v5
	v_lshrrev_b32_sdwa v3, v3, v5 dst_sel:BYTE_1 dst_unused:UNUSED_PAD src0_sel:DWORD src1_sel:DWORD
	v_ffbh_u32_e32 v6, v4
	v_or_b32_sdwa v3, v5, v3 dst_sel:DWORD dst_unused:UNUSED_PAD src0_sel:BYTE_0 src1_sel:DWORD
	v_min_u32_e32 v6, 32, v6
	v_lshrrev_b16_e32 v3, 3, v3
	v_subrev_u32_e32 v7, 28, v6
	v_and_b32_e32 v3, 15, v3
	v_lshlrev_b32_e32 v7, v7, v5
	v_sub_u32_e32 v6, 29, v6
	v_and_b32_e32 v7, 7, v7
	v_cmp_eq_u16_e32 vcc, 0, v3
	v_cndmask_b32_e32 v4, v4, v7, vcc
	v_cndmask_b32_e32 v3, v3, v6, vcc
	v_lshlrev_b32_e32 v6, 24, v5
	v_mov_b32_e32 v7, 0x3b800000
	v_lshlrev_b32_e32 v4, 20, v4
	v_and_b32_e32 v6, 0x80000000, v6
	v_lshl_add_u32 v3, v3, 23, v7
	v_or3_b32 v3, v6, v3, v4
.LBB8_1768:
	s_or_b64 exec, exec, s[6:7]
	s_nop 0
	v_mfma_f32_16x16x4f32 a[0:3], v2, v3, a[0:3]
	v_lshrrev_b32_e32 v3, 8, v9
	s_movk_i32 s4, 0x7f
	v_cmp_gt_i16_sdwa s[6:7], v3, s4 src0_sel:BYTE_0 src1_sel:DWORD
	s_mov_b64 s[4:5], 0
                                        ; implicit-def: $sgpr10
	s_and_saveexec_b64 s[8:9], s[6:7]
	s_xor_b64 s[6:7], exec, s[8:9]
	s_cbranch_execnz .LBB8_3817
; %bb.1769:
	s_or_saveexec_b64 s[6:7], s[6:7]
	v_mov_b32_e32 v2, s10
	s_xor_b64 exec, exec, s[6:7]
	s_cbranch_execnz .LBB8_3820
.LBB8_1770:
	s_or_b64 exec, exec, s[6:7]
	s_and_saveexec_b64 s[6:7], s[4:5]
	s_cbranch_execz .LBB8_1772
.LBB8_1771:
	v_bfe_u32 v2, v9, 8, 3
	v_ffbh_u32_e32 v6, v2
	v_min_u32_e32 v6, 32, v6
	v_lshrrev_b16_e32 v4, 3, v3
	v_subrev_u32_e32 v7, 28, v6
	v_and_b32_e32 v4, 15, v4
	v_lshlrev_b32_e32 v3, v7, v3
	v_sub_u32_e32 v6, 29, v6
	v_and_b32_e32 v3, 7, v3
	v_cmp_eq_u16_e32 vcc, 0, v4
	v_cndmask_b32_e32 v2, v2, v3, vcc
	v_cndmask_b32_e32 v3, v4, v6, vcc
	v_lshlrev_b32_e32 v4, 16, v9
	v_mov_b32_e32 v6, 0x3b800000
	v_lshlrev_b32_e32 v2, 20, v2
	v_and_b32_e32 v4, 0x80000000, v4
	v_lshl_add_u32 v3, v3, 23, v6
	v_or3_b32 v2, v4, v3, v2
.LBB8_1772:
	s_or_b64 exec, exec, s[6:7]
	v_lshrrev_b32_e32 v3, 8, v5
	s_movk_i32 s4, 0x7f
	v_cmp_gt_i16_sdwa s[6:7], v3, s4 src0_sel:BYTE_0 src1_sel:DWORD
	s_mov_b64 s[4:5], 0
                                        ; implicit-def: $sgpr10
	s_and_saveexec_b64 s[8:9], s[6:7]
	s_xor_b64 s[6:7], exec, s[8:9]
	s_cbranch_execnz .LBB8_3821
; %bb.1773:
	s_or_saveexec_b64 s[6:7], s[6:7]
	v_mov_b32_e32 v4, s10
	s_xor_b64 exec, exec, s[6:7]
	s_cbranch_execnz .LBB8_3824
.LBB8_1774:
	s_or_b64 exec, exec, s[6:7]
	s_and_saveexec_b64 s[6:7], s[4:5]
	s_cbranch_execz .LBB8_1776
.LBB8_1775:
	v_bfe_u32 v4, v5, 8, 3
	v_ffbh_u32_e32 v7, v4
	v_min_u32_e32 v7, 32, v7
	v_lshrrev_b16_e32 v6, 3, v3
	v_subrev_u32_e32 v8, 28, v7
	v_and_b32_e32 v6, 15, v6
	v_lshlrev_b32_e32 v3, v8, v3
	v_sub_u32_e32 v7, 29, v7
	v_and_b32_e32 v3, 7, v3
	v_cmp_eq_u16_e32 vcc, 0, v6
	v_cndmask_b32_e32 v3, v4, v3, vcc
	v_cndmask_b32_e32 v4, v6, v7, vcc
	v_lshlrev_b32_e32 v6, 16, v5
	v_mov_b32_e32 v7, 0x3b800000
	v_lshlrev_b32_e32 v3, 20, v3
	v_and_b32_e32 v6, 0x80000000, v6
	v_lshl_add_u32 v4, v4, 23, v7
	v_or3_b32 v4, v6, v4, v3
.LBB8_1776:
	s_or_b64 exec, exec, s[6:7]
	s_nop 0
	v_mfma_f32_16x16x4f32 a[0:3], v2, v4, a[0:3]
	s_movk_i32 s4, 0xff
	v_and_b32_sdwa v3, v9, s4 dst_sel:DWORD dst_unused:UNUSED_PAD src0_sel:WORD_1 src1_sel:DWORD
	s_movk_i32 s4, 0x7f
	v_cmp_lt_i16_e32 vcc, s4, v3
	s_mov_b64 s[4:5], 0
                                        ; implicit-def: $sgpr10
	s_and_saveexec_b64 s[6:7], vcc
	s_xor_b64 s[6:7], exec, s[6:7]
	s_cbranch_execnz .LBB8_3825
; %bb.1777:
	s_or_saveexec_b64 s[6:7], s[6:7]
	v_mov_b32_e32 v2, s10
	s_xor_b64 exec, exec, s[6:7]
	s_cbranch_execnz .LBB8_3828
.LBB8_1778:
	s_or_b64 exec, exec, s[6:7]
	s_and_saveexec_b64 s[6:7], s[4:5]
	s_cbranch_execz .LBB8_1780
.LBB8_1779:
	v_bfe_u32 v2, v9, 16, 3
	v_ffbh_u32_e32 v6, v2
	v_min_u32_e32 v6, 32, v6
	v_lshrrev_b32_e32 v3, 19, v9
	v_subrev_u32_e32 v7, 28, v6
	v_and_b32_e32 v3, 15, v3
	v_lshlrev_b32_sdwa v7, v7, v9 dst_sel:DWORD dst_unused:UNUSED_PAD src0_sel:DWORD src1_sel:WORD_1
	v_bfe_u32 v4, v9, 19, 4
	v_sub_u32_e32 v6, 29, v6
	v_and_b32_e32 v7, 7, v7
	v_cmp_eq_u16_e32 vcc, 0, v3
	v_cndmask_b32_e32 v2, v2, v7, vcc
	v_cndmask_b32_e32 v3, v4, v6, vcc
	v_lshlrev_b32_e32 v4, 8, v9
	v_mov_b32_e32 v6, 0x3b800000
	v_lshlrev_b32_e32 v2, 20, v2
	v_and_b32_e32 v4, 0x80000000, v4
	v_lshl_add_u32 v3, v3, 23, v6
	v_or3_b32 v2, v4, v3, v2
.LBB8_1780:
	s_or_b64 exec, exec, s[6:7]
	s_movk_i32 s4, 0xff
	v_and_b32_sdwa v3, v5, s4 dst_sel:DWORD dst_unused:UNUSED_PAD src0_sel:WORD_1 src1_sel:DWORD
	s_movk_i32 s4, 0x7f
	v_cmp_lt_i16_e32 vcc, s4, v3
	s_mov_b64 s[4:5], 0
                                        ; implicit-def: $sgpr10
	s_and_saveexec_b64 s[6:7], vcc
	s_xor_b64 s[6:7], exec, s[6:7]
	s_cbranch_execnz .LBB8_3829
; %bb.1781:
	s_or_saveexec_b64 s[6:7], s[6:7]
	v_mov_b32_e32 v4, s10
	s_xor_b64 exec, exec, s[6:7]
	s_cbranch_execnz .LBB8_3832
.LBB8_1782:
	s_or_b64 exec, exec, s[6:7]
	s_and_saveexec_b64 s[6:7], s[4:5]
	s_cbranch_execz .LBB8_1784
.LBB8_1783:
	v_bfe_u32 v3, v5, 16, 3
	v_ffbh_u32_e32 v7, v3
	v_min_u32_e32 v7, 32, v7
	v_lshrrev_b32_e32 v4, 19, v5
	v_subrev_u32_e32 v8, 28, v7
	v_and_b32_e32 v4, 15, v4
	v_lshlrev_b32_sdwa v8, v8, v5 dst_sel:DWORD dst_unused:UNUSED_PAD src0_sel:DWORD src1_sel:WORD_1
	v_bfe_u32 v6, v5, 19, 4
	v_sub_u32_e32 v7, 29, v7
	v_and_b32_e32 v8, 7, v8
	v_cmp_eq_u16_e32 vcc, 0, v4
	v_cndmask_b32_e32 v3, v3, v8, vcc
	v_cndmask_b32_e32 v4, v6, v7, vcc
	v_lshlrev_b32_e32 v6, 8, v5
	v_mov_b32_e32 v7, 0x3b800000
	v_lshlrev_b32_e32 v3, 20, v3
	v_and_b32_e32 v6, 0x80000000, v6
	v_lshl_add_u32 v4, v4, 23, v7
	v_or3_b32 v4, v6, v4, v3
.LBB8_1784:
	s_or_b64 exec, exec, s[6:7]
	s_nop 0
	v_mfma_f32_16x16x4f32 a[0:3], v2, v4, a[0:3]
	s_movk_i32 s4, 0x7f
	v_cmp_gt_i16_sdwa s[6:7], v9, s4 src0_sel:BYTE_3 src1_sel:DWORD
	s_mov_b64 s[4:5], 0
                                        ; implicit-def: $sgpr10
	s_and_saveexec_b64 s[8:9], s[6:7]
	s_xor_b64 s[6:7], exec, s[8:9]
	s_cbranch_execnz .LBB8_3833
; %bb.1785:
	s_or_saveexec_b64 s[6:7], s[6:7]
	v_mov_b32_e32 v2, s10
	s_xor_b64 exec, exec, s[6:7]
	s_cbranch_execnz .LBB8_3836
.LBB8_1786:
	s_or_b64 exec, exec, s[6:7]
	s_and_saveexec_b64 s[6:7], s[4:5]
	s_cbranch_execz .LBB8_1788
.LBB8_1787:
	v_bfe_u32 v2, v9, 24, 3
	v_ffbh_u32_e32 v7, v2
	v_min_u32_e32 v7, 32, v7
	v_lshrrev_b32_e32 v4, 27, v9
	v_subrev_u32_e32 v8, 28, v7
	v_and_b32_e32 v4, 15, v4
	v_lshlrev_b32_sdwa v8, v8, v9 dst_sel:DWORD dst_unused:UNUSED_PAD src0_sel:DWORD src1_sel:BYTE_3
	v_bfe_u32 v6, v9, 27, 4
	v_sub_u32_e32 v7, 29, v7
	v_and_b32_e32 v8, 7, v8
	v_cmp_eq_u16_e32 vcc, 0, v4
	v_cndmask_b32_e32 v2, v2, v8, vcc
	v_cndmask_b32_e32 v4, v6, v7, vcc
	v_mov_b32_e32 v6, 0x3b800000
	v_and_b32_e32 v3, 0x80000000, v9
	v_lshlrev_b32_e32 v2, 20, v2
	v_lshl_add_u32 v4, v4, 23, v6
	v_or3_b32 v2, v3, v4, v2
.LBB8_1788:
	s_or_b64 exec, exec, s[6:7]
	s_movk_i32 s4, 0x7f
	v_cmp_gt_i16_sdwa s[6:7], v5, s4 src0_sel:BYTE_3 src1_sel:DWORD
	s_mov_b64 s[4:5], 0
                                        ; implicit-def: $sgpr10
	s_and_saveexec_b64 s[8:9], s[6:7]
	s_xor_b64 s[6:7], exec, s[8:9]
	s_cbranch_execnz .LBB8_3837
; %bb.1789:
	s_or_saveexec_b64 s[6:7], s[6:7]
	v_mov_b32_e32 v3, s10
	s_xor_b64 exec, exec, s[6:7]
	s_cbranch_execnz .LBB8_3840
.LBB8_1790:
	s_or_b64 exec, exec, s[6:7]
	s_and_saveexec_b64 s[6:7], s[4:5]
	s_cbranch_execz .LBB8_1792
.LBB8_1791:
	v_bfe_u32 v3, v5, 24, 3
	v_ffbh_u32_e32 v8, v3
	v_min_u32_e32 v8, 32, v8
	v_lshrrev_b32_e32 v6, 27, v5
	v_subrev_u32_e32 v9, 28, v8
	v_and_b32_e32 v4, 0x80000000, v5
	v_and_b32_e32 v6, 15, v6
	v_bfe_u32 v7, v5, 27, 4
	v_lshlrev_b32_sdwa v5, v9, v5 dst_sel:DWORD dst_unused:UNUSED_PAD src0_sel:DWORD src1_sel:BYTE_3
	v_sub_u32_e32 v8, 29, v8
	v_and_b32_e32 v5, 7, v5
	v_cmp_eq_u16_e32 vcc, 0, v6
	v_cndmask_b32_e32 v3, v3, v5, vcc
	v_cndmask_b32_e32 v5, v7, v8, vcc
	v_mov_b32_e32 v6, 0x3b800000
	v_lshlrev_b32_e32 v3, 20, v3
	v_lshl_add_u32 v5, v5, 23, v6
	v_or3_b32 v3, v4, v5, v3
.LBB8_1792:
	s_or_b64 exec, exec, s[6:7]
	s_nop 0
	v_mfma_f32_16x16x4f32 a[0:3], v2, v3, a[0:3]
	s_movk_i32 s4, 0x7f
                                        ; implicit-def: $sgpr10
	s_nop 7
	s_nop 1
	flat_store_dwordx4 v[10:11], a[0:3] offset:208
	flat_load_dwordx4 v[12:15], v[0:1] offset:8
	s_nop 0
	flat_load_dwordx2 v[10:11], v[0:1] offset:32
	s_waitcnt vmcnt(0) lgkmcnt(0)
	flat_load_dwordx4 v[6:9], v[12:13] offset:96
	flat_load_dwordx4 v[2:5], v[14:15] offset:64
	s_waitcnt vmcnt(0) lgkmcnt(0)
	v_cmp_gt_i16_sdwa s[6:7], v6, s4 src0_sel:BYTE_0 src1_sel:DWORD
	s_mov_b64 s[4:5], 0
	s_and_saveexec_b64 s[8:9], s[6:7]
	s_xor_b64 s[6:7], exec, s[8:9]
	s_cbranch_execnz .LBB8_3841
; %bb.1793:
	s_or_saveexec_b64 s[6:7], s[6:7]
	v_mov_b32_e32 v12, s10
	s_xor_b64 exec, exec, s[6:7]
	s_cbranch_execnz .LBB8_3844
.LBB8_1794:
	s_or_b64 exec, exec, s[6:7]
	s_and_saveexec_b64 s[6:7], s[4:5]
	s_cbranch_execz .LBB8_1796
.LBB8_1795:
	v_and_b32_e32 v12, 7, v6
	v_ffbh_u32_e32 v14, v12
	v_min_u32_e32 v14, 32, v14
	v_lshrrev_b16_e32 v13, 3, v6
	v_subrev_u32_e32 v15, 28, v14
	v_and_b32_e32 v13, 15, v13
	v_lshlrev_b32_e32 v15, v15, v6
	v_sub_u32_e32 v14, 29, v14
	v_and_b32_e32 v15, 7, v15
	v_cmp_eq_u16_e32 vcc, 0, v13
	v_cndmask_b32_e32 v12, v12, v15, vcc
	v_cndmask_b32_e32 v13, v13, v14, vcc
	v_lshlrev_b32_e32 v14, 24, v6
	v_mov_b32_e32 v15, 0x3b800000
	v_lshlrev_b32_e32 v12, 20, v12
	v_and_b32_e32 v14, 0x80000000, v14
	v_lshl_add_u32 v13, v13, 23, v15
	v_or3_b32 v12, v14, v13, v12
.LBB8_1796:
	s_or_b64 exec, exec, s[6:7]
	s_movk_i32 s4, 0x7f
	v_cmp_gt_i16_sdwa s[6:7], v2, s4 src0_sel:BYTE_0 src1_sel:DWORD
	s_mov_b64 s[4:5], 0
                                        ; implicit-def: $sgpr10
	s_and_saveexec_b64 s[8:9], s[6:7]
	s_xor_b64 s[6:7], exec, s[8:9]
	s_cbranch_execnz .LBB8_3845
; %bb.1797:
	s_or_saveexec_b64 s[6:7], s[6:7]
	v_mov_b32_e32 v13, s10
	s_xor_b64 exec, exec, s[6:7]
	s_cbranch_execnz .LBB8_3848
.LBB8_1798:
	s_or_b64 exec, exec, s[6:7]
	s_and_saveexec_b64 s[6:7], s[4:5]
	s_cbranch_execz .LBB8_1800
.LBB8_1799:
	v_and_b32_e32 v13, 7, v2
	v_ffbh_u32_e32 v15, v13
	v_min_u32_e32 v15, 32, v15
	v_lshrrev_b16_e32 v14, 3, v2
	v_subrev_u32_e32 v16, 28, v15
	v_and_b32_e32 v14, 15, v14
	v_lshlrev_b32_e32 v16, v16, v2
	v_sub_u32_e32 v15, 29, v15
	v_and_b32_e32 v16, 7, v16
	v_cmp_eq_u16_e32 vcc, 0, v14
	v_cndmask_b32_e32 v13, v13, v16, vcc
	v_cndmask_b32_e32 v14, v14, v15, vcc
	v_lshlrev_b32_e32 v15, 24, v2
	v_mov_b32_e32 v16, 0x3b800000
	v_lshlrev_b32_e32 v13, 20, v13
	v_and_b32_e32 v15, 0x80000000, v15
	v_lshl_add_u32 v14, v14, 23, v16
	v_or3_b32 v13, v15, v14, v13
.LBB8_1800:
	s_or_b64 exec, exec, s[6:7]
	flat_load_dwordx4 a[0:3], v[10:11] offset:224
	s_movk_i32 s4, 0x7f
                                        ; implicit-def: $sgpr10
	s_waitcnt vmcnt(0) lgkmcnt(0)
	v_mfma_f32_16x16x4f32 a[0:3], v12, v13, a[0:3]
	v_lshrrev_b32_e32 v13, 8, v6
	v_cmp_gt_i16_sdwa s[6:7], v13, s4 src0_sel:BYTE_0 src1_sel:DWORD
	s_mov_b64 s[4:5], 0
	s_and_saveexec_b64 s[8:9], s[6:7]
	s_xor_b64 s[6:7], exec, s[8:9]
	s_cbranch_execnz .LBB8_3849
; %bb.1801:
	s_or_saveexec_b64 s[6:7], s[6:7]
	v_mov_b32_e32 v12, s10
	s_xor_b64 exec, exec, s[6:7]
	s_cbranch_execnz .LBB8_3852
.LBB8_1802:
	s_or_b64 exec, exec, s[6:7]
	s_and_saveexec_b64 s[6:7], s[4:5]
	s_cbranch_execz .LBB8_1804
.LBB8_1803:
	v_bfe_u32 v12, v6, 8, 3
	v_ffbh_u32_e32 v15, v12
	v_min_u32_e32 v15, 32, v15
	v_lshrrev_b16_e32 v14, 3, v13
	v_subrev_u32_e32 v16, 28, v15
	v_and_b32_e32 v14, 15, v14
	v_lshlrev_b32_e32 v13, v16, v13
	v_sub_u32_e32 v15, 29, v15
	v_and_b32_e32 v13, 7, v13
	v_cmp_eq_u16_e32 vcc, 0, v14
	v_cndmask_b32_e32 v12, v12, v13, vcc
	v_cndmask_b32_e32 v13, v14, v15, vcc
	v_lshlrev_b32_e32 v14, 16, v6
	v_mov_b32_e32 v15, 0x3b800000
	v_lshlrev_b32_e32 v12, 20, v12
	v_and_b32_e32 v14, 0x80000000, v14
	v_lshl_add_u32 v13, v13, 23, v15
	v_or3_b32 v12, v14, v13, v12
.LBB8_1804:
	s_or_b64 exec, exec, s[6:7]
	v_lshrrev_b32_e32 v13, 8, v2
	s_movk_i32 s4, 0x7f
	v_cmp_gt_i16_sdwa s[6:7], v13, s4 src0_sel:BYTE_0 src1_sel:DWORD
	s_mov_b64 s[4:5], 0
                                        ; implicit-def: $sgpr10
	s_and_saveexec_b64 s[8:9], s[6:7]
	s_xor_b64 s[6:7], exec, s[8:9]
	s_cbranch_execnz .LBB8_3853
; %bb.1805:
	s_or_saveexec_b64 s[6:7], s[6:7]
	v_mov_b32_e32 v14, s10
	s_xor_b64 exec, exec, s[6:7]
	s_cbranch_execnz .LBB8_3856
.LBB8_1806:
	s_or_b64 exec, exec, s[6:7]
	s_and_saveexec_b64 s[6:7], s[4:5]
	s_cbranch_execz .LBB8_1808
.LBB8_1807:
	v_bfe_u32 v14, v2, 8, 3
	v_ffbh_u32_e32 v16, v14
	v_min_u32_e32 v16, 32, v16
	v_lshrrev_b16_e32 v15, 3, v13
	v_subrev_u32_e32 v17, 28, v16
	v_and_b32_e32 v15, 15, v15
	v_lshlrev_b32_e32 v13, v17, v13
	v_sub_u32_e32 v16, 29, v16
	v_and_b32_e32 v13, 7, v13
	v_cmp_eq_u16_e32 vcc, 0, v15
	v_cndmask_b32_e32 v13, v14, v13, vcc
	v_cndmask_b32_e32 v14, v15, v16, vcc
	v_lshlrev_b32_e32 v15, 16, v2
	v_mov_b32_e32 v16, 0x3b800000
	v_lshlrev_b32_e32 v13, 20, v13
	v_and_b32_e32 v15, 0x80000000, v15
	v_lshl_add_u32 v14, v14, 23, v16
	v_or3_b32 v14, v15, v14, v13
.LBB8_1808:
	s_or_b64 exec, exec, s[6:7]
	s_nop 0
	v_mfma_f32_16x16x4f32 a[0:3], v12, v14, a[0:3]
	s_movk_i32 s4, 0xff
	v_and_b32_sdwa v13, v6, s4 dst_sel:DWORD dst_unused:UNUSED_PAD src0_sel:WORD_1 src1_sel:DWORD
	s_movk_i32 s4, 0x7f
	v_cmp_lt_i16_e32 vcc, s4, v13
	s_mov_b64 s[4:5], 0
                                        ; implicit-def: $sgpr10
	s_and_saveexec_b64 s[6:7], vcc
	s_xor_b64 s[6:7], exec, s[6:7]
	s_cbranch_execnz .LBB8_3857
; %bb.1809:
	s_or_saveexec_b64 s[6:7], s[6:7]
	v_mov_b32_e32 v12, s10
	s_xor_b64 exec, exec, s[6:7]
	s_cbranch_execnz .LBB8_3860
.LBB8_1810:
	s_or_b64 exec, exec, s[6:7]
	s_and_saveexec_b64 s[6:7], s[4:5]
	s_cbranch_execz .LBB8_1812
.LBB8_1811:
	v_bfe_u32 v12, v6, 16, 3
	v_ffbh_u32_e32 v15, v12
	v_min_u32_e32 v15, 32, v15
	v_lshrrev_b32_e32 v13, 19, v6
	v_subrev_u32_e32 v16, 28, v15
	v_and_b32_e32 v13, 15, v13
	v_lshlrev_b32_sdwa v16, v16, v6 dst_sel:DWORD dst_unused:UNUSED_PAD src0_sel:DWORD src1_sel:WORD_1
	v_bfe_u32 v14, v6, 19, 4
	v_sub_u32_e32 v15, 29, v15
	v_and_b32_e32 v16, 7, v16
	v_cmp_eq_u16_e32 vcc, 0, v13
	v_cndmask_b32_e32 v12, v12, v16, vcc
	v_cndmask_b32_e32 v13, v14, v15, vcc
	v_lshlrev_b32_e32 v14, 8, v6
	v_mov_b32_e32 v15, 0x3b800000
	v_lshlrev_b32_e32 v12, 20, v12
	v_and_b32_e32 v14, 0x80000000, v14
	v_lshl_add_u32 v13, v13, 23, v15
	v_or3_b32 v12, v14, v13, v12
.LBB8_1812:
	s_or_b64 exec, exec, s[6:7]
	s_movk_i32 s4, 0xff
	v_and_b32_sdwa v13, v2, s4 dst_sel:DWORD dst_unused:UNUSED_PAD src0_sel:WORD_1 src1_sel:DWORD
	s_movk_i32 s4, 0x7f
	v_cmp_lt_i16_e32 vcc, s4, v13
	s_mov_b64 s[4:5], 0
                                        ; implicit-def: $sgpr10
	s_and_saveexec_b64 s[6:7], vcc
	s_xor_b64 s[6:7], exec, s[6:7]
	s_cbranch_execnz .LBB8_3861
; %bb.1813:
	s_or_saveexec_b64 s[6:7], s[6:7]
	v_mov_b32_e32 v14, s10
	s_xor_b64 exec, exec, s[6:7]
	s_cbranch_execnz .LBB8_3864
.LBB8_1814:
	s_or_b64 exec, exec, s[6:7]
	s_and_saveexec_b64 s[6:7], s[4:5]
	s_cbranch_execz .LBB8_1816
.LBB8_1815:
	v_bfe_u32 v13, v2, 16, 3
	v_ffbh_u32_e32 v16, v13
	v_min_u32_e32 v16, 32, v16
	v_lshrrev_b32_e32 v14, 19, v2
	v_subrev_u32_e32 v17, 28, v16
	v_and_b32_e32 v14, 15, v14
	v_lshlrev_b32_sdwa v17, v17, v2 dst_sel:DWORD dst_unused:UNUSED_PAD src0_sel:DWORD src1_sel:WORD_1
	v_bfe_u32 v15, v2, 19, 4
	v_sub_u32_e32 v16, 29, v16
	v_and_b32_e32 v17, 7, v17
	v_cmp_eq_u16_e32 vcc, 0, v14
	v_cndmask_b32_e32 v13, v13, v17, vcc
	v_cndmask_b32_e32 v14, v15, v16, vcc
	v_lshlrev_b32_e32 v15, 8, v2
	v_mov_b32_e32 v16, 0x3b800000
	v_lshlrev_b32_e32 v13, 20, v13
	v_and_b32_e32 v15, 0x80000000, v15
	v_lshl_add_u32 v14, v14, 23, v16
	v_or3_b32 v14, v15, v14, v13
.LBB8_1816:
	s_or_b64 exec, exec, s[6:7]
	s_nop 0
	v_mfma_f32_16x16x4f32 a[0:3], v12, v14, a[0:3]
	s_movk_i32 s4, 0x7f
	v_cmp_gt_i16_sdwa s[6:7], v6, s4 src0_sel:BYTE_3 src1_sel:DWORD
	s_mov_b64 s[4:5], 0
                                        ; implicit-def: $sgpr10
	s_and_saveexec_b64 s[8:9], s[6:7]
	s_xor_b64 s[6:7], exec, s[8:9]
	s_cbranch_execnz .LBB8_3865
; %bb.1817:
	s_or_saveexec_b64 s[6:7], s[6:7]
	v_mov_b32_e32 v12, s10
	s_xor_b64 exec, exec, s[6:7]
	s_cbranch_execnz .LBB8_3868
.LBB8_1818:
	s_or_b64 exec, exec, s[6:7]
	s_and_saveexec_b64 s[6:7], s[4:5]
	s_cbranch_execz .LBB8_1820
.LBB8_1819:
	v_bfe_u32 v12, v6, 24, 3
	v_ffbh_u32_e32 v16, v12
	v_min_u32_e32 v16, 32, v16
	v_lshrrev_b32_e32 v14, 27, v6
	v_subrev_u32_e32 v17, 28, v16
	v_and_b32_e32 v13, 0x80000000, v6
	v_and_b32_e32 v14, 15, v14
	v_bfe_u32 v15, v6, 27, 4
	v_lshlrev_b32_sdwa v6, v17, v6 dst_sel:DWORD dst_unused:UNUSED_PAD src0_sel:DWORD src1_sel:BYTE_3
	v_sub_u32_e32 v16, 29, v16
	v_and_b32_e32 v6, 7, v6
	v_cmp_eq_u16_e32 vcc, 0, v14
	v_cndmask_b32_e32 v6, v12, v6, vcc
	v_cndmask_b32_e32 v12, v15, v16, vcc
	v_mov_b32_e32 v14, 0x3b800000
	v_lshlrev_b32_e32 v6, 20, v6
	v_lshl_add_u32 v12, v12, 23, v14
	v_or3_b32 v12, v13, v12, v6
.LBB8_1820:
	s_or_b64 exec, exec, s[6:7]
	s_movk_i32 s4, 0x7f
	v_cmp_gt_i16_sdwa s[6:7], v2, s4 src0_sel:BYTE_3 src1_sel:DWORD
	s_mov_b64 s[4:5], 0
                                        ; implicit-def: $sgpr10
	s_and_saveexec_b64 s[8:9], s[6:7]
	s_xor_b64 s[6:7], exec, s[8:9]
	s_cbranch_execnz .LBB8_3869
; %bb.1821:
	s_or_saveexec_b64 s[6:7], s[6:7]
	v_mov_b32_e32 v6, s10
	s_xor_b64 exec, exec, s[6:7]
	s_cbranch_execnz .LBB8_3872
.LBB8_1822:
	s_or_b64 exec, exec, s[6:7]
	s_and_saveexec_b64 s[6:7], s[4:5]
	s_cbranch_execz .LBB8_1824
.LBB8_1823:
	v_bfe_u32 v6, v2, 24, 3
	v_ffbh_u32_e32 v16, v6
	v_min_u32_e32 v16, 32, v16
	v_lshrrev_b32_e32 v14, 27, v2
	v_subrev_u32_e32 v17, 28, v16
	v_and_b32_e32 v13, 0x80000000, v2
	v_and_b32_e32 v14, 15, v14
	v_bfe_u32 v15, v2, 27, 4
	v_lshlrev_b32_sdwa v2, v17, v2 dst_sel:DWORD dst_unused:UNUSED_PAD src0_sel:DWORD src1_sel:BYTE_3
	v_sub_u32_e32 v16, 29, v16
	v_and_b32_e32 v2, 7, v2
	v_cmp_eq_u16_e32 vcc, 0, v14
	v_cndmask_b32_e32 v2, v6, v2, vcc
	v_cndmask_b32_e32 v6, v15, v16, vcc
	v_mov_b32_e32 v14, 0x3b800000
	v_lshlrev_b32_e32 v2, 20, v2
	v_lshl_add_u32 v6, v6, 23, v14
	v_or3_b32 v6, v13, v6, v2
.LBB8_1824:
	s_or_b64 exec, exec, s[6:7]
	s_nop 0
	v_mfma_f32_16x16x4f32 a[0:3], v12, v6, a[0:3]
	s_movk_i32 s4, 0x7f
	v_cmp_gt_i16_sdwa s[6:7], v7, s4 src0_sel:BYTE_0 src1_sel:DWORD
	s_mov_b64 s[4:5], 0
                                        ; implicit-def: $sgpr10
	s_and_saveexec_b64 s[8:9], s[6:7]
	s_xor_b64 s[6:7], exec, s[8:9]
	s_cbranch_execnz .LBB8_3873
; %bb.1825:
	s_or_saveexec_b64 s[6:7], s[6:7]
	v_mov_b32_e32 v2, s10
	s_xor_b64 exec, exec, s[6:7]
	s_cbranch_execnz .LBB8_3876
.LBB8_1826:
	s_or_b64 exec, exec, s[6:7]
	s_and_saveexec_b64 s[6:7], s[4:5]
	s_cbranch_execz .LBB8_1828
.LBB8_1827:
	v_and_b32_e32 v2, 7, v7
	v_ffbh_u32_e32 v12, v2
	v_min_u32_e32 v12, 32, v12
	v_lshrrev_b16_e32 v6, 3, v7
	v_subrev_u32_e32 v13, 28, v12
	v_and_b32_e32 v6, 15, v6
	v_lshlrev_b32_e32 v13, v13, v7
	v_sub_u32_e32 v12, 29, v12
	v_and_b32_e32 v13, 7, v13
	v_cmp_eq_u16_e32 vcc, 0, v6
	v_cndmask_b32_e32 v2, v2, v13, vcc
	v_cndmask_b32_e32 v6, v6, v12, vcc
	v_lshlrev_b32_e32 v12, 24, v7
	v_mov_b32_e32 v13, 0x3b800000
	v_lshlrev_b32_e32 v2, 20, v2
	v_and_b32_e32 v12, 0x80000000, v12
	v_lshl_add_u32 v6, v6, 23, v13
	v_or3_b32 v2, v12, v6, v2
.LBB8_1828:
	s_or_b64 exec, exec, s[6:7]
	s_movk_i32 s4, 0x7f
	v_cmp_gt_i16_sdwa s[6:7], v3, s4 src0_sel:BYTE_0 src1_sel:DWORD
	s_mov_b64 s[4:5], 0
                                        ; implicit-def: $sgpr10
	s_and_saveexec_b64 s[8:9], s[6:7]
	s_xor_b64 s[6:7], exec, s[8:9]
	s_cbranch_execnz .LBB8_3877
; %bb.1829:
	s_or_saveexec_b64 s[6:7], s[6:7]
	v_mov_b32_e32 v6, s10
	s_xor_b64 exec, exec, s[6:7]
	s_cbranch_execnz .LBB8_3880
.LBB8_1830:
	s_or_b64 exec, exec, s[6:7]
	s_and_saveexec_b64 s[6:7], s[4:5]
	s_cbranch_execz .LBB8_1832
.LBB8_1831:
	v_and_b32_e32 v6, 7, v3
	v_ffbh_u32_e32 v13, v6
	v_min_u32_e32 v13, 32, v13
	v_lshrrev_b16_e32 v12, 3, v3
	v_subrev_u32_e32 v14, 28, v13
	v_and_b32_e32 v12, 15, v12
	v_lshlrev_b32_e32 v14, v14, v3
	v_sub_u32_e32 v13, 29, v13
	v_and_b32_e32 v14, 7, v14
	v_cmp_eq_u16_e32 vcc, 0, v12
	v_cndmask_b32_e32 v6, v6, v14, vcc
	v_cndmask_b32_e32 v12, v12, v13, vcc
	v_lshlrev_b32_e32 v13, 24, v3
	v_mov_b32_e32 v14, 0x3b800000
	v_lshlrev_b32_e32 v6, 20, v6
	v_and_b32_e32 v13, 0x80000000, v13
	v_lshl_add_u32 v12, v12, 23, v14
	v_or3_b32 v6, v13, v12, v6
.LBB8_1832:
	s_or_b64 exec, exec, s[6:7]
	s_nop 0
	v_mfma_f32_16x16x4f32 a[0:3], v2, v6, a[0:3]
	v_lshrrev_b32_e32 v6, 8, v7
	s_movk_i32 s4, 0x7f
	v_cmp_gt_i16_sdwa s[6:7], v6, s4 src0_sel:BYTE_0 src1_sel:DWORD
	s_mov_b64 s[4:5], 0
                                        ; implicit-def: $sgpr10
	s_and_saveexec_b64 s[8:9], s[6:7]
	s_xor_b64 s[6:7], exec, s[8:9]
	s_cbranch_execnz .LBB8_3881
; %bb.1833:
	s_or_saveexec_b64 s[6:7], s[6:7]
	v_mov_b32_e32 v2, s10
	s_xor_b64 exec, exec, s[6:7]
	s_cbranch_execnz .LBB8_3884
.LBB8_1834:
	s_or_b64 exec, exec, s[6:7]
	s_and_saveexec_b64 s[6:7], s[4:5]
	s_cbranch_execz .LBB8_1836
.LBB8_1835:
	v_bfe_u32 v2, v7, 8, 3
	v_ffbh_u32_e32 v13, v2
	v_min_u32_e32 v13, 32, v13
	v_lshrrev_b16_e32 v12, 3, v6
	v_subrev_u32_e32 v14, 28, v13
	v_and_b32_e32 v12, 15, v12
	v_lshlrev_b32_e32 v6, v14, v6
	v_sub_u32_e32 v13, 29, v13
	v_and_b32_e32 v6, 7, v6
	v_cmp_eq_u16_e32 vcc, 0, v12
	v_cndmask_b32_e32 v2, v2, v6, vcc
	v_cndmask_b32_e32 v6, v12, v13, vcc
	v_lshlrev_b32_e32 v12, 16, v7
	v_mov_b32_e32 v13, 0x3b800000
	v_lshlrev_b32_e32 v2, 20, v2
	v_and_b32_e32 v12, 0x80000000, v12
	v_lshl_add_u32 v6, v6, 23, v13
	v_or3_b32 v2, v12, v6, v2
.LBB8_1836:
	s_or_b64 exec, exec, s[6:7]
	v_lshrrev_b32_e32 v6, 8, v3
	s_movk_i32 s4, 0x7f
	v_cmp_gt_i16_sdwa s[6:7], v6, s4 src0_sel:BYTE_0 src1_sel:DWORD
	s_mov_b64 s[4:5], 0
                                        ; implicit-def: $sgpr10
	s_and_saveexec_b64 s[8:9], s[6:7]
	s_xor_b64 s[6:7], exec, s[8:9]
	s_cbranch_execnz .LBB8_3885
; %bb.1837:
	s_or_saveexec_b64 s[6:7], s[6:7]
	v_mov_b32_e32 v12, s10
	s_xor_b64 exec, exec, s[6:7]
	s_cbranch_execnz .LBB8_3888
.LBB8_1838:
	s_or_b64 exec, exec, s[6:7]
	s_and_saveexec_b64 s[6:7], s[4:5]
	s_cbranch_execz .LBB8_1840
.LBB8_1839:
	v_bfe_u32 v12, v3, 8, 3
	v_ffbh_u32_e32 v14, v12
	v_min_u32_e32 v14, 32, v14
	v_lshrrev_b16_e32 v13, 3, v6
	v_subrev_u32_e32 v15, 28, v14
	v_and_b32_e32 v13, 15, v13
	v_lshlrev_b32_e32 v6, v15, v6
	v_sub_u32_e32 v14, 29, v14
	v_and_b32_e32 v6, 7, v6
	v_cmp_eq_u16_e32 vcc, 0, v13
	v_cndmask_b32_e32 v6, v12, v6, vcc
	v_cndmask_b32_e32 v12, v13, v14, vcc
	v_lshlrev_b32_e32 v13, 16, v3
	v_mov_b32_e32 v14, 0x3b800000
	v_lshlrev_b32_e32 v6, 20, v6
	v_and_b32_e32 v13, 0x80000000, v13
	v_lshl_add_u32 v12, v12, 23, v14
	v_or3_b32 v12, v13, v12, v6
.LBB8_1840:
	s_or_b64 exec, exec, s[6:7]
	s_nop 0
	v_mfma_f32_16x16x4f32 a[0:3], v2, v12, a[0:3]
	s_movk_i32 s4, 0xff
	v_and_b32_sdwa v6, v7, s4 dst_sel:DWORD dst_unused:UNUSED_PAD src0_sel:WORD_1 src1_sel:DWORD
	s_movk_i32 s4, 0x7f
	v_cmp_lt_i16_e32 vcc, s4, v6
	s_mov_b64 s[4:5], 0
                                        ; implicit-def: $sgpr10
	s_and_saveexec_b64 s[6:7], vcc
	s_xor_b64 s[6:7], exec, s[6:7]
	s_cbranch_execnz .LBB8_3889
; %bb.1841:
	s_or_saveexec_b64 s[6:7], s[6:7]
	v_mov_b32_e32 v2, s10
	s_xor_b64 exec, exec, s[6:7]
	s_cbranch_execnz .LBB8_3892
.LBB8_1842:
	s_or_b64 exec, exec, s[6:7]
	s_and_saveexec_b64 s[6:7], s[4:5]
	s_cbranch_execz .LBB8_1844
.LBB8_1843:
	v_bfe_u32 v2, v7, 16, 3
	v_ffbh_u32_e32 v13, v2
	v_min_u32_e32 v13, 32, v13
	v_lshrrev_b32_e32 v6, 19, v7
	v_subrev_u32_e32 v14, 28, v13
	v_and_b32_e32 v6, 15, v6
	v_lshlrev_b32_sdwa v14, v14, v7 dst_sel:DWORD dst_unused:UNUSED_PAD src0_sel:DWORD src1_sel:WORD_1
	v_bfe_u32 v12, v7, 19, 4
	v_sub_u32_e32 v13, 29, v13
	v_and_b32_e32 v14, 7, v14
	v_cmp_eq_u16_e32 vcc, 0, v6
	v_cndmask_b32_e32 v2, v2, v14, vcc
	v_cndmask_b32_e32 v6, v12, v13, vcc
	v_lshlrev_b32_e32 v12, 8, v7
	v_mov_b32_e32 v13, 0x3b800000
	v_lshlrev_b32_e32 v2, 20, v2
	v_and_b32_e32 v12, 0x80000000, v12
	v_lshl_add_u32 v6, v6, 23, v13
	v_or3_b32 v2, v12, v6, v2
.LBB8_1844:
	s_or_b64 exec, exec, s[6:7]
	s_movk_i32 s4, 0xff
	v_and_b32_sdwa v6, v3, s4 dst_sel:DWORD dst_unused:UNUSED_PAD src0_sel:WORD_1 src1_sel:DWORD
	s_movk_i32 s4, 0x7f
	v_cmp_lt_i16_e32 vcc, s4, v6
	s_mov_b64 s[4:5], 0
                                        ; implicit-def: $sgpr10
	s_and_saveexec_b64 s[6:7], vcc
	s_xor_b64 s[6:7], exec, s[6:7]
	s_cbranch_execnz .LBB8_3893
; %bb.1845:
	s_or_saveexec_b64 s[6:7], s[6:7]
	v_mov_b32_e32 v12, s10
	s_xor_b64 exec, exec, s[6:7]
	s_cbranch_execnz .LBB8_3896
.LBB8_1846:
	s_or_b64 exec, exec, s[6:7]
	s_and_saveexec_b64 s[6:7], s[4:5]
	s_cbranch_execz .LBB8_1848
.LBB8_1847:
	v_bfe_u32 v6, v3, 16, 3
	v_ffbh_u32_e32 v14, v6
	v_min_u32_e32 v14, 32, v14
	v_lshrrev_b32_e32 v12, 19, v3
	v_subrev_u32_e32 v15, 28, v14
	v_and_b32_e32 v12, 15, v12
	v_lshlrev_b32_sdwa v15, v15, v3 dst_sel:DWORD dst_unused:UNUSED_PAD src0_sel:DWORD src1_sel:WORD_1
	v_bfe_u32 v13, v3, 19, 4
	v_sub_u32_e32 v14, 29, v14
	v_and_b32_e32 v15, 7, v15
	v_cmp_eq_u16_e32 vcc, 0, v12
	v_cndmask_b32_e32 v6, v6, v15, vcc
	v_cndmask_b32_e32 v12, v13, v14, vcc
	v_lshlrev_b32_e32 v13, 8, v3
	v_mov_b32_e32 v14, 0x3b800000
	v_lshlrev_b32_e32 v6, 20, v6
	v_and_b32_e32 v13, 0x80000000, v13
	v_lshl_add_u32 v12, v12, 23, v14
	v_or3_b32 v12, v13, v12, v6
.LBB8_1848:
	s_or_b64 exec, exec, s[6:7]
	s_nop 0
	v_mfma_f32_16x16x4f32 a[0:3], v2, v12, a[0:3]
	s_movk_i32 s4, 0x7f
	v_cmp_gt_i16_sdwa s[6:7], v7, s4 src0_sel:BYTE_3 src1_sel:DWORD
	s_mov_b64 s[4:5], 0
                                        ; implicit-def: $sgpr10
	s_and_saveexec_b64 s[8:9], s[6:7]
	s_xor_b64 s[6:7], exec, s[8:9]
	s_cbranch_execnz .LBB8_3897
; %bb.1849:
	s_or_saveexec_b64 s[6:7], s[6:7]
	v_mov_b32_e32 v2, s10
	s_xor_b64 exec, exec, s[6:7]
	s_cbranch_execnz .LBB8_3900
.LBB8_1850:
	s_or_b64 exec, exec, s[6:7]
	s_and_saveexec_b64 s[6:7], s[4:5]
	s_cbranch_execz .LBB8_1852
.LBB8_1851:
	v_bfe_u32 v2, v7, 24, 3
	v_ffbh_u32_e32 v14, v2
	v_min_u32_e32 v14, 32, v14
	v_lshrrev_b32_e32 v12, 27, v7
	v_subrev_u32_e32 v15, 28, v14
	v_and_b32_e32 v6, 0x80000000, v7
	v_and_b32_e32 v12, 15, v12
	v_bfe_u32 v13, v7, 27, 4
	v_lshlrev_b32_sdwa v7, v15, v7 dst_sel:DWORD dst_unused:UNUSED_PAD src0_sel:DWORD src1_sel:BYTE_3
	v_sub_u32_e32 v14, 29, v14
	v_and_b32_e32 v7, 7, v7
	v_cmp_eq_u16_e32 vcc, 0, v12
	v_cndmask_b32_e32 v2, v2, v7, vcc
	v_cndmask_b32_e32 v7, v13, v14, vcc
	v_mov_b32_e32 v12, 0x3b800000
	v_lshlrev_b32_e32 v2, 20, v2
	v_lshl_add_u32 v7, v7, 23, v12
	v_or3_b32 v2, v6, v7, v2
.LBB8_1852:
	s_or_b64 exec, exec, s[6:7]
	s_movk_i32 s4, 0x7f
	v_cmp_gt_i16_sdwa s[6:7], v3, s4 src0_sel:BYTE_3 src1_sel:DWORD
	s_mov_b64 s[4:5], 0
                                        ; implicit-def: $sgpr10
	s_and_saveexec_b64 s[8:9], s[6:7]
	s_xor_b64 s[6:7], exec, s[8:9]
	s_cbranch_execnz .LBB8_3901
; %bb.1853:
	s_or_saveexec_b64 s[6:7], s[6:7]
	v_mov_b32_e32 v6, s10
	s_xor_b64 exec, exec, s[6:7]
	s_cbranch_execnz .LBB8_3904
.LBB8_1854:
	s_or_b64 exec, exec, s[6:7]
	s_and_saveexec_b64 s[6:7], s[4:5]
	s_cbranch_execz .LBB8_1856
.LBB8_1855:
	v_bfe_u32 v6, v3, 24, 3
	v_ffbh_u32_e32 v14, v6
	v_min_u32_e32 v14, 32, v14
	v_lshrrev_b32_e32 v12, 27, v3
	v_subrev_u32_e32 v15, 28, v14
	v_and_b32_e32 v7, 0x80000000, v3
	v_and_b32_e32 v12, 15, v12
	v_bfe_u32 v13, v3, 27, 4
	v_lshlrev_b32_sdwa v3, v15, v3 dst_sel:DWORD dst_unused:UNUSED_PAD src0_sel:DWORD src1_sel:BYTE_3
	v_sub_u32_e32 v14, 29, v14
	v_and_b32_e32 v3, 7, v3
	v_cmp_eq_u16_e32 vcc, 0, v12
	v_cndmask_b32_e32 v3, v6, v3, vcc
	v_cndmask_b32_e32 v6, v13, v14, vcc
	v_mov_b32_e32 v12, 0x3b800000
	v_lshlrev_b32_e32 v3, 20, v3
	v_lshl_add_u32 v6, v6, 23, v12
	v_or3_b32 v6, v7, v6, v3
.LBB8_1856:
	s_or_b64 exec, exec, s[6:7]
	s_nop 0
	v_mfma_f32_16x16x4f32 a[0:3], v2, v6, a[0:3]
	s_movk_i32 s4, 0x7f
	v_cmp_gt_i16_sdwa s[6:7], v8, s4 src0_sel:BYTE_0 src1_sel:DWORD
	s_mov_b64 s[4:5], 0
                                        ; implicit-def: $sgpr10
	s_and_saveexec_b64 s[8:9], s[6:7]
	s_xor_b64 s[6:7], exec, s[8:9]
	s_cbranch_execnz .LBB8_3905
; %bb.1857:
	s_or_saveexec_b64 s[6:7], s[6:7]
	v_mov_b32_e32 v2, s10
	s_xor_b64 exec, exec, s[6:7]
	s_cbranch_execnz .LBB8_3908
.LBB8_1858:
	s_or_b64 exec, exec, s[6:7]
	s_and_saveexec_b64 s[6:7], s[4:5]
	s_cbranch_execz .LBB8_1860
.LBB8_1859:
	v_and_b32_e32 v2, 7, v8
	v_ffbh_u32_e32 v6, v2
	v_min_u32_e32 v6, 32, v6
	v_lshrrev_b16_e32 v3, 3, v8
	v_subrev_u32_e32 v7, 28, v6
	v_and_b32_e32 v3, 15, v3
	v_lshlrev_b32_e32 v7, v7, v8
	v_sub_u32_e32 v6, 29, v6
	v_and_b32_e32 v7, 7, v7
	v_cmp_eq_u16_e32 vcc, 0, v3
	v_cndmask_b32_e32 v2, v2, v7, vcc
	v_cndmask_b32_e32 v3, v3, v6, vcc
	v_lshlrev_b32_e32 v6, 24, v8
	v_mov_b32_e32 v7, 0x3b800000
	v_lshlrev_b32_e32 v2, 20, v2
	v_and_b32_e32 v6, 0x80000000, v6
	v_lshl_add_u32 v3, v3, 23, v7
	v_or3_b32 v2, v6, v3, v2
.LBB8_1860:
	s_or_b64 exec, exec, s[6:7]
	s_movk_i32 s4, 0x7f
	v_cmp_gt_i16_sdwa s[6:7], v4, s4 src0_sel:BYTE_0 src1_sel:DWORD
	s_mov_b64 s[4:5], 0
                                        ; implicit-def: $sgpr10
	s_and_saveexec_b64 s[8:9], s[6:7]
	s_xor_b64 s[6:7], exec, s[8:9]
	s_cbranch_execnz .LBB8_3909
; %bb.1861:
	s_or_saveexec_b64 s[6:7], s[6:7]
	v_mov_b32_e32 v3, s10
	s_xor_b64 exec, exec, s[6:7]
	s_cbranch_execnz .LBB8_3912
.LBB8_1862:
	s_or_b64 exec, exec, s[6:7]
	s_and_saveexec_b64 s[6:7], s[4:5]
	s_cbranch_execz .LBB8_1864
.LBB8_1863:
	v_and_b32_e32 v3, 7, v4
	v_ffbh_u32_e32 v7, v3
	v_min_u32_e32 v7, 32, v7
	v_lshrrev_b16_e32 v6, 3, v4
	v_subrev_u32_e32 v12, 28, v7
	v_and_b32_e32 v6, 15, v6
	v_lshlrev_b32_e32 v12, v12, v4
	v_sub_u32_e32 v7, 29, v7
	v_and_b32_e32 v12, 7, v12
	v_cmp_eq_u16_e32 vcc, 0, v6
	v_cndmask_b32_e32 v3, v3, v12, vcc
	v_cndmask_b32_e32 v6, v6, v7, vcc
	v_lshlrev_b32_e32 v7, 24, v4
	v_mov_b32_e32 v12, 0x3b800000
	v_lshlrev_b32_e32 v3, 20, v3
	v_and_b32_e32 v7, 0x80000000, v7
	v_lshl_add_u32 v6, v6, 23, v12
	v_or3_b32 v3, v7, v6, v3
.LBB8_1864:
	s_or_b64 exec, exec, s[6:7]
	s_nop 0
	v_mfma_f32_16x16x4f32 a[0:3], v2, v3, a[0:3]
	v_lshrrev_b32_e32 v3, 8, v8
	s_movk_i32 s4, 0x7f
	v_cmp_gt_i16_sdwa s[6:7], v3, s4 src0_sel:BYTE_0 src1_sel:DWORD
	s_mov_b64 s[4:5], 0
                                        ; implicit-def: $sgpr10
	s_and_saveexec_b64 s[8:9], s[6:7]
	s_xor_b64 s[6:7], exec, s[8:9]
	s_cbranch_execnz .LBB8_3913
; %bb.1865:
	s_or_saveexec_b64 s[6:7], s[6:7]
	v_mov_b32_e32 v2, s10
	s_xor_b64 exec, exec, s[6:7]
	s_cbranch_execnz .LBB8_3916
.LBB8_1866:
	s_or_b64 exec, exec, s[6:7]
	s_and_saveexec_b64 s[6:7], s[4:5]
	s_cbranch_execz .LBB8_1868
.LBB8_1867:
	v_bfe_u32 v2, v8, 8, 3
	v_ffbh_u32_e32 v7, v2
	v_min_u32_e32 v7, 32, v7
	v_lshrrev_b16_e32 v6, 3, v3
	v_subrev_u32_e32 v12, 28, v7
	v_and_b32_e32 v6, 15, v6
	v_lshlrev_b32_e32 v3, v12, v3
	v_sub_u32_e32 v7, 29, v7
	v_and_b32_e32 v3, 7, v3
	v_cmp_eq_u16_e32 vcc, 0, v6
	v_cndmask_b32_e32 v2, v2, v3, vcc
	v_cndmask_b32_e32 v3, v6, v7, vcc
	v_lshlrev_b32_e32 v6, 16, v8
	v_mov_b32_e32 v7, 0x3b800000
	v_lshlrev_b32_e32 v2, 20, v2
	v_and_b32_e32 v6, 0x80000000, v6
	v_lshl_add_u32 v3, v3, 23, v7
	v_or3_b32 v2, v6, v3, v2
.LBB8_1868:
	s_or_b64 exec, exec, s[6:7]
	v_lshrrev_b32_e32 v3, 8, v4
	s_movk_i32 s4, 0x7f
	v_cmp_gt_i16_sdwa s[6:7], v3, s4 src0_sel:BYTE_0 src1_sel:DWORD
	s_mov_b64 s[4:5], 0
                                        ; implicit-def: $sgpr10
	s_and_saveexec_b64 s[8:9], s[6:7]
	s_xor_b64 s[6:7], exec, s[8:9]
	s_cbranch_execnz .LBB8_3917
; %bb.1869:
	s_or_saveexec_b64 s[6:7], s[6:7]
	v_mov_b32_e32 v6, s10
	s_xor_b64 exec, exec, s[6:7]
	s_cbranch_execnz .LBB8_3920
.LBB8_1870:
	s_or_b64 exec, exec, s[6:7]
	s_and_saveexec_b64 s[6:7], s[4:5]
	s_cbranch_execz .LBB8_1872
.LBB8_1871:
	v_bfe_u32 v6, v4, 8, 3
	v_ffbh_u32_e32 v12, v6
	v_min_u32_e32 v12, 32, v12
	v_lshrrev_b16_e32 v7, 3, v3
	v_subrev_u32_e32 v13, 28, v12
	v_and_b32_e32 v7, 15, v7
	v_lshlrev_b32_e32 v3, v13, v3
	v_sub_u32_e32 v12, 29, v12
	v_and_b32_e32 v3, 7, v3
	v_cmp_eq_u16_e32 vcc, 0, v7
	v_cndmask_b32_e32 v3, v6, v3, vcc
	v_cndmask_b32_e32 v6, v7, v12, vcc
	v_lshlrev_b32_e32 v7, 16, v4
	v_mov_b32_e32 v12, 0x3b800000
	v_lshlrev_b32_e32 v3, 20, v3
	v_and_b32_e32 v7, 0x80000000, v7
	v_lshl_add_u32 v6, v6, 23, v12
	v_or3_b32 v6, v7, v6, v3
.LBB8_1872:
	s_or_b64 exec, exec, s[6:7]
	s_nop 0
	v_mfma_f32_16x16x4f32 a[0:3], v2, v6, a[0:3]
	s_movk_i32 s4, 0xff
	v_and_b32_sdwa v3, v8, s4 dst_sel:DWORD dst_unused:UNUSED_PAD src0_sel:WORD_1 src1_sel:DWORD
	s_movk_i32 s4, 0x7f
	v_cmp_lt_i16_e32 vcc, s4, v3
	s_mov_b64 s[4:5], 0
                                        ; implicit-def: $sgpr10
	s_and_saveexec_b64 s[6:7], vcc
	s_xor_b64 s[6:7], exec, s[6:7]
	s_cbranch_execnz .LBB8_3921
; %bb.1873:
	s_or_saveexec_b64 s[6:7], s[6:7]
	v_mov_b32_e32 v2, s10
	s_xor_b64 exec, exec, s[6:7]
	s_cbranch_execnz .LBB8_3924
.LBB8_1874:
	s_or_b64 exec, exec, s[6:7]
	s_and_saveexec_b64 s[6:7], s[4:5]
	s_cbranch_execz .LBB8_1876
.LBB8_1875:
	v_bfe_u32 v2, v8, 16, 3
	v_ffbh_u32_e32 v7, v2
	v_min_u32_e32 v7, 32, v7
	v_lshrrev_b32_e32 v3, 19, v8
	v_subrev_u32_e32 v12, 28, v7
	v_and_b32_e32 v3, 15, v3
	v_lshlrev_b32_sdwa v12, v12, v8 dst_sel:DWORD dst_unused:UNUSED_PAD src0_sel:DWORD src1_sel:WORD_1
	v_bfe_u32 v6, v8, 19, 4
	v_sub_u32_e32 v7, 29, v7
	v_and_b32_e32 v12, 7, v12
	v_cmp_eq_u16_e32 vcc, 0, v3
	v_cndmask_b32_e32 v2, v2, v12, vcc
	v_cndmask_b32_e32 v3, v6, v7, vcc
	v_lshlrev_b32_e32 v6, 8, v8
	v_mov_b32_e32 v7, 0x3b800000
	v_lshlrev_b32_e32 v2, 20, v2
	v_and_b32_e32 v6, 0x80000000, v6
	v_lshl_add_u32 v3, v3, 23, v7
	v_or3_b32 v2, v6, v3, v2
.LBB8_1876:
	s_or_b64 exec, exec, s[6:7]
	s_movk_i32 s4, 0xff
	v_and_b32_sdwa v3, v4, s4 dst_sel:DWORD dst_unused:UNUSED_PAD src0_sel:WORD_1 src1_sel:DWORD
	s_movk_i32 s4, 0x7f
	v_cmp_lt_i16_e32 vcc, s4, v3
	s_mov_b64 s[4:5], 0
                                        ; implicit-def: $sgpr10
	s_and_saveexec_b64 s[6:7], vcc
	s_xor_b64 s[6:7], exec, s[6:7]
	s_cbranch_execnz .LBB8_3925
; %bb.1877:
	s_or_saveexec_b64 s[6:7], s[6:7]
	v_mov_b32_e32 v6, s10
	s_xor_b64 exec, exec, s[6:7]
	s_cbranch_execnz .LBB8_3928
.LBB8_1878:
	s_or_b64 exec, exec, s[6:7]
	s_and_saveexec_b64 s[6:7], s[4:5]
	s_cbranch_execz .LBB8_1880
.LBB8_1879:
	v_bfe_u32 v3, v4, 16, 3
	v_ffbh_u32_e32 v12, v3
	v_min_u32_e32 v12, 32, v12
	v_lshrrev_b32_e32 v6, 19, v4
	v_subrev_u32_e32 v13, 28, v12
	v_and_b32_e32 v6, 15, v6
	v_lshlrev_b32_sdwa v13, v13, v4 dst_sel:DWORD dst_unused:UNUSED_PAD src0_sel:DWORD src1_sel:WORD_1
	v_bfe_u32 v7, v4, 19, 4
	v_sub_u32_e32 v12, 29, v12
	v_and_b32_e32 v13, 7, v13
	v_cmp_eq_u16_e32 vcc, 0, v6
	v_cndmask_b32_e32 v3, v3, v13, vcc
	v_cndmask_b32_e32 v6, v7, v12, vcc
	v_lshlrev_b32_e32 v7, 8, v4
	v_mov_b32_e32 v12, 0x3b800000
	v_lshlrev_b32_e32 v3, 20, v3
	v_and_b32_e32 v7, 0x80000000, v7
	v_lshl_add_u32 v6, v6, 23, v12
	v_or3_b32 v6, v7, v6, v3
.LBB8_1880:
	s_or_b64 exec, exec, s[6:7]
	s_nop 0
	v_mfma_f32_16x16x4f32 a[0:3], v2, v6, a[0:3]
	s_movk_i32 s4, 0x7f
	v_cmp_gt_i16_sdwa s[6:7], v8, s4 src0_sel:BYTE_3 src1_sel:DWORD
	s_mov_b64 s[4:5], 0
                                        ; implicit-def: $sgpr10
	s_and_saveexec_b64 s[8:9], s[6:7]
	s_xor_b64 s[6:7], exec, s[8:9]
	s_cbranch_execnz .LBB8_3929
; %bb.1881:
	s_or_saveexec_b64 s[6:7], s[6:7]
	v_mov_b32_e32 v2, s10
	s_xor_b64 exec, exec, s[6:7]
	s_cbranch_execnz .LBB8_3932
.LBB8_1882:
	s_or_b64 exec, exec, s[6:7]
	s_and_saveexec_b64 s[6:7], s[4:5]
	s_cbranch_execz .LBB8_1884
.LBB8_1883:
	v_bfe_u32 v2, v8, 24, 3
	v_ffbh_u32_e32 v12, v2
	v_min_u32_e32 v12, 32, v12
	v_lshrrev_b32_e32 v6, 27, v8
	v_subrev_u32_e32 v13, 28, v12
	v_and_b32_e32 v3, 0x80000000, v8
	v_and_b32_e32 v6, 15, v6
	v_bfe_u32 v7, v8, 27, 4
	v_lshlrev_b32_sdwa v8, v13, v8 dst_sel:DWORD dst_unused:UNUSED_PAD src0_sel:DWORD src1_sel:BYTE_3
	v_sub_u32_e32 v12, 29, v12
	v_and_b32_e32 v8, 7, v8
	v_cmp_eq_u16_e32 vcc, 0, v6
	v_cndmask_b32_e32 v2, v2, v8, vcc
	v_cndmask_b32_e32 v6, v7, v12, vcc
	v_mov_b32_e32 v7, 0x3b800000
	v_lshlrev_b32_e32 v2, 20, v2
	v_lshl_add_u32 v6, v6, 23, v7
	v_or3_b32 v2, v3, v6, v2
.LBB8_1884:
	s_or_b64 exec, exec, s[6:7]
	s_movk_i32 s4, 0x7f
	v_cmp_gt_i16_sdwa s[6:7], v4, s4 src0_sel:BYTE_3 src1_sel:DWORD
	s_mov_b64 s[4:5], 0
                                        ; implicit-def: $sgpr10
	s_and_saveexec_b64 s[8:9], s[6:7]
	s_xor_b64 s[6:7], exec, s[8:9]
	s_cbranch_execnz .LBB8_3933
; %bb.1885:
	s_or_saveexec_b64 s[6:7], s[6:7]
	v_mov_b32_e32 v3, s10
	s_xor_b64 exec, exec, s[6:7]
	s_cbranch_execnz .LBB8_3936
.LBB8_1886:
	s_or_b64 exec, exec, s[6:7]
	s_and_saveexec_b64 s[6:7], s[4:5]
	s_cbranch_execz .LBB8_1888
.LBB8_1887:
	v_bfe_u32 v3, v4, 24, 3
	v_ffbh_u32_e32 v12, v3
	v_min_u32_e32 v12, 32, v12
	v_lshrrev_b32_e32 v7, 27, v4
	v_subrev_u32_e32 v13, 28, v12
	v_and_b32_e32 v6, 0x80000000, v4
	v_and_b32_e32 v7, 15, v7
	v_bfe_u32 v8, v4, 27, 4
	v_lshlrev_b32_sdwa v4, v13, v4 dst_sel:DWORD dst_unused:UNUSED_PAD src0_sel:DWORD src1_sel:BYTE_3
	v_sub_u32_e32 v12, 29, v12
	v_and_b32_e32 v4, 7, v4
	v_cmp_eq_u16_e32 vcc, 0, v7
	v_cndmask_b32_e32 v3, v3, v4, vcc
	v_cndmask_b32_e32 v4, v8, v12, vcc
	v_mov_b32_e32 v7, 0x3b800000
	v_lshlrev_b32_e32 v3, 20, v3
	v_lshl_add_u32 v4, v4, 23, v7
	v_or3_b32 v3, v6, v4, v3
.LBB8_1888:
	s_or_b64 exec, exec, s[6:7]
	s_nop 0
	v_mfma_f32_16x16x4f32 a[0:3], v2, v3, a[0:3]
	s_movk_i32 s4, 0x7f
	v_cmp_gt_i16_sdwa s[6:7], v9, s4 src0_sel:BYTE_0 src1_sel:DWORD
	s_mov_b64 s[4:5], 0
                                        ; implicit-def: $sgpr10
	s_and_saveexec_b64 s[8:9], s[6:7]
	s_xor_b64 s[6:7], exec, s[8:9]
	s_cbranch_execnz .LBB8_3937
; %bb.1889:
	s_or_saveexec_b64 s[6:7], s[6:7]
	v_mov_b32_e32 v2, s10
	s_xor_b64 exec, exec, s[6:7]
	s_cbranch_execnz .LBB8_3940
.LBB8_1890:
	s_or_b64 exec, exec, s[6:7]
	s_and_saveexec_b64 s[6:7], s[4:5]
	s_cbranch_execz .LBB8_1892
.LBB8_1891:
	v_mov_b32_e32 v2, 8
	v_and_b32_e32 v3, 7, v9
	v_lshrrev_b32_sdwa v2, v2, v9 dst_sel:BYTE_1 dst_unused:UNUSED_PAD src0_sel:DWORD src1_sel:DWORD
	v_ffbh_u32_e32 v4, v3
	v_or_b32_sdwa v2, v9, v2 dst_sel:DWORD dst_unused:UNUSED_PAD src0_sel:BYTE_0 src1_sel:DWORD
	v_min_u32_e32 v4, 32, v4
	v_lshrrev_b16_e32 v2, 3, v2
	v_subrev_u32_e32 v6, 28, v4
	v_and_b32_e32 v2, 15, v2
	v_lshlrev_b32_e32 v6, v6, v9
	v_sub_u32_e32 v4, 29, v4
	v_and_b32_e32 v6, 7, v6
	v_cmp_eq_u16_e32 vcc, 0, v2
	v_cndmask_b32_e32 v3, v3, v6, vcc
	v_cndmask_b32_e32 v2, v2, v4, vcc
	v_lshlrev_b32_e32 v4, 24, v9
	v_mov_b32_e32 v6, 0x3b800000
	v_lshlrev_b32_e32 v3, 20, v3
	v_and_b32_e32 v4, 0x80000000, v4
	v_lshl_add_u32 v2, v2, 23, v6
	v_or3_b32 v2, v4, v2, v3
.LBB8_1892:
	s_or_b64 exec, exec, s[6:7]
	s_movk_i32 s4, 0x7f
	v_cmp_gt_i16_sdwa s[6:7], v5, s4 src0_sel:BYTE_0 src1_sel:DWORD
	s_mov_b64 s[4:5], 0
                                        ; implicit-def: $sgpr10
	s_and_saveexec_b64 s[8:9], s[6:7]
	s_xor_b64 s[6:7], exec, s[8:9]
	s_cbranch_execnz .LBB8_3941
; %bb.1893:
	s_or_saveexec_b64 s[6:7], s[6:7]
	v_mov_b32_e32 v3, s10
	s_xor_b64 exec, exec, s[6:7]
	s_cbranch_execnz .LBB8_3944
.LBB8_1894:
	s_or_b64 exec, exec, s[6:7]
	s_and_saveexec_b64 s[6:7], s[4:5]
	s_cbranch_execz .LBB8_1896
.LBB8_1895:
	v_mov_b32_e32 v3, 8
	v_and_b32_e32 v4, 7, v5
	v_lshrrev_b32_sdwa v3, v3, v5 dst_sel:BYTE_1 dst_unused:UNUSED_PAD src0_sel:DWORD src1_sel:DWORD
	v_ffbh_u32_e32 v6, v4
	v_or_b32_sdwa v3, v5, v3 dst_sel:DWORD dst_unused:UNUSED_PAD src0_sel:BYTE_0 src1_sel:DWORD
	v_min_u32_e32 v6, 32, v6
	v_lshrrev_b16_e32 v3, 3, v3
	v_subrev_u32_e32 v7, 28, v6
	v_and_b32_e32 v3, 15, v3
	v_lshlrev_b32_e32 v7, v7, v5
	v_sub_u32_e32 v6, 29, v6
	v_and_b32_e32 v7, 7, v7
	v_cmp_eq_u16_e32 vcc, 0, v3
	v_cndmask_b32_e32 v4, v4, v7, vcc
	v_cndmask_b32_e32 v3, v3, v6, vcc
	v_lshlrev_b32_e32 v6, 24, v5
	v_mov_b32_e32 v7, 0x3b800000
	v_lshlrev_b32_e32 v4, 20, v4
	v_and_b32_e32 v6, 0x80000000, v6
	v_lshl_add_u32 v3, v3, 23, v7
	v_or3_b32 v3, v6, v3, v4
.LBB8_1896:
	s_or_b64 exec, exec, s[6:7]
	s_nop 0
	v_mfma_f32_16x16x4f32 a[0:3], v2, v3, a[0:3]
	v_lshrrev_b32_e32 v3, 8, v9
	s_movk_i32 s4, 0x7f
	v_cmp_gt_i16_sdwa s[6:7], v3, s4 src0_sel:BYTE_0 src1_sel:DWORD
	s_mov_b64 s[4:5], 0
                                        ; implicit-def: $sgpr10
	s_and_saveexec_b64 s[8:9], s[6:7]
	s_xor_b64 s[6:7], exec, s[8:9]
	s_cbranch_execnz .LBB8_3945
; %bb.1897:
	s_or_saveexec_b64 s[6:7], s[6:7]
	v_mov_b32_e32 v2, s10
	s_xor_b64 exec, exec, s[6:7]
	s_cbranch_execnz .LBB8_3948
.LBB8_1898:
	s_or_b64 exec, exec, s[6:7]
	s_and_saveexec_b64 s[6:7], s[4:5]
	s_cbranch_execz .LBB8_1900
.LBB8_1899:
	v_bfe_u32 v2, v9, 8, 3
	v_ffbh_u32_e32 v6, v2
	v_min_u32_e32 v6, 32, v6
	v_lshrrev_b16_e32 v4, 3, v3
	v_subrev_u32_e32 v7, 28, v6
	v_and_b32_e32 v4, 15, v4
	v_lshlrev_b32_e32 v3, v7, v3
	v_sub_u32_e32 v6, 29, v6
	v_and_b32_e32 v3, 7, v3
	v_cmp_eq_u16_e32 vcc, 0, v4
	v_cndmask_b32_e32 v2, v2, v3, vcc
	v_cndmask_b32_e32 v3, v4, v6, vcc
	v_lshlrev_b32_e32 v4, 16, v9
	v_mov_b32_e32 v6, 0x3b800000
	v_lshlrev_b32_e32 v2, 20, v2
	v_and_b32_e32 v4, 0x80000000, v4
	v_lshl_add_u32 v3, v3, 23, v6
	v_or3_b32 v2, v4, v3, v2
.LBB8_1900:
	s_or_b64 exec, exec, s[6:7]
	v_lshrrev_b32_e32 v3, 8, v5
	s_movk_i32 s4, 0x7f
	v_cmp_gt_i16_sdwa s[6:7], v3, s4 src0_sel:BYTE_0 src1_sel:DWORD
	s_mov_b64 s[4:5], 0
                                        ; implicit-def: $sgpr10
	s_and_saveexec_b64 s[8:9], s[6:7]
	s_xor_b64 s[6:7], exec, s[8:9]
	s_cbranch_execnz .LBB8_3949
; %bb.1901:
	s_or_saveexec_b64 s[6:7], s[6:7]
	v_mov_b32_e32 v4, s10
	s_xor_b64 exec, exec, s[6:7]
	s_cbranch_execnz .LBB8_3952
.LBB8_1902:
	s_or_b64 exec, exec, s[6:7]
	s_and_saveexec_b64 s[6:7], s[4:5]
	s_cbranch_execz .LBB8_1904
.LBB8_1903:
	v_bfe_u32 v4, v5, 8, 3
	v_ffbh_u32_e32 v7, v4
	v_min_u32_e32 v7, 32, v7
	v_lshrrev_b16_e32 v6, 3, v3
	v_subrev_u32_e32 v8, 28, v7
	v_and_b32_e32 v6, 15, v6
	v_lshlrev_b32_e32 v3, v8, v3
	v_sub_u32_e32 v7, 29, v7
	v_and_b32_e32 v3, 7, v3
	v_cmp_eq_u16_e32 vcc, 0, v6
	v_cndmask_b32_e32 v3, v4, v3, vcc
	v_cndmask_b32_e32 v4, v6, v7, vcc
	v_lshlrev_b32_e32 v6, 16, v5
	v_mov_b32_e32 v7, 0x3b800000
	v_lshlrev_b32_e32 v3, 20, v3
	v_and_b32_e32 v6, 0x80000000, v6
	v_lshl_add_u32 v4, v4, 23, v7
	v_or3_b32 v4, v6, v4, v3
.LBB8_1904:
	s_or_b64 exec, exec, s[6:7]
	s_nop 0
	v_mfma_f32_16x16x4f32 a[0:3], v2, v4, a[0:3]
	s_movk_i32 s4, 0xff
	v_and_b32_sdwa v3, v9, s4 dst_sel:DWORD dst_unused:UNUSED_PAD src0_sel:WORD_1 src1_sel:DWORD
	s_movk_i32 s4, 0x7f
	v_cmp_lt_i16_e32 vcc, s4, v3
	s_mov_b64 s[4:5], 0
                                        ; implicit-def: $sgpr10
	s_and_saveexec_b64 s[6:7], vcc
	s_xor_b64 s[6:7], exec, s[6:7]
	s_cbranch_execnz .LBB8_3953
; %bb.1905:
	s_or_saveexec_b64 s[6:7], s[6:7]
	v_mov_b32_e32 v2, s10
	s_xor_b64 exec, exec, s[6:7]
	s_cbranch_execnz .LBB8_3956
.LBB8_1906:
	s_or_b64 exec, exec, s[6:7]
	s_and_saveexec_b64 s[6:7], s[4:5]
	s_cbranch_execz .LBB8_1908
.LBB8_1907:
	v_bfe_u32 v2, v9, 16, 3
	v_ffbh_u32_e32 v6, v2
	v_min_u32_e32 v6, 32, v6
	v_lshrrev_b32_e32 v3, 19, v9
	v_subrev_u32_e32 v7, 28, v6
	v_and_b32_e32 v3, 15, v3
	v_lshlrev_b32_sdwa v7, v7, v9 dst_sel:DWORD dst_unused:UNUSED_PAD src0_sel:DWORD src1_sel:WORD_1
	v_bfe_u32 v4, v9, 19, 4
	v_sub_u32_e32 v6, 29, v6
	v_and_b32_e32 v7, 7, v7
	v_cmp_eq_u16_e32 vcc, 0, v3
	v_cndmask_b32_e32 v2, v2, v7, vcc
	v_cndmask_b32_e32 v3, v4, v6, vcc
	v_lshlrev_b32_e32 v4, 8, v9
	v_mov_b32_e32 v6, 0x3b800000
	v_lshlrev_b32_e32 v2, 20, v2
	v_and_b32_e32 v4, 0x80000000, v4
	v_lshl_add_u32 v3, v3, 23, v6
	v_or3_b32 v2, v4, v3, v2
.LBB8_1908:
	s_or_b64 exec, exec, s[6:7]
	s_movk_i32 s4, 0xff
	v_and_b32_sdwa v3, v5, s4 dst_sel:DWORD dst_unused:UNUSED_PAD src0_sel:WORD_1 src1_sel:DWORD
	s_movk_i32 s4, 0x7f
	v_cmp_lt_i16_e32 vcc, s4, v3
	s_mov_b64 s[4:5], 0
                                        ; implicit-def: $sgpr10
	s_and_saveexec_b64 s[6:7], vcc
	s_xor_b64 s[6:7], exec, s[6:7]
	s_cbranch_execnz .LBB8_3957
; %bb.1909:
	s_or_saveexec_b64 s[6:7], s[6:7]
	v_mov_b32_e32 v4, s10
	s_xor_b64 exec, exec, s[6:7]
	s_cbranch_execnz .LBB8_3960
.LBB8_1910:
	s_or_b64 exec, exec, s[6:7]
	s_and_saveexec_b64 s[6:7], s[4:5]
	s_cbranch_execz .LBB8_1912
.LBB8_1911:
	v_bfe_u32 v3, v5, 16, 3
	v_ffbh_u32_e32 v7, v3
	v_min_u32_e32 v7, 32, v7
	v_lshrrev_b32_e32 v4, 19, v5
	v_subrev_u32_e32 v8, 28, v7
	v_and_b32_e32 v4, 15, v4
	v_lshlrev_b32_sdwa v8, v8, v5 dst_sel:DWORD dst_unused:UNUSED_PAD src0_sel:DWORD src1_sel:WORD_1
	v_bfe_u32 v6, v5, 19, 4
	v_sub_u32_e32 v7, 29, v7
	v_and_b32_e32 v8, 7, v8
	v_cmp_eq_u16_e32 vcc, 0, v4
	v_cndmask_b32_e32 v3, v3, v8, vcc
	v_cndmask_b32_e32 v4, v6, v7, vcc
	v_lshlrev_b32_e32 v6, 8, v5
	v_mov_b32_e32 v7, 0x3b800000
	v_lshlrev_b32_e32 v3, 20, v3
	v_and_b32_e32 v6, 0x80000000, v6
	v_lshl_add_u32 v4, v4, 23, v7
	v_or3_b32 v4, v6, v4, v3
.LBB8_1912:
	s_or_b64 exec, exec, s[6:7]
	s_nop 0
	v_mfma_f32_16x16x4f32 a[0:3], v2, v4, a[0:3]
	s_movk_i32 s4, 0x7f
	v_cmp_gt_i16_sdwa s[6:7], v9, s4 src0_sel:BYTE_3 src1_sel:DWORD
	s_mov_b64 s[4:5], 0
                                        ; implicit-def: $sgpr10
	s_and_saveexec_b64 s[8:9], s[6:7]
	s_xor_b64 s[6:7], exec, s[8:9]
	s_cbranch_execnz .LBB8_3961
; %bb.1913:
	s_or_saveexec_b64 s[6:7], s[6:7]
	v_mov_b32_e32 v2, s10
	s_xor_b64 exec, exec, s[6:7]
	s_cbranch_execnz .LBB8_3964
.LBB8_1914:
	s_or_b64 exec, exec, s[6:7]
	s_and_saveexec_b64 s[6:7], s[4:5]
	s_cbranch_execz .LBB8_1916
.LBB8_1915:
	v_bfe_u32 v2, v9, 24, 3
	v_ffbh_u32_e32 v7, v2
	v_min_u32_e32 v7, 32, v7
	v_lshrrev_b32_e32 v4, 27, v9
	v_subrev_u32_e32 v8, 28, v7
	v_and_b32_e32 v4, 15, v4
	v_lshlrev_b32_sdwa v8, v8, v9 dst_sel:DWORD dst_unused:UNUSED_PAD src0_sel:DWORD src1_sel:BYTE_3
	v_bfe_u32 v6, v9, 27, 4
	v_sub_u32_e32 v7, 29, v7
	v_and_b32_e32 v8, 7, v8
	v_cmp_eq_u16_e32 vcc, 0, v4
	v_cndmask_b32_e32 v2, v2, v8, vcc
	v_cndmask_b32_e32 v4, v6, v7, vcc
	v_mov_b32_e32 v6, 0x3b800000
	v_and_b32_e32 v3, 0x80000000, v9
	v_lshlrev_b32_e32 v2, 20, v2
	v_lshl_add_u32 v4, v4, 23, v6
	v_or3_b32 v2, v3, v4, v2
.LBB8_1916:
	s_or_b64 exec, exec, s[6:7]
	s_movk_i32 s4, 0x7f
	v_cmp_gt_i16_sdwa s[6:7], v5, s4 src0_sel:BYTE_3 src1_sel:DWORD
	s_mov_b64 s[4:5], 0
                                        ; implicit-def: $sgpr10
	s_and_saveexec_b64 s[8:9], s[6:7]
	s_xor_b64 s[6:7], exec, s[8:9]
	s_cbranch_execnz .LBB8_3965
; %bb.1917:
	s_or_saveexec_b64 s[6:7], s[6:7]
	v_mov_b32_e32 v3, s10
	s_xor_b64 exec, exec, s[6:7]
	s_cbranch_execnz .LBB8_3968
.LBB8_1918:
	s_or_b64 exec, exec, s[6:7]
	s_and_saveexec_b64 s[6:7], s[4:5]
	s_cbranch_execz .LBB8_1920
.LBB8_1919:
	v_bfe_u32 v3, v5, 24, 3
	v_ffbh_u32_e32 v8, v3
	v_min_u32_e32 v8, 32, v8
	v_lshrrev_b32_e32 v6, 27, v5
	v_subrev_u32_e32 v9, 28, v8
	v_and_b32_e32 v4, 0x80000000, v5
	v_and_b32_e32 v6, 15, v6
	v_bfe_u32 v7, v5, 27, 4
	v_lshlrev_b32_sdwa v5, v9, v5 dst_sel:DWORD dst_unused:UNUSED_PAD src0_sel:DWORD src1_sel:BYTE_3
	v_sub_u32_e32 v8, 29, v8
	v_and_b32_e32 v5, 7, v5
	v_cmp_eq_u16_e32 vcc, 0, v6
	v_cndmask_b32_e32 v3, v3, v5, vcc
	v_cndmask_b32_e32 v5, v7, v8, vcc
	v_mov_b32_e32 v6, 0x3b800000
	v_lshlrev_b32_e32 v3, 20, v3
	v_lshl_add_u32 v5, v5, 23, v6
	v_or3_b32 v3, v4, v5, v3
.LBB8_1920:
	s_or_b64 exec, exec, s[6:7]
	s_nop 0
	v_mfma_f32_16x16x4f32 a[0:3], v2, v3, a[0:3]
	s_movk_i32 s4, 0x7f
                                        ; implicit-def: $sgpr10
	s_nop 7
	s_nop 1
	flat_store_dwordx4 v[10:11], a[0:3] offset:224
	flat_load_dwordx4 v[10:13], v[0:1] offset:8
	s_nop 0
	flat_load_dwordx2 v[8:9], v[0:1] offset:32
	s_waitcnt vmcnt(0) lgkmcnt(0)
	flat_load_dwordx4 v[4:7], v[10:11] offset:96
	flat_load_dwordx4 v[0:3], v[12:13] offset:96
	s_waitcnt vmcnt(0) lgkmcnt(0)
	v_cmp_gt_i16_sdwa s[6:7], v4, s4 src0_sel:BYTE_0 src1_sel:DWORD
	s_mov_b64 s[4:5], 0
	s_and_saveexec_b64 s[8:9], s[6:7]
	s_xor_b64 s[6:7], exec, s[8:9]
	s_cbranch_execnz .LBB8_3969
; %bb.1921:
	s_or_saveexec_b64 s[6:7], s[6:7]
	v_mov_b32_e32 v10, s10
	s_xor_b64 exec, exec, s[6:7]
	s_cbranch_execnz .LBB8_3972
.LBB8_1922:
	s_or_b64 exec, exec, s[6:7]
	s_and_saveexec_b64 s[6:7], s[4:5]
	s_cbranch_execz .LBB8_1924
.LBB8_1923:
	v_and_b32_e32 v10, 7, v4
	v_ffbh_u32_e32 v12, v10
	v_min_u32_e32 v12, 32, v12
	v_lshrrev_b16_e32 v11, 3, v4
	v_subrev_u32_e32 v13, 28, v12
	v_and_b32_e32 v11, 15, v11
	v_lshlrev_b32_e32 v13, v13, v4
	v_sub_u32_e32 v12, 29, v12
	v_and_b32_e32 v13, 7, v13
	v_cmp_eq_u16_e32 vcc, 0, v11
	v_cndmask_b32_e32 v10, v10, v13, vcc
	v_cndmask_b32_e32 v11, v11, v12, vcc
	v_lshlrev_b32_e32 v12, 24, v4
	v_mov_b32_e32 v13, 0x3b800000
	v_lshlrev_b32_e32 v10, 20, v10
	v_and_b32_e32 v12, 0x80000000, v12
	v_lshl_add_u32 v11, v11, 23, v13
	v_or3_b32 v10, v12, v11, v10
.LBB8_1924:
	s_or_b64 exec, exec, s[6:7]
	s_movk_i32 s4, 0x7f
	v_cmp_gt_i16_sdwa s[6:7], v0, s4 src0_sel:BYTE_0 src1_sel:DWORD
	s_mov_b64 s[4:5], 0
                                        ; implicit-def: $sgpr10
	s_and_saveexec_b64 s[8:9], s[6:7]
	s_xor_b64 s[6:7], exec, s[8:9]
	s_cbranch_execnz .LBB8_3973
; %bb.1925:
	s_or_saveexec_b64 s[6:7], s[6:7]
	v_mov_b32_e32 v11, s10
	s_xor_b64 exec, exec, s[6:7]
	s_cbranch_execnz .LBB8_3976
.LBB8_1926:
	s_or_b64 exec, exec, s[6:7]
	s_and_saveexec_b64 s[6:7], s[4:5]
	s_cbranch_execz .LBB8_1928
.LBB8_1927:
	v_and_b32_e32 v11, 7, v0
	v_ffbh_u32_e32 v13, v11
	v_min_u32_e32 v13, 32, v13
	v_lshrrev_b16_e32 v12, 3, v0
	v_subrev_u32_e32 v14, 28, v13
	v_and_b32_e32 v12, 15, v12
	v_lshlrev_b32_e32 v14, v14, v0
	v_sub_u32_e32 v13, 29, v13
	v_and_b32_e32 v14, 7, v14
	v_cmp_eq_u16_e32 vcc, 0, v12
	v_cndmask_b32_e32 v11, v11, v14, vcc
	v_cndmask_b32_e32 v12, v12, v13, vcc
	v_lshlrev_b32_e32 v13, 24, v0
	v_mov_b32_e32 v14, 0x3b800000
	v_lshlrev_b32_e32 v11, 20, v11
	v_and_b32_e32 v13, 0x80000000, v13
	v_lshl_add_u32 v12, v12, 23, v14
	v_or3_b32 v11, v13, v12, v11
.LBB8_1928:
	s_or_b64 exec, exec, s[6:7]
	flat_load_dwordx4 a[0:3], v[8:9] offset:240
	s_movk_i32 s4, 0x7f
                                        ; implicit-def: $sgpr10
	s_waitcnt vmcnt(0) lgkmcnt(0)
	v_mfma_f32_16x16x4f32 a[0:3], v10, v11, a[0:3]
	v_lshrrev_b32_e32 v11, 8, v4
	v_cmp_gt_i16_sdwa s[6:7], v11, s4 src0_sel:BYTE_0 src1_sel:DWORD
	s_mov_b64 s[4:5], 0
	s_and_saveexec_b64 s[8:9], s[6:7]
	s_xor_b64 s[6:7], exec, s[8:9]
	s_cbranch_execnz .LBB8_3977
; %bb.1929:
	s_or_saveexec_b64 s[6:7], s[6:7]
	v_mov_b32_e32 v10, s10
	s_xor_b64 exec, exec, s[6:7]
	s_cbranch_execnz .LBB8_3980
.LBB8_1930:
	s_or_b64 exec, exec, s[6:7]
	s_and_saveexec_b64 s[6:7], s[4:5]
	s_cbranch_execz .LBB8_1932
.LBB8_1931:
	v_bfe_u32 v10, v4, 8, 3
	v_ffbh_u32_e32 v13, v10
	v_min_u32_e32 v13, 32, v13
	v_lshrrev_b16_e32 v12, 3, v11
	v_subrev_u32_e32 v14, 28, v13
	v_and_b32_e32 v12, 15, v12
	v_lshlrev_b32_e32 v11, v14, v11
	v_sub_u32_e32 v13, 29, v13
	v_and_b32_e32 v11, 7, v11
	v_cmp_eq_u16_e32 vcc, 0, v12
	v_cndmask_b32_e32 v10, v10, v11, vcc
	v_cndmask_b32_e32 v11, v12, v13, vcc
	v_lshlrev_b32_e32 v12, 16, v4
	v_mov_b32_e32 v13, 0x3b800000
	v_lshlrev_b32_e32 v10, 20, v10
	v_and_b32_e32 v12, 0x80000000, v12
	v_lshl_add_u32 v11, v11, 23, v13
	v_or3_b32 v10, v12, v11, v10
.LBB8_1932:
	s_or_b64 exec, exec, s[6:7]
	v_lshrrev_b32_e32 v11, 8, v0
	s_movk_i32 s4, 0x7f
	v_cmp_gt_i16_sdwa s[6:7], v11, s4 src0_sel:BYTE_0 src1_sel:DWORD
	s_mov_b64 s[4:5], 0
                                        ; implicit-def: $sgpr10
	s_and_saveexec_b64 s[8:9], s[6:7]
	s_xor_b64 s[6:7], exec, s[8:9]
	s_cbranch_execnz .LBB8_3981
; %bb.1933:
	s_or_saveexec_b64 s[6:7], s[6:7]
	v_mov_b32_e32 v12, s10
	s_xor_b64 exec, exec, s[6:7]
	s_cbranch_execnz .LBB8_3984
.LBB8_1934:
	s_or_b64 exec, exec, s[6:7]
	s_and_saveexec_b64 s[6:7], s[4:5]
	s_cbranch_execz .LBB8_1936
.LBB8_1935:
	v_bfe_u32 v12, v0, 8, 3
	v_ffbh_u32_e32 v14, v12
	v_min_u32_e32 v14, 32, v14
	v_lshrrev_b16_e32 v13, 3, v11
	v_subrev_u32_e32 v15, 28, v14
	v_and_b32_e32 v13, 15, v13
	v_lshlrev_b32_e32 v11, v15, v11
	v_sub_u32_e32 v14, 29, v14
	v_and_b32_e32 v11, 7, v11
	v_cmp_eq_u16_e32 vcc, 0, v13
	v_cndmask_b32_e32 v11, v12, v11, vcc
	v_cndmask_b32_e32 v12, v13, v14, vcc
	v_lshlrev_b32_e32 v13, 16, v0
	v_mov_b32_e32 v14, 0x3b800000
	v_lshlrev_b32_e32 v11, 20, v11
	v_and_b32_e32 v13, 0x80000000, v13
	v_lshl_add_u32 v12, v12, 23, v14
	v_or3_b32 v12, v13, v12, v11
.LBB8_1936:
	s_or_b64 exec, exec, s[6:7]
	s_nop 0
	v_mfma_f32_16x16x4f32 a[0:3], v10, v12, a[0:3]
	s_movk_i32 s4, 0xff
	v_and_b32_sdwa v11, v4, s4 dst_sel:DWORD dst_unused:UNUSED_PAD src0_sel:WORD_1 src1_sel:DWORD
	s_movk_i32 s4, 0x7f
	v_cmp_lt_i16_e32 vcc, s4, v11
	s_mov_b64 s[4:5], 0
                                        ; implicit-def: $sgpr10
	s_and_saveexec_b64 s[6:7], vcc
	s_xor_b64 s[6:7], exec, s[6:7]
	s_cbranch_execnz .LBB8_3985
; %bb.1937:
	s_or_saveexec_b64 s[6:7], s[6:7]
	v_mov_b32_e32 v10, s10
	s_xor_b64 exec, exec, s[6:7]
	s_cbranch_execnz .LBB8_3988
.LBB8_1938:
	s_or_b64 exec, exec, s[6:7]
	s_and_saveexec_b64 s[6:7], s[4:5]
	s_cbranch_execz .LBB8_1940
.LBB8_1939:
	v_bfe_u32 v10, v4, 16, 3
	v_ffbh_u32_e32 v13, v10
	v_min_u32_e32 v13, 32, v13
	v_lshrrev_b32_e32 v11, 19, v4
	v_subrev_u32_e32 v14, 28, v13
	v_and_b32_e32 v11, 15, v11
	v_lshlrev_b32_sdwa v14, v14, v4 dst_sel:DWORD dst_unused:UNUSED_PAD src0_sel:DWORD src1_sel:WORD_1
	v_bfe_u32 v12, v4, 19, 4
	v_sub_u32_e32 v13, 29, v13
	v_and_b32_e32 v14, 7, v14
	v_cmp_eq_u16_e32 vcc, 0, v11
	v_cndmask_b32_e32 v10, v10, v14, vcc
	v_cndmask_b32_e32 v11, v12, v13, vcc
	v_lshlrev_b32_e32 v12, 8, v4
	v_mov_b32_e32 v13, 0x3b800000
	v_lshlrev_b32_e32 v10, 20, v10
	v_and_b32_e32 v12, 0x80000000, v12
	v_lshl_add_u32 v11, v11, 23, v13
	v_or3_b32 v10, v12, v11, v10
.LBB8_1940:
	s_or_b64 exec, exec, s[6:7]
	s_movk_i32 s4, 0xff
	v_and_b32_sdwa v11, v0, s4 dst_sel:DWORD dst_unused:UNUSED_PAD src0_sel:WORD_1 src1_sel:DWORD
	s_movk_i32 s4, 0x7f
	v_cmp_lt_i16_e32 vcc, s4, v11
	s_mov_b64 s[4:5], 0
                                        ; implicit-def: $sgpr10
	s_and_saveexec_b64 s[6:7], vcc
	s_xor_b64 s[6:7], exec, s[6:7]
	s_cbranch_execnz .LBB8_3989
; %bb.1941:
	s_or_saveexec_b64 s[6:7], s[6:7]
	v_mov_b32_e32 v12, s10
	s_xor_b64 exec, exec, s[6:7]
	s_cbranch_execnz .LBB8_3992
.LBB8_1942:
	s_or_b64 exec, exec, s[6:7]
	s_and_saveexec_b64 s[6:7], s[4:5]
	s_cbranch_execz .LBB8_1944
.LBB8_1943:
	v_bfe_u32 v11, v0, 16, 3
	v_ffbh_u32_e32 v14, v11
	v_min_u32_e32 v14, 32, v14
	v_lshrrev_b32_e32 v12, 19, v0
	v_subrev_u32_e32 v15, 28, v14
	v_and_b32_e32 v12, 15, v12
	v_lshlrev_b32_sdwa v15, v15, v0 dst_sel:DWORD dst_unused:UNUSED_PAD src0_sel:DWORD src1_sel:WORD_1
	v_bfe_u32 v13, v0, 19, 4
	v_sub_u32_e32 v14, 29, v14
	v_and_b32_e32 v15, 7, v15
	v_cmp_eq_u16_e32 vcc, 0, v12
	v_cndmask_b32_e32 v11, v11, v15, vcc
	v_cndmask_b32_e32 v12, v13, v14, vcc
	v_lshlrev_b32_e32 v13, 8, v0
	v_mov_b32_e32 v14, 0x3b800000
	v_lshlrev_b32_e32 v11, 20, v11
	v_and_b32_e32 v13, 0x80000000, v13
	v_lshl_add_u32 v12, v12, 23, v14
	v_or3_b32 v12, v13, v12, v11
.LBB8_1944:
	s_or_b64 exec, exec, s[6:7]
	s_nop 0
	v_mfma_f32_16x16x4f32 a[0:3], v10, v12, a[0:3]
	s_movk_i32 s4, 0x7f
	v_cmp_gt_i16_sdwa s[6:7], v4, s4 src0_sel:BYTE_3 src1_sel:DWORD
	s_mov_b64 s[4:5], 0
                                        ; implicit-def: $sgpr10
	s_and_saveexec_b64 s[8:9], s[6:7]
	s_xor_b64 s[6:7], exec, s[8:9]
	s_cbranch_execnz .LBB8_3993
; %bb.1945:
	s_or_saveexec_b64 s[6:7], s[6:7]
	v_mov_b32_e32 v10, s10
	s_xor_b64 exec, exec, s[6:7]
	s_cbranch_execnz .LBB8_3996
.LBB8_1946:
	s_or_b64 exec, exec, s[6:7]
	s_and_saveexec_b64 s[6:7], s[4:5]
	s_cbranch_execz .LBB8_1948
.LBB8_1947:
	v_bfe_u32 v10, v4, 24, 3
	v_ffbh_u32_e32 v14, v10
	v_min_u32_e32 v14, 32, v14
	v_lshrrev_b32_e32 v12, 27, v4
	v_subrev_u32_e32 v15, 28, v14
	v_and_b32_e32 v11, 0x80000000, v4
	v_and_b32_e32 v12, 15, v12
	v_bfe_u32 v13, v4, 27, 4
	v_lshlrev_b32_sdwa v4, v15, v4 dst_sel:DWORD dst_unused:UNUSED_PAD src0_sel:DWORD src1_sel:BYTE_3
	v_sub_u32_e32 v14, 29, v14
	v_and_b32_e32 v4, 7, v4
	v_cmp_eq_u16_e32 vcc, 0, v12
	v_cndmask_b32_e32 v4, v10, v4, vcc
	v_cndmask_b32_e32 v10, v13, v14, vcc
	v_mov_b32_e32 v12, 0x3b800000
	v_lshlrev_b32_e32 v4, 20, v4
	v_lshl_add_u32 v10, v10, 23, v12
	v_or3_b32 v10, v11, v10, v4
.LBB8_1948:
	s_or_b64 exec, exec, s[6:7]
	s_movk_i32 s4, 0x7f
	v_cmp_gt_i16_sdwa s[6:7], v0, s4 src0_sel:BYTE_3 src1_sel:DWORD
	s_mov_b64 s[4:5], 0
                                        ; implicit-def: $sgpr10
	s_and_saveexec_b64 s[8:9], s[6:7]
	s_xor_b64 s[6:7], exec, s[8:9]
	s_cbranch_execnz .LBB8_3997
; %bb.1949:
	s_or_saveexec_b64 s[6:7], s[6:7]
	v_mov_b32_e32 v4, s10
	s_xor_b64 exec, exec, s[6:7]
	s_cbranch_execnz .LBB8_4000
.LBB8_1950:
	s_or_b64 exec, exec, s[6:7]
	s_and_saveexec_b64 s[6:7], s[4:5]
	s_cbranch_execz .LBB8_1952
.LBB8_1951:
	v_bfe_u32 v4, v0, 24, 3
	v_ffbh_u32_e32 v14, v4
	v_min_u32_e32 v14, 32, v14
	v_lshrrev_b32_e32 v12, 27, v0
	v_subrev_u32_e32 v15, 28, v14
	v_and_b32_e32 v11, 0x80000000, v0
	v_and_b32_e32 v12, 15, v12
	v_bfe_u32 v13, v0, 27, 4
	v_lshlrev_b32_sdwa v0, v15, v0 dst_sel:DWORD dst_unused:UNUSED_PAD src0_sel:DWORD src1_sel:BYTE_3
	v_sub_u32_e32 v14, 29, v14
	v_and_b32_e32 v0, 7, v0
	v_cmp_eq_u16_e32 vcc, 0, v12
	v_cndmask_b32_e32 v0, v4, v0, vcc
	v_cndmask_b32_e32 v4, v13, v14, vcc
	v_mov_b32_e32 v12, 0x3b800000
	v_lshlrev_b32_e32 v0, 20, v0
	v_lshl_add_u32 v4, v4, 23, v12
	v_or3_b32 v4, v11, v4, v0
.LBB8_1952:
	s_or_b64 exec, exec, s[6:7]
	s_nop 0
	v_mfma_f32_16x16x4f32 a[0:3], v10, v4, a[0:3]
	s_movk_i32 s4, 0x7f
	v_cmp_gt_i16_sdwa s[6:7], v5, s4 src0_sel:BYTE_0 src1_sel:DWORD
	s_mov_b64 s[4:5], 0
                                        ; implicit-def: $sgpr10
	s_and_saveexec_b64 s[8:9], s[6:7]
	s_xor_b64 s[6:7], exec, s[8:9]
	s_cbranch_execnz .LBB8_4001
; %bb.1953:
	s_or_saveexec_b64 s[6:7], s[6:7]
	v_mov_b32_e32 v0, s10
	s_xor_b64 exec, exec, s[6:7]
	s_cbranch_execnz .LBB8_4004
.LBB8_1954:
	s_or_b64 exec, exec, s[6:7]
	s_and_saveexec_b64 s[6:7], s[4:5]
	s_cbranch_execz .LBB8_1956
.LBB8_1955:
	v_and_b32_e32 v0, 7, v5
	v_ffbh_u32_e32 v10, v0
	v_min_u32_e32 v10, 32, v10
	v_lshrrev_b16_e32 v4, 3, v5
	v_subrev_u32_e32 v11, 28, v10
	v_and_b32_e32 v4, 15, v4
	v_lshlrev_b32_e32 v11, v11, v5
	v_sub_u32_e32 v10, 29, v10
	v_and_b32_e32 v11, 7, v11
	v_cmp_eq_u16_e32 vcc, 0, v4
	v_cndmask_b32_e32 v0, v0, v11, vcc
	v_cndmask_b32_e32 v4, v4, v10, vcc
	v_lshlrev_b32_e32 v10, 24, v5
	v_mov_b32_e32 v11, 0x3b800000
	v_lshlrev_b32_e32 v0, 20, v0
	v_and_b32_e32 v10, 0x80000000, v10
	v_lshl_add_u32 v4, v4, 23, v11
	v_or3_b32 v0, v10, v4, v0
.LBB8_1956:
	s_or_b64 exec, exec, s[6:7]
	s_movk_i32 s4, 0x7f
	v_cmp_gt_i16_sdwa s[6:7], v1, s4 src0_sel:BYTE_0 src1_sel:DWORD
	s_mov_b64 s[4:5], 0
                                        ; implicit-def: $sgpr10
	s_and_saveexec_b64 s[8:9], s[6:7]
	s_xor_b64 s[6:7], exec, s[8:9]
	s_cbranch_execnz .LBB8_4005
; %bb.1957:
	s_or_saveexec_b64 s[6:7], s[6:7]
	v_mov_b32_e32 v4, s10
	s_xor_b64 exec, exec, s[6:7]
	s_cbranch_execnz .LBB8_4008
.LBB8_1958:
	s_or_b64 exec, exec, s[6:7]
	s_and_saveexec_b64 s[6:7], s[4:5]
	s_cbranch_execz .LBB8_1960
.LBB8_1959:
	v_and_b32_e32 v4, 7, v1
	v_ffbh_u32_e32 v11, v4
	v_min_u32_e32 v11, 32, v11
	v_lshrrev_b16_e32 v10, 3, v1
	v_subrev_u32_e32 v12, 28, v11
	v_and_b32_e32 v10, 15, v10
	v_lshlrev_b32_e32 v12, v12, v1
	v_sub_u32_e32 v11, 29, v11
	v_and_b32_e32 v12, 7, v12
	v_cmp_eq_u16_e32 vcc, 0, v10
	v_cndmask_b32_e32 v4, v4, v12, vcc
	v_cndmask_b32_e32 v10, v10, v11, vcc
	v_lshlrev_b32_e32 v11, 24, v1
	v_mov_b32_e32 v12, 0x3b800000
	v_lshlrev_b32_e32 v4, 20, v4
	v_and_b32_e32 v11, 0x80000000, v11
	v_lshl_add_u32 v10, v10, 23, v12
	v_or3_b32 v4, v11, v10, v4
.LBB8_1960:
	s_or_b64 exec, exec, s[6:7]
	s_nop 0
	v_mfma_f32_16x16x4f32 a[0:3], v0, v4, a[0:3]
	v_lshrrev_b32_e32 v4, 8, v5
	s_movk_i32 s4, 0x7f
	v_cmp_gt_i16_sdwa s[6:7], v4, s4 src0_sel:BYTE_0 src1_sel:DWORD
	s_mov_b64 s[4:5], 0
                                        ; implicit-def: $sgpr10
	s_and_saveexec_b64 s[8:9], s[6:7]
	s_xor_b64 s[6:7], exec, s[8:9]
	s_cbranch_execnz .LBB8_4009
; %bb.1961:
	s_or_saveexec_b64 s[6:7], s[6:7]
	v_mov_b32_e32 v0, s10
	s_xor_b64 exec, exec, s[6:7]
	s_cbranch_execnz .LBB8_4012
.LBB8_1962:
	s_or_b64 exec, exec, s[6:7]
	s_and_saveexec_b64 s[6:7], s[4:5]
	s_cbranch_execz .LBB8_1964
.LBB8_1963:
	v_bfe_u32 v0, v5, 8, 3
	v_ffbh_u32_e32 v11, v0
	v_min_u32_e32 v11, 32, v11
	v_lshrrev_b16_e32 v10, 3, v4
	v_subrev_u32_e32 v12, 28, v11
	v_and_b32_e32 v10, 15, v10
	v_lshlrev_b32_e32 v4, v12, v4
	v_sub_u32_e32 v11, 29, v11
	v_and_b32_e32 v4, 7, v4
	v_cmp_eq_u16_e32 vcc, 0, v10
	v_cndmask_b32_e32 v0, v0, v4, vcc
	v_cndmask_b32_e32 v4, v10, v11, vcc
	v_lshlrev_b32_e32 v10, 16, v5
	v_mov_b32_e32 v11, 0x3b800000
	v_lshlrev_b32_e32 v0, 20, v0
	v_and_b32_e32 v10, 0x80000000, v10
	v_lshl_add_u32 v4, v4, 23, v11
	v_or3_b32 v0, v10, v4, v0
.LBB8_1964:
	s_or_b64 exec, exec, s[6:7]
	v_lshrrev_b32_e32 v4, 8, v1
	s_movk_i32 s4, 0x7f
	v_cmp_gt_i16_sdwa s[6:7], v4, s4 src0_sel:BYTE_0 src1_sel:DWORD
	s_mov_b64 s[4:5], 0
                                        ; implicit-def: $sgpr10
	s_and_saveexec_b64 s[8:9], s[6:7]
	s_xor_b64 s[6:7], exec, s[8:9]
	s_cbranch_execnz .LBB8_4013
; %bb.1965:
	s_or_saveexec_b64 s[6:7], s[6:7]
	v_mov_b32_e32 v10, s10
	s_xor_b64 exec, exec, s[6:7]
	s_cbranch_execnz .LBB8_4016
.LBB8_1966:
	s_or_b64 exec, exec, s[6:7]
	s_and_saveexec_b64 s[6:7], s[4:5]
	s_cbranch_execz .LBB8_1968
.LBB8_1967:
	v_bfe_u32 v10, v1, 8, 3
	v_ffbh_u32_e32 v12, v10
	v_min_u32_e32 v12, 32, v12
	v_lshrrev_b16_e32 v11, 3, v4
	v_subrev_u32_e32 v13, 28, v12
	v_and_b32_e32 v11, 15, v11
	v_lshlrev_b32_e32 v4, v13, v4
	v_sub_u32_e32 v12, 29, v12
	v_and_b32_e32 v4, 7, v4
	v_cmp_eq_u16_e32 vcc, 0, v11
	v_cndmask_b32_e32 v4, v10, v4, vcc
	v_cndmask_b32_e32 v10, v11, v12, vcc
	v_lshlrev_b32_e32 v11, 16, v1
	v_mov_b32_e32 v12, 0x3b800000
	v_lshlrev_b32_e32 v4, 20, v4
	v_and_b32_e32 v11, 0x80000000, v11
	v_lshl_add_u32 v10, v10, 23, v12
	v_or3_b32 v10, v11, v10, v4
.LBB8_1968:
	s_or_b64 exec, exec, s[6:7]
	s_nop 0
	v_mfma_f32_16x16x4f32 a[0:3], v0, v10, a[0:3]
	s_movk_i32 s4, 0xff
	v_and_b32_sdwa v4, v5, s4 dst_sel:DWORD dst_unused:UNUSED_PAD src0_sel:WORD_1 src1_sel:DWORD
	s_movk_i32 s4, 0x7f
	v_cmp_lt_i16_e32 vcc, s4, v4
	s_mov_b64 s[4:5], 0
                                        ; implicit-def: $sgpr10
	s_and_saveexec_b64 s[6:7], vcc
	s_xor_b64 s[6:7], exec, s[6:7]
	s_cbranch_execnz .LBB8_4017
; %bb.1969:
	s_or_saveexec_b64 s[6:7], s[6:7]
	v_mov_b32_e32 v0, s10
	s_xor_b64 exec, exec, s[6:7]
	s_cbranch_execnz .LBB8_4020
.LBB8_1970:
	s_or_b64 exec, exec, s[6:7]
	s_and_saveexec_b64 s[6:7], s[4:5]
	s_cbranch_execz .LBB8_1972
.LBB8_1971:
	v_bfe_u32 v0, v5, 16, 3
	v_ffbh_u32_e32 v11, v0
	v_min_u32_e32 v11, 32, v11
	v_lshrrev_b32_e32 v4, 19, v5
	v_subrev_u32_e32 v12, 28, v11
	v_and_b32_e32 v4, 15, v4
	v_lshlrev_b32_sdwa v12, v12, v5 dst_sel:DWORD dst_unused:UNUSED_PAD src0_sel:DWORD src1_sel:WORD_1
	v_bfe_u32 v10, v5, 19, 4
	v_sub_u32_e32 v11, 29, v11
	v_and_b32_e32 v12, 7, v12
	v_cmp_eq_u16_e32 vcc, 0, v4
	v_cndmask_b32_e32 v0, v0, v12, vcc
	v_cndmask_b32_e32 v4, v10, v11, vcc
	v_lshlrev_b32_e32 v10, 8, v5
	v_mov_b32_e32 v11, 0x3b800000
	v_lshlrev_b32_e32 v0, 20, v0
	v_and_b32_e32 v10, 0x80000000, v10
	v_lshl_add_u32 v4, v4, 23, v11
	v_or3_b32 v0, v10, v4, v0
.LBB8_1972:
	s_or_b64 exec, exec, s[6:7]
	s_movk_i32 s4, 0xff
	v_and_b32_sdwa v4, v1, s4 dst_sel:DWORD dst_unused:UNUSED_PAD src0_sel:WORD_1 src1_sel:DWORD
	s_movk_i32 s4, 0x7f
	v_cmp_lt_i16_e32 vcc, s4, v4
	s_mov_b64 s[4:5], 0
                                        ; implicit-def: $sgpr10
	s_and_saveexec_b64 s[6:7], vcc
	s_xor_b64 s[6:7], exec, s[6:7]
	s_cbranch_execnz .LBB8_4021
; %bb.1973:
	s_or_saveexec_b64 s[6:7], s[6:7]
	v_mov_b32_e32 v10, s10
	s_xor_b64 exec, exec, s[6:7]
	s_cbranch_execnz .LBB8_4024
.LBB8_1974:
	s_or_b64 exec, exec, s[6:7]
	s_and_saveexec_b64 s[6:7], s[4:5]
	s_cbranch_execz .LBB8_1976
.LBB8_1975:
	v_bfe_u32 v4, v1, 16, 3
	v_ffbh_u32_e32 v12, v4
	v_min_u32_e32 v12, 32, v12
	v_lshrrev_b32_e32 v10, 19, v1
	v_subrev_u32_e32 v13, 28, v12
	v_and_b32_e32 v10, 15, v10
	v_lshlrev_b32_sdwa v13, v13, v1 dst_sel:DWORD dst_unused:UNUSED_PAD src0_sel:DWORD src1_sel:WORD_1
	v_bfe_u32 v11, v1, 19, 4
	v_sub_u32_e32 v12, 29, v12
	v_and_b32_e32 v13, 7, v13
	v_cmp_eq_u16_e32 vcc, 0, v10
	v_cndmask_b32_e32 v4, v4, v13, vcc
	v_cndmask_b32_e32 v10, v11, v12, vcc
	v_lshlrev_b32_e32 v11, 8, v1
	v_mov_b32_e32 v12, 0x3b800000
	v_lshlrev_b32_e32 v4, 20, v4
	v_and_b32_e32 v11, 0x80000000, v11
	v_lshl_add_u32 v10, v10, 23, v12
	v_or3_b32 v10, v11, v10, v4
.LBB8_1976:
	s_or_b64 exec, exec, s[6:7]
	s_nop 0
	v_mfma_f32_16x16x4f32 a[0:3], v0, v10, a[0:3]
	s_movk_i32 s4, 0x7f
	v_cmp_gt_i16_sdwa s[6:7], v5, s4 src0_sel:BYTE_3 src1_sel:DWORD
	s_mov_b64 s[4:5], 0
                                        ; implicit-def: $sgpr10
	s_and_saveexec_b64 s[8:9], s[6:7]
	s_xor_b64 s[6:7], exec, s[8:9]
	s_cbranch_execnz .LBB8_4025
; %bb.1977:
	s_or_saveexec_b64 s[6:7], s[6:7]
	v_mov_b32_e32 v0, s10
	s_xor_b64 exec, exec, s[6:7]
	s_cbranch_execnz .LBB8_4028
.LBB8_1978:
	s_or_b64 exec, exec, s[6:7]
	s_and_saveexec_b64 s[6:7], s[4:5]
	s_cbranch_execz .LBB8_1980
.LBB8_1979:
	v_bfe_u32 v0, v5, 24, 3
	v_ffbh_u32_e32 v12, v0
	v_min_u32_e32 v12, 32, v12
	v_lshrrev_b32_e32 v10, 27, v5
	v_subrev_u32_e32 v13, 28, v12
	v_and_b32_e32 v4, 0x80000000, v5
	v_and_b32_e32 v10, 15, v10
	v_bfe_u32 v11, v5, 27, 4
	v_lshlrev_b32_sdwa v5, v13, v5 dst_sel:DWORD dst_unused:UNUSED_PAD src0_sel:DWORD src1_sel:BYTE_3
	v_sub_u32_e32 v12, 29, v12
	v_and_b32_e32 v5, 7, v5
	v_cmp_eq_u16_e32 vcc, 0, v10
	v_cndmask_b32_e32 v0, v0, v5, vcc
	v_cndmask_b32_e32 v5, v11, v12, vcc
	v_mov_b32_e32 v10, 0x3b800000
	v_lshlrev_b32_e32 v0, 20, v0
	v_lshl_add_u32 v5, v5, 23, v10
	v_or3_b32 v0, v4, v5, v0
.LBB8_1980:
	s_or_b64 exec, exec, s[6:7]
	s_movk_i32 s4, 0x7f
	v_cmp_gt_i16_sdwa s[6:7], v1, s4 src0_sel:BYTE_3 src1_sel:DWORD
	s_mov_b64 s[4:5], 0
                                        ; implicit-def: $sgpr10
	s_and_saveexec_b64 s[8:9], s[6:7]
	s_xor_b64 s[6:7], exec, s[8:9]
	s_cbranch_execnz .LBB8_4029
; %bb.1981:
	s_or_saveexec_b64 s[6:7], s[6:7]
	v_mov_b32_e32 v4, s10
	s_xor_b64 exec, exec, s[6:7]
	s_cbranch_execnz .LBB8_4032
.LBB8_1982:
	s_or_b64 exec, exec, s[6:7]
	s_and_saveexec_b64 s[6:7], s[4:5]
	s_cbranch_execz .LBB8_1984
.LBB8_1983:
	v_bfe_u32 v4, v1, 24, 3
	v_ffbh_u32_e32 v12, v4
	v_min_u32_e32 v12, 32, v12
	v_lshrrev_b32_e32 v10, 27, v1
	v_subrev_u32_e32 v13, 28, v12
	v_and_b32_e32 v5, 0x80000000, v1
	v_and_b32_e32 v10, 15, v10
	v_bfe_u32 v11, v1, 27, 4
	v_lshlrev_b32_sdwa v1, v13, v1 dst_sel:DWORD dst_unused:UNUSED_PAD src0_sel:DWORD src1_sel:BYTE_3
	v_sub_u32_e32 v12, 29, v12
	v_and_b32_e32 v1, 7, v1
	v_cmp_eq_u16_e32 vcc, 0, v10
	v_cndmask_b32_e32 v1, v4, v1, vcc
	v_cndmask_b32_e32 v4, v11, v12, vcc
	v_mov_b32_e32 v10, 0x3b800000
	v_lshlrev_b32_e32 v1, 20, v1
	v_lshl_add_u32 v4, v4, 23, v10
	v_or3_b32 v4, v5, v4, v1
.LBB8_1984:
	s_or_b64 exec, exec, s[6:7]
	s_nop 0
	v_mfma_f32_16x16x4f32 a[0:3], v0, v4, a[0:3]
	s_movk_i32 s4, 0x7f
	v_cmp_gt_i16_sdwa s[6:7], v6, s4 src0_sel:BYTE_0 src1_sel:DWORD
	s_mov_b64 s[4:5], 0
                                        ; implicit-def: $sgpr10
	s_and_saveexec_b64 s[8:9], s[6:7]
	s_xor_b64 s[6:7], exec, s[8:9]
	s_cbranch_execnz .LBB8_4033
; %bb.1985:
	s_or_saveexec_b64 s[6:7], s[6:7]
	v_mov_b32_e32 v0, s10
	s_xor_b64 exec, exec, s[6:7]
	s_cbranch_execnz .LBB8_4036
.LBB8_1986:
	s_or_b64 exec, exec, s[6:7]
	s_and_saveexec_b64 s[6:7], s[4:5]
	s_cbranch_execz .LBB8_1988
.LBB8_1987:
	v_and_b32_e32 v0, 7, v6
	v_ffbh_u32_e32 v4, v0
	v_min_u32_e32 v4, 32, v4
	v_lshrrev_b16_e32 v1, 3, v6
	v_subrev_u32_e32 v5, 28, v4
	v_and_b32_e32 v1, 15, v1
	v_lshlrev_b32_e32 v5, v5, v6
	v_sub_u32_e32 v4, 29, v4
	v_and_b32_e32 v5, 7, v5
	v_cmp_eq_u16_e32 vcc, 0, v1
	v_cndmask_b32_e32 v0, v0, v5, vcc
	v_cndmask_b32_e32 v1, v1, v4, vcc
	v_lshlrev_b32_e32 v4, 24, v6
	v_mov_b32_e32 v5, 0x3b800000
	v_lshlrev_b32_e32 v0, 20, v0
	v_and_b32_e32 v4, 0x80000000, v4
	v_lshl_add_u32 v1, v1, 23, v5
	v_or3_b32 v0, v4, v1, v0
.LBB8_1988:
	s_or_b64 exec, exec, s[6:7]
	s_movk_i32 s4, 0x7f
	v_cmp_gt_i16_sdwa s[6:7], v2, s4 src0_sel:BYTE_0 src1_sel:DWORD
	s_mov_b64 s[4:5], 0
                                        ; implicit-def: $sgpr10
	s_and_saveexec_b64 s[8:9], s[6:7]
	s_xor_b64 s[6:7], exec, s[8:9]
	s_cbranch_execnz .LBB8_4037
; %bb.1989:
	s_or_saveexec_b64 s[6:7], s[6:7]
	v_mov_b32_e32 v1, s10
	s_xor_b64 exec, exec, s[6:7]
	s_cbranch_execnz .LBB8_4040
.LBB8_1990:
	s_or_b64 exec, exec, s[6:7]
	s_and_saveexec_b64 s[6:7], s[4:5]
	s_cbranch_execz .LBB8_1992
.LBB8_1991:
	v_and_b32_e32 v1, 7, v2
	v_ffbh_u32_e32 v5, v1
	v_min_u32_e32 v5, 32, v5
	v_lshrrev_b16_e32 v4, 3, v2
	v_subrev_u32_e32 v10, 28, v5
	v_and_b32_e32 v4, 15, v4
	v_lshlrev_b32_e32 v10, v10, v2
	v_sub_u32_e32 v5, 29, v5
	v_and_b32_e32 v10, 7, v10
	v_cmp_eq_u16_e32 vcc, 0, v4
	v_cndmask_b32_e32 v1, v1, v10, vcc
	v_cndmask_b32_e32 v4, v4, v5, vcc
	v_lshlrev_b32_e32 v5, 24, v2
	v_mov_b32_e32 v10, 0x3b800000
	v_lshlrev_b32_e32 v1, 20, v1
	v_and_b32_e32 v5, 0x80000000, v5
	v_lshl_add_u32 v4, v4, 23, v10
	v_or3_b32 v1, v5, v4, v1
.LBB8_1992:
	s_or_b64 exec, exec, s[6:7]
	s_nop 0
	v_mfma_f32_16x16x4f32 a[0:3], v0, v1, a[0:3]
	v_lshrrev_b32_e32 v1, 8, v6
	s_movk_i32 s4, 0x7f
	v_cmp_gt_i16_sdwa s[6:7], v1, s4 src0_sel:BYTE_0 src1_sel:DWORD
	s_mov_b64 s[4:5], 0
                                        ; implicit-def: $sgpr10
	s_and_saveexec_b64 s[8:9], s[6:7]
	s_xor_b64 s[6:7], exec, s[8:9]
	s_cbranch_execnz .LBB8_4041
; %bb.1993:
	s_or_saveexec_b64 s[6:7], s[6:7]
	v_mov_b32_e32 v0, s10
	s_xor_b64 exec, exec, s[6:7]
	s_cbranch_execnz .LBB8_4044
.LBB8_1994:
	s_or_b64 exec, exec, s[6:7]
	s_and_saveexec_b64 s[6:7], s[4:5]
	s_cbranch_execz .LBB8_1996
.LBB8_1995:
	v_bfe_u32 v0, v6, 8, 3
	v_ffbh_u32_e32 v5, v0
	v_min_u32_e32 v5, 32, v5
	v_lshrrev_b16_e32 v4, 3, v1
	v_subrev_u32_e32 v10, 28, v5
	v_and_b32_e32 v4, 15, v4
	v_lshlrev_b32_e32 v1, v10, v1
	v_sub_u32_e32 v5, 29, v5
	v_and_b32_e32 v1, 7, v1
	v_cmp_eq_u16_e32 vcc, 0, v4
	v_cndmask_b32_e32 v0, v0, v1, vcc
	v_cndmask_b32_e32 v1, v4, v5, vcc
	v_lshlrev_b32_e32 v4, 16, v6
	v_mov_b32_e32 v5, 0x3b800000
	v_lshlrev_b32_e32 v0, 20, v0
	v_and_b32_e32 v4, 0x80000000, v4
	v_lshl_add_u32 v1, v1, 23, v5
	v_or3_b32 v0, v4, v1, v0
.LBB8_1996:
	s_or_b64 exec, exec, s[6:7]
	v_lshrrev_b32_e32 v1, 8, v2
	s_movk_i32 s4, 0x7f
	v_cmp_gt_i16_sdwa s[6:7], v1, s4 src0_sel:BYTE_0 src1_sel:DWORD
	s_mov_b64 s[4:5], 0
                                        ; implicit-def: $sgpr10
	s_and_saveexec_b64 s[8:9], s[6:7]
	s_xor_b64 s[6:7], exec, s[8:9]
	s_cbranch_execnz .LBB8_4045
; %bb.1997:
	s_or_saveexec_b64 s[6:7], s[6:7]
	v_mov_b32_e32 v4, s10
	s_xor_b64 exec, exec, s[6:7]
	s_cbranch_execnz .LBB8_4048
.LBB8_1998:
	s_or_b64 exec, exec, s[6:7]
	s_and_saveexec_b64 s[6:7], s[4:5]
	s_cbranch_execz .LBB8_2000
.LBB8_1999:
	v_bfe_u32 v4, v2, 8, 3
	v_ffbh_u32_e32 v10, v4
	v_min_u32_e32 v10, 32, v10
	v_lshrrev_b16_e32 v5, 3, v1
	v_subrev_u32_e32 v11, 28, v10
	v_and_b32_e32 v5, 15, v5
	v_lshlrev_b32_e32 v1, v11, v1
	v_sub_u32_e32 v10, 29, v10
	v_and_b32_e32 v1, 7, v1
	v_cmp_eq_u16_e32 vcc, 0, v5
	v_cndmask_b32_e32 v1, v4, v1, vcc
	v_cndmask_b32_e32 v4, v5, v10, vcc
	v_lshlrev_b32_e32 v5, 16, v2
	v_mov_b32_e32 v10, 0x3b800000
	v_lshlrev_b32_e32 v1, 20, v1
	v_and_b32_e32 v5, 0x80000000, v5
	v_lshl_add_u32 v4, v4, 23, v10
	v_or3_b32 v4, v5, v4, v1
.LBB8_2000:
	s_or_b64 exec, exec, s[6:7]
	s_nop 0
	v_mfma_f32_16x16x4f32 a[0:3], v0, v4, a[0:3]
	s_movk_i32 s4, 0xff
	v_and_b32_sdwa v1, v6, s4 dst_sel:DWORD dst_unused:UNUSED_PAD src0_sel:WORD_1 src1_sel:DWORD
	s_movk_i32 s4, 0x7f
	v_cmp_lt_i16_e32 vcc, s4, v1
	s_mov_b64 s[4:5], 0
                                        ; implicit-def: $sgpr10
	s_and_saveexec_b64 s[6:7], vcc
	s_xor_b64 s[6:7], exec, s[6:7]
	s_cbranch_execnz .LBB8_4049
; %bb.2001:
	s_or_saveexec_b64 s[6:7], s[6:7]
	v_mov_b32_e32 v0, s10
	s_xor_b64 exec, exec, s[6:7]
	s_cbranch_execnz .LBB8_4052
.LBB8_2002:
	s_or_b64 exec, exec, s[6:7]
	s_and_saveexec_b64 s[6:7], s[4:5]
	s_cbranch_execz .LBB8_2004
.LBB8_2003:
	v_bfe_u32 v0, v6, 16, 3
	v_ffbh_u32_e32 v5, v0
	v_min_u32_e32 v5, 32, v5
	v_lshrrev_b32_e32 v1, 19, v6
	v_subrev_u32_e32 v10, 28, v5
	v_and_b32_e32 v1, 15, v1
	v_lshlrev_b32_sdwa v10, v10, v6 dst_sel:DWORD dst_unused:UNUSED_PAD src0_sel:DWORD src1_sel:WORD_1
	v_bfe_u32 v4, v6, 19, 4
	v_sub_u32_e32 v5, 29, v5
	v_and_b32_e32 v10, 7, v10
	v_cmp_eq_u16_e32 vcc, 0, v1
	v_cndmask_b32_e32 v0, v0, v10, vcc
	v_cndmask_b32_e32 v1, v4, v5, vcc
	v_lshlrev_b32_e32 v4, 8, v6
	v_mov_b32_e32 v5, 0x3b800000
	v_lshlrev_b32_e32 v0, 20, v0
	v_and_b32_e32 v4, 0x80000000, v4
	v_lshl_add_u32 v1, v1, 23, v5
	v_or3_b32 v0, v4, v1, v0
.LBB8_2004:
	s_or_b64 exec, exec, s[6:7]
	s_movk_i32 s4, 0xff
	v_and_b32_sdwa v1, v2, s4 dst_sel:DWORD dst_unused:UNUSED_PAD src0_sel:WORD_1 src1_sel:DWORD
	s_movk_i32 s4, 0x7f
	v_cmp_lt_i16_e32 vcc, s4, v1
	s_mov_b64 s[4:5], 0
                                        ; implicit-def: $sgpr10
	s_and_saveexec_b64 s[6:7], vcc
	s_xor_b64 s[6:7], exec, s[6:7]
	s_cbranch_execnz .LBB8_4053
; %bb.2005:
	s_or_saveexec_b64 s[6:7], s[6:7]
	v_mov_b32_e32 v4, s10
	s_xor_b64 exec, exec, s[6:7]
	s_cbranch_execnz .LBB8_4056
.LBB8_2006:
	s_or_b64 exec, exec, s[6:7]
	s_and_saveexec_b64 s[6:7], s[4:5]
	s_cbranch_execz .LBB8_2008
.LBB8_2007:
	v_bfe_u32 v1, v2, 16, 3
	v_ffbh_u32_e32 v10, v1
	v_min_u32_e32 v10, 32, v10
	v_lshrrev_b32_e32 v4, 19, v2
	v_subrev_u32_e32 v11, 28, v10
	v_and_b32_e32 v4, 15, v4
	v_lshlrev_b32_sdwa v11, v11, v2 dst_sel:DWORD dst_unused:UNUSED_PAD src0_sel:DWORD src1_sel:WORD_1
	v_bfe_u32 v5, v2, 19, 4
	v_sub_u32_e32 v10, 29, v10
	v_and_b32_e32 v11, 7, v11
	v_cmp_eq_u16_e32 vcc, 0, v4
	v_cndmask_b32_e32 v1, v1, v11, vcc
	v_cndmask_b32_e32 v4, v5, v10, vcc
	v_lshlrev_b32_e32 v5, 8, v2
	v_mov_b32_e32 v10, 0x3b800000
	v_lshlrev_b32_e32 v1, 20, v1
	v_and_b32_e32 v5, 0x80000000, v5
	v_lshl_add_u32 v4, v4, 23, v10
	v_or3_b32 v4, v5, v4, v1
.LBB8_2008:
	s_or_b64 exec, exec, s[6:7]
	s_nop 0
	v_mfma_f32_16x16x4f32 a[0:3], v0, v4, a[0:3]
	s_movk_i32 s4, 0x7f
	v_cmp_gt_i16_sdwa s[6:7], v6, s4 src0_sel:BYTE_3 src1_sel:DWORD
	s_mov_b64 s[4:5], 0
                                        ; implicit-def: $sgpr10
	s_and_saveexec_b64 s[8:9], s[6:7]
	s_xor_b64 s[6:7], exec, s[8:9]
	s_cbranch_execnz .LBB8_4057
; %bb.2009:
	s_or_saveexec_b64 s[6:7], s[6:7]
	v_mov_b32_e32 v0, s10
	s_xor_b64 exec, exec, s[6:7]
	s_cbranch_execnz .LBB8_4060
.LBB8_2010:
	s_or_b64 exec, exec, s[6:7]
	s_and_saveexec_b64 s[6:7], s[4:5]
	s_cbranch_execz .LBB8_2012
.LBB8_2011:
	v_bfe_u32 v0, v6, 24, 3
	v_ffbh_u32_e32 v10, v0
	v_min_u32_e32 v10, 32, v10
	v_lshrrev_b32_e32 v4, 27, v6
	v_subrev_u32_e32 v11, 28, v10
	v_and_b32_e32 v1, 0x80000000, v6
	v_and_b32_e32 v4, 15, v4
	v_bfe_u32 v5, v6, 27, 4
	v_lshlrev_b32_sdwa v6, v11, v6 dst_sel:DWORD dst_unused:UNUSED_PAD src0_sel:DWORD src1_sel:BYTE_3
	v_sub_u32_e32 v10, 29, v10
	v_and_b32_e32 v6, 7, v6
	v_cmp_eq_u16_e32 vcc, 0, v4
	v_cndmask_b32_e32 v0, v0, v6, vcc
	v_cndmask_b32_e32 v4, v5, v10, vcc
	v_mov_b32_e32 v5, 0x3b800000
	v_lshlrev_b32_e32 v0, 20, v0
	v_lshl_add_u32 v4, v4, 23, v5
	v_or3_b32 v0, v1, v4, v0
.LBB8_2012:
	s_or_b64 exec, exec, s[6:7]
	s_movk_i32 s4, 0x7f
	v_cmp_gt_i16_sdwa s[6:7], v2, s4 src0_sel:BYTE_3 src1_sel:DWORD
	s_mov_b64 s[4:5], 0
                                        ; implicit-def: $sgpr10
	s_and_saveexec_b64 s[8:9], s[6:7]
	s_xor_b64 s[6:7], exec, s[8:9]
	s_cbranch_execnz .LBB8_4061
; %bb.2013:
	s_or_saveexec_b64 s[6:7], s[6:7]
	v_mov_b32_e32 v1, s10
	s_xor_b64 exec, exec, s[6:7]
	s_cbranch_execnz .LBB8_4064
.LBB8_2014:
	s_or_b64 exec, exec, s[6:7]
	s_and_saveexec_b64 s[6:7], s[4:5]
	s_cbranch_execz .LBB8_2016
.LBB8_2015:
	v_bfe_u32 v1, v2, 24, 3
	v_ffbh_u32_e32 v10, v1
	v_min_u32_e32 v10, 32, v10
	v_lshrrev_b32_e32 v5, 27, v2
	v_subrev_u32_e32 v11, 28, v10
	v_and_b32_e32 v4, 0x80000000, v2
	v_and_b32_e32 v5, 15, v5
	v_bfe_u32 v6, v2, 27, 4
	v_lshlrev_b32_sdwa v2, v11, v2 dst_sel:DWORD dst_unused:UNUSED_PAD src0_sel:DWORD src1_sel:BYTE_3
	v_sub_u32_e32 v10, 29, v10
	v_and_b32_e32 v2, 7, v2
	v_cmp_eq_u16_e32 vcc, 0, v5
	v_cndmask_b32_e32 v1, v1, v2, vcc
	v_cndmask_b32_e32 v2, v6, v10, vcc
	v_mov_b32_e32 v5, 0x3b800000
	v_lshlrev_b32_e32 v1, 20, v1
	v_lshl_add_u32 v2, v2, 23, v5
	v_or3_b32 v1, v4, v2, v1
.LBB8_2016:
	s_or_b64 exec, exec, s[6:7]
	s_nop 0
	v_mfma_f32_16x16x4f32 a[0:3], v0, v1, a[0:3]
	s_movk_i32 s4, 0x7f
	v_cmp_gt_i16_sdwa s[6:7], v7, s4 src0_sel:BYTE_0 src1_sel:DWORD
	s_mov_b64 s[4:5], 0
                                        ; implicit-def: $sgpr10
	s_and_saveexec_b64 s[8:9], s[6:7]
	s_xor_b64 s[6:7], exec, s[8:9]
	s_cbranch_execnz .LBB8_4065
; %bb.2017:
	s_or_saveexec_b64 s[6:7], s[6:7]
	v_mov_b32_e32 v0, s10
	s_xor_b64 exec, exec, s[6:7]
	s_cbranch_execnz .LBB8_4068
.LBB8_2018:
	s_or_b64 exec, exec, s[6:7]
	s_and_saveexec_b64 s[6:7], s[4:5]
	s_cbranch_execz .LBB8_2020
.LBB8_2019:
	v_mov_b32_e32 v0, 8
	v_and_b32_e32 v1, 7, v7
	v_lshrrev_b32_sdwa v0, v0, v7 dst_sel:BYTE_1 dst_unused:UNUSED_PAD src0_sel:DWORD src1_sel:DWORD
	v_ffbh_u32_e32 v2, v1
	v_or_b32_sdwa v0, v7, v0 dst_sel:DWORD dst_unused:UNUSED_PAD src0_sel:BYTE_0 src1_sel:DWORD
	v_min_u32_e32 v2, 32, v2
	v_lshrrev_b16_e32 v0, 3, v0
	v_subrev_u32_e32 v4, 28, v2
	v_and_b32_e32 v0, 15, v0
	v_lshlrev_b32_e32 v4, v4, v7
	v_sub_u32_e32 v2, 29, v2
	v_and_b32_e32 v4, 7, v4
	v_cmp_eq_u16_e32 vcc, 0, v0
	v_cndmask_b32_e32 v1, v1, v4, vcc
	v_cndmask_b32_e32 v0, v0, v2, vcc
	v_lshlrev_b32_e32 v2, 24, v7
	v_mov_b32_e32 v4, 0x3b800000
	v_lshlrev_b32_e32 v1, 20, v1
	v_and_b32_e32 v2, 0x80000000, v2
	v_lshl_add_u32 v0, v0, 23, v4
	v_or3_b32 v0, v2, v0, v1
.LBB8_2020:
	s_or_b64 exec, exec, s[6:7]
	s_movk_i32 s4, 0x7f
	v_cmp_gt_i16_sdwa s[6:7], v3, s4 src0_sel:BYTE_0 src1_sel:DWORD
	s_mov_b64 s[4:5], 0
                                        ; implicit-def: $sgpr10
	s_and_saveexec_b64 s[8:9], s[6:7]
	s_xor_b64 s[6:7], exec, s[8:9]
	s_cbranch_execnz .LBB8_4069
; %bb.2021:
	s_or_saveexec_b64 s[6:7], s[6:7]
	v_mov_b32_e32 v1, s10
	s_xor_b64 exec, exec, s[6:7]
	s_cbranch_execnz .LBB8_4072
.LBB8_2022:
	s_or_b64 exec, exec, s[6:7]
	s_and_saveexec_b64 s[6:7], s[4:5]
	s_cbranch_execz .LBB8_2024
.LBB8_2023:
	v_mov_b32_e32 v1, 8
	v_and_b32_e32 v2, 7, v3
	v_lshrrev_b32_sdwa v1, v1, v3 dst_sel:BYTE_1 dst_unused:UNUSED_PAD src0_sel:DWORD src1_sel:DWORD
	v_ffbh_u32_e32 v4, v2
	v_or_b32_sdwa v1, v3, v1 dst_sel:DWORD dst_unused:UNUSED_PAD src0_sel:BYTE_0 src1_sel:DWORD
	v_min_u32_e32 v4, 32, v4
	v_lshrrev_b16_e32 v1, 3, v1
	v_subrev_u32_e32 v5, 28, v4
	v_and_b32_e32 v1, 15, v1
	v_lshlrev_b32_e32 v5, v5, v3
	v_sub_u32_e32 v4, 29, v4
	v_and_b32_e32 v5, 7, v5
	v_cmp_eq_u16_e32 vcc, 0, v1
	v_cndmask_b32_e32 v2, v2, v5, vcc
	v_cndmask_b32_e32 v1, v1, v4, vcc
	v_lshlrev_b32_e32 v4, 24, v3
	v_mov_b32_e32 v5, 0x3b800000
	v_lshlrev_b32_e32 v2, 20, v2
	v_and_b32_e32 v4, 0x80000000, v4
	v_lshl_add_u32 v1, v1, 23, v5
	v_or3_b32 v1, v4, v1, v2
.LBB8_2024:
	s_or_b64 exec, exec, s[6:7]
	s_nop 0
	v_mfma_f32_16x16x4f32 a[0:3], v0, v1, a[0:3]
	v_lshrrev_b32_e32 v1, 8, v7
	s_movk_i32 s4, 0x7f
	v_cmp_gt_i16_sdwa s[6:7], v1, s4 src0_sel:BYTE_0 src1_sel:DWORD
	s_mov_b64 s[4:5], 0
                                        ; implicit-def: $sgpr10
	s_and_saveexec_b64 s[8:9], s[6:7]
	s_xor_b64 s[6:7], exec, s[8:9]
	s_cbranch_execnz .LBB8_4073
; %bb.2025:
	s_or_saveexec_b64 s[6:7], s[6:7]
	v_mov_b32_e32 v0, s10
	s_xor_b64 exec, exec, s[6:7]
	s_cbranch_execnz .LBB8_4076
.LBB8_2026:
	s_or_b64 exec, exec, s[6:7]
	s_and_saveexec_b64 s[6:7], s[4:5]
	s_cbranch_execz .LBB8_2028
.LBB8_2027:
	v_bfe_u32 v0, v7, 8, 3
	v_ffbh_u32_e32 v4, v0
	v_min_u32_e32 v4, 32, v4
	v_lshrrev_b16_e32 v2, 3, v1
	v_subrev_u32_e32 v5, 28, v4
	v_and_b32_e32 v2, 15, v2
	v_lshlrev_b32_e32 v1, v5, v1
	v_sub_u32_e32 v4, 29, v4
	v_and_b32_e32 v1, 7, v1
	v_cmp_eq_u16_e32 vcc, 0, v2
	v_cndmask_b32_e32 v0, v0, v1, vcc
	v_cndmask_b32_e32 v1, v2, v4, vcc
	v_lshlrev_b32_e32 v2, 16, v7
	v_mov_b32_e32 v4, 0x3b800000
	v_lshlrev_b32_e32 v0, 20, v0
	v_and_b32_e32 v2, 0x80000000, v2
	v_lshl_add_u32 v1, v1, 23, v4
	v_or3_b32 v0, v2, v1, v0
.LBB8_2028:
	s_or_b64 exec, exec, s[6:7]
	v_lshrrev_b32_e32 v1, 8, v3
	s_movk_i32 s4, 0x7f
	v_cmp_gt_i16_sdwa s[6:7], v1, s4 src0_sel:BYTE_0 src1_sel:DWORD
	s_mov_b64 s[4:5], 0
                                        ; implicit-def: $sgpr10
	s_and_saveexec_b64 s[8:9], s[6:7]
	s_xor_b64 s[6:7], exec, s[8:9]
	s_cbranch_execnz .LBB8_4077
; %bb.2029:
	s_or_saveexec_b64 s[6:7], s[6:7]
	v_mov_b32_e32 v2, s10
	s_xor_b64 exec, exec, s[6:7]
	s_cbranch_execnz .LBB8_4080
.LBB8_2030:
	s_or_b64 exec, exec, s[6:7]
	s_and_saveexec_b64 s[6:7], s[4:5]
	s_cbranch_execz .LBB8_2032
.LBB8_2031:
	v_bfe_u32 v2, v3, 8, 3
	v_ffbh_u32_e32 v5, v2
	v_min_u32_e32 v5, 32, v5
	v_lshrrev_b16_e32 v4, 3, v1
	v_subrev_u32_e32 v6, 28, v5
	v_and_b32_e32 v4, 15, v4
	v_lshlrev_b32_e32 v1, v6, v1
	v_sub_u32_e32 v5, 29, v5
	v_and_b32_e32 v1, 7, v1
	v_cmp_eq_u16_e32 vcc, 0, v4
	v_cndmask_b32_e32 v1, v2, v1, vcc
	v_cndmask_b32_e32 v2, v4, v5, vcc
	v_lshlrev_b32_e32 v4, 16, v3
	v_mov_b32_e32 v5, 0x3b800000
	v_lshlrev_b32_e32 v1, 20, v1
	v_and_b32_e32 v4, 0x80000000, v4
	v_lshl_add_u32 v2, v2, 23, v5
	v_or3_b32 v2, v4, v2, v1
.LBB8_2032:
	s_or_b64 exec, exec, s[6:7]
	s_nop 0
	v_mfma_f32_16x16x4f32 a[0:3], v0, v2, a[0:3]
	s_movk_i32 s4, 0xff
	v_and_b32_sdwa v1, v7, s4 dst_sel:DWORD dst_unused:UNUSED_PAD src0_sel:WORD_1 src1_sel:DWORD
	s_movk_i32 s4, 0x7f
	v_cmp_lt_i16_e32 vcc, s4, v1
	s_mov_b64 s[4:5], 0
                                        ; implicit-def: $sgpr10
	s_and_saveexec_b64 s[6:7], vcc
	s_xor_b64 s[6:7], exec, s[6:7]
	s_cbranch_execnz .LBB8_4081
; %bb.2033:
	s_or_saveexec_b64 s[6:7], s[6:7]
	v_mov_b32_e32 v0, s10
	s_xor_b64 exec, exec, s[6:7]
	s_cbranch_execnz .LBB8_4084
.LBB8_2034:
	s_or_b64 exec, exec, s[6:7]
	s_and_saveexec_b64 s[6:7], s[4:5]
	s_cbranch_execz .LBB8_2036
.LBB8_2035:
	v_bfe_u32 v0, v7, 16, 3
	v_ffbh_u32_e32 v4, v0
	v_min_u32_e32 v4, 32, v4
	v_lshrrev_b32_e32 v1, 19, v7
	v_subrev_u32_e32 v5, 28, v4
	v_and_b32_e32 v1, 15, v1
	v_lshlrev_b32_sdwa v5, v5, v7 dst_sel:DWORD dst_unused:UNUSED_PAD src0_sel:DWORD src1_sel:WORD_1
	v_bfe_u32 v2, v7, 19, 4
	v_sub_u32_e32 v4, 29, v4
	v_and_b32_e32 v5, 7, v5
	v_cmp_eq_u16_e32 vcc, 0, v1
	v_cndmask_b32_e32 v0, v0, v5, vcc
	v_cndmask_b32_e32 v1, v2, v4, vcc
	v_lshlrev_b32_e32 v2, 8, v7
	v_mov_b32_e32 v4, 0x3b800000
	v_lshlrev_b32_e32 v0, 20, v0
	v_and_b32_e32 v2, 0x80000000, v2
	v_lshl_add_u32 v1, v1, 23, v4
	v_or3_b32 v0, v2, v1, v0
.LBB8_2036:
	s_or_b64 exec, exec, s[6:7]
	s_movk_i32 s4, 0xff
	v_and_b32_sdwa v1, v3, s4 dst_sel:DWORD dst_unused:UNUSED_PAD src0_sel:WORD_1 src1_sel:DWORD
	s_movk_i32 s4, 0x7f
	v_cmp_lt_i16_e32 vcc, s4, v1
	s_mov_b64 s[4:5], 0
                                        ; implicit-def: $sgpr10
	s_and_saveexec_b64 s[6:7], vcc
	s_xor_b64 s[6:7], exec, s[6:7]
	s_cbranch_execnz .LBB8_4085
; %bb.2037:
	s_or_saveexec_b64 s[6:7], s[6:7]
	v_mov_b32_e32 v2, s10
	s_xor_b64 exec, exec, s[6:7]
	s_cbranch_execnz .LBB8_4088
.LBB8_2038:
	s_or_b64 exec, exec, s[6:7]
	s_and_saveexec_b64 s[6:7], s[4:5]
	s_cbranch_execz .LBB8_2040
.LBB8_2039:
	v_bfe_u32 v1, v3, 16, 3
	v_ffbh_u32_e32 v5, v1
	v_min_u32_e32 v5, 32, v5
	v_lshrrev_b32_e32 v2, 19, v3
	v_subrev_u32_e32 v6, 28, v5
	v_and_b32_e32 v2, 15, v2
	v_lshlrev_b32_sdwa v6, v6, v3 dst_sel:DWORD dst_unused:UNUSED_PAD src0_sel:DWORD src1_sel:WORD_1
	v_bfe_u32 v4, v3, 19, 4
	v_sub_u32_e32 v5, 29, v5
	v_and_b32_e32 v6, 7, v6
	v_cmp_eq_u16_e32 vcc, 0, v2
	v_cndmask_b32_e32 v1, v1, v6, vcc
	v_cndmask_b32_e32 v2, v4, v5, vcc
	v_lshlrev_b32_e32 v4, 8, v3
	v_mov_b32_e32 v5, 0x3b800000
	v_lshlrev_b32_e32 v1, 20, v1
	v_and_b32_e32 v4, 0x80000000, v4
	v_lshl_add_u32 v2, v2, 23, v5
	v_or3_b32 v2, v4, v2, v1
.LBB8_2040:
	s_or_b64 exec, exec, s[6:7]
	s_nop 0
	v_mfma_f32_16x16x4f32 a[0:3], v0, v2, a[0:3]
	s_movk_i32 s4, 0x7f
	v_cmp_gt_i16_sdwa s[6:7], v7, s4 src0_sel:BYTE_3 src1_sel:DWORD
	s_mov_b64 s[4:5], 0
                                        ; implicit-def: $sgpr10
	s_and_saveexec_b64 s[8:9], s[6:7]
	s_xor_b64 s[6:7], exec, s[8:9]
	s_cbranch_execnz .LBB8_4089
; %bb.2041:
	s_or_saveexec_b64 s[6:7], s[6:7]
	v_mov_b32_e32 v0, s10
	s_xor_b64 exec, exec, s[6:7]
	s_cbranch_execnz .LBB8_4092
.LBB8_2042:
	s_or_b64 exec, exec, s[6:7]
	s_and_saveexec_b64 s[6:7], s[4:5]
	s_cbranch_execz .LBB8_2044
.LBB8_2043:
	v_bfe_u32 v0, v7, 24, 3
	v_ffbh_u32_e32 v5, v0
	v_min_u32_e32 v5, 32, v5
	v_lshrrev_b32_e32 v2, 27, v7
	v_subrev_u32_e32 v6, 28, v5
	v_and_b32_e32 v2, 15, v2
	v_lshlrev_b32_sdwa v6, v6, v7 dst_sel:DWORD dst_unused:UNUSED_PAD src0_sel:DWORD src1_sel:BYTE_3
	v_bfe_u32 v4, v7, 27, 4
	v_sub_u32_e32 v5, 29, v5
	v_and_b32_e32 v6, 7, v6
	v_cmp_eq_u16_e32 vcc, 0, v2
	v_cndmask_b32_e32 v0, v0, v6, vcc
	v_cndmask_b32_e32 v2, v4, v5, vcc
	v_mov_b32_e32 v4, 0x3b800000
	v_and_b32_e32 v1, 0x80000000, v7
	v_lshlrev_b32_e32 v0, 20, v0
	v_lshl_add_u32 v2, v2, 23, v4
	v_or3_b32 v0, v1, v2, v0
.LBB8_2044:
	s_or_b64 exec, exec, s[6:7]
	s_movk_i32 s4, 0x7f
	v_cmp_gt_i16_sdwa s[6:7], v3, s4 src0_sel:BYTE_3 src1_sel:DWORD
	s_mov_b64 s[4:5], 0
                                        ; implicit-def: $sgpr10
	s_and_saveexec_b64 s[8:9], s[6:7]
	s_xor_b64 s[6:7], exec, s[8:9]
	s_cbranch_execnz .LBB8_4093
; %bb.2045:
	s_or_saveexec_b64 s[6:7], s[6:7]
	v_mov_b32_e32 v1, s10
	s_xor_b64 exec, exec, s[6:7]
	s_cbranch_execnz .LBB8_4096
.LBB8_2046:
	s_or_b64 exec, exec, s[6:7]
	s_and_saveexec_b64 s[6:7], s[4:5]
	s_cbranch_execz .LBB8_2048
.LBB8_2047:
	v_bfe_u32 v1, v3, 24, 3
	v_ffbh_u32_e32 v6, v1
	v_min_u32_e32 v6, 32, v6
	v_lshrrev_b32_e32 v4, 27, v3
	v_subrev_u32_e32 v7, 28, v6
	v_and_b32_e32 v2, 0x80000000, v3
	v_and_b32_e32 v4, 15, v4
	v_bfe_u32 v5, v3, 27, 4
	v_lshlrev_b32_sdwa v3, v7, v3 dst_sel:DWORD dst_unused:UNUSED_PAD src0_sel:DWORD src1_sel:BYTE_3
	v_sub_u32_e32 v6, 29, v6
	v_and_b32_e32 v3, 7, v3
	v_cmp_eq_u16_e32 vcc, 0, v4
	v_cndmask_b32_e32 v1, v1, v3, vcc
	v_cndmask_b32_e32 v3, v5, v6, vcc
	v_mov_b32_e32 v4, 0x3b800000
	v_lshlrev_b32_e32 v1, 20, v1
	v_lshl_add_u32 v3, v3, 23, v4
	v_or3_b32 v1, v2, v3, v1
.LBB8_2048:
	s_or_b64 exec, exec, s[6:7]
	s_nop 0
	v_mfma_f32_16x16x4f32 a[0:3], v0, v1, a[0:3]
	s_nop 7
	s_nop 2
	flat_store_dwordx4 v[8:9], a[0:3] offset:240
	s_waitcnt vmcnt(0) lgkmcnt(0)
	s_setpc_b64 s[30:31]
.LBB8_2049:
	s_movk_i32 s4, 0x80
	v_cmp_eq_u16_sdwa s[12:13], v6, s4 src0_sel:BYTE_0 src1_sel:DWORD
	s_mov_b64 s[4:5], -1
                                        ; implicit-def: $sgpr10
	s_and_saveexec_b64 s[8:9], s[12:13]
; %bb.2050:
	s_mov_b32 s10, 0x7f800001
	s_xor_b64 s[4:5], exec, -1
; %bb.2051:
	s_or_b64 exec, exec, s[8:9]
	s_and_b64 s[4:5], s[4:5], exec
	s_or_saveexec_b64 s[6:7], s[6:7]
	v_mov_b32_e32 v12, s10
	s_xor_b64 exec, exec, s[6:7]
	s_cbranch_execz .LBB8_2
.LBB8_2052:
	v_mov_b32_e32 v12, 0
	v_cmp_ne_u16_sdwa s[8:9], v6, v12 src0_sel:BYTE_0 src1_sel:DWORD
	s_andn2_b64 s[4:5], s[4:5], exec
	s_and_b64 s[8:9], s[8:9], exec
	s_or_b64 s[4:5], s[4:5], s[8:9]
	s_or_b64 exec, exec, s[6:7]
	s_and_saveexec_b64 s[6:7], s[4:5]
	s_cbranch_execnz .LBB8_3
	s_branch .LBB8_4
.LBB8_2053:
	s_movk_i32 s4, 0x80
	v_cmp_eq_u16_sdwa s[12:13], v2, s4 src0_sel:BYTE_0 src1_sel:DWORD
	s_mov_b64 s[4:5], -1
                                        ; implicit-def: $sgpr10
	s_and_saveexec_b64 s[8:9], s[12:13]
; %bb.2054:
	s_mov_b32 s10, 0x7f800001
	s_xor_b64 s[4:5], exec, -1
; %bb.2055:
	s_or_b64 exec, exec, s[8:9]
	s_and_b64 s[4:5], s[4:5], exec
	s_or_saveexec_b64 s[6:7], s[6:7]
	v_mov_b32_e32 v13, s10
	s_xor_b64 exec, exec, s[6:7]
	s_cbranch_execz .LBB8_6
.LBB8_2056:
	v_mov_b32_e32 v13, 0
	v_cmp_ne_u16_sdwa s[8:9], v2, v13 src0_sel:BYTE_0 src1_sel:DWORD
	s_andn2_b64 s[4:5], s[4:5], exec
	s_and_b64 s[8:9], s[8:9], exec
	s_or_b64 s[4:5], s[4:5], s[8:9]
	s_or_b64 exec, exec, s[6:7]
	s_and_saveexec_b64 s[6:7], s[4:5]
	s_cbranch_execnz .LBB8_7
	s_branch .LBB8_8
.LBB8_2057:
	s_movk_i32 s4, 0x80
	v_cmp_eq_u16_sdwa s[12:13], v13, s4 src0_sel:BYTE_0 src1_sel:DWORD
	s_mov_b64 s[4:5], -1
                                        ; implicit-def: $sgpr10
	s_and_saveexec_b64 s[8:9], s[12:13]
; %bb.2058:
	s_mov_b32 s10, 0x7f800001
	s_xor_b64 s[4:5], exec, -1
; %bb.2059:
	s_or_b64 exec, exec, s[8:9]
	s_and_b64 s[4:5], s[4:5], exec
	s_or_saveexec_b64 s[6:7], s[6:7]
	v_mov_b32_e32 v12, s10
	s_xor_b64 exec, exec, s[6:7]
	s_cbranch_execz .LBB8_10
.LBB8_2060:
	v_mov_b32_e32 v12, 0
	v_cmp_ne_u16_sdwa s[8:9], v13, v12 src0_sel:BYTE_0 src1_sel:DWORD
	s_andn2_b64 s[4:5], s[4:5], exec
	s_and_b64 s[8:9], s[8:9], exec
	s_or_b64 s[4:5], s[4:5], s[8:9]
	s_or_b64 exec, exec, s[6:7]
	s_and_saveexec_b64 s[6:7], s[4:5]
	s_cbranch_execnz .LBB8_11
	s_branch .LBB8_12
.LBB8_2061:
	s_movk_i32 s4, 0x80
	v_cmp_eq_u16_sdwa s[12:13], v13, s4 src0_sel:BYTE_0 src1_sel:DWORD
	s_mov_b64 s[4:5], -1
                                        ; implicit-def: $sgpr10
	s_and_saveexec_b64 s[8:9], s[12:13]
; %bb.2062:
	s_mov_b32 s10, 0x7f800001
	s_xor_b64 s[4:5], exec, -1
; %bb.2063:
	s_or_b64 exec, exec, s[8:9]
	s_and_b64 s[4:5], s[4:5], exec
	s_or_saveexec_b64 s[6:7], s[6:7]
	v_mov_b32_e32 v14, s10
	s_xor_b64 exec, exec, s[6:7]
	s_cbranch_execz .LBB8_14
.LBB8_2064:
	v_mov_b32_e32 v14, 0
	v_cmp_ne_u16_sdwa s[8:9], v13, v14 src0_sel:BYTE_0 src1_sel:DWORD
	s_andn2_b64 s[4:5], s[4:5], exec
	s_and_b64 s[8:9], s[8:9], exec
	s_or_b64 s[4:5], s[4:5], s[8:9]
	s_or_b64 exec, exec, s[6:7]
	s_and_saveexec_b64 s[6:7], s[4:5]
	s_cbranch_execnz .LBB8_15
	s_branch .LBB8_16
.LBB8_2065:
	s_movk_i32 s4, 0x80
	v_cmp_eq_u16_e32 vcc, s4, v13
	s_mov_b64 s[4:5], -1
                                        ; implicit-def: $sgpr10
	s_and_saveexec_b64 s[8:9], vcc
; %bb.2066:
	s_mov_b32 s10, 0x7f800001
	s_xor_b64 s[4:5], exec, -1
; %bb.2067:
	s_or_b64 exec, exec, s[8:9]
	s_and_b64 s[4:5], s[4:5], exec
                                        ; implicit-def: $vgpr13
	s_or_saveexec_b64 s[6:7], s[6:7]
	v_mov_b32_e32 v12, s10
	s_xor_b64 exec, exec, s[6:7]
	s_cbranch_execz .LBB8_18
.LBB8_2068:
	v_cmp_ne_u16_e32 vcc, 0, v13
	s_andn2_b64 s[4:5], s[4:5], exec
	s_and_b64 s[8:9], vcc, exec
	v_mov_b32_e32 v12, 0
	s_or_b64 s[4:5], s[4:5], s[8:9]
	s_or_b64 exec, exec, s[6:7]
	s_and_saveexec_b64 s[6:7], s[4:5]
	s_cbranch_execnz .LBB8_19
	s_branch .LBB8_20
.LBB8_2069:
	s_movk_i32 s4, 0x80
	v_cmp_eq_u16_e32 vcc, s4, v13
	s_mov_b64 s[4:5], -1
                                        ; implicit-def: $sgpr10
	s_and_saveexec_b64 s[8:9], vcc
; %bb.2070:
	s_mov_b32 s10, 0x7f800001
	s_xor_b64 s[4:5], exec, -1
; %bb.2071:
	s_or_b64 exec, exec, s[8:9]
	s_and_b64 s[4:5], s[4:5], exec
                                        ; implicit-def: $vgpr13
	s_or_saveexec_b64 s[6:7], s[6:7]
	v_mov_b32_e32 v14, s10
	s_xor_b64 exec, exec, s[6:7]
	s_cbranch_execz .LBB8_22
.LBB8_2072:
	v_cmp_ne_u16_e32 vcc, 0, v13
	s_andn2_b64 s[4:5], s[4:5], exec
	s_and_b64 s[8:9], vcc, exec
	v_mov_b32_e32 v14, 0
	s_or_b64 s[4:5], s[4:5], s[8:9]
	s_or_b64 exec, exec, s[6:7]
	s_and_saveexec_b64 s[6:7], s[4:5]
	s_cbranch_execnz .LBB8_23
	s_branch .LBB8_24
.LBB8_2073:
	s_movk_i32 s4, 0x80
	v_cmp_eq_u16_sdwa s[12:13], v6, s4 src0_sel:BYTE_3 src1_sel:DWORD
	s_mov_b64 s[4:5], -1
                                        ; implicit-def: $sgpr10
	s_and_saveexec_b64 s[8:9], s[12:13]
; %bb.2074:
	s_mov_b32 s10, 0x7f800001
	s_xor_b64 s[4:5], exec, -1
; %bb.2075:
	s_or_b64 exec, exec, s[8:9]
	s_and_b64 s[4:5], s[4:5], exec
	s_or_saveexec_b64 s[6:7], s[6:7]
	v_mov_b32_e32 v12, s10
	s_xor_b64 exec, exec, s[6:7]
	s_cbranch_execz .LBB8_26
.LBB8_2076:
	v_mov_b32_e32 v12, 0
	v_cmp_ne_u16_sdwa s[8:9], v6, v12 src0_sel:BYTE_3 src1_sel:DWORD
	s_andn2_b64 s[4:5], s[4:5], exec
	s_and_b64 s[8:9], s[8:9], exec
	s_or_b64 s[4:5], s[4:5], s[8:9]
	s_or_b64 exec, exec, s[6:7]
	s_and_saveexec_b64 s[6:7], s[4:5]
	s_cbranch_execnz .LBB8_27
	s_branch .LBB8_28
.LBB8_2077:
	s_movk_i32 s4, 0x80
	v_cmp_eq_u16_sdwa s[12:13], v2, s4 src0_sel:BYTE_3 src1_sel:DWORD
	s_mov_b64 s[4:5], -1
                                        ; implicit-def: $sgpr10
	s_and_saveexec_b64 s[8:9], s[12:13]
; %bb.2078:
	s_mov_b32 s10, 0x7f800001
	s_xor_b64 s[4:5], exec, -1
; %bb.2079:
	s_or_b64 exec, exec, s[8:9]
	s_and_b64 s[4:5], s[4:5], exec
	s_or_saveexec_b64 s[6:7], s[6:7]
	v_mov_b32_e32 v6, s10
	s_xor_b64 exec, exec, s[6:7]
	s_cbranch_execz .LBB8_30
.LBB8_2080:
	v_mov_b32_e32 v6, 0
	v_cmp_ne_u16_sdwa s[8:9], v2, v6 src0_sel:BYTE_3 src1_sel:DWORD
	s_andn2_b64 s[4:5], s[4:5], exec
	s_and_b64 s[8:9], s[8:9], exec
	s_or_b64 s[4:5], s[4:5], s[8:9]
	s_or_b64 exec, exec, s[6:7]
	s_and_saveexec_b64 s[6:7], s[4:5]
	s_cbranch_execnz .LBB8_31
	s_branch .LBB8_32
.LBB8_2081:
	s_movk_i32 s4, 0x80
	v_cmp_eq_u16_sdwa s[12:13], v7, s4 src0_sel:BYTE_0 src1_sel:DWORD
	s_mov_b64 s[4:5], -1
                                        ; implicit-def: $sgpr10
	s_and_saveexec_b64 s[8:9], s[12:13]
; %bb.2082:
	s_mov_b32 s10, 0x7f800001
	s_xor_b64 s[4:5], exec, -1
; %bb.2083:
	s_or_b64 exec, exec, s[8:9]
	s_and_b64 s[4:5], s[4:5], exec
	s_or_saveexec_b64 s[6:7], s[6:7]
	v_mov_b32_e32 v2, s10
	s_xor_b64 exec, exec, s[6:7]
	s_cbranch_execz .LBB8_34
.LBB8_2084:
	v_mov_b32_e32 v2, 0
	v_cmp_ne_u16_sdwa s[8:9], v7, v2 src0_sel:BYTE_0 src1_sel:DWORD
	s_andn2_b64 s[4:5], s[4:5], exec
	s_and_b64 s[8:9], s[8:9], exec
	s_or_b64 s[4:5], s[4:5], s[8:9]
	s_or_b64 exec, exec, s[6:7]
	s_and_saveexec_b64 s[6:7], s[4:5]
	s_cbranch_execnz .LBB8_35
	s_branch .LBB8_36
.LBB8_2085:
	s_movk_i32 s4, 0x80
	v_cmp_eq_u16_sdwa s[12:13], v3, s4 src0_sel:BYTE_0 src1_sel:DWORD
	s_mov_b64 s[4:5], -1
                                        ; implicit-def: $sgpr10
	s_and_saveexec_b64 s[8:9], s[12:13]
; %bb.2086:
	s_mov_b32 s10, 0x7f800001
	s_xor_b64 s[4:5], exec, -1
; %bb.2087:
	s_or_b64 exec, exec, s[8:9]
	s_and_b64 s[4:5], s[4:5], exec
	s_or_saveexec_b64 s[6:7], s[6:7]
	v_mov_b32_e32 v6, s10
	s_xor_b64 exec, exec, s[6:7]
	s_cbranch_execz .LBB8_38
.LBB8_2088:
	v_mov_b32_e32 v6, 0
	v_cmp_ne_u16_sdwa s[8:9], v3, v6 src0_sel:BYTE_0 src1_sel:DWORD
	s_andn2_b64 s[4:5], s[4:5], exec
	s_and_b64 s[8:9], s[8:9], exec
	s_or_b64 s[4:5], s[4:5], s[8:9]
	s_or_b64 exec, exec, s[6:7]
	s_and_saveexec_b64 s[6:7], s[4:5]
	s_cbranch_execnz .LBB8_39
	s_branch .LBB8_40
.LBB8_2089:
	s_movk_i32 s4, 0x80
	v_cmp_eq_u16_sdwa s[12:13], v6, s4 src0_sel:BYTE_0 src1_sel:DWORD
	s_mov_b64 s[4:5], -1
                                        ; implicit-def: $sgpr10
	s_and_saveexec_b64 s[8:9], s[12:13]
; %bb.2090:
	s_mov_b32 s10, 0x7f800001
	s_xor_b64 s[4:5], exec, -1
; %bb.2091:
	s_or_b64 exec, exec, s[8:9]
	s_and_b64 s[4:5], s[4:5], exec
	s_or_saveexec_b64 s[6:7], s[6:7]
	v_mov_b32_e32 v2, s10
	s_xor_b64 exec, exec, s[6:7]
	s_cbranch_execz .LBB8_42
.LBB8_2092:
	v_mov_b32_e32 v2, 0
	v_cmp_ne_u16_sdwa s[8:9], v6, v2 src0_sel:BYTE_0 src1_sel:DWORD
	s_andn2_b64 s[4:5], s[4:5], exec
	s_and_b64 s[8:9], s[8:9], exec
	s_or_b64 s[4:5], s[4:5], s[8:9]
	s_or_b64 exec, exec, s[6:7]
	s_and_saveexec_b64 s[6:7], s[4:5]
	s_cbranch_execnz .LBB8_43
	s_branch .LBB8_44
.LBB8_2093:
	s_movk_i32 s4, 0x80
	v_cmp_eq_u16_sdwa s[12:13], v6, s4 src0_sel:BYTE_0 src1_sel:DWORD
	s_mov_b64 s[4:5], -1
                                        ; implicit-def: $sgpr10
	s_and_saveexec_b64 s[8:9], s[12:13]
; %bb.2094:
	s_mov_b32 s10, 0x7f800001
	s_xor_b64 s[4:5], exec, -1
; %bb.2095:
	s_or_b64 exec, exec, s[8:9]
	s_and_b64 s[4:5], s[4:5], exec
	s_or_saveexec_b64 s[6:7], s[6:7]
	v_mov_b32_e32 v12, s10
	s_xor_b64 exec, exec, s[6:7]
	s_cbranch_execz .LBB8_46
.LBB8_2096:
	v_mov_b32_e32 v12, 0
	v_cmp_ne_u16_sdwa s[8:9], v6, v12 src0_sel:BYTE_0 src1_sel:DWORD
	s_andn2_b64 s[4:5], s[4:5], exec
	s_and_b64 s[8:9], s[8:9], exec
	s_or_b64 s[4:5], s[4:5], s[8:9]
	s_or_b64 exec, exec, s[6:7]
	s_and_saveexec_b64 s[6:7], s[4:5]
	s_cbranch_execnz .LBB8_47
	s_branch .LBB8_48
.LBB8_2097:
	s_movk_i32 s4, 0x80
	v_cmp_eq_u16_e32 vcc, s4, v6
	s_mov_b64 s[4:5], -1
                                        ; implicit-def: $sgpr10
	s_and_saveexec_b64 s[8:9], vcc
; %bb.2098:
	s_mov_b32 s10, 0x7f800001
	s_xor_b64 s[4:5], exec, -1
; %bb.2099:
	s_or_b64 exec, exec, s[8:9]
	s_and_b64 s[4:5], s[4:5], exec
                                        ; implicit-def: $vgpr6
	s_or_saveexec_b64 s[6:7], s[6:7]
	v_mov_b32_e32 v2, s10
	s_xor_b64 exec, exec, s[6:7]
	s_cbranch_execz .LBB8_50
.LBB8_2100:
	v_cmp_ne_u16_e32 vcc, 0, v6
	s_andn2_b64 s[4:5], s[4:5], exec
	s_and_b64 s[8:9], vcc, exec
	v_mov_b32_e32 v2, 0
	s_or_b64 s[4:5], s[4:5], s[8:9]
	s_or_b64 exec, exec, s[6:7]
	s_and_saveexec_b64 s[6:7], s[4:5]
	s_cbranch_execnz .LBB8_51
	s_branch .LBB8_52
.LBB8_2101:
	s_movk_i32 s4, 0x80
	v_cmp_eq_u16_e32 vcc, s4, v6
	s_mov_b64 s[4:5], -1
                                        ; implicit-def: $sgpr10
	s_and_saveexec_b64 s[8:9], vcc
; %bb.2102:
	s_mov_b32 s10, 0x7f800001
	s_xor_b64 s[4:5], exec, -1
; %bb.2103:
	s_or_b64 exec, exec, s[8:9]
	s_and_b64 s[4:5], s[4:5], exec
                                        ; implicit-def: $vgpr6
	s_or_saveexec_b64 s[6:7], s[6:7]
	v_mov_b32_e32 v12, s10
	s_xor_b64 exec, exec, s[6:7]
	s_cbranch_execz .LBB8_54
.LBB8_2104:
	v_cmp_ne_u16_e32 vcc, 0, v6
	s_andn2_b64 s[4:5], s[4:5], exec
	s_and_b64 s[8:9], vcc, exec
	v_mov_b32_e32 v12, 0
	s_or_b64 s[4:5], s[4:5], s[8:9]
	s_or_b64 exec, exec, s[6:7]
	s_and_saveexec_b64 s[6:7], s[4:5]
	s_cbranch_execnz .LBB8_55
	s_branch .LBB8_56
.LBB8_2105:
	s_movk_i32 s4, 0x80
	v_cmp_eq_u16_sdwa s[12:13], v7, s4 src0_sel:BYTE_3 src1_sel:DWORD
	s_mov_b64 s[4:5], -1
                                        ; implicit-def: $sgpr10
	s_and_saveexec_b64 s[8:9], s[12:13]
; %bb.2106:
	s_mov_b32 s10, 0x7f800001
	s_xor_b64 s[4:5], exec, -1
; %bb.2107:
	s_or_b64 exec, exec, s[8:9]
	s_and_b64 s[4:5], s[4:5], exec
	s_or_saveexec_b64 s[6:7], s[6:7]
	v_mov_b32_e32 v2, s10
	s_xor_b64 exec, exec, s[6:7]
	s_cbranch_execz .LBB8_58
.LBB8_2108:
	v_mov_b32_e32 v2, 0
	v_cmp_ne_u16_sdwa s[8:9], v7, v2 src0_sel:BYTE_3 src1_sel:DWORD
	s_andn2_b64 s[4:5], s[4:5], exec
	s_and_b64 s[8:9], s[8:9], exec
	s_or_b64 s[4:5], s[4:5], s[8:9]
	s_or_b64 exec, exec, s[6:7]
	s_and_saveexec_b64 s[6:7], s[4:5]
	s_cbranch_execnz .LBB8_59
	s_branch .LBB8_60
.LBB8_2109:
	s_movk_i32 s4, 0x80
	v_cmp_eq_u16_sdwa s[12:13], v3, s4 src0_sel:BYTE_3 src1_sel:DWORD
	s_mov_b64 s[4:5], -1
                                        ; implicit-def: $sgpr10
	s_and_saveexec_b64 s[8:9], s[12:13]
; %bb.2110:
	s_mov_b32 s10, 0x7f800001
	s_xor_b64 s[4:5], exec, -1
; %bb.2111:
	s_or_b64 exec, exec, s[8:9]
	s_and_b64 s[4:5], s[4:5], exec
	s_or_saveexec_b64 s[6:7], s[6:7]
	v_mov_b32_e32 v6, s10
	s_xor_b64 exec, exec, s[6:7]
	s_cbranch_execz .LBB8_62
.LBB8_2112:
	v_mov_b32_e32 v6, 0
	v_cmp_ne_u16_sdwa s[8:9], v3, v6 src0_sel:BYTE_3 src1_sel:DWORD
	s_andn2_b64 s[4:5], s[4:5], exec
	s_and_b64 s[8:9], s[8:9], exec
	s_or_b64 s[4:5], s[4:5], s[8:9]
	s_or_b64 exec, exec, s[6:7]
	s_and_saveexec_b64 s[6:7], s[4:5]
	s_cbranch_execnz .LBB8_63
	s_branch .LBB8_64
.LBB8_2113:
	s_movk_i32 s4, 0x80
	v_cmp_eq_u16_sdwa s[12:13], v8, s4 src0_sel:BYTE_0 src1_sel:DWORD
	s_mov_b64 s[4:5], -1
                                        ; implicit-def: $sgpr10
	s_and_saveexec_b64 s[8:9], s[12:13]
; %bb.2114:
	s_mov_b32 s10, 0x7f800001
	s_xor_b64 s[4:5], exec, -1
; %bb.2115:
	s_or_b64 exec, exec, s[8:9]
	s_and_b64 s[4:5], s[4:5], exec
	s_or_saveexec_b64 s[6:7], s[6:7]
	v_mov_b32_e32 v2, s10
	s_xor_b64 exec, exec, s[6:7]
	s_cbranch_execz .LBB8_66
.LBB8_2116:
	v_mov_b32_e32 v2, 0
	v_cmp_ne_u16_sdwa s[8:9], v8, v2 src0_sel:BYTE_0 src1_sel:DWORD
	s_andn2_b64 s[4:5], s[4:5], exec
	s_and_b64 s[8:9], s[8:9], exec
	s_or_b64 s[4:5], s[4:5], s[8:9]
	s_or_b64 exec, exec, s[6:7]
	s_and_saveexec_b64 s[6:7], s[4:5]
	s_cbranch_execnz .LBB8_67
	s_branch .LBB8_68
.LBB8_2117:
	s_movk_i32 s4, 0x80
	v_cmp_eq_u16_sdwa s[12:13], v4, s4 src0_sel:BYTE_0 src1_sel:DWORD
	s_mov_b64 s[4:5], -1
                                        ; implicit-def: $sgpr10
	s_and_saveexec_b64 s[8:9], s[12:13]
; %bb.2118:
	s_mov_b32 s10, 0x7f800001
	s_xor_b64 s[4:5], exec, -1
; %bb.2119:
	s_or_b64 exec, exec, s[8:9]
	s_and_b64 s[4:5], s[4:5], exec
	s_or_saveexec_b64 s[6:7], s[6:7]
	v_mov_b32_e32 v3, s10
	s_xor_b64 exec, exec, s[6:7]
	s_cbranch_execz .LBB8_70
.LBB8_2120:
	v_mov_b32_e32 v3, 0
	v_cmp_ne_u16_sdwa s[8:9], v4, v3 src0_sel:BYTE_0 src1_sel:DWORD
	s_andn2_b64 s[4:5], s[4:5], exec
	s_and_b64 s[8:9], s[8:9], exec
	s_or_b64 s[4:5], s[4:5], s[8:9]
	s_or_b64 exec, exec, s[6:7]
	s_and_saveexec_b64 s[6:7], s[4:5]
	s_cbranch_execnz .LBB8_71
	s_branch .LBB8_72
.LBB8_2121:
	s_movk_i32 s4, 0x80
	v_cmp_eq_u16_sdwa s[12:13], v3, s4 src0_sel:BYTE_0 src1_sel:DWORD
	s_mov_b64 s[4:5], -1
                                        ; implicit-def: $sgpr10
	s_and_saveexec_b64 s[8:9], s[12:13]
; %bb.2122:
	s_mov_b32 s10, 0x7f800001
	s_xor_b64 s[4:5], exec, -1
; %bb.2123:
	s_or_b64 exec, exec, s[8:9]
	s_and_b64 s[4:5], s[4:5], exec
	s_or_saveexec_b64 s[6:7], s[6:7]
	v_mov_b32_e32 v2, s10
	s_xor_b64 exec, exec, s[6:7]
	s_cbranch_execz .LBB8_74
.LBB8_2124:
	v_mov_b32_e32 v2, 0
	v_cmp_ne_u16_sdwa s[8:9], v3, v2 src0_sel:BYTE_0 src1_sel:DWORD
	s_andn2_b64 s[4:5], s[4:5], exec
	s_and_b64 s[8:9], s[8:9], exec
	s_or_b64 s[4:5], s[4:5], s[8:9]
	s_or_b64 exec, exec, s[6:7]
	s_and_saveexec_b64 s[6:7], s[4:5]
	s_cbranch_execnz .LBB8_75
	s_branch .LBB8_76
.LBB8_2125:
	s_movk_i32 s4, 0x80
	v_cmp_eq_u16_sdwa s[12:13], v3, s4 src0_sel:BYTE_0 src1_sel:DWORD
	s_mov_b64 s[4:5], -1
                                        ; implicit-def: $sgpr10
	s_and_saveexec_b64 s[8:9], s[12:13]
; %bb.2126:
	s_mov_b32 s10, 0x7f800001
	s_xor_b64 s[4:5], exec, -1
; %bb.2127:
	s_or_b64 exec, exec, s[8:9]
	s_and_b64 s[4:5], s[4:5], exec
	s_or_saveexec_b64 s[6:7], s[6:7]
	v_mov_b32_e32 v6, s10
	s_xor_b64 exec, exec, s[6:7]
	s_cbranch_execz .LBB8_78
.LBB8_2128:
	v_mov_b32_e32 v6, 0
	v_cmp_ne_u16_sdwa s[8:9], v3, v6 src0_sel:BYTE_0 src1_sel:DWORD
	s_andn2_b64 s[4:5], s[4:5], exec
	s_and_b64 s[8:9], s[8:9], exec
	s_or_b64 s[4:5], s[4:5], s[8:9]
	s_or_b64 exec, exec, s[6:7]
	s_and_saveexec_b64 s[6:7], s[4:5]
	s_cbranch_execnz .LBB8_79
	s_branch .LBB8_80
.LBB8_2129:
	s_movk_i32 s4, 0x80
	v_cmp_eq_u16_e32 vcc, s4, v3
	s_mov_b64 s[4:5], -1
                                        ; implicit-def: $sgpr10
	s_and_saveexec_b64 s[8:9], vcc
; %bb.2130:
	s_mov_b32 s10, 0x7f800001
	s_xor_b64 s[4:5], exec, -1
; %bb.2131:
	s_or_b64 exec, exec, s[8:9]
	s_and_b64 s[4:5], s[4:5], exec
                                        ; implicit-def: $vgpr3
	s_or_saveexec_b64 s[6:7], s[6:7]
	v_mov_b32_e32 v2, s10
	s_xor_b64 exec, exec, s[6:7]
	s_cbranch_execz .LBB8_82
.LBB8_2132:
	v_cmp_ne_u16_e32 vcc, 0, v3
	s_andn2_b64 s[4:5], s[4:5], exec
	s_and_b64 s[8:9], vcc, exec
	v_mov_b32_e32 v2, 0
	s_or_b64 s[4:5], s[4:5], s[8:9]
	s_or_b64 exec, exec, s[6:7]
	s_and_saveexec_b64 s[6:7], s[4:5]
	s_cbranch_execnz .LBB8_83
	s_branch .LBB8_84
.LBB8_2133:
	s_movk_i32 s4, 0x80
	v_cmp_eq_u16_e32 vcc, s4, v3
	s_mov_b64 s[4:5], -1
                                        ; implicit-def: $sgpr10
	s_and_saveexec_b64 s[8:9], vcc
; %bb.2134:
	s_mov_b32 s10, 0x7f800001
	s_xor_b64 s[4:5], exec, -1
; %bb.2135:
	s_or_b64 exec, exec, s[8:9]
	s_and_b64 s[4:5], s[4:5], exec
                                        ; implicit-def: $vgpr3
	s_or_saveexec_b64 s[6:7], s[6:7]
	v_mov_b32_e32 v6, s10
	s_xor_b64 exec, exec, s[6:7]
	s_cbranch_execz .LBB8_86
.LBB8_2136:
	v_cmp_ne_u16_e32 vcc, 0, v3
	s_andn2_b64 s[4:5], s[4:5], exec
	s_and_b64 s[8:9], vcc, exec
	v_mov_b32_e32 v6, 0
	s_or_b64 s[4:5], s[4:5], s[8:9]
	s_or_b64 exec, exec, s[6:7]
	s_and_saveexec_b64 s[6:7], s[4:5]
	s_cbranch_execnz .LBB8_87
	s_branch .LBB8_88
.LBB8_2137:
	s_movk_i32 s4, 0x80
	v_cmp_eq_u16_sdwa s[12:13], v8, s4 src0_sel:BYTE_3 src1_sel:DWORD
	s_mov_b64 s[4:5], -1
                                        ; implicit-def: $sgpr10
	s_and_saveexec_b64 s[8:9], s[12:13]
; %bb.2138:
	s_mov_b32 s10, 0x7f800001
	s_xor_b64 s[4:5], exec, -1
; %bb.2139:
	s_or_b64 exec, exec, s[8:9]
	s_and_b64 s[4:5], s[4:5], exec
	s_or_saveexec_b64 s[6:7], s[6:7]
	v_mov_b32_e32 v2, s10
	s_xor_b64 exec, exec, s[6:7]
	s_cbranch_execz .LBB8_90
.LBB8_2140:
	v_mov_b32_e32 v2, 0
	v_cmp_ne_u16_sdwa s[8:9], v8, v2 src0_sel:BYTE_3 src1_sel:DWORD
	s_andn2_b64 s[4:5], s[4:5], exec
	s_and_b64 s[8:9], s[8:9], exec
	s_or_b64 s[4:5], s[4:5], s[8:9]
	s_or_b64 exec, exec, s[6:7]
	s_and_saveexec_b64 s[6:7], s[4:5]
	s_cbranch_execnz .LBB8_91
	s_branch .LBB8_92
.LBB8_2141:
	s_movk_i32 s4, 0x80
	v_cmp_eq_u16_sdwa s[12:13], v4, s4 src0_sel:BYTE_3 src1_sel:DWORD
	s_mov_b64 s[4:5], -1
                                        ; implicit-def: $sgpr10
	s_and_saveexec_b64 s[8:9], s[12:13]
; %bb.2142:
	s_mov_b32 s10, 0x7f800001
	s_xor_b64 s[4:5], exec, -1
; %bb.2143:
	s_or_b64 exec, exec, s[8:9]
	s_and_b64 s[4:5], s[4:5], exec
	s_or_saveexec_b64 s[6:7], s[6:7]
	v_mov_b32_e32 v3, s10
	s_xor_b64 exec, exec, s[6:7]
	s_cbranch_execz .LBB8_94
.LBB8_2144:
	v_mov_b32_e32 v3, 0
	v_cmp_ne_u16_sdwa s[8:9], v4, v3 src0_sel:BYTE_3 src1_sel:DWORD
	s_andn2_b64 s[4:5], s[4:5], exec
	s_and_b64 s[8:9], s[8:9], exec
	s_or_b64 s[4:5], s[4:5], s[8:9]
	s_or_b64 exec, exec, s[6:7]
	s_and_saveexec_b64 s[6:7], s[4:5]
	s_cbranch_execnz .LBB8_95
	s_branch .LBB8_96
.LBB8_2145:
	s_movk_i32 s4, 0x80
	v_cmp_eq_u16_sdwa s[12:13], v9, s4 src0_sel:BYTE_0 src1_sel:DWORD
	s_mov_b64 s[4:5], -1
                                        ; implicit-def: $sgpr10
	s_and_saveexec_b64 s[8:9], s[12:13]
; %bb.2146:
	s_mov_b32 s10, 0x7f800001
	s_xor_b64 s[4:5], exec, -1
; %bb.2147:
	s_or_b64 exec, exec, s[8:9]
	s_and_b64 s[4:5], s[4:5], exec
	s_or_saveexec_b64 s[6:7], s[6:7]
	v_mov_b32_e32 v2, s10
	s_xor_b64 exec, exec, s[6:7]
	s_cbranch_execz .LBB8_98
.LBB8_2148:
	v_mov_b32_e32 v2, 0
	v_cmp_ne_u16_sdwa s[8:9], v9, v2 src0_sel:BYTE_0 src1_sel:DWORD
	s_andn2_b64 s[4:5], s[4:5], exec
	s_and_b64 s[8:9], s[8:9], exec
	s_or_b64 s[4:5], s[4:5], s[8:9]
	s_or_b64 exec, exec, s[6:7]
	s_and_saveexec_b64 s[6:7], s[4:5]
	s_cbranch_execnz .LBB8_99
	s_branch .LBB8_100
.LBB8_2149:
	s_movk_i32 s4, 0x80
	v_cmp_eq_u16_sdwa s[12:13], v5, s4 src0_sel:BYTE_0 src1_sel:DWORD
	s_mov_b64 s[4:5], -1
                                        ; implicit-def: $sgpr10
	s_and_saveexec_b64 s[8:9], s[12:13]
; %bb.2150:
	s_mov_b32 s10, 0x7f800001
	s_xor_b64 s[4:5], exec, -1
; %bb.2151:
	s_or_b64 exec, exec, s[8:9]
	s_and_b64 s[4:5], s[4:5], exec
	s_or_saveexec_b64 s[6:7], s[6:7]
	v_mov_b32_e32 v3, s10
	s_xor_b64 exec, exec, s[6:7]
	s_cbranch_execz .LBB8_102
.LBB8_2152:
	v_mov_b32_e32 v3, 0
	v_cmp_ne_u16_sdwa s[8:9], v5, v3 src0_sel:BYTE_0 src1_sel:DWORD
	s_andn2_b64 s[4:5], s[4:5], exec
	s_and_b64 s[8:9], s[8:9], exec
	s_or_b64 s[4:5], s[4:5], s[8:9]
	s_or_b64 exec, exec, s[6:7]
	s_and_saveexec_b64 s[6:7], s[4:5]
	s_cbranch_execnz .LBB8_103
	s_branch .LBB8_104
.LBB8_2153:
	s_movk_i32 s4, 0x80
	v_cmp_eq_u16_sdwa s[12:13], v3, s4 src0_sel:BYTE_0 src1_sel:DWORD
	s_mov_b64 s[4:5], -1
                                        ; implicit-def: $sgpr10
	s_and_saveexec_b64 s[8:9], s[12:13]
; %bb.2154:
	s_mov_b32 s10, 0x7f800001
	s_xor_b64 s[4:5], exec, -1
; %bb.2155:
	s_or_b64 exec, exec, s[8:9]
	s_and_b64 s[4:5], s[4:5], exec
	s_or_saveexec_b64 s[6:7], s[6:7]
	v_mov_b32_e32 v2, s10
	s_xor_b64 exec, exec, s[6:7]
	s_cbranch_execz .LBB8_106
.LBB8_2156:
	v_mov_b32_e32 v2, 0
	v_cmp_ne_u16_sdwa s[8:9], v3, v2 src0_sel:BYTE_0 src1_sel:DWORD
	s_andn2_b64 s[4:5], s[4:5], exec
	s_and_b64 s[8:9], s[8:9], exec
	s_or_b64 s[4:5], s[4:5], s[8:9]
	s_or_b64 exec, exec, s[6:7]
	s_and_saveexec_b64 s[6:7], s[4:5]
	s_cbranch_execnz .LBB8_107
	s_branch .LBB8_108
.LBB8_2157:
	s_movk_i32 s4, 0x80
	v_cmp_eq_u16_sdwa s[12:13], v3, s4 src0_sel:BYTE_0 src1_sel:DWORD
	s_mov_b64 s[4:5], -1
                                        ; implicit-def: $sgpr10
	s_and_saveexec_b64 s[8:9], s[12:13]
; %bb.2158:
	s_mov_b32 s10, 0x7f800001
	s_xor_b64 s[4:5], exec, -1
; %bb.2159:
	s_or_b64 exec, exec, s[8:9]
	s_and_b64 s[4:5], s[4:5], exec
	s_or_saveexec_b64 s[6:7], s[6:7]
	v_mov_b32_e32 v4, s10
	s_xor_b64 exec, exec, s[6:7]
	s_cbranch_execz .LBB8_110
.LBB8_2160:
	v_mov_b32_e32 v4, 0
	v_cmp_ne_u16_sdwa s[8:9], v3, v4 src0_sel:BYTE_0 src1_sel:DWORD
	s_andn2_b64 s[4:5], s[4:5], exec
	s_and_b64 s[8:9], s[8:9], exec
	s_or_b64 s[4:5], s[4:5], s[8:9]
	s_or_b64 exec, exec, s[6:7]
	s_and_saveexec_b64 s[6:7], s[4:5]
	s_cbranch_execnz .LBB8_111
	s_branch .LBB8_112
.LBB8_2161:
	s_movk_i32 s4, 0x80
	v_cmp_eq_u16_e32 vcc, s4, v3
	s_mov_b64 s[4:5], -1
                                        ; implicit-def: $sgpr10
	s_and_saveexec_b64 s[8:9], vcc
; %bb.2162:
	s_mov_b32 s10, 0x7f800001
	s_xor_b64 s[4:5], exec, -1
; %bb.2163:
	s_or_b64 exec, exec, s[8:9]
	s_and_b64 s[4:5], s[4:5], exec
                                        ; implicit-def: $vgpr3
	s_or_saveexec_b64 s[6:7], s[6:7]
	v_mov_b32_e32 v2, s10
	s_xor_b64 exec, exec, s[6:7]
	s_cbranch_execz .LBB8_114
.LBB8_2164:
	v_cmp_ne_u16_e32 vcc, 0, v3
	s_andn2_b64 s[4:5], s[4:5], exec
	s_and_b64 s[8:9], vcc, exec
	v_mov_b32_e32 v2, 0
	s_or_b64 s[4:5], s[4:5], s[8:9]
	s_or_b64 exec, exec, s[6:7]
	s_and_saveexec_b64 s[6:7], s[4:5]
	s_cbranch_execnz .LBB8_115
	s_branch .LBB8_116
.LBB8_2165:
	s_movk_i32 s4, 0x80
	v_cmp_eq_u16_e32 vcc, s4, v3
	s_mov_b64 s[4:5], -1
                                        ; implicit-def: $sgpr10
	s_and_saveexec_b64 s[8:9], vcc
; %bb.2166:
	s_mov_b32 s10, 0x7f800001
	s_xor_b64 s[4:5], exec, -1
; %bb.2167:
	s_or_b64 exec, exec, s[8:9]
	s_and_b64 s[4:5], s[4:5], exec
                                        ; implicit-def: $vgpr3
	s_or_saveexec_b64 s[6:7], s[6:7]
	v_mov_b32_e32 v4, s10
	s_xor_b64 exec, exec, s[6:7]
	s_cbranch_execz .LBB8_118
.LBB8_2168:
	v_cmp_ne_u16_e32 vcc, 0, v3
	s_andn2_b64 s[4:5], s[4:5], exec
	s_and_b64 s[8:9], vcc, exec
	v_mov_b32_e32 v4, 0
	s_or_b64 s[4:5], s[4:5], s[8:9]
	s_or_b64 exec, exec, s[6:7]
	s_and_saveexec_b64 s[6:7], s[4:5]
	s_cbranch_execnz .LBB8_119
	s_branch .LBB8_120
.LBB8_2169:
	s_movk_i32 s4, 0x80
	v_cmp_eq_u16_sdwa s[12:13], v9, s4 src0_sel:BYTE_3 src1_sel:DWORD
	s_mov_b64 s[4:5], -1
                                        ; implicit-def: $sgpr10
	s_and_saveexec_b64 s[8:9], s[12:13]
; %bb.2170:
	s_mov_b32 s10, 0x7f800001
	s_xor_b64 s[4:5], exec, -1
; %bb.2171:
	s_or_b64 exec, exec, s[8:9]
	s_and_b64 s[4:5], s[4:5], exec
	s_or_saveexec_b64 s[6:7], s[6:7]
	v_mov_b32_e32 v2, s10
	s_xor_b64 exec, exec, s[6:7]
	s_cbranch_execz .LBB8_122
.LBB8_2172:
	v_mov_b32_e32 v2, 0
	v_cmp_ne_u16_sdwa s[8:9], v9, v2 src0_sel:BYTE_3 src1_sel:DWORD
	s_andn2_b64 s[4:5], s[4:5], exec
	s_and_b64 s[8:9], s[8:9], exec
	s_or_b64 s[4:5], s[4:5], s[8:9]
	s_or_b64 exec, exec, s[6:7]
	s_and_saveexec_b64 s[6:7], s[4:5]
	s_cbranch_execnz .LBB8_123
	s_branch .LBB8_124
.LBB8_2173:
	s_movk_i32 s4, 0x80
	v_cmp_eq_u16_sdwa s[12:13], v5, s4 src0_sel:BYTE_3 src1_sel:DWORD
	s_mov_b64 s[4:5], -1
                                        ; implicit-def: $sgpr10
	s_and_saveexec_b64 s[8:9], s[12:13]
; %bb.2174:
	s_mov_b32 s10, 0x7f800001
	s_xor_b64 s[4:5], exec, -1
; %bb.2175:
	s_or_b64 exec, exec, s[8:9]
	s_and_b64 s[4:5], s[4:5], exec
	s_or_saveexec_b64 s[6:7], s[6:7]
	v_mov_b32_e32 v3, s10
	s_xor_b64 exec, exec, s[6:7]
	s_cbranch_execz .LBB8_126
.LBB8_2176:
	v_mov_b32_e32 v3, 0
	v_cmp_ne_u16_sdwa s[8:9], v5, v3 src0_sel:BYTE_3 src1_sel:DWORD
	s_andn2_b64 s[4:5], s[4:5], exec
	s_and_b64 s[8:9], s[8:9], exec
	s_or_b64 s[4:5], s[4:5], s[8:9]
	s_or_b64 exec, exec, s[6:7]
	s_and_saveexec_b64 s[6:7], s[4:5]
	s_cbranch_execnz .LBB8_127
	s_branch .LBB8_128
.LBB8_2177:
	s_movk_i32 s4, 0x80
	v_cmp_eq_u16_sdwa s[12:13], v6, s4 src0_sel:BYTE_0 src1_sel:DWORD
	s_mov_b64 s[4:5], -1
                                        ; implicit-def: $sgpr10
	s_and_saveexec_b64 s[8:9], s[12:13]
; %bb.2178:
	s_mov_b32 s10, 0x7f800001
	s_xor_b64 s[4:5], exec, -1
; %bb.2179:
	s_or_b64 exec, exec, s[8:9]
	s_and_b64 s[4:5], s[4:5], exec
	s_or_saveexec_b64 s[6:7], s[6:7]
	v_mov_b32_e32 v12, s10
	s_xor_b64 exec, exec, s[6:7]
	s_cbranch_execz .LBB8_130
.LBB8_2180:
	v_mov_b32_e32 v12, 0
	v_cmp_ne_u16_sdwa s[8:9], v6, v12 src0_sel:BYTE_0 src1_sel:DWORD
	s_andn2_b64 s[4:5], s[4:5], exec
	s_and_b64 s[8:9], s[8:9], exec
	s_or_b64 s[4:5], s[4:5], s[8:9]
	s_or_b64 exec, exec, s[6:7]
	s_and_saveexec_b64 s[6:7], s[4:5]
	s_cbranch_execnz .LBB8_131
	s_branch .LBB8_132
.LBB8_2181:
	s_movk_i32 s4, 0x80
	v_cmp_eq_u16_sdwa s[12:13], v2, s4 src0_sel:BYTE_0 src1_sel:DWORD
	s_mov_b64 s[4:5], -1
                                        ; implicit-def: $sgpr10
	s_and_saveexec_b64 s[8:9], s[12:13]
; %bb.2182:
	s_mov_b32 s10, 0x7f800001
	s_xor_b64 s[4:5], exec, -1
; %bb.2183:
	s_or_b64 exec, exec, s[8:9]
	s_and_b64 s[4:5], s[4:5], exec
	s_or_saveexec_b64 s[6:7], s[6:7]
	v_mov_b32_e32 v13, s10
	s_xor_b64 exec, exec, s[6:7]
	s_cbranch_execz .LBB8_134
.LBB8_2184:
	v_mov_b32_e32 v13, 0
	v_cmp_ne_u16_sdwa s[8:9], v2, v13 src0_sel:BYTE_0 src1_sel:DWORD
	s_andn2_b64 s[4:5], s[4:5], exec
	s_and_b64 s[8:9], s[8:9], exec
	s_or_b64 s[4:5], s[4:5], s[8:9]
	s_or_b64 exec, exec, s[6:7]
	s_and_saveexec_b64 s[6:7], s[4:5]
	s_cbranch_execnz .LBB8_135
	s_branch .LBB8_136
.LBB8_2185:
	s_movk_i32 s4, 0x80
	v_cmp_eq_u16_sdwa s[12:13], v13, s4 src0_sel:BYTE_0 src1_sel:DWORD
	s_mov_b64 s[4:5], -1
                                        ; implicit-def: $sgpr10
	s_and_saveexec_b64 s[8:9], s[12:13]
; %bb.2186:
	s_mov_b32 s10, 0x7f800001
	s_xor_b64 s[4:5], exec, -1
; %bb.2187:
	s_or_b64 exec, exec, s[8:9]
	s_and_b64 s[4:5], s[4:5], exec
	s_or_saveexec_b64 s[6:7], s[6:7]
	v_mov_b32_e32 v12, s10
	s_xor_b64 exec, exec, s[6:7]
	s_cbranch_execz .LBB8_138
.LBB8_2188:
	v_mov_b32_e32 v12, 0
	v_cmp_ne_u16_sdwa s[8:9], v13, v12 src0_sel:BYTE_0 src1_sel:DWORD
	s_andn2_b64 s[4:5], s[4:5], exec
	s_and_b64 s[8:9], s[8:9], exec
	s_or_b64 s[4:5], s[4:5], s[8:9]
	s_or_b64 exec, exec, s[6:7]
	s_and_saveexec_b64 s[6:7], s[4:5]
	s_cbranch_execnz .LBB8_139
	s_branch .LBB8_140
.LBB8_2189:
	s_movk_i32 s4, 0x80
	v_cmp_eq_u16_sdwa s[12:13], v13, s4 src0_sel:BYTE_0 src1_sel:DWORD
	s_mov_b64 s[4:5], -1
                                        ; implicit-def: $sgpr10
	s_and_saveexec_b64 s[8:9], s[12:13]
; %bb.2190:
	s_mov_b32 s10, 0x7f800001
	s_xor_b64 s[4:5], exec, -1
; %bb.2191:
	s_or_b64 exec, exec, s[8:9]
	s_and_b64 s[4:5], s[4:5], exec
	s_or_saveexec_b64 s[6:7], s[6:7]
	v_mov_b32_e32 v14, s10
	s_xor_b64 exec, exec, s[6:7]
	s_cbranch_execz .LBB8_142
.LBB8_2192:
	v_mov_b32_e32 v14, 0
	v_cmp_ne_u16_sdwa s[8:9], v13, v14 src0_sel:BYTE_0 src1_sel:DWORD
	s_andn2_b64 s[4:5], s[4:5], exec
	s_and_b64 s[8:9], s[8:9], exec
	s_or_b64 s[4:5], s[4:5], s[8:9]
	s_or_b64 exec, exec, s[6:7]
	s_and_saveexec_b64 s[6:7], s[4:5]
	s_cbranch_execnz .LBB8_143
	s_branch .LBB8_144
.LBB8_2193:
	s_movk_i32 s4, 0x80
	v_cmp_eq_u16_e32 vcc, s4, v13
	s_mov_b64 s[4:5], -1
                                        ; implicit-def: $sgpr10
	s_and_saveexec_b64 s[8:9], vcc
; %bb.2194:
	s_mov_b32 s10, 0x7f800001
	s_xor_b64 s[4:5], exec, -1
; %bb.2195:
	s_or_b64 exec, exec, s[8:9]
	s_and_b64 s[4:5], s[4:5], exec
                                        ; implicit-def: $vgpr13
	s_or_saveexec_b64 s[6:7], s[6:7]
	v_mov_b32_e32 v12, s10
	s_xor_b64 exec, exec, s[6:7]
	s_cbranch_execz .LBB8_146
.LBB8_2196:
	v_cmp_ne_u16_e32 vcc, 0, v13
	s_andn2_b64 s[4:5], s[4:5], exec
	s_and_b64 s[8:9], vcc, exec
	v_mov_b32_e32 v12, 0
	s_or_b64 s[4:5], s[4:5], s[8:9]
	s_or_b64 exec, exec, s[6:7]
	s_and_saveexec_b64 s[6:7], s[4:5]
	s_cbranch_execnz .LBB8_147
	s_branch .LBB8_148
.LBB8_2197:
	s_movk_i32 s4, 0x80
	v_cmp_eq_u16_e32 vcc, s4, v13
	s_mov_b64 s[4:5], -1
                                        ; implicit-def: $sgpr10
	s_and_saveexec_b64 s[8:9], vcc
; %bb.2198:
	s_mov_b32 s10, 0x7f800001
	s_xor_b64 s[4:5], exec, -1
; %bb.2199:
	s_or_b64 exec, exec, s[8:9]
	s_and_b64 s[4:5], s[4:5], exec
                                        ; implicit-def: $vgpr13
	s_or_saveexec_b64 s[6:7], s[6:7]
	v_mov_b32_e32 v14, s10
	s_xor_b64 exec, exec, s[6:7]
	s_cbranch_execz .LBB8_150
.LBB8_2200:
	v_cmp_ne_u16_e32 vcc, 0, v13
	s_andn2_b64 s[4:5], s[4:5], exec
	s_and_b64 s[8:9], vcc, exec
	v_mov_b32_e32 v14, 0
	s_or_b64 s[4:5], s[4:5], s[8:9]
	s_or_b64 exec, exec, s[6:7]
	s_and_saveexec_b64 s[6:7], s[4:5]
	s_cbranch_execnz .LBB8_151
	s_branch .LBB8_152
.LBB8_2201:
	s_movk_i32 s4, 0x80
	v_cmp_eq_u16_sdwa s[12:13], v6, s4 src0_sel:BYTE_3 src1_sel:DWORD
	s_mov_b64 s[4:5], -1
                                        ; implicit-def: $sgpr10
	s_and_saveexec_b64 s[8:9], s[12:13]
; %bb.2202:
	s_mov_b32 s10, 0x7f800001
	s_xor_b64 s[4:5], exec, -1
; %bb.2203:
	s_or_b64 exec, exec, s[8:9]
	s_and_b64 s[4:5], s[4:5], exec
	s_or_saveexec_b64 s[6:7], s[6:7]
	v_mov_b32_e32 v12, s10
	s_xor_b64 exec, exec, s[6:7]
	s_cbranch_execz .LBB8_154
.LBB8_2204:
	v_mov_b32_e32 v12, 0
	v_cmp_ne_u16_sdwa s[8:9], v6, v12 src0_sel:BYTE_3 src1_sel:DWORD
	s_andn2_b64 s[4:5], s[4:5], exec
	s_and_b64 s[8:9], s[8:9], exec
	s_or_b64 s[4:5], s[4:5], s[8:9]
	s_or_b64 exec, exec, s[6:7]
	s_and_saveexec_b64 s[6:7], s[4:5]
	s_cbranch_execnz .LBB8_155
	s_branch .LBB8_156
.LBB8_2205:
	s_movk_i32 s4, 0x80
	v_cmp_eq_u16_sdwa s[12:13], v2, s4 src0_sel:BYTE_3 src1_sel:DWORD
	s_mov_b64 s[4:5], -1
                                        ; implicit-def: $sgpr10
	s_and_saveexec_b64 s[8:9], s[12:13]
; %bb.2206:
	s_mov_b32 s10, 0x7f800001
	s_xor_b64 s[4:5], exec, -1
; %bb.2207:
	s_or_b64 exec, exec, s[8:9]
	s_and_b64 s[4:5], s[4:5], exec
	s_or_saveexec_b64 s[6:7], s[6:7]
	v_mov_b32_e32 v6, s10
	s_xor_b64 exec, exec, s[6:7]
	s_cbranch_execz .LBB8_158
.LBB8_2208:
	v_mov_b32_e32 v6, 0
	v_cmp_ne_u16_sdwa s[8:9], v2, v6 src0_sel:BYTE_3 src1_sel:DWORD
	s_andn2_b64 s[4:5], s[4:5], exec
	s_and_b64 s[8:9], s[8:9], exec
	s_or_b64 s[4:5], s[4:5], s[8:9]
	s_or_b64 exec, exec, s[6:7]
	s_and_saveexec_b64 s[6:7], s[4:5]
	s_cbranch_execnz .LBB8_159
	s_branch .LBB8_160
.LBB8_2209:
	s_movk_i32 s4, 0x80
	v_cmp_eq_u16_sdwa s[12:13], v7, s4 src0_sel:BYTE_0 src1_sel:DWORD
	s_mov_b64 s[4:5], -1
                                        ; implicit-def: $sgpr10
	s_and_saveexec_b64 s[8:9], s[12:13]
; %bb.2210:
	s_mov_b32 s10, 0x7f800001
	s_xor_b64 s[4:5], exec, -1
; %bb.2211:
	s_or_b64 exec, exec, s[8:9]
	s_and_b64 s[4:5], s[4:5], exec
	s_or_saveexec_b64 s[6:7], s[6:7]
	v_mov_b32_e32 v2, s10
	s_xor_b64 exec, exec, s[6:7]
	s_cbranch_execz .LBB8_162
.LBB8_2212:
	v_mov_b32_e32 v2, 0
	v_cmp_ne_u16_sdwa s[8:9], v7, v2 src0_sel:BYTE_0 src1_sel:DWORD
	s_andn2_b64 s[4:5], s[4:5], exec
	s_and_b64 s[8:9], s[8:9], exec
	s_or_b64 s[4:5], s[4:5], s[8:9]
	s_or_b64 exec, exec, s[6:7]
	s_and_saveexec_b64 s[6:7], s[4:5]
	s_cbranch_execnz .LBB8_163
	s_branch .LBB8_164
.LBB8_2213:
	s_movk_i32 s4, 0x80
	v_cmp_eq_u16_sdwa s[12:13], v3, s4 src0_sel:BYTE_0 src1_sel:DWORD
	s_mov_b64 s[4:5], -1
                                        ; implicit-def: $sgpr10
	s_and_saveexec_b64 s[8:9], s[12:13]
; %bb.2214:
	s_mov_b32 s10, 0x7f800001
	s_xor_b64 s[4:5], exec, -1
; %bb.2215:
	s_or_b64 exec, exec, s[8:9]
	s_and_b64 s[4:5], s[4:5], exec
	s_or_saveexec_b64 s[6:7], s[6:7]
	v_mov_b32_e32 v6, s10
	s_xor_b64 exec, exec, s[6:7]
	s_cbranch_execz .LBB8_166
.LBB8_2216:
	v_mov_b32_e32 v6, 0
	v_cmp_ne_u16_sdwa s[8:9], v3, v6 src0_sel:BYTE_0 src1_sel:DWORD
	s_andn2_b64 s[4:5], s[4:5], exec
	s_and_b64 s[8:9], s[8:9], exec
	s_or_b64 s[4:5], s[4:5], s[8:9]
	s_or_b64 exec, exec, s[6:7]
	s_and_saveexec_b64 s[6:7], s[4:5]
	s_cbranch_execnz .LBB8_167
	s_branch .LBB8_168
.LBB8_2217:
	s_movk_i32 s4, 0x80
	v_cmp_eq_u16_sdwa s[12:13], v6, s4 src0_sel:BYTE_0 src1_sel:DWORD
	s_mov_b64 s[4:5], -1
                                        ; implicit-def: $sgpr10
	s_and_saveexec_b64 s[8:9], s[12:13]
; %bb.2218:
	s_mov_b32 s10, 0x7f800001
	s_xor_b64 s[4:5], exec, -1
; %bb.2219:
	s_or_b64 exec, exec, s[8:9]
	s_and_b64 s[4:5], s[4:5], exec
	s_or_saveexec_b64 s[6:7], s[6:7]
	v_mov_b32_e32 v2, s10
	s_xor_b64 exec, exec, s[6:7]
	s_cbranch_execz .LBB8_170
.LBB8_2220:
	v_mov_b32_e32 v2, 0
	v_cmp_ne_u16_sdwa s[8:9], v6, v2 src0_sel:BYTE_0 src1_sel:DWORD
	s_andn2_b64 s[4:5], s[4:5], exec
	s_and_b64 s[8:9], s[8:9], exec
	s_or_b64 s[4:5], s[4:5], s[8:9]
	s_or_b64 exec, exec, s[6:7]
	s_and_saveexec_b64 s[6:7], s[4:5]
	s_cbranch_execnz .LBB8_171
	s_branch .LBB8_172
.LBB8_2221:
	s_movk_i32 s4, 0x80
	v_cmp_eq_u16_sdwa s[12:13], v6, s4 src0_sel:BYTE_0 src1_sel:DWORD
	s_mov_b64 s[4:5], -1
                                        ; implicit-def: $sgpr10
	s_and_saveexec_b64 s[8:9], s[12:13]
; %bb.2222:
	s_mov_b32 s10, 0x7f800001
	s_xor_b64 s[4:5], exec, -1
; %bb.2223:
	s_or_b64 exec, exec, s[8:9]
	s_and_b64 s[4:5], s[4:5], exec
	s_or_saveexec_b64 s[6:7], s[6:7]
	v_mov_b32_e32 v12, s10
	s_xor_b64 exec, exec, s[6:7]
	s_cbranch_execz .LBB8_174
.LBB8_2224:
	v_mov_b32_e32 v12, 0
	v_cmp_ne_u16_sdwa s[8:9], v6, v12 src0_sel:BYTE_0 src1_sel:DWORD
	s_andn2_b64 s[4:5], s[4:5], exec
	s_and_b64 s[8:9], s[8:9], exec
	s_or_b64 s[4:5], s[4:5], s[8:9]
	s_or_b64 exec, exec, s[6:7]
	s_and_saveexec_b64 s[6:7], s[4:5]
	s_cbranch_execnz .LBB8_175
	s_branch .LBB8_176
.LBB8_2225:
	s_movk_i32 s4, 0x80
	v_cmp_eq_u16_e32 vcc, s4, v6
	s_mov_b64 s[4:5], -1
                                        ; implicit-def: $sgpr10
	s_and_saveexec_b64 s[8:9], vcc
; %bb.2226:
	s_mov_b32 s10, 0x7f800001
	s_xor_b64 s[4:5], exec, -1
; %bb.2227:
	s_or_b64 exec, exec, s[8:9]
	s_and_b64 s[4:5], s[4:5], exec
                                        ; implicit-def: $vgpr6
	s_or_saveexec_b64 s[6:7], s[6:7]
	v_mov_b32_e32 v2, s10
	s_xor_b64 exec, exec, s[6:7]
	s_cbranch_execz .LBB8_178
.LBB8_2228:
	v_cmp_ne_u16_e32 vcc, 0, v6
	s_andn2_b64 s[4:5], s[4:5], exec
	s_and_b64 s[8:9], vcc, exec
	v_mov_b32_e32 v2, 0
	s_or_b64 s[4:5], s[4:5], s[8:9]
	s_or_b64 exec, exec, s[6:7]
	s_and_saveexec_b64 s[6:7], s[4:5]
	s_cbranch_execnz .LBB8_179
	s_branch .LBB8_180
.LBB8_2229:
	s_movk_i32 s4, 0x80
	v_cmp_eq_u16_e32 vcc, s4, v6
	s_mov_b64 s[4:5], -1
                                        ; implicit-def: $sgpr10
	s_and_saveexec_b64 s[8:9], vcc
; %bb.2230:
	s_mov_b32 s10, 0x7f800001
	s_xor_b64 s[4:5], exec, -1
; %bb.2231:
	s_or_b64 exec, exec, s[8:9]
	s_and_b64 s[4:5], s[4:5], exec
                                        ; implicit-def: $vgpr6
	s_or_saveexec_b64 s[6:7], s[6:7]
	v_mov_b32_e32 v12, s10
	s_xor_b64 exec, exec, s[6:7]
	s_cbranch_execz .LBB8_182
.LBB8_2232:
	v_cmp_ne_u16_e32 vcc, 0, v6
	s_andn2_b64 s[4:5], s[4:5], exec
	s_and_b64 s[8:9], vcc, exec
	v_mov_b32_e32 v12, 0
	s_or_b64 s[4:5], s[4:5], s[8:9]
	s_or_b64 exec, exec, s[6:7]
	s_and_saveexec_b64 s[6:7], s[4:5]
	s_cbranch_execnz .LBB8_183
	s_branch .LBB8_184
.LBB8_2233:
	s_movk_i32 s4, 0x80
	v_cmp_eq_u16_sdwa s[12:13], v7, s4 src0_sel:BYTE_3 src1_sel:DWORD
	s_mov_b64 s[4:5], -1
                                        ; implicit-def: $sgpr10
	s_and_saveexec_b64 s[8:9], s[12:13]
; %bb.2234:
	s_mov_b32 s10, 0x7f800001
	s_xor_b64 s[4:5], exec, -1
; %bb.2235:
	s_or_b64 exec, exec, s[8:9]
	s_and_b64 s[4:5], s[4:5], exec
	s_or_saveexec_b64 s[6:7], s[6:7]
	v_mov_b32_e32 v2, s10
	s_xor_b64 exec, exec, s[6:7]
	s_cbranch_execz .LBB8_186
.LBB8_2236:
	v_mov_b32_e32 v2, 0
	v_cmp_ne_u16_sdwa s[8:9], v7, v2 src0_sel:BYTE_3 src1_sel:DWORD
	s_andn2_b64 s[4:5], s[4:5], exec
	s_and_b64 s[8:9], s[8:9], exec
	s_or_b64 s[4:5], s[4:5], s[8:9]
	s_or_b64 exec, exec, s[6:7]
	s_and_saveexec_b64 s[6:7], s[4:5]
	s_cbranch_execnz .LBB8_187
	s_branch .LBB8_188
.LBB8_2237:
	s_movk_i32 s4, 0x80
	v_cmp_eq_u16_sdwa s[12:13], v3, s4 src0_sel:BYTE_3 src1_sel:DWORD
	s_mov_b64 s[4:5], -1
                                        ; implicit-def: $sgpr10
	s_and_saveexec_b64 s[8:9], s[12:13]
; %bb.2238:
	s_mov_b32 s10, 0x7f800001
	s_xor_b64 s[4:5], exec, -1
; %bb.2239:
	s_or_b64 exec, exec, s[8:9]
	s_and_b64 s[4:5], s[4:5], exec
	s_or_saveexec_b64 s[6:7], s[6:7]
	v_mov_b32_e32 v6, s10
	s_xor_b64 exec, exec, s[6:7]
	s_cbranch_execz .LBB8_190
.LBB8_2240:
	v_mov_b32_e32 v6, 0
	v_cmp_ne_u16_sdwa s[8:9], v3, v6 src0_sel:BYTE_3 src1_sel:DWORD
	s_andn2_b64 s[4:5], s[4:5], exec
	s_and_b64 s[8:9], s[8:9], exec
	s_or_b64 s[4:5], s[4:5], s[8:9]
	s_or_b64 exec, exec, s[6:7]
	s_and_saveexec_b64 s[6:7], s[4:5]
	s_cbranch_execnz .LBB8_191
	s_branch .LBB8_192
.LBB8_2241:
	s_movk_i32 s4, 0x80
	v_cmp_eq_u16_sdwa s[12:13], v8, s4 src0_sel:BYTE_0 src1_sel:DWORD
	s_mov_b64 s[4:5], -1
                                        ; implicit-def: $sgpr10
	s_and_saveexec_b64 s[8:9], s[12:13]
; %bb.2242:
	s_mov_b32 s10, 0x7f800001
	s_xor_b64 s[4:5], exec, -1
; %bb.2243:
	s_or_b64 exec, exec, s[8:9]
	s_and_b64 s[4:5], s[4:5], exec
	s_or_saveexec_b64 s[6:7], s[6:7]
	v_mov_b32_e32 v2, s10
	s_xor_b64 exec, exec, s[6:7]
	s_cbranch_execz .LBB8_194
.LBB8_2244:
	v_mov_b32_e32 v2, 0
	v_cmp_ne_u16_sdwa s[8:9], v8, v2 src0_sel:BYTE_0 src1_sel:DWORD
	s_andn2_b64 s[4:5], s[4:5], exec
	s_and_b64 s[8:9], s[8:9], exec
	s_or_b64 s[4:5], s[4:5], s[8:9]
	s_or_b64 exec, exec, s[6:7]
	s_and_saveexec_b64 s[6:7], s[4:5]
	s_cbranch_execnz .LBB8_195
	s_branch .LBB8_196
.LBB8_2245:
	s_movk_i32 s4, 0x80
	v_cmp_eq_u16_sdwa s[12:13], v4, s4 src0_sel:BYTE_0 src1_sel:DWORD
	s_mov_b64 s[4:5], -1
                                        ; implicit-def: $sgpr10
	s_and_saveexec_b64 s[8:9], s[12:13]
; %bb.2246:
	s_mov_b32 s10, 0x7f800001
	s_xor_b64 s[4:5], exec, -1
; %bb.2247:
	s_or_b64 exec, exec, s[8:9]
	s_and_b64 s[4:5], s[4:5], exec
	s_or_saveexec_b64 s[6:7], s[6:7]
	v_mov_b32_e32 v3, s10
	s_xor_b64 exec, exec, s[6:7]
	s_cbranch_execz .LBB8_198
.LBB8_2248:
	v_mov_b32_e32 v3, 0
	v_cmp_ne_u16_sdwa s[8:9], v4, v3 src0_sel:BYTE_0 src1_sel:DWORD
	s_andn2_b64 s[4:5], s[4:5], exec
	s_and_b64 s[8:9], s[8:9], exec
	s_or_b64 s[4:5], s[4:5], s[8:9]
	s_or_b64 exec, exec, s[6:7]
	s_and_saveexec_b64 s[6:7], s[4:5]
	s_cbranch_execnz .LBB8_199
	s_branch .LBB8_200
.LBB8_2249:
	s_movk_i32 s4, 0x80
	v_cmp_eq_u16_sdwa s[12:13], v3, s4 src0_sel:BYTE_0 src1_sel:DWORD
	s_mov_b64 s[4:5], -1
                                        ; implicit-def: $sgpr10
	s_and_saveexec_b64 s[8:9], s[12:13]
; %bb.2250:
	s_mov_b32 s10, 0x7f800001
	s_xor_b64 s[4:5], exec, -1
; %bb.2251:
	s_or_b64 exec, exec, s[8:9]
	s_and_b64 s[4:5], s[4:5], exec
	s_or_saveexec_b64 s[6:7], s[6:7]
	v_mov_b32_e32 v2, s10
	s_xor_b64 exec, exec, s[6:7]
	s_cbranch_execz .LBB8_202
.LBB8_2252:
	v_mov_b32_e32 v2, 0
	v_cmp_ne_u16_sdwa s[8:9], v3, v2 src0_sel:BYTE_0 src1_sel:DWORD
	s_andn2_b64 s[4:5], s[4:5], exec
	s_and_b64 s[8:9], s[8:9], exec
	s_or_b64 s[4:5], s[4:5], s[8:9]
	s_or_b64 exec, exec, s[6:7]
	s_and_saveexec_b64 s[6:7], s[4:5]
	s_cbranch_execnz .LBB8_203
	s_branch .LBB8_204
.LBB8_2253:
	s_movk_i32 s4, 0x80
	v_cmp_eq_u16_sdwa s[12:13], v3, s4 src0_sel:BYTE_0 src1_sel:DWORD
	s_mov_b64 s[4:5], -1
                                        ; implicit-def: $sgpr10
	s_and_saveexec_b64 s[8:9], s[12:13]
; %bb.2254:
	s_mov_b32 s10, 0x7f800001
	s_xor_b64 s[4:5], exec, -1
; %bb.2255:
	s_or_b64 exec, exec, s[8:9]
	s_and_b64 s[4:5], s[4:5], exec
	s_or_saveexec_b64 s[6:7], s[6:7]
	v_mov_b32_e32 v6, s10
	s_xor_b64 exec, exec, s[6:7]
	s_cbranch_execz .LBB8_206
.LBB8_2256:
	v_mov_b32_e32 v6, 0
	v_cmp_ne_u16_sdwa s[8:9], v3, v6 src0_sel:BYTE_0 src1_sel:DWORD
	s_andn2_b64 s[4:5], s[4:5], exec
	s_and_b64 s[8:9], s[8:9], exec
	s_or_b64 s[4:5], s[4:5], s[8:9]
	s_or_b64 exec, exec, s[6:7]
	s_and_saveexec_b64 s[6:7], s[4:5]
	s_cbranch_execnz .LBB8_207
	s_branch .LBB8_208
.LBB8_2257:
	s_movk_i32 s4, 0x80
	v_cmp_eq_u16_e32 vcc, s4, v3
	s_mov_b64 s[4:5], -1
                                        ; implicit-def: $sgpr10
	s_and_saveexec_b64 s[8:9], vcc
; %bb.2258:
	s_mov_b32 s10, 0x7f800001
	s_xor_b64 s[4:5], exec, -1
; %bb.2259:
	s_or_b64 exec, exec, s[8:9]
	s_and_b64 s[4:5], s[4:5], exec
                                        ; implicit-def: $vgpr3
	s_or_saveexec_b64 s[6:7], s[6:7]
	v_mov_b32_e32 v2, s10
	s_xor_b64 exec, exec, s[6:7]
	s_cbranch_execz .LBB8_210
.LBB8_2260:
	v_cmp_ne_u16_e32 vcc, 0, v3
	s_andn2_b64 s[4:5], s[4:5], exec
	s_and_b64 s[8:9], vcc, exec
	v_mov_b32_e32 v2, 0
	s_or_b64 s[4:5], s[4:5], s[8:9]
	s_or_b64 exec, exec, s[6:7]
	s_and_saveexec_b64 s[6:7], s[4:5]
	s_cbranch_execnz .LBB8_211
	s_branch .LBB8_212
.LBB8_2261:
	s_movk_i32 s4, 0x80
	v_cmp_eq_u16_e32 vcc, s4, v3
	s_mov_b64 s[4:5], -1
                                        ; implicit-def: $sgpr10
	s_and_saveexec_b64 s[8:9], vcc
; %bb.2262:
	s_mov_b32 s10, 0x7f800001
	s_xor_b64 s[4:5], exec, -1
; %bb.2263:
	s_or_b64 exec, exec, s[8:9]
	s_and_b64 s[4:5], s[4:5], exec
                                        ; implicit-def: $vgpr3
	s_or_saveexec_b64 s[6:7], s[6:7]
	v_mov_b32_e32 v6, s10
	s_xor_b64 exec, exec, s[6:7]
	s_cbranch_execz .LBB8_214
.LBB8_2264:
	v_cmp_ne_u16_e32 vcc, 0, v3
	s_andn2_b64 s[4:5], s[4:5], exec
	s_and_b64 s[8:9], vcc, exec
	v_mov_b32_e32 v6, 0
	s_or_b64 s[4:5], s[4:5], s[8:9]
	s_or_b64 exec, exec, s[6:7]
	s_and_saveexec_b64 s[6:7], s[4:5]
	s_cbranch_execnz .LBB8_215
	s_branch .LBB8_216
.LBB8_2265:
	s_movk_i32 s4, 0x80
	v_cmp_eq_u16_sdwa s[12:13], v8, s4 src0_sel:BYTE_3 src1_sel:DWORD
	s_mov_b64 s[4:5], -1
                                        ; implicit-def: $sgpr10
	s_and_saveexec_b64 s[8:9], s[12:13]
; %bb.2266:
	s_mov_b32 s10, 0x7f800001
	s_xor_b64 s[4:5], exec, -1
; %bb.2267:
	s_or_b64 exec, exec, s[8:9]
	s_and_b64 s[4:5], s[4:5], exec
	s_or_saveexec_b64 s[6:7], s[6:7]
	v_mov_b32_e32 v2, s10
	s_xor_b64 exec, exec, s[6:7]
	s_cbranch_execz .LBB8_218
.LBB8_2268:
	v_mov_b32_e32 v2, 0
	v_cmp_ne_u16_sdwa s[8:9], v8, v2 src0_sel:BYTE_3 src1_sel:DWORD
	s_andn2_b64 s[4:5], s[4:5], exec
	s_and_b64 s[8:9], s[8:9], exec
	s_or_b64 s[4:5], s[4:5], s[8:9]
	s_or_b64 exec, exec, s[6:7]
	s_and_saveexec_b64 s[6:7], s[4:5]
	s_cbranch_execnz .LBB8_219
	s_branch .LBB8_220
.LBB8_2269:
	s_movk_i32 s4, 0x80
	v_cmp_eq_u16_sdwa s[12:13], v4, s4 src0_sel:BYTE_3 src1_sel:DWORD
	s_mov_b64 s[4:5], -1
                                        ; implicit-def: $sgpr10
	s_and_saveexec_b64 s[8:9], s[12:13]
; %bb.2270:
	s_mov_b32 s10, 0x7f800001
	s_xor_b64 s[4:5], exec, -1
; %bb.2271:
	s_or_b64 exec, exec, s[8:9]
	s_and_b64 s[4:5], s[4:5], exec
	s_or_saveexec_b64 s[6:7], s[6:7]
	v_mov_b32_e32 v3, s10
	s_xor_b64 exec, exec, s[6:7]
	s_cbranch_execz .LBB8_222
.LBB8_2272:
	v_mov_b32_e32 v3, 0
	v_cmp_ne_u16_sdwa s[8:9], v4, v3 src0_sel:BYTE_3 src1_sel:DWORD
	s_andn2_b64 s[4:5], s[4:5], exec
	s_and_b64 s[8:9], s[8:9], exec
	s_or_b64 s[4:5], s[4:5], s[8:9]
	s_or_b64 exec, exec, s[6:7]
	s_and_saveexec_b64 s[6:7], s[4:5]
	s_cbranch_execnz .LBB8_223
	s_branch .LBB8_224
.LBB8_2273:
	s_movk_i32 s4, 0x80
	v_cmp_eq_u16_sdwa s[12:13], v9, s4 src0_sel:BYTE_0 src1_sel:DWORD
	s_mov_b64 s[4:5], -1
                                        ; implicit-def: $sgpr10
	s_and_saveexec_b64 s[8:9], s[12:13]
; %bb.2274:
	s_mov_b32 s10, 0x7f800001
	s_xor_b64 s[4:5], exec, -1
; %bb.2275:
	s_or_b64 exec, exec, s[8:9]
	s_and_b64 s[4:5], s[4:5], exec
	s_or_saveexec_b64 s[6:7], s[6:7]
	v_mov_b32_e32 v2, s10
	s_xor_b64 exec, exec, s[6:7]
	s_cbranch_execz .LBB8_226
.LBB8_2276:
	v_mov_b32_e32 v2, 0
	v_cmp_ne_u16_sdwa s[8:9], v9, v2 src0_sel:BYTE_0 src1_sel:DWORD
	s_andn2_b64 s[4:5], s[4:5], exec
	s_and_b64 s[8:9], s[8:9], exec
	s_or_b64 s[4:5], s[4:5], s[8:9]
	s_or_b64 exec, exec, s[6:7]
	s_and_saveexec_b64 s[6:7], s[4:5]
	s_cbranch_execnz .LBB8_227
	s_branch .LBB8_228
.LBB8_2277:
	s_movk_i32 s4, 0x80
	v_cmp_eq_u16_sdwa s[12:13], v5, s4 src0_sel:BYTE_0 src1_sel:DWORD
	s_mov_b64 s[4:5], -1
                                        ; implicit-def: $sgpr10
	s_and_saveexec_b64 s[8:9], s[12:13]
; %bb.2278:
	s_mov_b32 s10, 0x7f800001
	s_xor_b64 s[4:5], exec, -1
; %bb.2279:
	s_or_b64 exec, exec, s[8:9]
	s_and_b64 s[4:5], s[4:5], exec
	s_or_saveexec_b64 s[6:7], s[6:7]
	v_mov_b32_e32 v3, s10
	s_xor_b64 exec, exec, s[6:7]
	s_cbranch_execz .LBB8_230
.LBB8_2280:
	v_mov_b32_e32 v3, 0
	v_cmp_ne_u16_sdwa s[8:9], v5, v3 src0_sel:BYTE_0 src1_sel:DWORD
	s_andn2_b64 s[4:5], s[4:5], exec
	s_and_b64 s[8:9], s[8:9], exec
	s_or_b64 s[4:5], s[4:5], s[8:9]
	s_or_b64 exec, exec, s[6:7]
	s_and_saveexec_b64 s[6:7], s[4:5]
	s_cbranch_execnz .LBB8_231
	s_branch .LBB8_232
.LBB8_2281:
	s_movk_i32 s4, 0x80
	v_cmp_eq_u16_sdwa s[12:13], v3, s4 src0_sel:BYTE_0 src1_sel:DWORD
	s_mov_b64 s[4:5], -1
                                        ; implicit-def: $sgpr10
	s_and_saveexec_b64 s[8:9], s[12:13]
; %bb.2282:
	s_mov_b32 s10, 0x7f800001
	s_xor_b64 s[4:5], exec, -1
; %bb.2283:
	s_or_b64 exec, exec, s[8:9]
	s_and_b64 s[4:5], s[4:5], exec
	s_or_saveexec_b64 s[6:7], s[6:7]
	v_mov_b32_e32 v2, s10
	s_xor_b64 exec, exec, s[6:7]
	s_cbranch_execz .LBB8_234
.LBB8_2284:
	v_mov_b32_e32 v2, 0
	v_cmp_ne_u16_sdwa s[8:9], v3, v2 src0_sel:BYTE_0 src1_sel:DWORD
	s_andn2_b64 s[4:5], s[4:5], exec
	s_and_b64 s[8:9], s[8:9], exec
	s_or_b64 s[4:5], s[4:5], s[8:9]
	s_or_b64 exec, exec, s[6:7]
	s_and_saveexec_b64 s[6:7], s[4:5]
	s_cbranch_execnz .LBB8_235
	s_branch .LBB8_236
.LBB8_2285:
	s_movk_i32 s4, 0x80
	v_cmp_eq_u16_sdwa s[12:13], v3, s4 src0_sel:BYTE_0 src1_sel:DWORD
	s_mov_b64 s[4:5], -1
                                        ; implicit-def: $sgpr10
	s_and_saveexec_b64 s[8:9], s[12:13]
; %bb.2286:
	s_mov_b32 s10, 0x7f800001
	s_xor_b64 s[4:5], exec, -1
; %bb.2287:
	s_or_b64 exec, exec, s[8:9]
	s_and_b64 s[4:5], s[4:5], exec
	s_or_saveexec_b64 s[6:7], s[6:7]
	v_mov_b32_e32 v4, s10
	s_xor_b64 exec, exec, s[6:7]
	s_cbranch_execz .LBB8_238
.LBB8_2288:
	v_mov_b32_e32 v4, 0
	v_cmp_ne_u16_sdwa s[8:9], v3, v4 src0_sel:BYTE_0 src1_sel:DWORD
	s_andn2_b64 s[4:5], s[4:5], exec
	s_and_b64 s[8:9], s[8:9], exec
	s_or_b64 s[4:5], s[4:5], s[8:9]
	s_or_b64 exec, exec, s[6:7]
	s_and_saveexec_b64 s[6:7], s[4:5]
	s_cbranch_execnz .LBB8_239
	s_branch .LBB8_240
.LBB8_2289:
	s_movk_i32 s4, 0x80
	v_cmp_eq_u16_e32 vcc, s4, v3
	s_mov_b64 s[4:5], -1
                                        ; implicit-def: $sgpr10
	s_and_saveexec_b64 s[8:9], vcc
; %bb.2290:
	s_mov_b32 s10, 0x7f800001
	s_xor_b64 s[4:5], exec, -1
; %bb.2291:
	s_or_b64 exec, exec, s[8:9]
	s_and_b64 s[4:5], s[4:5], exec
                                        ; implicit-def: $vgpr3
	s_or_saveexec_b64 s[6:7], s[6:7]
	v_mov_b32_e32 v2, s10
	s_xor_b64 exec, exec, s[6:7]
	s_cbranch_execz .LBB8_242
.LBB8_2292:
	v_cmp_ne_u16_e32 vcc, 0, v3
	s_andn2_b64 s[4:5], s[4:5], exec
	s_and_b64 s[8:9], vcc, exec
	v_mov_b32_e32 v2, 0
	s_or_b64 s[4:5], s[4:5], s[8:9]
	s_or_b64 exec, exec, s[6:7]
	s_and_saveexec_b64 s[6:7], s[4:5]
	s_cbranch_execnz .LBB8_243
	s_branch .LBB8_244
.LBB8_2293:
	s_movk_i32 s4, 0x80
	v_cmp_eq_u16_e32 vcc, s4, v3
	s_mov_b64 s[4:5], -1
                                        ; implicit-def: $sgpr10
	s_and_saveexec_b64 s[8:9], vcc
; %bb.2294:
	s_mov_b32 s10, 0x7f800001
	s_xor_b64 s[4:5], exec, -1
; %bb.2295:
	s_or_b64 exec, exec, s[8:9]
	s_and_b64 s[4:5], s[4:5], exec
                                        ; implicit-def: $vgpr3
	s_or_saveexec_b64 s[6:7], s[6:7]
	v_mov_b32_e32 v4, s10
	s_xor_b64 exec, exec, s[6:7]
	s_cbranch_execz .LBB8_246
.LBB8_2296:
	v_cmp_ne_u16_e32 vcc, 0, v3
	s_andn2_b64 s[4:5], s[4:5], exec
	s_and_b64 s[8:9], vcc, exec
	v_mov_b32_e32 v4, 0
	s_or_b64 s[4:5], s[4:5], s[8:9]
	s_or_b64 exec, exec, s[6:7]
	s_and_saveexec_b64 s[6:7], s[4:5]
	s_cbranch_execnz .LBB8_247
	s_branch .LBB8_248
.LBB8_2297:
	s_movk_i32 s4, 0x80
	v_cmp_eq_u16_sdwa s[12:13], v9, s4 src0_sel:BYTE_3 src1_sel:DWORD
	s_mov_b64 s[4:5], -1
                                        ; implicit-def: $sgpr10
	s_and_saveexec_b64 s[8:9], s[12:13]
; %bb.2298:
	s_mov_b32 s10, 0x7f800001
	s_xor_b64 s[4:5], exec, -1
; %bb.2299:
	s_or_b64 exec, exec, s[8:9]
	s_and_b64 s[4:5], s[4:5], exec
	s_or_saveexec_b64 s[6:7], s[6:7]
	v_mov_b32_e32 v2, s10
	s_xor_b64 exec, exec, s[6:7]
	s_cbranch_execz .LBB8_250
.LBB8_2300:
	v_mov_b32_e32 v2, 0
	v_cmp_ne_u16_sdwa s[8:9], v9, v2 src0_sel:BYTE_3 src1_sel:DWORD
	s_andn2_b64 s[4:5], s[4:5], exec
	s_and_b64 s[8:9], s[8:9], exec
	s_or_b64 s[4:5], s[4:5], s[8:9]
	s_or_b64 exec, exec, s[6:7]
	s_and_saveexec_b64 s[6:7], s[4:5]
	s_cbranch_execnz .LBB8_251
	s_branch .LBB8_252
.LBB8_2301:
	s_movk_i32 s4, 0x80
	v_cmp_eq_u16_sdwa s[12:13], v5, s4 src0_sel:BYTE_3 src1_sel:DWORD
	s_mov_b64 s[4:5], -1
                                        ; implicit-def: $sgpr10
	s_and_saveexec_b64 s[8:9], s[12:13]
; %bb.2302:
	s_mov_b32 s10, 0x7f800001
	s_xor_b64 s[4:5], exec, -1
; %bb.2303:
	s_or_b64 exec, exec, s[8:9]
	s_and_b64 s[4:5], s[4:5], exec
	s_or_saveexec_b64 s[6:7], s[6:7]
	v_mov_b32_e32 v3, s10
	s_xor_b64 exec, exec, s[6:7]
	s_cbranch_execz .LBB8_254
.LBB8_2304:
	v_mov_b32_e32 v3, 0
	v_cmp_ne_u16_sdwa s[8:9], v5, v3 src0_sel:BYTE_3 src1_sel:DWORD
	s_andn2_b64 s[4:5], s[4:5], exec
	s_and_b64 s[8:9], s[8:9], exec
	s_or_b64 s[4:5], s[4:5], s[8:9]
	s_or_b64 exec, exec, s[6:7]
	s_and_saveexec_b64 s[6:7], s[4:5]
	s_cbranch_execnz .LBB8_255
	s_branch .LBB8_256
.LBB8_2305:
	s_movk_i32 s4, 0x80
	v_cmp_eq_u16_sdwa s[12:13], v6, s4 src0_sel:BYTE_0 src1_sel:DWORD
	s_mov_b64 s[4:5], -1
                                        ; implicit-def: $sgpr10
	s_and_saveexec_b64 s[8:9], s[12:13]
; %bb.2306:
	s_mov_b32 s10, 0x7f800001
	s_xor_b64 s[4:5], exec, -1
; %bb.2307:
	s_or_b64 exec, exec, s[8:9]
	s_and_b64 s[4:5], s[4:5], exec
	s_or_saveexec_b64 s[6:7], s[6:7]
	v_mov_b32_e32 v12, s10
	s_xor_b64 exec, exec, s[6:7]
	s_cbranch_execz .LBB8_258
.LBB8_2308:
	v_mov_b32_e32 v12, 0
	v_cmp_ne_u16_sdwa s[8:9], v6, v12 src0_sel:BYTE_0 src1_sel:DWORD
	s_andn2_b64 s[4:5], s[4:5], exec
	s_and_b64 s[8:9], s[8:9], exec
	s_or_b64 s[4:5], s[4:5], s[8:9]
	s_or_b64 exec, exec, s[6:7]
	s_and_saveexec_b64 s[6:7], s[4:5]
	s_cbranch_execnz .LBB8_259
	s_branch .LBB8_260
.LBB8_2309:
	s_movk_i32 s4, 0x80
	v_cmp_eq_u16_sdwa s[12:13], v2, s4 src0_sel:BYTE_0 src1_sel:DWORD
	s_mov_b64 s[4:5], -1
                                        ; implicit-def: $sgpr10
	s_and_saveexec_b64 s[8:9], s[12:13]
; %bb.2310:
	s_mov_b32 s10, 0x7f800001
	s_xor_b64 s[4:5], exec, -1
; %bb.2311:
	s_or_b64 exec, exec, s[8:9]
	s_and_b64 s[4:5], s[4:5], exec
	s_or_saveexec_b64 s[6:7], s[6:7]
	v_mov_b32_e32 v13, s10
	s_xor_b64 exec, exec, s[6:7]
	s_cbranch_execz .LBB8_262
.LBB8_2312:
	v_mov_b32_e32 v13, 0
	v_cmp_ne_u16_sdwa s[8:9], v2, v13 src0_sel:BYTE_0 src1_sel:DWORD
	s_andn2_b64 s[4:5], s[4:5], exec
	s_and_b64 s[8:9], s[8:9], exec
	s_or_b64 s[4:5], s[4:5], s[8:9]
	s_or_b64 exec, exec, s[6:7]
	s_and_saveexec_b64 s[6:7], s[4:5]
	s_cbranch_execnz .LBB8_263
	s_branch .LBB8_264
.LBB8_2313:
	s_movk_i32 s4, 0x80
	v_cmp_eq_u16_sdwa s[12:13], v13, s4 src0_sel:BYTE_0 src1_sel:DWORD
	s_mov_b64 s[4:5], -1
                                        ; implicit-def: $sgpr10
	s_and_saveexec_b64 s[8:9], s[12:13]
; %bb.2314:
	s_mov_b32 s10, 0x7f800001
	s_xor_b64 s[4:5], exec, -1
; %bb.2315:
	s_or_b64 exec, exec, s[8:9]
	s_and_b64 s[4:5], s[4:5], exec
	s_or_saveexec_b64 s[6:7], s[6:7]
	v_mov_b32_e32 v12, s10
	s_xor_b64 exec, exec, s[6:7]
	s_cbranch_execz .LBB8_266
.LBB8_2316:
	v_mov_b32_e32 v12, 0
	v_cmp_ne_u16_sdwa s[8:9], v13, v12 src0_sel:BYTE_0 src1_sel:DWORD
	s_andn2_b64 s[4:5], s[4:5], exec
	s_and_b64 s[8:9], s[8:9], exec
	s_or_b64 s[4:5], s[4:5], s[8:9]
	s_or_b64 exec, exec, s[6:7]
	s_and_saveexec_b64 s[6:7], s[4:5]
	s_cbranch_execnz .LBB8_267
	s_branch .LBB8_268
.LBB8_2317:
	s_movk_i32 s4, 0x80
	v_cmp_eq_u16_sdwa s[12:13], v13, s4 src0_sel:BYTE_0 src1_sel:DWORD
	s_mov_b64 s[4:5], -1
                                        ; implicit-def: $sgpr10
	s_and_saveexec_b64 s[8:9], s[12:13]
; %bb.2318:
	s_mov_b32 s10, 0x7f800001
	s_xor_b64 s[4:5], exec, -1
; %bb.2319:
	s_or_b64 exec, exec, s[8:9]
	s_and_b64 s[4:5], s[4:5], exec
	s_or_saveexec_b64 s[6:7], s[6:7]
	v_mov_b32_e32 v14, s10
	s_xor_b64 exec, exec, s[6:7]
	s_cbranch_execz .LBB8_270
.LBB8_2320:
	v_mov_b32_e32 v14, 0
	v_cmp_ne_u16_sdwa s[8:9], v13, v14 src0_sel:BYTE_0 src1_sel:DWORD
	s_andn2_b64 s[4:5], s[4:5], exec
	s_and_b64 s[8:9], s[8:9], exec
	s_or_b64 s[4:5], s[4:5], s[8:9]
	s_or_b64 exec, exec, s[6:7]
	s_and_saveexec_b64 s[6:7], s[4:5]
	s_cbranch_execnz .LBB8_271
	s_branch .LBB8_272
.LBB8_2321:
	s_movk_i32 s4, 0x80
	v_cmp_eq_u16_e32 vcc, s4, v13
	s_mov_b64 s[4:5], -1
                                        ; implicit-def: $sgpr10
	s_and_saveexec_b64 s[8:9], vcc
; %bb.2322:
	s_mov_b32 s10, 0x7f800001
	s_xor_b64 s[4:5], exec, -1
; %bb.2323:
	s_or_b64 exec, exec, s[8:9]
	s_and_b64 s[4:5], s[4:5], exec
                                        ; implicit-def: $vgpr13
	s_or_saveexec_b64 s[6:7], s[6:7]
	v_mov_b32_e32 v12, s10
	s_xor_b64 exec, exec, s[6:7]
	s_cbranch_execz .LBB8_274
.LBB8_2324:
	v_cmp_ne_u16_e32 vcc, 0, v13
	s_andn2_b64 s[4:5], s[4:5], exec
	s_and_b64 s[8:9], vcc, exec
	v_mov_b32_e32 v12, 0
	s_or_b64 s[4:5], s[4:5], s[8:9]
	s_or_b64 exec, exec, s[6:7]
	s_and_saveexec_b64 s[6:7], s[4:5]
	s_cbranch_execnz .LBB8_275
	s_branch .LBB8_276
.LBB8_2325:
	s_movk_i32 s4, 0x80
	v_cmp_eq_u16_e32 vcc, s4, v13
	s_mov_b64 s[4:5], -1
                                        ; implicit-def: $sgpr10
	s_and_saveexec_b64 s[8:9], vcc
; %bb.2326:
	s_mov_b32 s10, 0x7f800001
	s_xor_b64 s[4:5], exec, -1
; %bb.2327:
	s_or_b64 exec, exec, s[8:9]
	s_and_b64 s[4:5], s[4:5], exec
                                        ; implicit-def: $vgpr13
	s_or_saveexec_b64 s[6:7], s[6:7]
	v_mov_b32_e32 v14, s10
	s_xor_b64 exec, exec, s[6:7]
	s_cbranch_execz .LBB8_278
.LBB8_2328:
	v_cmp_ne_u16_e32 vcc, 0, v13
	s_andn2_b64 s[4:5], s[4:5], exec
	s_and_b64 s[8:9], vcc, exec
	v_mov_b32_e32 v14, 0
	s_or_b64 s[4:5], s[4:5], s[8:9]
	s_or_b64 exec, exec, s[6:7]
	s_and_saveexec_b64 s[6:7], s[4:5]
	s_cbranch_execnz .LBB8_279
	s_branch .LBB8_280
.LBB8_2329:
	s_movk_i32 s4, 0x80
	v_cmp_eq_u16_sdwa s[12:13], v6, s4 src0_sel:BYTE_3 src1_sel:DWORD
	s_mov_b64 s[4:5], -1
                                        ; implicit-def: $sgpr10
	s_and_saveexec_b64 s[8:9], s[12:13]
; %bb.2330:
	s_mov_b32 s10, 0x7f800001
	s_xor_b64 s[4:5], exec, -1
; %bb.2331:
	s_or_b64 exec, exec, s[8:9]
	s_and_b64 s[4:5], s[4:5], exec
	s_or_saveexec_b64 s[6:7], s[6:7]
	v_mov_b32_e32 v12, s10
	s_xor_b64 exec, exec, s[6:7]
	s_cbranch_execz .LBB8_282
.LBB8_2332:
	v_mov_b32_e32 v12, 0
	v_cmp_ne_u16_sdwa s[8:9], v6, v12 src0_sel:BYTE_3 src1_sel:DWORD
	s_andn2_b64 s[4:5], s[4:5], exec
	s_and_b64 s[8:9], s[8:9], exec
	s_or_b64 s[4:5], s[4:5], s[8:9]
	s_or_b64 exec, exec, s[6:7]
	s_and_saveexec_b64 s[6:7], s[4:5]
	s_cbranch_execnz .LBB8_283
	s_branch .LBB8_284
.LBB8_2333:
	s_movk_i32 s4, 0x80
	v_cmp_eq_u16_sdwa s[12:13], v2, s4 src0_sel:BYTE_3 src1_sel:DWORD
	s_mov_b64 s[4:5], -1
                                        ; implicit-def: $sgpr10
	s_and_saveexec_b64 s[8:9], s[12:13]
; %bb.2334:
	s_mov_b32 s10, 0x7f800001
	s_xor_b64 s[4:5], exec, -1
; %bb.2335:
	s_or_b64 exec, exec, s[8:9]
	s_and_b64 s[4:5], s[4:5], exec
	s_or_saveexec_b64 s[6:7], s[6:7]
	v_mov_b32_e32 v6, s10
	s_xor_b64 exec, exec, s[6:7]
	s_cbranch_execz .LBB8_286
.LBB8_2336:
	v_mov_b32_e32 v6, 0
	v_cmp_ne_u16_sdwa s[8:9], v2, v6 src0_sel:BYTE_3 src1_sel:DWORD
	s_andn2_b64 s[4:5], s[4:5], exec
	s_and_b64 s[8:9], s[8:9], exec
	s_or_b64 s[4:5], s[4:5], s[8:9]
	s_or_b64 exec, exec, s[6:7]
	s_and_saveexec_b64 s[6:7], s[4:5]
	s_cbranch_execnz .LBB8_287
	s_branch .LBB8_288
.LBB8_2337:
	s_movk_i32 s4, 0x80
	v_cmp_eq_u16_sdwa s[12:13], v7, s4 src0_sel:BYTE_0 src1_sel:DWORD
	s_mov_b64 s[4:5], -1
                                        ; implicit-def: $sgpr10
	s_and_saveexec_b64 s[8:9], s[12:13]
; %bb.2338:
	s_mov_b32 s10, 0x7f800001
	s_xor_b64 s[4:5], exec, -1
; %bb.2339:
	s_or_b64 exec, exec, s[8:9]
	s_and_b64 s[4:5], s[4:5], exec
	s_or_saveexec_b64 s[6:7], s[6:7]
	v_mov_b32_e32 v2, s10
	s_xor_b64 exec, exec, s[6:7]
	s_cbranch_execz .LBB8_290
.LBB8_2340:
	v_mov_b32_e32 v2, 0
	v_cmp_ne_u16_sdwa s[8:9], v7, v2 src0_sel:BYTE_0 src1_sel:DWORD
	s_andn2_b64 s[4:5], s[4:5], exec
	s_and_b64 s[8:9], s[8:9], exec
	s_or_b64 s[4:5], s[4:5], s[8:9]
	s_or_b64 exec, exec, s[6:7]
	s_and_saveexec_b64 s[6:7], s[4:5]
	s_cbranch_execnz .LBB8_291
	s_branch .LBB8_292
.LBB8_2341:
	s_movk_i32 s4, 0x80
	v_cmp_eq_u16_sdwa s[12:13], v3, s4 src0_sel:BYTE_0 src1_sel:DWORD
	s_mov_b64 s[4:5], -1
                                        ; implicit-def: $sgpr10
	s_and_saveexec_b64 s[8:9], s[12:13]
; %bb.2342:
	s_mov_b32 s10, 0x7f800001
	s_xor_b64 s[4:5], exec, -1
; %bb.2343:
	s_or_b64 exec, exec, s[8:9]
	s_and_b64 s[4:5], s[4:5], exec
	s_or_saveexec_b64 s[6:7], s[6:7]
	v_mov_b32_e32 v6, s10
	s_xor_b64 exec, exec, s[6:7]
	s_cbranch_execz .LBB8_294
.LBB8_2344:
	v_mov_b32_e32 v6, 0
	v_cmp_ne_u16_sdwa s[8:9], v3, v6 src0_sel:BYTE_0 src1_sel:DWORD
	s_andn2_b64 s[4:5], s[4:5], exec
	s_and_b64 s[8:9], s[8:9], exec
	s_or_b64 s[4:5], s[4:5], s[8:9]
	s_or_b64 exec, exec, s[6:7]
	s_and_saveexec_b64 s[6:7], s[4:5]
	s_cbranch_execnz .LBB8_295
	s_branch .LBB8_296
.LBB8_2345:
	s_movk_i32 s4, 0x80
	v_cmp_eq_u16_sdwa s[12:13], v6, s4 src0_sel:BYTE_0 src1_sel:DWORD
	s_mov_b64 s[4:5], -1
                                        ; implicit-def: $sgpr10
	s_and_saveexec_b64 s[8:9], s[12:13]
; %bb.2346:
	s_mov_b32 s10, 0x7f800001
	s_xor_b64 s[4:5], exec, -1
; %bb.2347:
	s_or_b64 exec, exec, s[8:9]
	s_and_b64 s[4:5], s[4:5], exec
	s_or_saveexec_b64 s[6:7], s[6:7]
	v_mov_b32_e32 v2, s10
	s_xor_b64 exec, exec, s[6:7]
	s_cbranch_execz .LBB8_298
.LBB8_2348:
	v_mov_b32_e32 v2, 0
	v_cmp_ne_u16_sdwa s[8:9], v6, v2 src0_sel:BYTE_0 src1_sel:DWORD
	s_andn2_b64 s[4:5], s[4:5], exec
	s_and_b64 s[8:9], s[8:9], exec
	s_or_b64 s[4:5], s[4:5], s[8:9]
	s_or_b64 exec, exec, s[6:7]
	s_and_saveexec_b64 s[6:7], s[4:5]
	s_cbranch_execnz .LBB8_299
	s_branch .LBB8_300
.LBB8_2349:
	s_movk_i32 s4, 0x80
	v_cmp_eq_u16_sdwa s[12:13], v6, s4 src0_sel:BYTE_0 src1_sel:DWORD
	s_mov_b64 s[4:5], -1
                                        ; implicit-def: $sgpr10
	s_and_saveexec_b64 s[8:9], s[12:13]
; %bb.2350:
	s_mov_b32 s10, 0x7f800001
	s_xor_b64 s[4:5], exec, -1
; %bb.2351:
	s_or_b64 exec, exec, s[8:9]
	s_and_b64 s[4:5], s[4:5], exec
	s_or_saveexec_b64 s[6:7], s[6:7]
	v_mov_b32_e32 v12, s10
	s_xor_b64 exec, exec, s[6:7]
	s_cbranch_execz .LBB8_302
.LBB8_2352:
	v_mov_b32_e32 v12, 0
	v_cmp_ne_u16_sdwa s[8:9], v6, v12 src0_sel:BYTE_0 src1_sel:DWORD
	s_andn2_b64 s[4:5], s[4:5], exec
	s_and_b64 s[8:9], s[8:9], exec
	s_or_b64 s[4:5], s[4:5], s[8:9]
	s_or_b64 exec, exec, s[6:7]
	s_and_saveexec_b64 s[6:7], s[4:5]
	s_cbranch_execnz .LBB8_303
	s_branch .LBB8_304
.LBB8_2353:
	s_movk_i32 s4, 0x80
	v_cmp_eq_u16_e32 vcc, s4, v6
	s_mov_b64 s[4:5], -1
                                        ; implicit-def: $sgpr10
	s_and_saveexec_b64 s[8:9], vcc
; %bb.2354:
	s_mov_b32 s10, 0x7f800001
	s_xor_b64 s[4:5], exec, -1
; %bb.2355:
	s_or_b64 exec, exec, s[8:9]
	s_and_b64 s[4:5], s[4:5], exec
                                        ; implicit-def: $vgpr6
	s_or_saveexec_b64 s[6:7], s[6:7]
	v_mov_b32_e32 v2, s10
	s_xor_b64 exec, exec, s[6:7]
	s_cbranch_execz .LBB8_306
.LBB8_2356:
	v_cmp_ne_u16_e32 vcc, 0, v6
	s_andn2_b64 s[4:5], s[4:5], exec
	s_and_b64 s[8:9], vcc, exec
	v_mov_b32_e32 v2, 0
	s_or_b64 s[4:5], s[4:5], s[8:9]
	s_or_b64 exec, exec, s[6:7]
	s_and_saveexec_b64 s[6:7], s[4:5]
	s_cbranch_execnz .LBB8_307
	s_branch .LBB8_308
.LBB8_2357:
	s_movk_i32 s4, 0x80
	v_cmp_eq_u16_e32 vcc, s4, v6
	s_mov_b64 s[4:5], -1
                                        ; implicit-def: $sgpr10
	s_and_saveexec_b64 s[8:9], vcc
; %bb.2358:
	s_mov_b32 s10, 0x7f800001
	s_xor_b64 s[4:5], exec, -1
; %bb.2359:
	s_or_b64 exec, exec, s[8:9]
	s_and_b64 s[4:5], s[4:5], exec
                                        ; implicit-def: $vgpr6
	s_or_saveexec_b64 s[6:7], s[6:7]
	v_mov_b32_e32 v12, s10
	s_xor_b64 exec, exec, s[6:7]
	s_cbranch_execz .LBB8_310
.LBB8_2360:
	v_cmp_ne_u16_e32 vcc, 0, v6
	s_andn2_b64 s[4:5], s[4:5], exec
	s_and_b64 s[8:9], vcc, exec
	v_mov_b32_e32 v12, 0
	s_or_b64 s[4:5], s[4:5], s[8:9]
	s_or_b64 exec, exec, s[6:7]
	s_and_saveexec_b64 s[6:7], s[4:5]
	s_cbranch_execnz .LBB8_311
	s_branch .LBB8_312
.LBB8_2361:
	s_movk_i32 s4, 0x80
	v_cmp_eq_u16_sdwa s[12:13], v7, s4 src0_sel:BYTE_3 src1_sel:DWORD
	s_mov_b64 s[4:5], -1
                                        ; implicit-def: $sgpr10
	s_and_saveexec_b64 s[8:9], s[12:13]
; %bb.2362:
	s_mov_b32 s10, 0x7f800001
	s_xor_b64 s[4:5], exec, -1
; %bb.2363:
	s_or_b64 exec, exec, s[8:9]
	s_and_b64 s[4:5], s[4:5], exec
	s_or_saveexec_b64 s[6:7], s[6:7]
	v_mov_b32_e32 v2, s10
	s_xor_b64 exec, exec, s[6:7]
	s_cbranch_execz .LBB8_314
.LBB8_2364:
	v_mov_b32_e32 v2, 0
	v_cmp_ne_u16_sdwa s[8:9], v7, v2 src0_sel:BYTE_3 src1_sel:DWORD
	s_andn2_b64 s[4:5], s[4:5], exec
	s_and_b64 s[8:9], s[8:9], exec
	s_or_b64 s[4:5], s[4:5], s[8:9]
	s_or_b64 exec, exec, s[6:7]
	s_and_saveexec_b64 s[6:7], s[4:5]
	s_cbranch_execnz .LBB8_315
	s_branch .LBB8_316
.LBB8_2365:
	s_movk_i32 s4, 0x80
	v_cmp_eq_u16_sdwa s[12:13], v3, s4 src0_sel:BYTE_3 src1_sel:DWORD
	s_mov_b64 s[4:5], -1
                                        ; implicit-def: $sgpr10
	s_and_saveexec_b64 s[8:9], s[12:13]
; %bb.2366:
	s_mov_b32 s10, 0x7f800001
	s_xor_b64 s[4:5], exec, -1
; %bb.2367:
	s_or_b64 exec, exec, s[8:9]
	s_and_b64 s[4:5], s[4:5], exec
	s_or_saveexec_b64 s[6:7], s[6:7]
	v_mov_b32_e32 v6, s10
	s_xor_b64 exec, exec, s[6:7]
	s_cbranch_execz .LBB8_318
.LBB8_2368:
	v_mov_b32_e32 v6, 0
	v_cmp_ne_u16_sdwa s[8:9], v3, v6 src0_sel:BYTE_3 src1_sel:DWORD
	s_andn2_b64 s[4:5], s[4:5], exec
	s_and_b64 s[8:9], s[8:9], exec
	s_or_b64 s[4:5], s[4:5], s[8:9]
	s_or_b64 exec, exec, s[6:7]
	s_and_saveexec_b64 s[6:7], s[4:5]
	s_cbranch_execnz .LBB8_319
	s_branch .LBB8_320
.LBB8_2369:
	s_movk_i32 s4, 0x80
	v_cmp_eq_u16_sdwa s[12:13], v8, s4 src0_sel:BYTE_0 src1_sel:DWORD
	s_mov_b64 s[4:5], -1
                                        ; implicit-def: $sgpr10
	s_and_saveexec_b64 s[8:9], s[12:13]
; %bb.2370:
	s_mov_b32 s10, 0x7f800001
	s_xor_b64 s[4:5], exec, -1
; %bb.2371:
	s_or_b64 exec, exec, s[8:9]
	s_and_b64 s[4:5], s[4:5], exec
	s_or_saveexec_b64 s[6:7], s[6:7]
	v_mov_b32_e32 v2, s10
	s_xor_b64 exec, exec, s[6:7]
	s_cbranch_execz .LBB8_322
.LBB8_2372:
	v_mov_b32_e32 v2, 0
	v_cmp_ne_u16_sdwa s[8:9], v8, v2 src0_sel:BYTE_0 src1_sel:DWORD
	s_andn2_b64 s[4:5], s[4:5], exec
	s_and_b64 s[8:9], s[8:9], exec
	s_or_b64 s[4:5], s[4:5], s[8:9]
	s_or_b64 exec, exec, s[6:7]
	s_and_saveexec_b64 s[6:7], s[4:5]
	s_cbranch_execnz .LBB8_323
	s_branch .LBB8_324
.LBB8_2373:
	s_movk_i32 s4, 0x80
	v_cmp_eq_u16_sdwa s[12:13], v4, s4 src0_sel:BYTE_0 src1_sel:DWORD
	s_mov_b64 s[4:5], -1
                                        ; implicit-def: $sgpr10
	s_and_saveexec_b64 s[8:9], s[12:13]
; %bb.2374:
	s_mov_b32 s10, 0x7f800001
	s_xor_b64 s[4:5], exec, -1
; %bb.2375:
	s_or_b64 exec, exec, s[8:9]
	s_and_b64 s[4:5], s[4:5], exec
	s_or_saveexec_b64 s[6:7], s[6:7]
	v_mov_b32_e32 v3, s10
	s_xor_b64 exec, exec, s[6:7]
	s_cbranch_execz .LBB8_326
.LBB8_2376:
	v_mov_b32_e32 v3, 0
	v_cmp_ne_u16_sdwa s[8:9], v4, v3 src0_sel:BYTE_0 src1_sel:DWORD
	s_andn2_b64 s[4:5], s[4:5], exec
	s_and_b64 s[8:9], s[8:9], exec
	s_or_b64 s[4:5], s[4:5], s[8:9]
	s_or_b64 exec, exec, s[6:7]
	s_and_saveexec_b64 s[6:7], s[4:5]
	s_cbranch_execnz .LBB8_327
	s_branch .LBB8_328
.LBB8_2377:
	s_movk_i32 s4, 0x80
	v_cmp_eq_u16_sdwa s[12:13], v3, s4 src0_sel:BYTE_0 src1_sel:DWORD
	s_mov_b64 s[4:5], -1
                                        ; implicit-def: $sgpr10
	s_and_saveexec_b64 s[8:9], s[12:13]
; %bb.2378:
	s_mov_b32 s10, 0x7f800001
	s_xor_b64 s[4:5], exec, -1
; %bb.2379:
	s_or_b64 exec, exec, s[8:9]
	s_and_b64 s[4:5], s[4:5], exec
	s_or_saveexec_b64 s[6:7], s[6:7]
	v_mov_b32_e32 v2, s10
	s_xor_b64 exec, exec, s[6:7]
	s_cbranch_execz .LBB8_330
.LBB8_2380:
	v_mov_b32_e32 v2, 0
	v_cmp_ne_u16_sdwa s[8:9], v3, v2 src0_sel:BYTE_0 src1_sel:DWORD
	s_andn2_b64 s[4:5], s[4:5], exec
	s_and_b64 s[8:9], s[8:9], exec
	s_or_b64 s[4:5], s[4:5], s[8:9]
	s_or_b64 exec, exec, s[6:7]
	s_and_saveexec_b64 s[6:7], s[4:5]
	s_cbranch_execnz .LBB8_331
	s_branch .LBB8_332
.LBB8_2381:
	s_movk_i32 s4, 0x80
	v_cmp_eq_u16_sdwa s[12:13], v3, s4 src0_sel:BYTE_0 src1_sel:DWORD
	s_mov_b64 s[4:5], -1
                                        ; implicit-def: $sgpr10
	s_and_saveexec_b64 s[8:9], s[12:13]
; %bb.2382:
	s_mov_b32 s10, 0x7f800001
	s_xor_b64 s[4:5], exec, -1
; %bb.2383:
	s_or_b64 exec, exec, s[8:9]
	s_and_b64 s[4:5], s[4:5], exec
	s_or_saveexec_b64 s[6:7], s[6:7]
	v_mov_b32_e32 v6, s10
	s_xor_b64 exec, exec, s[6:7]
	s_cbranch_execz .LBB8_334
.LBB8_2384:
	v_mov_b32_e32 v6, 0
	v_cmp_ne_u16_sdwa s[8:9], v3, v6 src0_sel:BYTE_0 src1_sel:DWORD
	s_andn2_b64 s[4:5], s[4:5], exec
	s_and_b64 s[8:9], s[8:9], exec
	s_or_b64 s[4:5], s[4:5], s[8:9]
	s_or_b64 exec, exec, s[6:7]
	s_and_saveexec_b64 s[6:7], s[4:5]
	s_cbranch_execnz .LBB8_335
	s_branch .LBB8_336
.LBB8_2385:
	s_movk_i32 s4, 0x80
	v_cmp_eq_u16_e32 vcc, s4, v3
	s_mov_b64 s[4:5], -1
                                        ; implicit-def: $sgpr10
	s_and_saveexec_b64 s[8:9], vcc
; %bb.2386:
	s_mov_b32 s10, 0x7f800001
	s_xor_b64 s[4:5], exec, -1
; %bb.2387:
	s_or_b64 exec, exec, s[8:9]
	s_and_b64 s[4:5], s[4:5], exec
                                        ; implicit-def: $vgpr3
	s_or_saveexec_b64 s[6:7], s[6:7]
	v_mov_b32_e32 v2, s10
	s_xor_b64 exec, exec, s[6:7]
	s_cbranch_execz .LBB8_338
.LBB8_2388:
	v_cmp_ne_u16_e32 vcc, 0, v3
	s_andn2_b64 s[4:5], s[4:5], exec
	s_and_b64 s[8:9], vcc, exec
	v_mov_b32_e32 v2, 0
	s_or_b64 s[4:5], s[4:5], s[8:9]
	s_or_b64 exec, exec, s[6:7]
	s_and_saveexec_b64 s[6:7], s[4:5]
	s_cbranch_execnz .LBB8_339
	s_branch .LBB8_340
.LBB8_2389:
	s_movk_i32 s4, 0x80
	v_cmp_eq_u16_e32 vcc, s4, v3
	s_mov_b64 s[4:5], -1
                                        ; implicit-def: $sgpr10
	s_and_saveexec_b64 s[8:9], vcc
; %bb.2390:
	s_mov_b32 s10, 0x7f800001
	s_xor_b64 s[4:5], exec, -1
; %bb.2391:
	s_or_b64 exec, exec, s[8:9]
	s_and_b64 s[4:5], s[4:5], exec
                                        ; implicit-def: $vgpr3
	s_or_saveexec_b64 s[6:7], s[6:7]
	v_mov_b32_e32 v6, s10
	s_xor_b64 exec, exec, s[6:7]
	s_cbranch_execz .LBB8_342
.LBB8_2392:
	v_cmp_ne_u16_e32 vcc, 0, v3
	s_andn2_b64 s[4:5], s[4:5], exec
	s_and_b64 s[8:9], vcc, exec
	v_mov_b32_e32 v6, 0
	s_or_b64 s[4:5], s[4:5], s[8:9]
	s_or_b64 exec, exec, s[6:7]
	s_and_saveexec_b64 s[6:7], s[4:5]
	s_cbranch_execnz .LBB8_343
	s_branch .LBB8_344
.LBB8_2393:
	s_movk_i32 s4, 0x80
	v_cmp_eq_u16_sdwa s[12:13], v8, s4 src0_sel:BYTE_3 src1_sel:DWORD
	s_mov_b64 s[4:5], -1
                                        ; implicit-def: $sgpr10
	s_and_saveexec_b64 s[8:9], s[12:13]
; %bb.2394:
	s_mov_b32 s10, 0x7f800001
	s_xor_b64 s[4:5], exec, -1
; %bb.2395:
	s_or_b64 exec, exec, s[8:9]
	s_and_b64 s[4:5], s[4:5], exec
	s_or_saveexec_b64 s[6:7], s[6:7]
	v_mov_b32_e32 v2, s10
	s_xor_b64 exec, exec, s[6:7]
	s_cbranch_execz .LBB8_346
.LBB8_2396:
	v_mov_b32_e32 v2, 0
	v_cmp_ne_u16_sdwa s[8:9], v8, v2 src0_sel:BYTE_3 src1_sel:DWORD
	s_andn2_b64 s[4:5], s[4:5], exec
	s_and_b64 s[8:9], s[8:9], exec
	s_or_b64 s[4:5], s[4:5], s[8:9]
	s_or_b64 exec, exec, s[6:7]
	s_and_saveexec_b64 s[6:7], s[4:5]
	s_cbranch_execnz .LBB8_347
	s_branch .LBB8_348
.LBB8_2397:
	s_movk_i32 s4, 0x80
	v_cmp_eq_u16_sdwa s[12:13], v4, s4 src0_sel:BYTE_3 src1_sel:DWORD
	s_mov_b64 s[4:5], -1
                                        ; implicit-def: $sgpr10
	s_and_saveexec_b64 s[8:9], s[12:13]
; %bb.2398:
	s_mov_b32 s10, 0x7f800001
	s_xor_b64 s[4:5], exec, -1
; %bb.2399:
	s_or_b64 exec, exec, s[8:9]
	s_and_b64 s[4:5], s[4:5], exec
	s_or_saveexec_b64 s[6:7], s[6:7]
	v_mov_b32_e32 v3, s10
	s_xor_b64 exec, exec, s[6:7]
	s_cbranch_execz .LBB8_350
.LBB8_2400:
	v_mov_b32_e32 v3, 0
	v_cmp_ne_u16_sdwa s[8:9], v4, v3 src0_sel:BYTE_3 src1_sel:DWORD
	s_andn2_b64 s[4:5], s[4:5], exec
	s_and_b64 s[8:9], s[8:9], exec
	s_or_b64 s[4:5], s[4:5], s[8:9]
	s_or_b64 exec, exec, s[6:7]
	s_and_saveexec_b64 s[6:7], s[4:5]
	s_cbranch_execnz .LBB8_351
	s_branch .LBB8_352
.LBB8_2401:
	s_movk_i32 s4, 0x80
	v_cmp_eq_u16_sdwa s[12:13], v9, s4 src0_sel:BYTE_0 src1_sel:DWORD
	s_mov_b64 s[4:5], -1
                                        ; implicit-def: $sgpr10
	s_and_saveexec_b64 s[8:9], s[12:13]
; %bb.2402:
	s_mov_b32 s10, 0x7f800001
	s_xor_b64 s[4:5], exec, -1
; %bb.2403:
	s_or_b64 exec, exec, s[8:9]
	s_and_b64 s[4:5], s[4:5], exec
	s_or_saveexec_b64 s[6:7], s[6:7]
	v_mov_b32_e32 v2, s10
	s_xor_b64 exec, exec, s[6:7]
	s_cbranch_execz .LBB8_354
.LBB8_2404:
	v_mov_b32_e32 v2, 0
	v_cmp_ne_u16_sdwa s[8:9], v9, v2 src0_sel:BYTE_0 src1_sel:DWORD
	s_andn2_b64 s[4:5], s[4:5], exec
	s_and_b64 s[8:9], s[8:9], exec
	s_or_b64 s[4:5], s[4:5], s[8:9]
	s_or_b64 exec, exec, s[6:7]
	s_and_saveexec_b64 s[6:7], s[4:5]
	s_cbranch_execnz .LBB8_355
	s_branch .LBB8_356
.LBB8_2405:
	s_movk_i32 s4, 0x80
	v_cmp_eq_u16_sdwa s[12:13], v5, s4 src0_sel:BYTE_0 src1_sel:DWORD
	s_mov_b64 s[4:5], -1
                                        ; implicit-def: $sgpr10
	s_and_saveexec_b64 s[8:9], s[12:13]
; %bb.2406:
	s_mov_b32 s10, 0x7f800001
	s_xor_b64 s[4:5], exec, -1
; %bb.2407:
	s_or_b64 exec, exec, s[8:9]
	s_and_b64 s[4:5], s[4:5], exec
	s_or_saveexec_b64 s[6:7], s[6:7]
	v_mov_b32_e32 v3, s10
	s_xor_b64 exec, exec, s[6:7]
	s_cbranch_execz .LBB8_358
.LBB8_2408:
	v_mov_b32_e32 v3, 0
	v_cmp_ne_u16_sdwa s[8:9], v5, v3 src0_sel:BYTE_0 src1_sel:DWORD
	s_andn2_b64 s[4:5], s[4:5], exec
	s_and_b64 s[8:9], s[8:9], exec
	s_or_b64 s[4:5], s[4:5], s[8:9]
	s_or_b64 exec, exec, s[6:7]
	s_and_saveexec_b64 s[6:7], s[4:5]
	s_cbranch_execnz .LBB8_359
	s_branch .LBB8_360
.LBB8_2409:
	s_movk_i32 s4, 0x80
	v_cmp_eq_u16_sdwa s[12:13], v3, s4 src0_sel:BYTE_0 src1_sel:DWORD
	s_mov_b64 s[4:5], -1
                                        ; implicit-def: $sgpr10
	s_and_saveexec_b64 s[8:9], s[12:13]
; %bb.2410:
	s_mov_b32 s10, 0x7f800001
	s_xor_b64 s[4:5], exec, -1
; %bb.2411:
	s_or_b64 exec, exec, s[8:9]
	s_and_b64 s[4:5], s[4:5], exec
	s_or_saveexec_b64 s[6:7], s[6:7]
	v_mov_b32_e32 v2, s10
	s_xor_b64 exec, exec, s[6:7]
	s_cbranch_execz .LBB8_362
.LBB8_2412:
	v_mov_b32_e32 v2, 0
	v_cmp_ne_u16_sdwa s[8:9], v3, v2 src0_sel:BYTE_0 src1_sel:DWORD
	s_andn2_b64 s[4:5], s[4:5], exec
	s_and_b64 s[8:9], s[8:9], exec
	s_or_b64 s[4:5], s[4:5], s[8:9]
	s_or_b64 exec, exec, s[6:7]
	s_and_saveexec_b64 s[6:7], s[4:5]
	s_cbranch_execnz .LBB8_363
	s_branch .LBB8_364
.LBB8_2413:
	s_movk_i32 s4, 0x80
	v_cmp_eq_u16_sdwa s[12:13], v3, s4 src0_sel:BYTE_0 src1_sel:DWORD
	s_mov_b64 s[4:5], -1
                                        ; implicit-def: $sgpr10
	s_and_saveexec_b64 s[8:9], s[12:13]
; %bb.2414:
	s_mov_b32 s10, 0x7f800001
	s_xor_b64 s[4:5], exec, -1
; %bb.2415:
	s_or_b64 exec, exec, s[8:9]
	s_and_b64 s[4:5], s[4:5], exec
	s_or_saveexec_b64 s[6:7], s[6:7]
	v_mov_b32_e32 v4, s10
	s_xor_b64 exec, exec, s[6:7]
	s_cbranch_execz .LBB8_366
.LBB8_2416:
	v_mov_b32_e32 v4, 0
	v_cmp_ne_u16_sdwa s[8:9], v3, v4 src0_sel:BYTE_0 src1_sel:DWORD
	s_andn2_b64 s[4:5], s[4:5], exec
	s_and_b64 s[8:9], s[8:9], exec
	s_or_b64 s[4:5], s[4:5], s[8:9]
	s_or_b64 exec, exec, s[6:7]
	s_and_saveexec_b64 s[6:7], s[4:5]
	s_cbranch_execnz .LBB8_367
	s_branch .LBB8_368
.LBB8_2417:
	s_movk_i32 s4, 0x80
	v_cmp_eq_u16_e32 vcc, s4, v3
	s_mov_b64 s[4:5], -1
                                        ; implicit-def: $sgpr10
	s_and_saveexec_b64 s[8:9], vcc
; %bb.2418:
	s_mov_b32 s10, 0x7f800001
	s_xor_b64 s[4:5], exec, -1
; %bb.2419:
	s_or_b64 exec, exec, s[8:9]
	s_and_b64 s[4:5], s[4:5], exec
                                        ; implicit-def: $vgpr3
	s_or_saveexec_b64 s[6:7], s[6:7]
	v_mov_b32_e32 v2, s10
	s_xor_b64 exec, exec, s[6:7]
	s_cbranch_execz .LBB8_370
.LBB8_2420:
	v_cmp_ne_u16_e32 vcc, 0, v3
	s_andn2_b64 s[4:5], s[4:5], exec
	s_and_b64 s[8:9], vcc, exec
	v_mov_b32_e32 v2, 0
	s_or_b64 s[4:5], s[4:5], s[8:9]
	s_or_b64 exec, exec, s[6:7]
	s_and_saveexec_b64 s[6:7], s[4:5]
	s_cbranch_execnz .LBB8_371
	s_branch .LBB8_372
.LBB8_2421:
	s_movk_i32 s4, 0x80
	v_cmp_eq_u16_e32 vcc, s4, v3
	s_mov_b64 s[4:5], -1
                                        ; implicit-def: $sgpr10
	s_and_saveexec_b64 s[8:9], vcc
; %bb.2422:
	s_mov_b32 s10, 0x7f800001
	s_xor_b64 s[4:5], exec, -1
; %bb.2423:
	s_or_b64 exec, exec, s[8:9]
	s_and_b64 s[4:5], s[4:5], exec
                                        ; implicit-def: $vgpr3
	s_or_saveexec_b64 s[6:7], s[6:7]
	v_mov_b32_e32 v4, s10
	s_xor_b64 exec, exec, s[6:7]
	s_cbranch_execz .LBB8_374
.LBB8_2424:
	v_cmp_ne_u16_e32 vcc, 0, v3
	s_andn2_b64 s[4:5], s[4:5], exec
	s_and_b64 s[8:9], vcc, exec
	v_mov_b32_e32 v4, 0
	s_or_b64 s[4:5], s[4:5], s[8:9]
	s_or_b64 exec, exec, s[6:7]
	s_and_saveexec_b64 s[6:7], s[4:5]
	s_cbranch_execnz .LBB8_375
	s_branch .LBB8_376
.LBB8_2425:
	s_movk_i32 s4, 0x80
	v_cmp_eq_u16_sdwa s[12:13], v9, s4 src0_sel:BYTE_3 src1_sel:DWORD
	s_mov_b64 s[4:5], -1
                                        ; implicit-def: $sgpr10
	s_and_saveexec_b64 s[8:9], s[12:13]
; %bb.2426:
	s_mov_b32 s10, 0x7f800001
	s_xor_b64 s[4:5], exec, -1
; %bb.2427:
	s_or_b64 exec, exec, s[8:9]
	s_and_b64 s[4:5], s[4:5], exec
	s_or_saveexec_b64 s[6:7], s[6:7]
	v_mov_b32_e32 v2, s10
	s_xor_b64 exec, exec, s[6:7]
	s_cbranch_execz .LBB8_378
.LBB8_2428:
	v_mov_b32_e32 v2, 0
	v_cmp_ne_u16_sdwa s[8:9], v9, v2 src0_sel:BYTE_3 src1_sel:DWORD
	s_andn2_b64 s[4:5], s[4:5], exec
	s_and_b64 s[8:9], s[8:9], exec
	s_or_b64 s[4:5], s[4:5], s[8:9]
	s_or_b64 exec, exec, s[6:7]
	s_and_saveexec_b64 s[6:7], s[4:5]
	s_cbranch_execnz .LBB8_379
	s_branch .LBB8_380
.LBB8_2429:
	s_movk_i32 s4, 0x80
	v_cmp_eq_u16_sdwa s[12:13], v5, s4 src0_sel:BYTE_3 src1_sel:DWORD
	s_mov_b64 s[4:5], -1
                                        ; implicit-def: $sgpr10
	s_and_saveexec_b64 s[8:9], s[12:13]
; %bb.2430:
	s_mov_b32 s10, 0x7f800001
	s_xor_b64 s[4:5], exec, -1
; %bb.2431:
	s_or_b64 exec, exec, s[8:9]
	s_and_b64 s[4:5], s[4:5], exec
	s_or_saveexec_b64 s[6:7], s[6:7]
	v_mov_b32_e32 v3, s10
	s_xor_b64 exec, exec, s[6:7]
	s_cbranch_execz .LBB8_382
.LBB8_2432:
	v_mov_b32_e32 v3, 0
	v_cmp_ne_u16_sdwa s[8:9], v5, v3 src0_sel:BYTE_3 src1_sel:DWORD
	s_andn2_b64 s[4:5], s[4:5], exec
	s_and_b64 s[8:9], s[8:9], exec
	s_or_b64 s[4:5], s[4:5], s[8:9]
	s_or_b64 exec, exec, s[6:7]
	s_and_saveexec_b64 s[6:7], s[4:5]
	s_cbranch_execnz .LBB8_383
	s_branch .LBB8_384
.LBB8_2433:
	s_movk_i32 s4, 0x80
	v_cmp_eq_u16_sdwa s[12:13], v6, s4 src0_sel:BYTE_0 src1_sel:DWORD
	s_mov_b64 s[4:5], -1
                                        ; implicit-def: $sgpr10
	s_and_saveexec_b64 s[8:9], s[12:13]
; %bb.2434:
	s_mov_b32 s10, 0x7f800001
	s_xor_b64 s[4:5], exec, -1
; %bb.2435:
	s_or_b64 exec, exec, s[8:9]
	s_and_b64 s[4:5], s[4:5], exec
	s_or_saveexec_b64 s[6:7], s[6:7]
	v_mov_b32_e32 v12, s10
	s_xor_b64 exec, exec, s[6:7]
	s_cbranch_execz .LBB8_386
.LBB8_2436:
	v_mov_b32_e32 v12, 0
	v_cmp_ne_u16_sdwa s[8:9], v6, v12 src0_sel:BYTE_0 src1_sel:DWORD
	s_andn2_b64 s[4:5], s[4:5], exec
	s_and_b64 s[8:9], s[8:9], exec
	s_or_b64 s[4:5], s[4:5], s[8:9]
	s_or_b64 exec, exec, s[6:7]
	s_and_saveexec_b64 s[6:7], s[4:5]
	s_cbranch_execnz .LBB8_387
	s_branch .LBB8_388
.LBB8_2437:
	s_movk_i32 s4, 0x80
	v_cmp_eq_u16_sdwa s[12:13], v2, s4 src0_sel:BYTE_0 src1_sel:DWORD
	s_mov_b64 s[4:5], -1
                                        ; implicit-def: $sgpr10
	s_and_saveexec_b64 s[8:9], s[12:13]
; %bb.2438:
	s_mov_b32 s10, 0x7f800001
	s_xor_b64 s[4:5], exec, -1
; %bb.2439:
	s_or_b64 exec, exec, s[8:9]
	s_and_b64 s[4:5], s[4:5], exec
	s_or_saveexec_b64 s[6:7], s[6:7]
	v_mov_b32_e32 v13, s10
	s_xor_b64 exec, exec, s[6:7]
	s_cbranch_execz .LBB8_390
.LBB8_2440:
	v_mov_b32_e32 v13, 0
	v_cmp_ne_u16_sdwa s[8:9], v2, v13 src0_sel:BYTE_0 src1_sel:DWORD
	s_andn2_b64 s[4:5], s[4:5], exec
	s_and_b64 s[8:9], s[8:9], exec
	s_or_b64 s[4:5], s[4:5], s[8:9]
	s_or_b64 exec, exec, s[6:7]
	s_and_saveexec_b64 s[6:7], s[4:5]
	s_cbranch_execnz .LBB8_391
	s_branch .LBB8_392
.LBB8_2441:
	s_movk_i32 s4, 0x80
	v_cmp_eq_u16_sdwa s[12:13], v13, s4 src0_sel:BYTE_0 src1_sel:DWORD
	s_mov_b64 s[4:5], -1
                                        ; implicit-def: $sgpr10
	s_and_saveexec_b64 s[8:9], s[12:13]
; %bb.2442:
	s_mov_b32 s10, 0x7f800001
	s_xor_b64 s[4:5], exec, -1
; %bb.2443:
	s_or_b64 exec, exec, s[8:9]
	s_and_b64 s[4:5], s[4:5], exec
	s_or_saveexec_b64 s[6:7], s[6:7]
	v_mov_b32_e32 v12, s10
	s_xor_b64 exec, exec, s[6:7]
	s_cbranch_execz .LBB8_394
.LBB8_2444:
	v_mov_b32_e32 v12, 0
	v_cmp_ne_u16_sdwa s[8:9], v13, v12 src0_sel:BYTE_0 src1_sel:DWORD
	s_andn2_b64 s[4:5], s[4:5], exec
	s_and_b64 s[8:9], s[8:9], exec
	s_or_b64 s[4:5], s[4:5], s[8:9]
	s_or_b64 exec, exec, s[6:7]
	s_and_saveexec_b64 s[6:7], s[4:5]
	s_cbranch_execnz .LBB8_395
	s_branch .LBB8_396
.LBB8_2445:
	s_movk_i32 s4, 0x80
	v_cmp_eq_u16_sdwa s[12:13], v13, s4 src0_sel:BYTE_0 src1_sel:DWORD
	s_mov_b64 s[4:5], -1
                                        ; implicit-def: $sgpr10
	s_and_saveexec_b64 s[8:9], s[12:13]
; %bb.2446:
	s_mov_b32 s10, 0x7f800001
	s_xor_b64 s[4:5], exec, -1
; %bb.2447:
	s_or_b64 exec, exec, s[8:9]
	s_and_b64 s[4:5], s[4:5], exec
	s_or_saveexec_b64 s[6:7], s[6:7]
	v_mov_b32_e32 v14, s10
	s_xor_b64 exec, exec, s[6:7]
	s_cbranch_execz .LBB8_398
.LBB8_2448:
	v_mov_b32_e32 v14, 0
	v_cmp_ne_u16_sdwa s[8:9], v13, v14 src0_sel:BYTE_0 src1_sel:DWORD
	s_andn2_b64 s[4:5], s[4:5], exec
	s_and_b64 s[8:9], s[8:9], exec
	s_or_b64 s[4:5], s[4:5], s[8:9]
	s_or_b64 exec, exec, s[6:7]
	s_and_saveexec_b64 s[6:7], s[4:5]
	s_cbranch_execnz .LBB8_399
	s_branch .LBB8_400
.LBB8_2449:
	s_movk_i32 s4, 0x80
	v_cmp_eq_u16_e32 vcc, s4, v13
	s_mov_b64 s[4:5], -1
                                        ; implicit-def: $sgpr10
	s_and_saveexec_b64 s[8:9], vcc
; %bb.2450:
	s_mov_b32 s10, 0x7f800001
	s_xor_b64 s[4:5], exec, -1
; %bb.2451:
	s_or_b64 exec, exec, s[8:9]
	s_and_b64 s[4:5], s[4:5], exec
                                        ; implicit-def: $vgpr13
	s_or_saveexec_b64 s[6:7], s[6:7]
	v_mov_b32_e32 v12, s10
	s_xor_b64 exec, exec, s[6:7]
	s_cbranch_execz .LBB8_402
.LBB8_2452:
	v_cmp_ne_u16_e32 vcc, 0, v13
	s_andn2_b64 s[4:5], s[4:5], exec
	s_and_b64 s[8:9], vcc, exec
	v_mov_b32_e32 v12, 0
	s_or_b64 s[4:5], s[4:5], s[8:9]
	s_or_b64 exec, exec, s[6:7]
	s_and_saveexec_b64 s[6:7], s[4:5]
	s_cbranch_execnz .LBB8_403
	s_branch .LBB8_404
.LBB8_2453:
	s_movk_i32 s4, 0x80
	v_cmp_eq_u16_e32 vcc, s4, v13
	s_mov_b64 s[4:5], -1
                                        ; implicit-def: $sgpr10
	s_and_saveexec_b64 s[8:9], vcc
; %bb.2454:
	s_mov_b32 s10, 0x7f800001
	s_xor_b64 s[4:5], exec, -1
; %bb.2455:
	s_or_b64 exec, exec, s[8:9]
	s_and_b64 s[4:5], s[4:5], exec
                                        ; implicit-def: $vgpr13
	s_or_saveexec_b64 s[6:7], s[6:7]
	v_mov_b32_e32 v14, s10
	s_xor_b64 exec, exec, s[6:7]
	s_cbranch_execz .LBB8_406
.LBB8_2456:
	v_cmp_ne_u16_e32 vcc, 0, v13
	s_andn2_b64 s[4:5], s[4:5], exec
	s_and_b64 s[8:9], vcc, exec
	v_mov_b32_e32 v14, 0
	s_or_b64 s[4:5], s[4:5], s[8:9]
	s_or_b64 exec, exec, s[6:7]
	s_and_saveexec_b64 s[6:7], s[4:5]
	s_cbranch_execnz .LBB8_407
	s_branch .LBB8_408
.LBB8_2457:
	s_movk_i32 s4, 0x80
	v_cmp_eq_u16_sdwa s[12:13], v6, s4 src0_sel:BYTE_3 src1_sel:DWORD
	s_mov_b64 s[4:5], -1
                                        ; implicit-def: $sgpr10
	s_and_saveexec_b64 s[8:9], s[12:13]
; %bb.2458:
	s_mov_b32 s10, 0x7f800001
	s_xor_b64 s[4:5], exec, -1
; %bb.2459:
	s_or_b64 exec, exec, s[8:9]
	s_and_b64 s[4:5], s[4:5], exec
	s_or_saveexec_b64 s[6:7], s[6:7]
	v_mov_b32_e32 v12, s10
	s_xor_b64 exec, exec, s[6:7]
	s_cbranch_execz .LBB8_410
.LBB8_2460:
	v_mov_b32_e32 v12, 0
	v_cmp_ne_u16_sdwa s[8:9], v6, v12 src0_sel:BYTE_3 src1_sel:DWORD
	s_andn2_b64 s[4:5], s[4:5], exec
	s_and_b64 s[8:9], s[8:9], exec
	s_or_b64 s[4:5], s[4:5], s[8:9]
	s_or_b64 exec, exec, s[6:7]
	s_and_saveexec_b64 s[6:7], s[4:5]
	s_cbranch_execnz .LBB8_411
	s_branch .LBB8_412
.LBB8_2461:
	s_movk_i32 s4, 0x80
	v_cmp_eq_u16_sdwa s[12:13], v2, s4 src0_sel:BYTE_3 src1_sel:DWORD
	s_mov_b64 s[4:5], -1
                                        ; implicit-def: $sgpr10
	s_and_saveexec_b64 s[8:9], s[12:13]
; %bb.2462:
	s_mov_b32 s10, 0x7f800001
	s_xor_b64 s[4:5], exec, -1
; %bb.2463:
	s_or_b64 exec, exec, s[8:9]
	s_and_b64 s[4:5], s[4:5], exec
	s_or_saveexec_b64 s[6:7], s[6:7]
	v_mov_b32_e32 v6, s10
	s_xor_b64 exec, exec, s[6:7]
	s_cbranch_execz .LBB8_414
.LBB8_2464:
	v_mov_b32_e32 v6, 0
	v_cmp_ne_u16_sdwa s[8:9], v2, v6 src0_sel:BYTE_3 src1_sel:DWORD
	s_andn2_b64 s[4:5], s[4:5], exec
	s_and_b64 s[8:9], s[8:9], exec
	s_or_b64 s[4:5], s[4:5], s[8:9]
	s_or_b64 exec, exec, s[6:7]
	s_and_saveexec_b64 s[6:7], s[4:5]
	s_cbranch_execnz .LBB8_415
	s_branch .LBB8_416
.LBB8_2465:
	s_movk_i32 s4, 0x80
	v_cmp_eq_u16_sdwa s[12:13], v7, s4 src0_sel:BYTE_0 src1_sel:DWORD
	s_mov_b64 s[4:5], -1
                                        ; implicit-def: $sgpr10
	s_and_saveexec_b64 s[8:9], s[12:13]
; %bb.2466:
	s_mov_b32 s10, 0x7f800001
	s_xor_b64 s[4:5], exec, -1
; %bb.2467:
	s_or_b64 exec, exec, s[8:9]
	s_and_b64 s[4:5], s[4:5], exec
	s_or_saveexec_b64 s[6:7], s[6:7]
	v_mov_b32_e32 v2, s10
	s_xor_b64 exec, exec, s[6:7]
	s_cbranch_execz .LBB8_418
.LBB8_2468:
	v_mov_b32_e32 v2, 0
	v_cmp_ne_u16_sdwa s[8:9], v7, v2 src0_sel:BYTE_0 src1_sel:DWORD
	s_andn2_b64 s[4:5], s[4:5], exec
	s_and_b64 s[8:9], s[8:9], exec
	s_or_b64 s[4:5], s[4:5], s[8:9]
	s_or_b64 exec, exec, s[6:7]
	s_and_saveexec_b64 s[6:7], s[4:5]
	s_cbranch_execnz .LBB8_419
	s_branch .LBB8_420
.LBB8_2469:
	s_movk_i32 s4, 0x80
	v_cmp_eq_u16_sdwa s[12:13], v3, s4 src0_sel:BYTE_0 src1_sel:DWORD
	s_mov_b64 s[4:5], -1
                                        ; implicit-def: $sgpr10
	s_and_saveexec_b64 s[8:9], s[12:13]
; %bb.2470:
	s_mov_b32 s10, 0x7f800001
	s_xor_b64 s[4:5], exec, -1
; %bb.2471:
	s_or_b64 exec, exec, s[8:9]
	s_and_b64 s[4:5], s[4:5], exec
	s_or_saveexec_b64 s[6:7], s[6:7]
	v_mov_b32_e32 v6, s10
	s_xor_b64 exec, exec, s[6:7]
	s_cbranch_execz .LBB8_422
.LBB8_2472:
	v_mov_b32_e32 v6, 0
	v_cmp_ne_u16_sdwa s[8:9], v3, v6 src0_sel:BYTE_0 src1_sel:DWORD
	s_andn2_b64 s[4:5], s[4:5], exec
	s_and_b64 s[8:9], s[8:9], exec
	s_or_b64 s[4:5], s[4:5], s[8:9]
	s_or_b64 exec, exec, s[6:7]
	s_and_saveexec_b64 s[6:7], s[4:5]
	s_cbranch_execnz .LBB8_423
	s_branch .LBB8_424
.LBB8_2473:
	s_movk_i32 s4, 0x80
	v_cmp_eq_u16_sdwa s[12:13], v6, s4 src0_sel:BYTE_0 src1_sel:DWORD
	s_mov_b64 s[4:5], -1
                                        ; implicit-def: $sgpr10
	s_and_saveexec_b64 s[8:9], s[12:13]
; %bb.2474:
	s_mov_b32 s10, 0x7f800001
	s_xor_b64 s[4:5], exec, -1
; %bb.2475:
	s_or_b64 exec, exec, s[8:9]
	s_and_b64 s[4:5], s[4:5], exec
	s_or_saveexec_b64 s[6:7], s[6:7]
	v_mov_b32_e32 v2, s10
	s_xor_b64 exec, exec, s[6:7]
	s_cbranch_execz .LBB8_426
.LBB8_2476:
	v_mov_b32_e32 v2, 0
	v_cmp_ne_u16_sdwa s[8:9], v6, v2 src0_sel:BYTE_0 src1_sel:DWORD
	s_andn2_b64 s[4:5], s[4:5], exec
	s_and_b64 s[8:9], s[8:9], exec
	s_or_b64 s[4:5], s[4:5], s[8:9]
	s_or_b64 exec, exec, s[6:7]
	s_and_saveexec_b64 s[6:7], s[4:5]
	s_cbranch_execnz .LBB8_427
	s_branch .LBB8_428
.LBB8_2477:
	s_movk_i32 s4, 0x80
	v_cmp_eq_u16_sdwa s[12:13], v6, s4 src0_sel:BYTE_0 src1_sel:DWORD
	s_mov_b64 s[4:5], -1
                                        ; implicit-def: $sgpr10
	s_and_saveexec_b64 s[8:9], s[12:13]
; %bb.2478:
	s_mov_b32 s10, 0x7f800001
	s_xor_b64 s[4:5], exec, -1
; %bb.2479:
	s_or_b64 exec, exec, s[8:9]
	s_and_b64 s[4:5], s[4:5], exec
	s_or_saveexec_b64 s[6:7], s[6:7]
	v_mov_b32_e32 v12, s10
	s_xor_b64 exec, exec, s[6:7]
	s_cbranch_execz .LBB8_430
.LBB8_2480:
	v_mov_b32_e32 v12, 0
	v_cmp_ne_u16_sdwa s[8:9], v6, v12 src0_sel:BYTE_0 src1_sel:DWORD
	s_andn2_b64 s[4:5], s[4:5], exec
	s_and_b64 s[8:9], s[8:9], exec
	s_or_b64 s[4:5], s[4:5], s[8:9]
	s_or_b64 exec, exec, s[6:7]
	s_and_saveexec_b64 s[6:7], s[4:5]
	s_cbranch_execnz .LBB8_431
	s_branch .LBB8_432
.LBB8_2481:
	s_movk_i32 s4, 0x80
	v_cmp_eq_u16_e32 vcc, s4, v6
	s_mov_b64 s[4:5], -1
                                        ; implicit-def: $sgpr10
	s_and_saveexec_b64 s[8:9], vcc
; %bb.2482:
	s_mov_b32 s10, 0x7f800001
	s_xor_b64 s[4:5], exec, -1
; %bb.2483:
	s_or_b64 exec, exec, s[8:9]
	s_and_b64 s[4:5], s[4:5], exec
                                        ; implicit-def: $vgpr6
	s_or_saveexec_b64 s[6:7], s[6:7]
	v_mov_b32_e32 v2, s10
	s_xor_b64 exec, exec, s[6:7]
	s_cbranch_execz .LBB8_434
.LBB8_2484:
	v_cmp_ne_u16_e32 vcc, 0, v6
	s_andn2_b64 s[4:5], s[4:5], exec
	s_and_b64 s[8:9], vcc, exec
	v_mov_b32_e32 v2, 0
	s_or_b64 s[4:5], s[4:5], s[8:9]
	s_or_b64 exec, exec, s[6:7]
	s_and_saveexec_b64 s[6:7], s[4:5]
	s_cbranch_execnz .LBB8_435
	s_branch .LBB8_436
.LBB8_2485:
	s_movk_i32 s4, 0x80
	v_cmp_eq_u16_e32 vcc, s4, v6
	s_mov_b64 s[4:5], -1
                                        ; implicit-def: $sgpr10
	s_and_saveexec_b64 s[8:9], vcc
; %bb.2486:
	s_mov_b32 s10, 0x7f800001
	s_xor_b64 s[4:5], exec, -1
; %bb.2487:
	s_or_b64 exec, exec, s[8:9]
	s_and_b64 s[4:5], s[4:5], exec
                                        ; implicit-def: $vgpr6
	s_or_saveexec_b64 s[6:7], s[6:7]
	v_mov_b32_e32 v12, s10
	s_xor_b64 exec, exec, s[6:7]
	s_cbranch_execz .LBB8_438
.LBB8_2488:
	v_cmp_ne_u16_e32 vcc, 0, v6
	s_andn2_b64 s[4:5], s[4:5], exec
	s_and_b64 s[8:9], vcc, exec
	v_mov_b32_e32 v12, 0
	s_or_b64 s[4:5], s[4:5], s[8:9]
	s_or_b64 exec, exec, s[6:7]
	s_and_saveexec_b64 s[6:7], s[4:5]
	s_cbranch_execnz .LBB8_439
	s_branch .LBB8_440
.LBB8_2489:
	s_movk_i32 s4, 0x80
	v_cmp_eq_u16_sdwa s[12:13], v7, s4 src0_sel:BYTE_3 src1_sel:DWORD
	s_mov_b64 s[4:5], -1
                                        ; implicit-def: $sgpr10
	s_and_saveexec_b64 s[8:9], s[12:13]
; %bb.2490:
	s_mov_b32 s10, 0x7f800001
	s_xor_b64 s[4:5], exec, -1
; %bb.2491:
	s_or_b64 exec, exec, s[8:9]
	s_and_b64 s[4:5], s[4:5], exec
	s_or_saveexec_b64 s[6:7], s[6:7]
	v_mov_b32_e32 v2, s10
	s_xor_b64 exec, exec, s[6:7]
	s_cbranch_execz .LBB8_442
.LBB8_2492:
	v_mov_b32_e32 v2, 0
	v_cmp_ne_u16_sdwa s[8:9], v7, v2 src0_sel:BYTE_3 src1_sel:DWORD
	s_andn2_b64 s[4:5], s[4:5], exec
	s_and_b64 s[8:9], s[8:9], exec
	s_or_b64 s[4:5], s[4:5], s[8:9]
	s_or_b64 exec, exec, s[6:7]
	s_and_saveexec_b64 s[6:7], s[4:5]
	s_cbranch_execnz .LBB8_443
	s_branch .LBB8_444
.LBB8_2493:
	s_movk_i32 s4, 0x80
	v_cmp_eq_u16_sdwa s[12:13], v3, s4 src0_sel:BYTE_3 src1_sel:DWORD
	s_mov_b64 s[4:5], -1
                                        ; implicit-def: $sgpr10
	s_and_saveexec_b64 s[8:9], s[12:13]
; %bb.2494:
	s_mov_b32 s10, 0x7f800001
	s_xor_b64 s[4:5], exec, -1
; %bb.2495:
	s_or_b64 exec, exec, s[8:9]
	s_and_b64 s[4:5], s[4:5], exec
	s_or_saveexec_b64 s[6:7], s[6:7]
	v_mov_b32_e32 v6, s10
	s_xor_b64 exec, exec, s[6:7]
	s_cbranch_execz .LBB8_446
.LBB8_2496:
	v_mov_b32_e32 v6, 0
	v_cmp_ne_u16_sdwa s[8:9], v3, v6 src0_sel:BYTE_3 src1_sel:DWORD
	s_andn2_b64 s[4:5], s[4:5], exec
	s_and_b64 s[8:9], s[8:9], exec
	s_or_b64 s[4:5], s[4:5], s[8:9]
	s_or_b64 exec, exec, s[6:7]
	s_and_saveexec_b64 s[6:7], s[4:5]
	s_cbranch_execnz .LBB8_447
	s_branch .LBB8_448
.LBB8_2497:
	s_movk_i32 s4, 0x80
	v_cmp_eq_u16_sdwa s[12:13], v8, s4 src0_sel:BYTE_0 src1_sel:DWORD
	s_mov_b64 s[4:5], -1
                                        ; implicit-def: $sgpr10
	s_and_saveexec_b64 s[8:9], s[12:13]
; %bb.2498:
	s_mov_b32 s10, 0x7f800001
	s_xor_b64 s[4:5], exec, -1
; %bb.2499:
	s_or_b64 exec, exec, s[8:9]
	s_and_b64 s[4:5], s[4:5], exec
	s_or_saveexec_b64 s[6:7], s[6:7]
	v_mov_b32_e32 v2, s10
	s_xor_b64 exec, exec, s[6:7]
	s_cbranch_execz .LBB8_450
.LBB8_2500:
	v_mov_b32_e32 v2, 0
	v_cmp_ne_u16_sdwa s[8:9], v8, v2 src0_sel:BYTE_0 src1_sel:DWORD
	s_andn2_b64 s[4:5], s[4:5], exec
	s_and_b64 s[8:9], s[8:9], exec
	s_or_b64 s[4:5], s[4:5], s[8:9]
	s_or_b64 exec, exec, s[6:7]
	s_and_saveexec_b64 s[6:7], s[4:5]
	s_cbranch_execnz .LBB8_451
	s_branch .LBB8_452
.LBB8_2501:
	s_movk_i32 s4, 0x80
	v_cmp_eq_u16_sdwa s[12:13], v4, s4 src0_sel:BYTE_0 src1_sel:DWORD
	s_mov_b64 s[4:5], -1
                                        ; implicit-def: $sgpr10
	s_and_saveexec_b64 s[8:9], s[12:13]
; %bb.2502:
	s_mov_b32 s10, 0x7f800001
	s_xor_b64 s[4:5], exec, -1
; %bb.2503:
	s_or_b64 exec, exec, s[8:9]
	s_and_b64 s[4:5], s[4:5], exec
	s_or_saveexec_b64 s[6:7], s[6:7]
	v_mov_b32_e32 v3, s10
	s_xor_b64 exec, exec, s[6:7]
	s_cbranch_execz .LBB8_454
.LBB8_2504:
	v_mov_b32_e32 v3, 0
	v_cmp_ne_u16_sdwa s[8:9], v4, v3 src0_sel:BYTE_0 src1_sel:DWORD
	s_andn2_b64 s[4:5], s[4:5], exec
	s_and_b64 s[8:9], s[8:9], exec
	s_or_b64 s[4:5], s[4:5], s[8:9]
	s_or_b64 exec, exec, s[6:7]
	s_and_saveexec_b64 s[6:7], s[4:5]
	s_cbranch_execnz .LBB8_455
	s_branch .LBB8_456
.LBB8_2505:
	s_movk_i32 s4, 0x80
	v_cmp_eq_u16_sdwa s[12:13], v3, s4 src0_sel:BYTE_0 src1_sel:DWORD
	s_mov_b64 s[4:5], -1
                                        ; implicit-def: $sgpr10
	s_and_saveexec_b64 s[8:9], s[12:13]
; %bb.2506:
	s_mov_b32 s10, 0x7f800001
	s_xor_b64 s[4:5], exec, -1
; %bb.2507:
	s_or_b64 exec, exec, s[8:9]
	s_and_b64 s[4:5], s[4:5], exec
	s_or_saveexec_b64 s[6:7], s[6:7]
	v_mov_b32_e32 v2, s10
	s_xor_b64 exec, exec, s[6:7]
	s_cbranch_execz .LBB8_458
.LBB8_2508:
	v_mov_b32_e32 v2, 0
	v_cmp_ne_u16_sdwa s[8:9], v3, v2 src0_sel:BYTE_0 src1_sel:DWORD
	s_andn2_b64 s[4:5], s[4:5], exec
	s_and_b64 s[8:9], s[8:9], exec
	s_or_b64 s[4:5], s[4:5], s[8:9]
	s_or_b64 exec, exec, s[6:7]
	s_and_saveexec_b64 s[6:7], s[4:5]
	s_cbranch_execnz .LBB8_459
	s_branch .LBB8_460
.LBB8_2509:
	s_movk_i32 s4, 0x80
	v_cmp_eq_u16_sdwa s[12:13], v3, s4 src0_sel:BYTE_0 src1_sel:DWORD
	s_mov_b64 s[4:5], -1
                                        ; implicit-def: $sgpr10
	s_and_saveexec_b64 s[8:9], s[12:13]
; %bb.2510:
	s_mov_b32 s10, 0x7f800001
	s_xor_b64 s[4:5], exec, -1
; %bb.2511:
	s_or_b64 exec, exec, s[8:9]
	s_and_b64 s[4:5], s[4:5], exec
	s_or_saveexec_b64 s[6:7], s[6:7]
	v_mov_b32_e32 v6, s10
	s_xor_b64 exec, exec, s[6:7]
	s_cbranch_execz .LBB8_462
.LBB8_2512:
	v_mov_b32_e32 v6, 0
	v_cmp_ne_u16_sdwa s[8:9], v3, v6 src0_sel:BYTE_0 src1_sel:DWORD
	s_andn2_b64 s[4:5], s[4:5], exec
	s_and_b64 s[8:9], s[8:9], exec
	s_or_b64 s[4:5], s[4:5], s[8:9]
	s_or_b64 exec, exec, s[6:7]
	s_and_saveexec_b64 s[6:7], s[4:5]
	s_cbranch_execnz .LBB8_463
	s_branch .LBB8_464
.LBB8_2513:
	s_movk_i32 s4, 0x80
	v_cmp_eq_u16_e32 vcc, s4, v3
	s_mov_b64 s[4:5], -1
                                        ; implicit-def: $sgpr10
	s_and_saveexec_b64 s[8:9], vcc
; %bb.2514:
	s_mov_b32 s10, 0x7f800001
	s_xor_b64 s[4:5], exec, -1
; %bb.2515:
	s_or_b64 exec, exec, s[8:9]
	s_and_b64 s[4:5], s[4:5], exec
                                        ; implicit-def: $vgpr3
	s_or_saveexec_b64 s[6:7], s[6:7]
	v_mov_b32_e32 v2, s10
	s_xor_b64 exec, exec, s[6:7]
	s_cbranch_execz .LBB8_466
.LBB8_2516:
	v_cmp_ne_u16_e32 vcc, 0, v3
	s_andn2_b64 s[4:5], s[4:5], exec
	s_and_b64 s[8:9], vcc, exec
	v_mov_b32_e32 v2, 0
	s_or_b64 s[4:5], s[4:5], s[8:9]
	s_or_b64 exec, exec, s[6:7]
	s_and_saveexec_b64 s[6:7], s[4:5]
	s_cbranch_execnz .LBB8_467
	s_branch .LBB8_468
.LBB8_2517:
	s_movk_i32 s4, 0x80
	v_cmp_eq_u16_e32 vcc, s4, v3
	s_mov_b64 s[4:5], -1
                                        ; implicit-def: $sgpr10
	s_and_saveexec_b64 s[8:9], vcc
; %bb.2518:
	s_mov_b32 s10, 0x7f800001
	s_xor_b64 s[4:5], exec, -1
; %bb.2519:
	s_or_b64 exec, exec, s[8:9]
	s_and_b64 s[4:5], s[4:5], exec
                                        ; implicit-def: $vgpr3
	s_or_saveexec_b64 s[6:7], s[6:7]
	v_mov_b32_e32 v6, s10
	s_xor_b64 exec, exec, s[6:7]
	s_cbranch_execz .LBB8_470
.LBB8_2520:
	v_cmp_ne_u16_e32 vcc, 0, v3
	s_andn2_b64 s[4:5], s[4:5], exec
	s_and_b64 s[8:9], vcc, exec
	v_mov_b32_e32 v6, 0
	s_or_b64 s[4:5], s[4:5], s[8:9]
	s_or_b64 exec, exec, s[6:7]
	s_and_saveexec_b64 s[6:7], s[4:5]
	s_cbranch_execnz .LBB8_471
	s_branch .LBB8_472
.LBB8_2521:
	s_movk_i32 s4, 0x80
	v_cmp_eq_u16_sdwa s[12:13], v8, s4 src0_sel:BYTE_3 src1_sel:DWORD
	s_mov_b64 s[4:5], -1
                                        ; implicit-def: $sgpr10
	s_and_saveexec_b64 s[8:9], s[12:13]
; %bb.2522:
	s_mov_b32 s10, 0x7f800001
	s_xor_b64 s[4:5], exec, -1
; %bb.2523:
	s_or_b64 exec, exec, s[8:9]
	s_and_b64 s[4:5], s[4:5], exec
	s_or_saveexec_b64 s[6:7], s[6:7]
	v_mov_b32_e32 v2, s10
	s_xor_b64 exec, exec, s[6:7]
	s_cbranch_execz .LBB8_474
.LBB8_2524:
	v_mov_b32_e32 v2, 0
	v_cmp_ne_u16_sdwa s[8:9], v8, v2 src0_sel:BYTE_3 src1_sel:DWORD
	s_andn2_b64 s[4:5], s[4:5], exec
	s_and_b64 s[8:9], s[8:9], exec
	s_or_b64 s[4:5], s[4:5], s[8:9]
	s_or_b64 exec, exec, s[6:7]
	s_and_saveexec_b64 s[6:7], s[4:5]
	s_cbranch_execnz .LBB8_475
	s_branch .LBB8_476
.LBB8_2525:
	s_movk_i32 s4, 0x80
	v_cmp_eq_u16_sdwa s[12:13], v4, s4 src0_sel:BYTE_3 src1_sel:DWORD
	s_mov_b64 s[4:5], -1
                                        ; implicit-def: $sgpr10
	s_and_saveexec_b64 s[8:9], s[12:13]
; %bb.2526:
	s_mov_b32 s10, 0x7f800001
	s_xor_b64 s[4:5], exec, -1
; %bb.2527:
	s_or_b64 exec, exec, s[8:9]
	s_and_b64 s[4:5], s[4:5], exec
	s_or_saveexec_b64 s[6:7], s[6:7]
	v_mov_b32_e32 v3, s10
	s_xor_b64 exec, exec, s[6:7]
	s_cbranch_execz .LBB8_478
.LBB8_2528:
	v_mov_b32_e32 v3, 0
	v_cmp_ne_u16_sdwa s[8:9], v4, v3 src0_sel:BYTE_3 src1_sel:DWORD
	s_andn2_b64 s[4:5], s[4:5], exec
	s_and_b64 s[8:9], s[8:9], exec
	s_or_b64 s[4:5], s[4:5], s[8:9]
	s_or_b64 exec, exec, s[6:7]
	s_and_saveexec_b64 s[6:7], s[4:5]
	s_cbranch_execnz .LBB8_479
	s_branch .LBB8_480
.LBB8_2529:
	s_movk_i32 s4, 0x80
	v_cmp_eq_u16_sdwa s[12:13], v9, s4 src0_sel:BYTE_0 src1_sel:DWORD
	s_mov_b64 s[4:5], -1
                                        ; implicit-def: $sgpr10
	s_and_saveexec_b64 s[8:9], s[12:13]
; %bb.2530:
	s_mov_b32 s10, 0x7f800001
	s_xor_b64 s[4:5], exec, -1
; %bb.2531:
	s_or_b64 exec, exec, s[8:9]
	s_and_b64 s[4:5], s[4:5], exec
	s_or_saveexec_b64 s[6:7], s[6:7]
	v_mov_b32_e32 v2, s10
	s_xor_b64 exec, exec, s[6:7]
	s_cbranch_execz .LBB8_482
.LBB8_2532:
	v_mov_b32_e32 v2, 0
	v_cmp_ne_u16_sdwa s[8:9], v9, v2 src0_sel:BYTE_0 src1_sel:DWORD
	s_andn2_b64 s[4:5], s[4:5], exec
	s_and_b64 s[8:9], s[8:9], exec
	s_or_b64 s[4:5], s[4:5], s[8:9]
	s_or_b64 exec, exec, s[6:7]
	s_and_saveexec_b64 s[6:7], s[4:5]
	s_cbranch_execnz .LBB8_483
	s_branch .LBB8_484
.LBB8_2533:
	s_movk_i32 s4, 0x80
	v_cmp_eq_u16_sdwa s[12:13], v5, s4 src0_sel:BYTE_0 src1_sel:DWORD
	s_mov_b64 s[4:5], -1
                                        ; implicit-def: $sgpr10
	s_and_saveexec_b64 s[8:9], s[12:13]
; %bb.2534:
	s_mov_b32 s10, 0x7f800001
	s_xor_b64 s[4:5], exec, -1
; %bb.2535:
	s_or_b64 exec, exec, s[8:9]
	s_and_b64 s[4:5], s[4:5], exec
	s_or_saveexec_b64 s[6:7], s[6:7]
	v_mov_b32_e32 v3, s10
	s_xor_b64 exec, exec, s[6:7]
	s_cbranch_execz .LBB8_486
.LBB8_2536:
	v_mov_b32_e32 v3, 0
	v_cmp_ne_u16_sdwa s[8:9], v5, v3 src0_sel:BYTE_0 src1_sel:DWORD
	s_andn2_b64 s[4:5], s[4:5], exec
	s_and_b64 s[8:9], s[8:9], exec
	s_or_b64 s[4:5], s[4:5], s[8:9]
	s_or_b64 exec, exec, s[6:7]
	s_and_saveexec_b64 s[6:7], s[4:5]
	s_cbranch_execnz .LBB8_487
	s_branch .LBB8_488
.LBB8_2537:
	s_movk_i32 s4, 0x80
	v_cmp_eq_u16_sdwa s[12:13], v3, s4 src0_sel:BYTE_0 src1_sel:DWORD
	s_mov_b64 s[4:5], -1
                                        ; implicit-def: $sgpr10
	s_and_saveexec_b64 s[8:9], s[12:13]
; %bb.2538:
	s_mov_b32 s10, 0x7f800001
	s_xor_b64 s[4:5], exec, -1
; %bb.2539:
	s_or_b64 exec, exec, s[8:9]
	s_and_b64 s[4:5], s[4:5], exec
	s_or_saveexec_b64 s[6:7], s[6:7]
	v_mov_b32_e32 v2, s10
	s_xor_b64 exec, exec, s[6:7]
	s_cbranch_execz .LBB8_490
.LBB8_2540:
	v_mov_b32_e32 v2, 0
	v_cmp_ne_u16_sdwa s[8:9], v3, v2 src0_sel:BYTE_0 src1_sel:DWORD
	s_andn2_b64 s[4:5], s[4:5], exec
	s_and_b64 s[8:9], s[8:9], exec
	s_or_b64 s[4:5], s[4:5], s[8:9]
	s_or_b64 exec, exec, s[6:7]
	s_and_saveexec_b64 s[6:7], s[4:5]
	s_cbranch_execnz .LBB8_491
	s_branch .LBB8_492
.LBB8_2541:
	s_movk_i32 s4, 0x80
	v_cmp_eq_u16_sdwa s[12:13], v3, s4 src0_sel:BYTE_0 src1_sel:DWORD
	s_mov_b64 s[4:5], -1
                                        ; implicit-def: $sgpr10
	s_and_saveexec_b64 s[8:9], s[12:13]
; %bb.2542:
	s_mov_b32 s10, 0x7f800001
	s_xor_b64 s[4:5], exec, -1
; %bb.2543:
	s_or_b64 exec, exec, s[8:9]
	s_and_b64 s[4:5], s[4:5], exec
	s_or_saveexec_b64 s[6:7], s[6:7]
	v_mov_b32_e32 v4, s10
	s_xor_b64 exec, exec, s[6:7]
	s_cbranch_execz .LBB8_494
.LBB8_2544:
	v_mov_b32_e32 v4, 0
	v_cmp_ne_u16_sdwa s[8:9], v3, v4 src0_sel:BYTE_0 src1_sel:DWORD
	s_andn2_b64 s[4:5], s[4:5], exec
	s_and_b64 s[8:9], s[8:9], exec
	s_or_b64 s[4:5], s[4:5], s[8:9]
	s_or_b64 exec, exec, s[6:7]
	s_and_saveexec_b64 s[6:7], s[4:5]
	s_cbranch_execnz .LBB8_495
	s_branch .LBB8_496
.LBB8_2545:
	s_movk_i32 s4, 0x80
	v_cmp_eq_u16_e32 vcc, s4, v3
	s_mov_b64 s[4:5], -1
                                        ; implicit-def: $sgpr10
	s_and_saveexec_b64 s[8:9], vcc
; %bb.2546:
	s_mov_b32 s10, 0x7f800001
	s_xor_b64 s[4:5], exec, -1
; %bb.2547:
	s_or_b64 exec, exec, s[8:9]
	s_and_b64 s[4:5], s[4:5], exec
                                        ; implicit-def: $vgpr3
	s_or_saveexec_b64 s[6:7], s[6:7]
	v_mov_b32_e32 v2, s10
	s_xor_b64 exec, exec, s[6:7]
	s_cbranch_execz .LBB8_498
.LBB8_2548:
	v_cmp_ne_u16_e32 vcc, 0, v3
	s_andn2_b64 s[4:5], s[4:5], exec
	s_and_b64 s[8:9], vcc, exec
	v_mov_b32_e32 v2, 0
	s_or_b64 s[4:5], s[4:5], s[8:9]
	s_or_b64 exec, exec, s[6:7]
	s_and_saveexec_b64 s[6:7], s[4:5]
	s_cbranch_execnz .LBB8_499
	s_branch .LBB8_500
.LBB8_2549:
	s_movk_i32 s4, 0x80
	v_cmp_eq_u16_e32 vcc, s4, v3
	s_mov_b64 s[4:5], -1
                                        ; implicit-def: $sgpr10
	s_and_saveexec_b64 s[8:9], vcc
; %bb.2550:
	s_mov_b32 s10, 0x7f800001
	s_xor_b64 s[4:5], exec, -1
; %bb.2551:
	s_or_b64 exec, exec, s[8:9]
	s_and_b64 s[4:5], s[4:5], exec
                                        ; implicit-def: $vgpr3
	s_or_saveexec_b64 s[6:7], s[6:7]
	v_mov_b32_e32 v4, s10
	s_xor_b64 exec, exec, s[6:7]
	s_cbranch_execz .LBB8_502
.LBB8_2552:
	v_cmp_ne_u16_e32 vcc, 0, v3
	s_andn2_b64 s[4:5], s[4:5], exec
	s_and_b64 s[8:9], vcc, exec
	v_mov_b32_e32 v4, 0
	s_or_b64 s[4:5], s[4:5], s[8:9]
	s_or_b64 exec, exec, s[6:7]
	s_and_saveexec_b64 s[6:7], s[4:5]
	s_cbranch_execnz .LBB8_503
	s_branch .LBB8_504
.LBB8_2553:
	s_movk_i32 s4, 0x80
	v_cmp_eq_u16_sdwa s[12:13], v9, s4 src0_sel:BYTE_3 src1_sel:DWORD
	s_mov_b64 s[4:5], -1
                                        ; implicit-def: $sgpr10
	s_and_saveexec_b64 s[8:9], s[12:13]
; %bb.2554:
	s_mov_b32 s10, 0x7f800001
	s_xor_b64 s[4:5], exec, -1
; %bb.2555:
	s_or_b64 exec, exec, s[8:9]
	s_and_b64 s[4:5], s[4:5], exec
	s_or_saveexec_b64 s[6:7], s[6:7]
	v_mov_b32_e32 v2, s10
	s_xor_b64 exec, exec, s[6:7]
	s_cbranch_execz .LBB8_506
.LBB8_2556:
	v_mov_b32_e32 v2, 0
	v_cmp_ne_u16_sdwa s[8:9], v9, v2 src0_sel:BYTE_3 src1_sel:DWORD
	s_andn2_b64 s[4:5], s[4:5], exec
	s_and_b64 s[8:9], s[8:9], exec
	s_or_b64 s[4:5], s[4:5], s[8:9]
	s_or_b64 exec, exec, s[6:7]
	s_and_saveexec_b64 s[6:7], s[4:5]
	s_cbranch_execnz .LBB8_507
	s_branch .LBB8_508
.LBB8_2557:
	s_movk_i32 s4, 0x80
	v_cmp_eq_u16_sdwa s[12:13], v5, s4 src0_sel:BYTE_3 src1_sel:DWORD
	s_mov_b64 s[4:5], -1
                                        ; implicit-def: $sgpr10
	s_and_saveexec_b64 s[8:9], s[12:13]
; %bb.2558:
	s_mov_b32 s10, 0x7f800001
	s_xor_b64 s[4:5], exec, -1
; %bb.2559:
	s_or_b64 exec, exec, s[8:9]
	s_and_b64 s[4:5], s[4:5], exec
	s_or_saveexec_b64 s[6:7], s[6:7]
	v_mov_b32_e32 v3, s10
	s_xor_b64 exec, exec, s[6:7]
	s_cbranch_execz .LBB8_510
.LBB8_2560:
	v_mov_b32_e32 v3, 0
	v_cmp_ne_u16_sdwa s[8:9], v5, v3 src0_sel:BYTE_3 src1_sel:DWORD
	s_andn2_b64 s[4:5], s[4:5], exec
	s_and_b64 s[8:9], s[8:9], exec
	s_or_b64 s[4:5], s[4:5], s[8:9]
	s_or_b64 exec, exec, s[6:7]
	s_and_saveexec_b64 s[6:7], s[4:5]
	s_cbranch_execnz .LBB8_511
	s_branch .LBB8_512
.LBB8_2561:
	s_movk_i32 s4, 0x80
	v_cmp_eq_u16_sdwa s[12:13], v6, s4 src0_sel:BYTE_0 src1_sel:DWORD
	s_mov_b64 s[4:5], -1
                                        ; implicit-def: $sgpr10
	s_and_saveexec_b64 s[8:9], s[12:13]
; %bb.2562:
	s_mov_b32 s10, 0x7f800001
	s_xor_b64 s[4:5], exec, -1
; %bb.2563:
	s_or_b64 exec, exec, s[8:9]
	s_and_b64 s[4:5], s[4:5], exec
	s_or_saveexec_b64 s[6:7], s[6:7]
	v_mov_b32_e32 v12, s10
	s_xor_b64 exec, exec, s[6:7]
	s_cbranch_execz .LBB8_514
.LBB8_2564:
	v_mov_b32_e32 v12, 0
	v_cmp_ne_u16_sdwa s[8:9], v6, v12 src0_sel:BYTE_0 src1_sel:DWORD
	s_andn2_b64 s[4:5], s[4:5], exec
	s_and_b64 s[8:9], s[8:9], exec
	s_or_b64 s[4:5], s[4:5], s[8:9]
	s_or_b64 exec, exec, s[6:7]
	s_and_saveexec_b64 s[6:7], s[4:5]
	s_cbranch_execnz .LBB8_515
	s_branch .LBB8_516
.LBB8_2565:
	s_movk_i32 s4, 0x80
	v_cmp_eq_u16_sdwa s[12:13], v2, s4 src0_sel:BYTE_0 src1_sel:DWORD
	s_mov_b64 s[4:5], -1
                                        ; implicit-def: $sgpr10
	s_and_saveexec_b64 s[8:9], s[12:13]
; %bb.2566:
	s_mov_b32 s10, 0x7f800001
	s_xor_b64 s[4:5], exec, -1
; %bb.2567:
	s_or_b64 exec, exec, s[8:9]
	s_and_b64 s[4:5], s[4:5], exec
	s_or_saveexec_b64 s[6:7], s[6:7]
	v_mov_b32_e32 v13, s10
	s_xor_b64 exec, exec, s[6:7]
	s_cbranch_execz .LBB8_518
.LBB8_2568:
	v_mov_b32_e32 v13, 0
	v_cmp_ne_u16_sdwa s[8:9], v2, v13 src0_sel:BYTE_0 src1_sel:DWORD
	s_andn2_b64 s[4:5], s[4:5], exec
	s_and_b64 s[8:9], s[8:9], exec
	s_or_b64 s[4:5], s[4:5], s[8:9]
	s_or_b64 exec, exec, s[6:7]
	s_and_saveexec_b64 s[6:7], s[4:5]
	s_cbranch_execnz .LBB8_519
	s_branch .LBB8_520
.LBB8_2569:
	s_movk_i32 s4, 0x80
	v_cmp_eq_u16_sdwa s[12:13], v13, s4 src0_sel:BYTE_0 src1_sel:DWORD
	s_mov_b64 s[4:5], -1
                                        ; implicit-def: $sgpr10
	s_and_saveexec_b64 s[8:9], s[12:13]
; %bb.2570:
	s_mov_b32 s10, 0x7f800001
	s_xor_b64 s[4:5], exec, -1
; %bb.2571:
	s_or_b64 exec, exec, s[8:9]
	s_and_b64 s[4:5], s[4:5], exec
	s_or_saveexec_b64 s[6:7], s[6:7]
	v_mov_b32_e32 v12, s10
	s_xor_b64 exec, exec, s[6:7]
	s_cbranch_execz .LBB8_522
.LBB8_2572:
	v_mov_b32_e32 v12, 0
	v_cmp_ne_u16_sdwa s[8:9], v13, v12 src0_sel:BYTE_0 src1_sel:DWORD
	s_andn2_b64 s[4:5], s[4:5], exec
	s_and_b64 s[8:9], s[8:9], exec
	s_or_b64 s[4:5], s[4:5], s[8:9]
	s_or_b64 exec, exec, s[6:7]
	s_and_saveexec_b64 s[6:7], s[4:5]
	s_cbranch_execnz .LBB8_523
	s_branch .LBB8_524
.LBB8_2573:
	s_movk_i32 s4, 0x80
	v_cmp_eq_u16_sdwa s[12:13], v13, s4 src0_sel:BYTE_0 src1_sel:DWORD
	s_mov_b64 s[4:5], -1
                                        ; implicit-def: $sgpr10
	s_and_saveexec_b64 s[8:9], s[12:13]
; %bb.2574:
	s_mov_b32 s10, 0x7f800001
	s_xor_b64 s[4:5], exec, -1
; %bb.2575:
	s_or_b64 exec, exec, s[8:9]
	s_and_b64 s[4:5], s[4:5], exec
	s_or_saveexec_b64 s[6:7], s[6:7]
	v_mov_b32_e32 v14, s10
	s_xor_b64 exec, exec, s[6:7]
	s_cbranch_execz .LBB8_526
.LBB8_2576:
	v_mov_b32_e32 v14, 0
	v_cmp_ne_u16_sdwa s[8:9], v13, v14 src0_sel:BYTE_0 src1_sel:DWORD
	s_andn2_b64 s[4:5], s[4:5], exec
	s_and_b64 s[8:9], s[8:9], exec
	s_or_b64 s[4:5], s[4:5], s[8:9]
	s_or_b64 exec, exec, s[6:7]
	s_and_saveexec_b64 s[6:7], s[4:5]
	s_cbranch_execnz .LBB8_527
	s_branch .LBB8_528
.LBB8_2577:
	s_movk_i32 s4, 0x80
	v_cmp_eq_u16_e32 vcc, s4, v13
	s_mov_b64 s[4:5], -1
                                        ; implicit-def: $sgpr10
	s_and_saveexec_b64 s[8:9], vcc
; %bb.2578:
	s_mov_b32 s10, 0x7f800001
	s_xor_b64 s[4:5], exec, -1
; %bb.2579:
	s_or_b64 exec, exec, s[8:9]
	s_and_b64 s[4:5], s[4:5], exec
                                        ; implicit-def: $vgpr13
	s_or_saveexec_b64 s[6:7], s[6:7]
	v_mov_b32_e32 v12, s10
	s_xor_b64 exec, exec, s[6:7]
	s_cbranch_execz .LBB8_530
.LBB8_2580:
	v_cmp_ne_u16_e32 vcc, 0, v13
	s_andn2_b64 s[4:5], s[4:5], exec
	s_and_b64 s[8:9], vcc, exec
	v_mov_b32_e32 v12, 0
	s_or_b64 s[4:5], s[4:5], s[8:9]
	s_or_b64 exec, exec, s[6:7]
	s_and_saveexec_b64 s[6:7], s[4:5]
	s_cbranch_execnz .LBB8_531
	s_branch .LBB8_532
.LBB8_2581:
	s_movk_i32 s4, 0x80
	v_cmp_eq_u16_e32 vcc, s4, v13
	s_mov_b64 s[4:5], -1
                                        ; implicit-def: $sgpr10
	s_and_saveexec_b64 s[8:9], vcc
; %bb.2582:
	s_mov_b32 s10, 0x7f800001
	s_xor_b64 s[4:5], exec, -1
; %bb.2583:
	s_or_b64 exec, exec, s[8:9]
	s_and_b64 s[4:5], s[4:5], exec
                                        ; implicit-def: $vgpr13
	s_or_saveexec_b64 s[6:7], s[6:7]
	v_mov_b32_e32 v14, s10
	s_xor_b64 exec, exec, s[6:7]
	s_cbranch_execz .LBB8_534
.LBB8_2584:
	v_cmp_ne_u16_e32 vcc, 0, v13
	s_andn2_b64 s[4:5], s[4:5], exec
	s_and_b64 s[8:9], vcc, exec
	v_mov_b32_e32 v14, 0
	s_or_b64 s[4:5], s[4:5], s[8:9]
	s_or_b64 exec, exec, s[6:7]
	s_and_saveexec_b64 s[6:7], s[4:5]
	s_cbranch_execnz .LBB8_535
	s_branch .LBB8_536
.LBB8_2585:
	s_movk_i32 s4, 0x80
	v_cmp_eq_u16_sdwa s[12:13], v6, s4 src0_sel:BYTE_3 src1_sel:DWORD
	s_mov_b64 s[4:5], -1
                                        ; implicit-def: $sgpr10
	s_and_saveexec_b64 s[8:9], s[12:13]
; %bb.2586:
	s_mov_b32 s10, 0x7f800001
	s_xor_b64 s[4:5], exec, -1
; %bb.2587:
	s_or_b64 exec, exec, s[8:9]
	s_and_b64 s[4:5], s[4:5], exec
	s_or_saveexec_b64 s[6:7], s[6:7]
	v_mov_b32_e32 v12, s10
	s_xor_b64 exec, exec, s[6:7]
	s_cbranch_execz .LBB8_538
.LBB8_2588:
	v_mov_b32_e32 v12, 0
	v_cmp_ne_u16_sdwa s[8:9], v6, v12 src0_sel:BYTE_3 src1_sel:DWORD
	s_andn2_b64 s[4:5], s[4:5], exec
	s_and_b64 s[8:9], s[8:9], exec
	s_or_b64 s[4:5], s[4:5], s[8:9]
	s_or_b64 exec, exec, s[6:7]
	s_and_saveexec_b64 s[6:7], s[4:5]
	s_cbranch_execnz .LBB8_539
	s_branch .LBB8_540
.LBB8_2589:
	s_movk_i32 s4, 0x80
	v_cmp_eq_u16_sdwa s[12:13], v2, s4 src0_sel:BYTE_3 src1_sel:DWORD
	s_mov_b64 s[4:5], -1
                                        ; implicit-def: $sgpr10
	s_and_saveexec_b64 s[8:9], s[12:13]
; %bb.2590:
	s_mov_b32 s10, 0x7f800001
	s_xor_b64 s[4:5], exec, -1
; %bb.2591:
	s_or_b64 exec, exec, s[8:9]
	s_and_b64 s[4:5], s[4:5], exec
	s_or_saveexec_b64 s[6:7], s[6:7]
	v_mov_b32_e32 v6, s10
	s_xor_b64 exec, exec, s[6:7]
	s_cbranch_execz .LBB8_542
.LBB8_2592:
	v_mov_b32_e32 v6, 0
	v_cmp_ne_u16_sdwa s[8:9], v2, v6 src0_sel:BYTE_3 src1_sel:DWORD
	s_andn2_b64 s[4:5], s[4:5], exec
	s_and_b64 s[8:9], s[8:9], exec
	s_or_b64 s[4:5], s[4:5], s[8:9]
	s_or_b64 exec, exec, s[6:7]
	s_and_saveexec_b64 s[6:7], s[4:5]
	s_cbranch_execnz .LBB8_543
	s_branch .LBB8_544
.LBB8_2593:
	s_movk_i32 s4, 0x80
	v_cmp_eq_u16_sdwa s[12:13], v7, s4 src0_sel:BYTE_0 src1_sel:DWORD
	s_mov_b64 s[4:5], -1
                                        ; implicit-def: $sgpr10
	s_and_saveexec_b64 s[8:9], s[12:13]
; %bb.2594:
	s_mov_b32 s10, 0x7f800001
	s_xor_b64 s[4:5], exec, -1
; %bb.2595:
	s_or_b64 exec, exec, s[8:9]
	s_and_b64 s[4:5], s[4:5], exec
	s_or_saveexec_b64 s[6:7], s[6:7]
	v_mov_b32_e32 v2, s10
	s_xor_b64 exec, exec, s[6:7]
	s_cbranch_execz .LBB8_546
.LBB8_2596:
	v_mov_b32_e32 v2, 0
	v_cmp_ne_u16_sdwa s[8:9], v7, v2 src0_sel:BYTE_0 src1_sel:DWORD
	s_andn2_b64 s[4:5], s[4:5], exec
	s_and_b64 s[8:9], s[8:9], exec
	s_or_b64 s[4:5], s[4:5], s[8:9]
	s_or_b64 exec, exec, s[6:7]
	s_and_saveexec_b64 s[6:7], s[4:5]
	s_cbranch_execnz .LBB8_547
	s_branch .LBB8_548
.LBB8_2597:
	s_movk_i32 s4, 0x80
	v_cmp_eq_u16_sdwa s[12:13], v3, s4 src0_sel:BYTE_0 src1_sel:DWORD
	s_mov_b64 s[4:5], -1
                                        ; implicit-def: $sgpr10
	s_and_saveexec_b64 s[8:9], s[12:13]
; %bb.2598:
	s_mov_b32 s10, 0x7f800001
	s_xor_b64 s[4:5], exec, -1
; %bb.2599:
	s_or_b64 exec, exec, s[8:9]
	s_and_b64 s[4:5], s[4:5], exec
	s_or_saveexec_b64 s[6:7], s[6:7]
	v_mov_b32_e32 v6, s10
	s_xor_b64 exec, exec, s[6:7]
	s_cbranch_execz .LBB8_550
.LBB8_2600:
	v_mov_b32_e32 v6, 0
	v_cmp_ne_u16_sdwa s[8:9], v3, v6 src0_sel:BYTE_0 src1_sel:DWORD
	s_andn2_b64 s[4:5], s[4:5], exec
	s_and_b64 s[8:9], s[8:9], exec
	s_or_b64 s[4:5], s[4:5], s[8:9]
	s_or_b64 exec, exec, s[6:7]
	s_and_saveexec_b64 s[6:7], s[4:5]
	s_cbranch_execnz .LBB8_551
	s_branch .LBB8_552
.LBB8_2601:
	s_movk_i32 s4, 0x80
	v_cmp_eq_u16_sdwa s[12:13], v6, s4 src0_sel:BYTE_0 src1_sel:DWORD
	s_mov_b64 s[4:5], -1
                                        ; implicit-def: $sgpr10
	s_and_saveexec_b64 s[8:9], s[12:13]
; %bb.2602:
	s_mov_b32 s10, 0x7f800001
	s_xor_b64 s[4:5], exec, -1
; %bb.2603:
	s_or_b64 exec, exec, s[8:9]
	s_and_b64 s[4:5], s[4:5], exec
	s_or_saveexec_b64 s[6:7], s[6:7]
	v_mov_b32_e32 v2, s10
	s_xor_b64 exec, exec, s[6:7]
	s_cbranch_execz .LBB8_554
.LBB8_2604:
	v_mov_b32_e32 v2, 0
	v_cmp_ne_u16_sdwa s[8:9], v6, v2 src0_sel:BYTE_0 src1_sel:DWORD
	s_andn2_b64 s[4:5], s[4:5], exec
	s_and_b64 s[8:9], s[8:9], exec
	s_or_b64 s[4:5], s[4:5], s[8:9]
	s_or_b64 exec, exec, s[6:7]
	s_and_saveexec_b64 s[6:7], s[4:5]
	s_cbranch_execnz .LBB8_555
	s_branch .LBB8_556
.LBB8_2605:
	s_movk_i32 s4, 0x80
	v_cmp_eq_u16_sdwa s[12:13], v6, s4 src0_sel:BYTE_0 src1_sel:DWORD
	s_mov_b64 s[4:5], -1
                                        ; implicit-def: $sgpr10
	s_and_saveexec_b64 s[8:9], s[12:13]
; %bb.2606:
	s_mov_b32 s10, 0x7f800001
	s_xor_b64 s[4:5], exec, -1
; %bb.2607:
	s_or_b64 exec, exec, s[8:9]
	s_and_b64 s[4:5], s[4:5], exec
	s_or_saveexec_b64 s[6:7], s[6:7]
	v_mov_b32_e32 v12, s10
	s_xor_b64 exec, exec, s[6:7]
	s_cbranch_execz .LBB8_558
.LBB8_2608:
	v_mov_b32_e32 v12, 0
	v_cmp_ne_u16_sdwa s[8:9], v6, v12 src0_sel:BYTE_0 src1_sel:DWORD
	s_andn2_b64 s[4:5], s[4:5], exec
	s_and_b64 s[8:9], s[8:9], exec
	s_or_b64 s[4:5], s[4:5], s[8:9]
	s_or_b64 exec, exec, s[6:7]
	s_and_saveexec_b64 s[6:7], s[4:5]
	s_cbranch_execnz .LBB8_559
	s_branch .LBB8_560
.LBB8_2609:
	s_movk_i32 s4, 0x80
	v_cmp_eq_u16_e32 vcc, s4, v6
	s_mov_b64 s[4:5], -1
                                        ; implicit-def: $sgpr10
	s_and_saveexec_b64 s[8:9], vcc
; %bb.2610:
	s_mov_b32 s10, 0x7f800001
	s_xor_b64 s[4:5], exec, -1
; %bb.2611:
	s_or_b64 exec, exec, s[8:9]
	s_and_b64 s[4:5], s[4:5], exec
                                        ; implicit-def: $vgpr6
	s_or_saveexec_b64 s[6:7], s[6:7]
	v_mov_b32_e32 v2, s10
	s_xor_b64 exec, exec, s[6:7]
	s_cbranch_execz .LBB8_562
.LBB8_2612:
	v_cmp_ne_u16_e32 vcc, 0, v6
	s_andn2_b64 s[4:5], s[4:5], exec
	s_and_b64 s[8:9], vcc, exec
	v_mov_b32_e32 v2, 0
	s_or_b64 s[4:5], s[4:5], s[8:9]
	s_or_b64 exec, exec, s[6:7]
	s_and_saveexec_b64 s[6:7], s[4:5]
	s_cbranch_execnz .LBB8_563
	s_branch .LBB8_564
.LBB8_2613:
	s_movk_i32 s4, 0x80
	v_cmp_eq_u16_e32 vcc, s4, v6
	s_mov_b64 s[4:5], -1
                                        ; implicit-def: $sgpr10
	s_and_saveexec_b64 s[8:9], vcc
; %bb.2614:
	s_mov_b32 s10, 0x7f800001
	s_xor_b64 s[4:5], exec, -1
; %bb.2615:
	s_or_b64 exec, exec, s[8:9]
	s_and_b64 s[4:5], s[4:5], exec
                                        ; implicit-def: $vgpr6
	s_or_saveexec_b64 s[6:7], s[6:7]
	v_mov_b32_e32 v12, s10
	s_xor_b64 exec, exec, s[6:7]
	s_cbranch_execz .LBB8_566
.LBB8_2616:
	v_cmp_ne_u16_e32 vcc, 0, v6
	s_andn2_b64 s[4:5], s[4:5], exec
	s_and_b64 s[8:9], vcc, exec
	v_mov_b32_e32 v12, 0
	s_or_b64 s[4:5], s[4:5], s[8:9]
	s_or_b64 exec, exec, s[6:7]
	s_and_saveexec_b64 s[6:7], s[4:5]
	s_cbranch_execnz .LBB8_567
	s_branch .LBB8_568
.LBB8_2617:
	s_movk_i32 s4, 0x80
	v_cmp_eq_u16_sdwa s[12:13], v7, s4 src0_sel:BYTE_3 src1_sel:DWORD
	s_mov_b64 s[4:5], -1
                                        ; implicit-def: $sgpr10
	s_and_saveexec_b64 s[8:9], s[12:13]
; %bb.2618:
	s_mov_b32 s10, 0x7f800001
	s_xor_b64 s[4:5], exec, -1
; %bb.2619:
	s_or_b64 exec, exec, s[8:9]
	s_and_b64 s[4:5], s[4:5], exec
	s_or_saveexec_b64 s[6:7], s[6:7]
	v_mov_b32_e32 v2, s10
	s_xor_b64 exec, exec, s[6:7]
	s_cbranch_execz .LBB8_570
.LBB8_2620:
	v_mov_b32_e32 v2, 0
	v_cmp_ne_u16_sdwa s[8:9], v7, v2 src0_sel:BYTE_3 src1_sel:DWORD
	s_andn2_b64 s[4:5], s[4:5], exec
	s_and_b64 s[8:9], s[8:9], exec
	s_or_b64 s[4:5], s[4:5], s[8:9]
	s_or_b64 exec, exec, s[6:7]
	s_and_saveexec_b64 s[6:7], s[4:5]
	s_cbranch_execnz .LBB8_571
	s_branch .LBB8_572
.LBB8_2621:
	s_movk_i32 s4, 0x80
	v_cmp_eq_u16_sdwa s[12:13], v3, s4 src0_sel:BYTE_3 src1_sel:DWORD
	s_mov_b64 s[4:5], -1
                                        ; implicit-def: $sgpr10
	s_and_saveexec_b64 s[8:9], s[12:13]
; %bb.2622:
	s_mov_b32 s10, 0x7f800001
	s_xor_b64 s[4:5], exec, -1
; %bb.2623:
	s_or_b64 exec, exec, s[8:9]
	s_and_b64 s[4:5], s[4:5], exec
	s_or_saveexec_b64 s[6:7], s[6:7]
	v_mov_b32_e32 v6, s10
	s_xor_b64 exec, exec, s[6:7]
	s_cbranch_execz .LBB8_574
.LBB8_2624:
	v_mov_b32_e32 v6, 0
	v_cmp_ne_u16_sdwa s[8:9], v3, v6 src0_sel:BYTE_3 src1_sel:DWORD
	s_andn2_b64 s[4:5], s[4:5], exec
	s_and_b64 s[8:9], s[8:9], exec
	s_or_b64 s[4:5], s[4:5], s[8:9]
	s_or_b64 exec, exec, s[6:7]
	s_and_saveexec_b64 s[6:7], s[4:5]
	s_cbranch_execnz .LBB8_575
	s_branch .LBB8_576
.LBB8_2625:
	s_movk_i32 s4, 0x80
	v_cmp_eq_u16_sdwa s[12:13], v8, s4 src0_sel:BYTE_0 src1_sel:DWORD
	s_mov_b64 s[4:5], -1
                                        ; implicit-def: $sgpr10
	s_and_saveexec_b64 s[8:9], s[12:13]
; %bb.2626:
	s_mov_b32 s10, 0x7f800001
	s_xor_b64 s[4:5], exec, -1
; %bb.2627:
	s_or_b64 exec, exec, s[8:9]
	s_and_b64 s[4:5], s[4:5], exec
	s_or_saveexec_b64 s[6:7], s[6:7]
	v_mov_b32_e32 v2, s10
	s_xor_b64 exec, exec, s[6:7]
	s_cbranch_execz .LBB8_578
.LBB8_2628:
	v_mov_b32_e32 v2, 0
	v_cmp_ne_u16_sdwa s[8:9], v8, v2 src0_sel:BYTE_0 src1_sel:DWORD
	s_andn2_b64 s[4:5], s[4:5], exec
	s_and_b64 s[8:9], s[8:9], exec
	s_or_b64 s[4:5], s[4:5], s[8:9]
	s_or_b64 exec, exec, s[6:7]
	s_and_saveexec_b64 s[6:7], s[4:5]
	s_cbranch_execnz .LBB8_579
	s_branch .LBB8_580
.LBB8_2629:
	s_movk_i32 s4, 0x80
	v_cmp_eq_u16_sdwa s[12:13], v4, s4 src0_sel:BYTE_0 src1_sel:DWORD
	s_mov_b64 s[4:5], -1
                                        ; implicit-def: $sgpr10
	s_and_saveexec_b64 s[8:9], s[12:13]
; %bb.2630:
	s_mov_b32 s10, 0x7f800001
	s_xor_b64 s[4:5], exec, -1
; %bb.2631:
	s_or_b64 exec, exec, s[8:9]
	s_and_b64 s[4:5], s[4:5], exec
	s_or_saveexec_b64 s[6:7], s[6:7]
	v_mov_b32_e32 v3, s10
	s_xor_b64 exec, exec, s[6:7]
	s_cbranch_execz .LBB8_582
.LBB8_2632:
	v_mov_b32_e32 v3, 0
	v_cmp_ne_u16_sdwa s[8:9], v4, v3 src0_sel:BYTE_0 src1_sel:DWORD
	s_andn2_b64 s[4:5], s[4:5], exec
	s_and_b64 s[8:9], s[8:9], exec
	s_or_b64 s[4:5], s[4:5], s[8:9]
	s_or_b64 exec, exec, s[6:7]
	s_and_saveexec_b64 s[6:7], s[4:5]
	s_cbranch_execnz .LBB8_583
	s_branch .LBB8_584
.LBB8_2633:
	s_movk_i32 s4, 0x80
	v_cmp_eq_u16_sdwa s[12:13], v3, s4 src0_sel:BYTE_0 src1_sel:DWORD
	s_mov_b64 s[4:5], -1
                                        ; implicit-def: $sgpr10
	s_and_saveexec_b64 s[8:9], s[12:13]
; %bb.2634:
	s_mov_b32 s10, 0x7f800001
	s_xor_b64 s[4:5], exec, -1
; %bb.2635:
	s_or_b64 exec, exec, s[8:9]
	s_and_b64 s[4:5], s[4:5], exec
	s_or_saveexec_b64 s[6:7], s[6:7]
	v_mov_b32_e32 v2, s10
	s_xor_b64 exec, exec, s[6:7]
	s_cbranch_execz .LBB8_586
.LBB8_2636:
	v_mov_b32_e32 v2, 0
	v_cmp_ne_u16_sdwa s[8:9], v3, v2 src0_sel:BYTE_0 src1_sel:DWORD
	s_andn2_b64 s[4:5], s[4:5], exec
	s_and_b64 s[8:9], s[8:9], exec
	s_or_b64 s[4:5], s[4:5], s[8:9]
	s_or_b64 exec, exec, s[6:7]
	s_and_saveexec_b64 s[6:7], s[4:5]
	s_cbranch_execnz .LBB8_587
	s_branch .LBB8_588
.LBB8_2637:
	s_movk_i32 s4, 0x80
	v_cmp_eq_u16_sdwa s[12:13], v3, s4 src0_sel:BYTE_0 src1_sel:DWORD
	s_mov_b64 s[4:5], -1
                                        ; implicit-def: $sgpr10
	s_and_saveexec_b64 s[8:9], s[12:13]
; %bb.2638:
	s_mov_b32 s10, 0x7f800001
	s_xor_b64 s[4:5], exec, -1
; %bb.2639:
	s_or_b64 exec, exec, s[8:9]
	s_and_b64 s[4:5], s[4:5], exec
	s_or_saveexec_b64 s[6:7], s[6:7]
	v_mov_b32_e32 v6, s10
	s_xor_b64 exec, exec, s[6:7]
	s_cbranch_execz .LBB8_590
.LBB8_2640:
	v_mov_b32_e32 v6, 0
	v_cmp_ne_u16_sdwa s[8:9], v3, v6 src0_sel:BYTE_0 src1_sel:DWORD
	s_andn2_b64 s[4:5], s[4:5], exec
	s_and_b64 s[8:9], s[8:9], exec
	s_or_b64 s[4:5], s[4:5], s[8:9]
	s_or_b64 exec, exec, s[6:7]
	s_and_saveexec_b64 s[6:7], s[4:5]
	s_cbranch_execnz .LBB8_591
	s_branch .LBB8_592
.LBB8_2641:
	s_movk_i32 s4, 0x80
	v_cmp_eq_u16_e32 vcc, s4, v3
	s_mov_b64 s[4:5], -1
                                        ; implicit-def: $sgpr10
	s_and_saveexec_b64 s[8:9], vcc
; %bb.2642:
	s_mov_b32 s10, 0x7f800001
	s_xor_b64 s[4:5], exec, -1
; %bb.2643:
	s_or_b64 exec, exec, s[8:9]
	s_and_b64 s[4:5], s[4:5], exec
                                        ; implicit-def: $vgpr3
	s_or_saveexec_b64 s[6:7], s[6:7]
	v_mov_b32_e32 v2, s10
	s_xor_b64 exec, exec, s[6:7]
	s_cbranch_execz .LBB8_594
.LBB8_2644:
	v_cmp_ne_u16_e32 vcc, 0, v3
	s_andn2_b64 s[4:5], s[4:5], exec
	s_and_b64 s[8:9], vcc, exec
	v_mov_b32_e32 v2, 0
	s_or_b64 s[4:5], s[4:5], s[8:9]
	s_or_b64 exec, exec, s[6:7]
	s_and_saveexec_b64 s[6:7], s[4:5]
	s_cbranch_execnz .LBB8_595
	s_branch .LBB8_596
.LBB8_2645:
	s_movk_i32 s4, 0x80
	v_cmp_eq_u16_e32 vcc, s4, v3
	s_mov_b64 s[4:5], -1
                                        ; implicit-def: $sgpr10
	s_and_saveexec_b64 s[8:9], vcc
; %bb.2646:
	s_mov_b32 s10, 0x7f800001
	s_xor_b64 s[4:5], exec, -1
; %bb.2647:
	s_or_b64 exec, exec, s[8:9]
	s_and_b64 s[4:5], s[4:5], exec
                                        ; implicit-def: $vgpr3
	s_or_saveexec_b64 s[6:7], s[6:7]
	v_mov_b32_e32 v6, s10
	s_xor_b64 exec, exec, s[6:7]
	s_cbranch_execz .LBB8_598
.LBB8_2648:
	v_cmp_ne_u16_e32 vcc, 0, v3
	s_andn2_b64 s[4:5], s[4:5], exec
	s_and_b64 s[8:9], vcc, exec
	v_mov_b32_e32 v6, 0
	s_or_b64 s[4:5], s[4:5], s[8:9]
	s_or_b64 exec, exec, s[6:7]
	s_and_saveexec_b64 s[6:7], s[4:5]
	s_cbranch_execnz .LBB8_599
	s_branch .LBB8_600
.LBB8_2649:
	s_movk_i32 s4, 0x80
	v_cmp_eq_u16_sdwa s[12:13], v8, s4 src0_sel:BYTE_3 src1_sel:DWORD
	s_mov_b64 s[4:5], -1
                                        ; implicit-def: $sgpr10
	s_and_saveexec_b64 s[8:9], s[12:13]
; %bb.2650:
	s_mov_b32 s10, 0x7f800001
	s_xor_b64 s[4:5], exec, -1
; %bb.2651:
	s_or_b64 exec, exec, s[8:9]
	s_and_b64 s[4:5], s[4:5], exec
	s_or_saveexec_b64 s[6:7], s[6:7]
	v_mov_b32_e32 v2, s10
	s_xor_b64 exec, exec, s[6:7]
	s_cbranch_execz .LBB8_602
.LBB8_2652:
	v_mov_b32_e32 v2, 0
	v_cmp_ne_u16_sdwa s[8:9], v8, v2 src0_sel:BYTE_3 src1_sel:DWORD
	s_andn2_b64 s[4:5], s[4:5], exec
	s_and_b64 s[8:9], s[8:9], exec
	s_or_b64 s[4:5], s[4:5], s[8:9]
	s_or_b64 exec, exec, s[6:7]
	s_and_saveexec_b64 s[6:7], s[4:5]
	s_cbranch_execnz .LBB8_603
	s_branch .LBB8_604
.LBB8_2653:
	s_movk_i32 s4, 0x80
	v_cmp_eq_u16_sdwa s[12:13], v4, s4 src0_sel:BYTE_3 src1_sel:DWORD
	s_mov_b64 s[4:5], -1
                                        ; implicit-def: $sgpr10
	s_and_saveexec_b64 s[8:9], s[12:13]
; %bb.2654:
	s_mov_b32 s10, 0x7f800001
	s_xor_b64 s[4:5], exec, -1
; %bb.2655:
	s_or_b64 exec, exec, s[8:9]
	s_and_b64 s[4:5], s[4:5], exec
	s_or_saveexec_b64 s[6:7], s[6:7]
	v_mov_b32_e32 v3, s10
	s_xor_b64 exec, exec, s[6:7]
	s_cbranch_execz .LBB8_606
.LBB8_2656:
	v_mov_b32_e32 v3, 0
	v_cmp_ne_u16_sdwa s[8:9], v4, v3 src0_sel:BYTE_3 src1_sel:DWORD
	s_andn2_b64 s[4:5], s[4:5], exec
	s_and_b64 s[8:9], s[8:9], exec
	s_or_b64 s[4:5], s[4:5], s[8:9]
	s_or_b64 exec, exec, s[6:7]
	s_and_saveexec_b64 s[6:7], s[4:5]
	s_cbranch_execnz .LBB8_607
	s_branch .LBB8_608
.LBB8_2657:
	s_movk_i32 s4, 0x80
	v_cmp_eq_u16_sdwa s[12:13], v9, s4 src0_sel:BYTE_0 src1_sel:DWORD
	s_mov_b64 s[4:5], -1
                                        ; implicit-def: $sgpr10
	s_and_saveexec_b64 s[8:9], s[12:13]
; %bb.2658:
	s_mov_b32 s10, 0x7f800001
	s_xor_b64 s[4:5], exec, -1
; %bb.2659:
	s_or_b64 exec, exec, s[8:9]
	s_and_b64 s[4:5], s[4:5], exec
	s_or_saveexec_b64 s[6:7], s[6:7]
	v_mov_b32_e32 v2, s10
	s_xor_b64 exec, exec, s[6:7]
	s_cbranch_execz .LBB8_610
.LBB8_2660:
	v_mov_b32_e32 v2, 0
	v_cmp_ne_u16_sdwa s[8:9], v9, v2 src0_sel:BYTE_0 src1_sel:DWORD
	s_andn2_b64 s[4:5], s[4:5], exec
	s_and_b64 s[8:9], s[8:9], exec
	s_or_b64 s[4:5], s[4:5], s[8:9]
	s_or_b64 exec, exec, s[6:7]
	s_and_saveexec_b64 s[6:7], s[4:5]
	s_cbranch_execnz .LBB8_611
	s_branch .LBB8_612
.LBB8_2661:
	s_movk_i32 s4, 0x80
	v_cmp_eq_u16_sdwa s[12:13], v5, s4 src0_sel:BYTE_0 src1_sel:DWORD
	s_mov_b64 s[4:5], -1
                                        ; implicit-def: $sgpr10
	s_and_saveexec_b64 s[8:9], s[12:13]
; %bb.2662:
	s_mov_b32 s10, 0x7f800001
	s_xor_b64 s[4:5], exec, -1
; %bb.2663:
	s_or_b64 exec, exec, s[8:9]
	s_and_b64 s[4:5], s[4:5], exec
	s_or_saveexec_b64 s[6:7], s[6:7]
	v_mov_b32_e32 v3, s10
	s_xor_b64 exec, exec, s[6:7]
	s_cbranch_execz .LBB8_614
.LBB8_2664:
	v_mov_b32_e32 v3, 0
	v_cmp_ne_u16_sdwa s[8:9], v5, v3 src0_sel:BYTE_0 src1_sel:DWORD
	s_andn2_b64 s[4:5], s[4:5], exec
	s_and_b64 s[8:9], s[8:9], exec
	s_or_b64 s[4:5], s[4:5], s[8:9]
	s_or_b64 exec, exec, s[6:7]
	s_and_saveexec_b64 s[6:7], s[4:5]
	s_cbranch_execnz .LBB8_615
	s_branch .LBB8_616
.LBB8_2665:
	s_movk_i32 s4, 0x80
	v_cmp_eq_u16_sdwa s[12:13], v3, s4 src0_sel:BYTE_0 src1_sel:DWORD
	s_mov_b64 s[4:5], -1
                                        ; implicit-def: $sgpr10
	s_and_saveexec_b64 s[8:9], s[12:13]
; %bb.2666:
	s_mov_b32 s10, 0x7f800001
	s_xor_b64 s[4:5], exec, -1
; %bb.2667:
	s_or_b64 exec, exec, s[8:9]
	s_and_b64 s[4:5], s[4:5], exec
	s_or_saveexec_b64 s[6:7], s[6:7]
	v_mov_b32_e32 v2, s10
	s_xor_b64 exec, exec, s[6:7]
	s_cbranch_execz .LBB8_618
.LBB8_2668:
	v_mov_b32_e32 v2, 0
	v_cmp_ne_u16_sdwa s[8:9], v3, v2 src0_sel:BYTE_0 src1_sel:DWORD
	s_andn2_b64 s[4:5], s[4:5], exec
	s_and_b64 s[8:9], s[8:9], exec
	s_or_b64 s[4:5], s[4:5], s[8:9]
	s_or_b64 exec, exec, s[6:7]
	s_and_saveexec_b64 s[6:7], s[4:5]
	s_cbranch_execnz .LBB8_619
	s_branch .LBB8_620
.LBB8_2669:
	s_movk_i32 s4, 0x80
	v_cmp_eq_u16_sdwa s[12:13], v3, s4 src0_sel:BYTE_0 src1_sel:DWORD
	s_mov_b64 s[4:5], -1
                                        ; implicit-def: $sgpr10
	s_and_saveexec_b64 s[8:9], s[12:13]
; %bb.2670:
	s_mov_b32 s10, 0x7f800001
	s_xor_b64 s[4:5], exec, -1
; %bb.2671:
	s_or_b64 exec, exec, s[8:9]
	s_and_b64 s[4:5], s[4:5], exec
	s_or_saveexec_b64 s[6:7], s[6:7]
	v_mov_b32_e32 v4, s10
	s_xor_b64 exec, exec, s[6:7]
	s_cbranch_execz .LBB8_622
.LBB8_2672:
	v_mov_b32_e32 v4, 0
	v_cmp_ne_u16_sdwa s[8:9], v3, v4 src0_sel:BYTE_0 src1_sel:DWORD
	s_andn2_b64 s[4:5], s[4:5], exec
	s_and_b64 s[8:9], s[8:9], exec
	s_or_b64 s[4:5], s[4:5], s[8:9]
	s_or_b64 exec, exec, s[6:7]
	s_and_saveexec_b64 s[6:7], s[4:5]
	s_cbranch_execnz .LBB8_623
	s_branch .LBB8_624
.LBB8_2673:
	s_movk_i32 s4, 0x80
	v_cmp_eq_u16_e32 vcc, s4, v3
	s_mov_b64 s[4:5], -1
                                        ; implicit-def: $sgpr10
	s_and_saveexec_b64 s[8:9], vcc
; %bb.2674:
	s_mov_b32 s10, 0x7f800001
	s_xor_b64 s[4:5], exec, -1
; %bb.2675:
	s_or_b64 exec, exec, s[8:9]
	s_and_b64 s[4:5], s[4:5], exec
                                        ; implicit-def: $vgpr3
	s_or_saveexec_b64 s[6:7], s[6:7]
	v_mov_b32_e32 v2, s10
	s_xor_b64 exec, exec, s[6:7]
	s_cbranch_execz .LBB8_626
.LBB8_2676:
	v_cmp_ne_u16_e32 vcc, 0, v3
	s_andn2_b64 s[4:5], s[4:5], exec
	s_and_b64 s[8:9], vcc, exec
	v_mov_b32_e32 v2, 0
	s_or_b64 s[4:5], s[4:5], s[8:9]
	s_or_b64 exec, exec, s[6:7]
	s_and_saveexec_b64 s[6:7], s[4:5]
	s_cbranch_execnz .LBB8_627
	s_branch .LBB8_628
.LBB8_2677:
	s_movk_i32 s4, 0x80
	v_cmp_eq_u16_e32 vcc, s4, v3
	s_mov_b64 s[4:5], -1
                                        ; implicit-def: $sgpr10
	s_and_saveexec_b64 s[8:9], vcc
; %bb.2678:
	s_mov_b32 s10, 0x7f800001
	s_xor_b64 s[4:5], exec, -1
; %bb.2679:
	s_or_b64 exec, exec, s[8:9]
	s_and_b64 s[4:5], s[4:5], exec
                                        ; implicit-def: $vgpr3
	s_or_saveexec_b64 s[6:7], s[6:7]
	v_mov_b32_e32 v4, s10
	s_xor_b64 exec, exec, s[6:7]
	s_cbranch_execz .LBB8_630
.LBB8_2680:
	v_cmp_ne_u16_e32 vcc, 0, v3
	s_andn2_b64 s[4:5], s[4:5], exec
	s_and_b64 s[8:9], vcc, exec
	v_mov_b32_e32 v4, 0
	s_or_b64 s[4:5], s[4:5], s[8:9]
	s_or_b64 exec, exec, s[6:7]
	s_and_saveexec_b64 s[6:7], s[4:5]
	s_cbranch_execnz .LBB8_631
	s_branch .LBB8_632
.LBB8_2681:
	s_movk_i32 s4, 0x80
	v_cmp_eq_u16_sdwa s[12:13], v9, s4 src0_sel:BYTE_3 src1_sel:DWORD
	s_mov_b64 s[4:5], -1
                                        ; implicit-def: $sgpr10
	s_and_saveexec_b64 s[8:9], s[12:13]
; %bb.2682:
	s_mov_b32 s10, 0x7f800001
	s_xor_b64 s[4:5], exec, -1
; %bb.2683:
	s_or_b64 exec, exec, s[8:9]
	s_and_b64 s[4:5], s[4:5], exec
	s_or_saveexec_b64 s[6:7], s[6:7]
	v_mov_b32_e32 v2, s10
	s_xor_b64 exec, exec, s[6:7]
	s_cbranch_execz .LBB8_634
.LBB8_2684:
	v_mov_b32_e32 v2, 0
	v_cmp_ne_u16_sdwa s[8:9], v9, v2 src0_sel:BYTE_3 src1_sel:DWORD
	s_andn2_b64 s[4:5], s[4:5], exec
	s_and_b64 s[8:9], s[8:9], exec
	s_or_b64 s[4:5], s[4:5], s[8:9]
	s_or_b64 exec, exec, s[6:7]
	s_and_saveexec_b64 s[6:7], s[4:5]
	s_cbranch_execnz .LBB8_635
	s_branch .LBB8_636
.LBB8_2685:
	s_movk_i32 s4, 0x80
	v_cmp_eq_u16_sdwa s[12:13], v5, s4 src0_sel:BYTE_3 src1_sel:DWORD
	s_mov_b64 s[4:5], -1
                                        ; implicit-def: $sgpr10
	s_and_saveexec_b64 s[8:9], s[12:13]
; %bb.2686:
	s_mov_b32 s10, 0x7f800001
	s_xor_b64 s[4:5], exec, -1
; %bb.2687:
	s_or_b64 exec, exec, s[8:9]
	s_and_b64 s[4:5], s[4:5], exec
	s_or_saveexec_b64 s[6:7], s[6:7]
	v_mov_b32_e32 v3, s10
	s_xor_b64 exec, exec, s[6:7]
	s_cbranch_execz .LBB8_638
.LBB8_2688:
	v_mov_b32_e32 v3, 0
	v_cmp_ne_u16_sdwa s[8:9], v5, v3 src0_sel:BYTE_3 src1_sel:DWORD
	s_andn2_b64 s[4:5], s[4:5], exec
	s_and_b64 s[8:9], s[8:9], exec
	s_or_b64 s[4:5], s[4:5], s[8:9]
	s_or_b64 exec, exec, s[6:7]
	s_and_saveexec_b64 s[6:7], s[4:5]
	s_cbranch_execnz .LBB8_639
	s_branch .LBB8_640
.LBB8_2689:
	s_movk_i32 s4, 0x80
	v_cmp_eq_u16_sdwa s[12:13], v6, s4 src0_sel:BYTE_0 src1_sel:DWORD
	s_mov_b64 s[4:5], -1
                                        ; implicit-def: $sgpr10
	s_and_saveexec_b64 s[8:9], s[12:13]
; %bb.2690:
	s_mov_b32 s10, 0x7f800001
	s_xor_b64 s[4:5], exec, -1
; %bb.2691:
	s_or_b64 exec, exec, s[8:9]
	s_and_b64 s[4:5], s[4:5], exec
	s_or_saveexec_b64 s[6:7], s[6:7]
	v_mov_b32_e32 v12, s10
	s_xor_b64 exec, exec, s[6:7]
	s_cbranch_execz .LBB8_642
.LBB8_2692:
	v_mov_b32_e32 v12, 0
	v_cmp_ne_u16_sdwa s[8:9], v6, v12 src0_sel:BYTE_0 src1_sel:DWORD
	s_andn2_b64 s[4:5], s[4:5], exec
	s_and_b64 s[8:9], s[8:9], exec
	s_or_b64 s[4:5], s[4:5], s[8:9]
	s_or_b64 exec, exec, s[6:7]
	s_and_saveexec_b64 s[6:7], s[4:5]
	s_cbranch_execnz .LBB8_643
	s_branch .LBB8_644
.LBB8_2693:
	s_movk_i32 s4, 0x80
	v_cmp_eq_u16_sdwa s[12:13], v2, s4 src0_sel:BYTE_0 src1_sel:DWORD
	s_mov_b64 s[4:5], -1
                                        ; implicit-def: $sgpr10
	s_and_saveexec_b64 s[8:9], s[12:13]
; %bb.2694:
	s_mov_b32 s10, 0x7f800001
	s_xor_b64 s[4:5], exec, -1
; %bb.2695:
	s_or_b64 exec, exec, s[8:9]
	s_and_b64 s[4:5], s[4:5], exec
	s_or_saveexec_b64 s[6:7], s[6:7]
	v_mov_b32_e32 v13, s10
	s_xor_b64 exec, exec, s[6:7]
	s_cbranch_execz .LBB8_646
.LBB8_2696:
	v_mov_b32_e32 v13, 0
	v_cmp_ne_u16_sdwa s[8:9], v2, v13 src0_sel:BYTE_0 src1_sel:DWORD
	s_andn2_b64 s[4:5], s[4:5], exec
	s_and_b64 s[8:9], s[8:9], exec
	s_or_b64 s[4:5], s[4:5], s[8:9]
	s_or_b64 exec, exec, s[6:7]
	s_and_saveexec_b64 s[6:7], s[4:5]
	s_cbranch_execnz .LBB8_647
	s_branch .LBB8_648
.LBB8_2697:
	s_movk_i32 s4, 0x80
	v_cmp_eq_u16_sdwa s[12:13], v13, s4 src0_sel:BYTE_0 src1_sel:DWORD
	s_mov_b64 s[4:5], -1
                                        ; implicit-def: $sgpr10
	s_and_saveexec_b64 s[8:9], s[12:13]
; %bb.2698:
	s_mov_b32 s10, 0x7f800001
	s_xor_b64 s[4:5], exec, -1
; %bb.2699:
	s_or_b64 exec, exec, s[8:9]
	s_and_b64 s[4:5], s[4:5], exec
	s_or_saveexec_b64 s[6:7], s[6:7]
	v_mov_b32_e32 v12, s10
	s_xor_b64 exec, exec, s[6:7]
	s_cbranch_execz .LBB8_650
.LBB8_2700:
	v_mov_b32_e32 v12, 0
	v_cmp_ne_u16_sdwa s[8:9], v13, v12 src0_sel:BYTE_0 src1_sel:DWORD
	s_andn2_b64 s[4:5], s[4:5], exec
	s_and_b64 s[8:9], s[8:9], exec
	s_or_b64 s[4:5], s[4:5], s[8:9]
	s_or_b64 exec, exec, s[6:7]
	s_and_saveexec_b64 s[6:7], s[4:5]
	s_cbranch_execnz .LBB8_651
	s_branch .LBB8_652
.LBB8_2701:
	s_movk_i32 s4, 0x80
	v_cmp_eq_u16_sdwa s[12:13], v13, s4 src0_sel:BYTE_0 src1_sel:DWORD
	s_mov_b64 s[4:5], -1
                                        ; implicit-def: $sgpr10
	s_and_saveexec_b64 s[8:9], s[12:13]
; %bb.2702:
	s_mov_b32 s10, 0x7f800001
	s_xor_b64 s[4:5], exec, -1
; %bb.2703:
	s_or_b64 exec, exec, s[8:9]
	s_and_b64 s[4:5], s[4:5], exec
	s_or_saveexec_b64 s[6:7], s[6:7]
	v_mov_b32_e32 v14, s10
	s_xor_b64 exec, exec, s[6:7]
	s_cbranch_execz .LBB8_654
.LBB8_2704:
	v_mov_b32_e32 v14, 0
	v_cmp_ne_u16_sdwa s[8:9], v13, v14 src0_sel:BYTE_0 src1_sel:DWORD
	s_andn2_b64 s[4:5], s[4:5], exec
	s_and_b64 s[8:9], s[8:9], exec
	s_or_b64 s[4:5], s[4:5], s[8:9]
	s_or_b64 exec, exec, s[6:7]
	s_and_saveexec_b64 s[6:7], s[4:5]
	s_cbranch_execnz .LBB8_655
	s_branch .LBB8_656
.LBB8_2705:
	s_movk_i32 s4, 0x80
	v_cmp_eq_u16_e32 vcc, s4, v13
	s_mov_b64 s[4:5], -1
                                        ; implicit-def: $sgpr10
	s_and_saveexec_b64 s[8:9], vcc
; %bb.2706:
	s_mov_b32 s10, 0x7f800001
	s_xor_b64 s[4:5], exec, -1
; %bb.2707:
	s_or_b64 exec, exec, s[8:9]
	s_and_b64 s[4:5], s[4:5], exec
                                        ; implicit-def: $vgpr13
	s_or_saveexec_b64 s[6:7], s[6:7]
	v_mov_b32_e32 v12, s10
	s_xor_b64 exec, exec, s[6:7]
	s_cbranch_execz .LBB8_658
.LBB8_2708:
	v_cmp_ne_u16_e32 vcc, 0, v13
	s_andn2_b64 s[4:5], s[4:5], exec
	s_and_b64 s[8:9], vcc, exec
	v_mov_b32_e32 v12, 0
	s_or_b64 s[4:5], s[4:5], s[8:9]
	s_or_b64 exec, exec, s[6:7]
	s_and_saveexec_b64 s[6:7], s[4:5]
	s_cbranch_execnz .LBB8_659
	s_branch .LBB8_660
.LBB8_2709:
	s_movk_i32 s4, 0x80
	v_cmp_eq_u16_e32 vcc, s4, v13
	s_mov_b64 s[4:5], -1
                                        ; implicit-def: $sgpr10
	s_and_saveexec_b64 s[8:9], vcc
; %bb.2710:
	s_mov_b32 s10, 0x7f800001
	s_xor_b64 s[4:5], exec, -1
; %bb.2711:
	s_or_b64 exec, exec, s[8:9]
	s_and_b64 s[4:5], s[4:5], exec
                                        ; implicit-def: $vgpr13
	s_or_saveexec_b64 s[6:7], s[6:7]
	v_mov_b32_e32 v14, s10
	s_xor_b64 exec, exec, s[6:7]
	s_cbranch_execz .LBB8_662
.LBB8_2712:
	v_cmp_ne_u16_e32 vcc, 0, v13
	s_andn2_b64 s[4:5], s[4:5], exec
	s_and_b64 s[8:9], vcc, exec
	v_mov_b32_e32 v14, 0
	s_or_b64 s[4:5], s[4:5], s[8:9]
	s_or_b64 exec, exec, s[6:7]
	s_and_saveexec_b64 s[6:7], s[4:5]
	s_cbranch_execnz .LBB8_663
	s_branch .LBB8_664
.LBB8_2713:
	s_movk_i32 s4, 0x80
	v_cmp_eq_u16_sdwa s[12:13], v6, s4 src0_sel:BYTE_3 src1_sel:DWORD
	s_mov_b64 s[4:5], -1
                                        ; implicit-def: $sgpr10
	s_and_saveexec_b64 s[8:9], s[12:13]
; %bb.2714:
	s_mov_b32 s10, 0x7f800001
	s_xor_b64 s[4:5], exec, -1
; %bb.2715:
	s_or_b64 exec, exec, s[8:9]
	s_and_b64 s[4:5], s[4:5], exec
	s_or_saveexec_b64 s[6:7], s[6:7]
	v_mov_b32_e32 v12, s10
	s_xor_b64 exec, exec, s[6:7]
	s_cbranch_execz .LBB8_666
.LBB8_2716:
	v_mov_b32_e32 v12, 0
	v_cmp_ne_u16_sdwa s[8:9], v6, v12 src0_sel:BYTE_3 src1_sel:DWORD
	s_andn2_b64 s[4:5], s[4:5], exec
	s_and_b64 s[8:9], s[8:9], exec
	s_or_b64 s[4:5], s[4:5], s[8:9]
	s_or_b64 exec, exec, s[6:7]
	s_and_saveexec_b64 s[6:7], s[4:5]
	s_cbranch_execnz .LBB8_667
	s_branch .LBB8_668
.LBB8_2717:
	s_movk_i32 s4, 0x80
	v_cmp_eq_u16_sdwa s[12:13], v2, s4 src0_sel:BYTE_3 src1_sel:DWORD
	s_mov_b64 s[4:5], -1
                                        ; implicit-def: $sgpr10
	s_and_saveexec_b64 s[8:9], s[12:13]
; %bb.2718:
	s_mov_b32 s10, 0x7f800001
	s_xor_b64 s[4:5], exec, -1
; %bb.2719:
	s_or_b64 exec, exec, s[8:9]
	s_and_b64 s[4:5], s[4:5], exec
	s_or_saveexec_b64 s[6:7], s[6:7]
	v_mov_b32_e32 v6, s10
	s_xor_b64 exec, exec, s[6:7]
	s_cbranch_execz .LBB8_670
.LBB8_2720:
	v_mov_b32_e32 v6, 0
	v_cmp_ne_u16_sdwa s[8:9], v2, v6 src0_sel:BYTE_3 src1_sel:DWORD
	s_andn2_b64 s[4:5], s[4:5], exec
	s_and_b64 s[8:9], s[8:9], exec
	s_or_b64 s[4:5], s[4:5], s[8:9]
	s_or_b64 exec, exec, s[6:7]
	s_and_saveexec_b64 s[6:7], s[4:5]
	s_cbranch_execnz .LBB8_671
	s_branch .LBB8_672
.LBB8_2721:
	s_movk_i32 s4, 0x80
	v_cmp_eq_u16_sdwa s[12:13], v7, s4 src0_sel:BYTE_0 src1_sel:DWORD
	s_mov_b64 s[4:5], -1
                                        ; implicit-def: $sgpr10
	s_and_saveexec_b64 s[8:9], s[12:13]
; %bb.2722:
	s_mov_b32 s10, 0x7f800001
	s_xor_b64 s[4:5], exec, -1
; %bb.2723:
	s_or_b64 exec, exec, s[8:9]
	s_and_b64 s[4:5], s[4:5], exec
	s_or_saveexec_b64 s[6:7], s[6:7]
	v_mov_b32_e32 v2, s10
	s_xor_b64 exec, exec, s[6:7]
	s_cbranch_execz .LBB8_674
.LBB8_2724:
	v_mov_b32_e32 v2, 0
	v_cmp_ne_u16_sdwa s[8:9], v7, v2 src0_sel:BYTE_0 src1_sel:DWORD
	s_andn2_b64 s[4:5], s[4:5], exec
	s_and_b64 s[8:9], s[8:9], exec
	s_or_b64 s[4:5], s[4:5], s[8:9]
	s_or_b64 exec, exec, s[6:7]
	s_and_saveexec_b64 s[6:7], s[4:5]
	s_cbranch_execnz .LBB8_675
	s_branch .LBB8_676
.LBB8_2725:
	s_movk_i32 s4, 0x80
	v_cmp_eq_u16_sdwa s[12:13], v3, s4 src0_sel:BYTE_0 src1_sel:DWORD
	s_mov_b64 s[4:5], -1
                                        ; implicit-def: $sgpr10
	s_and_saveexec_b64 s[8:9], s[12:13]
; %bb.2726:
	s_mov_b32 s10, 0x7f800001
	s_xor_b64 s[4:5], exec, -1
; %bb.2727:
	s_or_b64 exec, exec, s[8:9]
	s_and_b64 s[4:5], s[4:5], exec
	s_or_saveexec_b64 s[6:7], s[6:7]
	v_mov_b32_e32 v6, s10
	s_xor_b64 exec, exec, s[6:7]
	s_cbranch_execz .LBB8_678
.LBB8_2728:
	v_mov_b32_e32 v6, 0
	v_cmp_ne_u16_sdwa s[8:9], v3, v6 src0_sel:BYTE_0 src1_sel:DWORD
	s_andn2_b64 s[4:5], s[4:5], exec
	s_and_b64 s[8:9], s[8:9], exec
	s_or_b64 s[4:5], s[4:5], s[8:9]
	s_or_b64 exec, exec, s[6:7]
	s_and_saveexec_b64 s[6:7], s[4:5]
	s_cbranch_execnz .LBB8_679
	s_branch .LBB8_680
.LBB8_2729:
	s_movk_i32 s4, 0x80
	v_cmp_eq_u16_sdwa s[12:13], v6, s4 src0_sel:BYTE_0 src1_sel:DWORD
	s_mov_b64 s[4:5], -1
                                        ; implicit-def: $sgpr10
	s_and_saveexec_b64 s[8:9], s[12:13]
; %bb.2730:
	s_mov_b32 s10, 0x7f800001
	s_xor_b64 s[4:5], exec, -1
; %bb.2731:
	s_or_b64 exec, exec, s[8:9]
	s_and_b64 s[4:5], s[4:5], exec
	s_or_saveexec_b64 s[6:7], s[6:7]
	v_mov_b32_e32 v2, s10
	s_xor_b64 exec, exec, s[6:7]
	s_cbranch_execz .LBB8_682
.LBB8_2732:
	v_mov_b32_e32 v2, 0
	v_cmp_ne_u16_sdwa s[8:9], v6, v2 src0_sel:BYTE_0 src1_sel:DWORD
	s_andn2_b64 s[4:5], s[4:5], exec
	s_and_b64 s[8:9], s[8:9], exec
	s_or_b64 s[4:5], s[4:5], s[8:9]
	s_or_b64 exec, exec, s[6:7]
	s_and_saveexec_b64 s[6:7], s[4:5]
	s_cbranch_execnz .LBB8_683
	s_branch .LBB8_684
.LBB8_2733:
	s_movk_i32 s4, 0x80
	v_cmp_eq_u16_sdwa s[12:13], v6, s4 src0_sel:BYTE_0 src1_sel:DWORD
	s_mov_b64 s[4:5], -1
                                        ; implicit-def: $sgpr10
	s_and_saveexec_b64 s[8:9], s[12:13]
; %bb.2734:
	s_mov_b32 s10, 0x7f800001
	s_xor_b64 s[4:5], exec, -1
; %bb.2735:
	s_or_b64 exec, exec, s[8:9]
	s_and_b64 s[4:5], s[4:5], exec
	s_or_saveexec_b64 s[6:7], s[6:7]
	v_mov_b32_e32 v12, s10
	s_xor_b64 exec, exec, s[6:7]
	s_cbranch_execz .LBB8_686
.LBB8_2736:
	v_mov_b32_e32 v12, 0
	v_cmp_ne_u16_sdwa s[8:9], v6, v12 src0_sel:BYTE_0 src1_sel:DWORD
	s_andn2_b64 s[4:5], s[4:5], exec
	s_and_b64 s[8:9], s[8:9], exec
	s_or_b64 s[4:5], s[4:5], s[8:9]
	s_or_b64 exec, exec, s[6:7]
	s_and_saveexec_b64 s[6:7], s[4:5]
	s_cbranch_execnz .LBB8_687
	s_branch .LBB8_688
.LBB8_2737:
	s_movk_i32 s4, 0x80
	v_cmp_eq_u16_e32 vcc, s4, v6
	s_mov_b64 s[4:5], -1
                                        ; implicit-def: $sgpr10
	s_and_saveexec_b64 s[8:9], vcc
; %bb.2738:
	s_mov_b32 s10, 0x7f800001
	s_xor_b64 s[4:5], exec, -1
; %bb.2739:
	s_or_b64 exec, exec, s[8:9]
	s_and_b64 s[4:5], s[4:5], exec
                                        ; implicit-def: $vgpr6
	s_or_saveexec_b64 s[6:7], s[6:7]
	v_mov_b32_e32 v2, s10
	s_xor_b64 exec, exec, s[6:7]
	s_cbranch_execz .LBB8_690
.LBB8_2740:
	v_cmp_ne_u16_e32 vcc, 0, v6
	s_andn2_b64 s[4:5], s[4:5], exec
	s_and_b64 s[8:9], vcc, exec
	v_mov_b32_e32 v2, 0
	s_or_b64 s[4:5], s[4:5], s[8:9]
	s_or_b64 exec, exec, s[6:7]
	s_and_saveexec_b64 s[6:7], s[4:5]
	s_cbranch_execnz .LBB8_691
	s_branch .LBB8_692
.LBB8_2741:
	s_movk_i32 s4, 0x80
	v_cmp_eq_u16_e32 vcc, s4, v6
	s_mov_b64 s[4:5], -1
                                        ; implicit-def: $sgpr10
	s_and_saveexec_b64 s[8:9], vcc
; %bb.2742:
	s_mov_b32 s10, 0x7f800001
	s_xor_b64 s[4:5], exec, -1
; %bb.2743:
	s_or_b64 exec, exec, s[8:9]
	s_and_b64 s[4:5], s[4:5], exec
                                        ; implicit-def: $vgpr6
	s_or_saveexec_b64 s[6:7], s[6:7]
	v_mov_b32_e32 v12, s10
	s_xor_b64 exec, exec, s[6:7]
	s_cbranch_execz .LBB8_694
.LBB8_2744:
	v_cmp_ne_u16_e32 vcc, 0, v6
	s_andn2_b64 s[4:5], s[4:5], exec
	s_and_b64 s[8:9], vcc, exec
	v_mov_b32_e32 v12, 0
	s_or_b64 s[4:5], s[4:5], s[8:9]
	s_or_b64 exec, exec, s[6:7]
	s_and_saveexec_b64 s[6:7], s[4:5]
	s_cbranch_execnz .LBB8_695
	s_branch .LBB8_696
.LBB8_2745:
	s_movk_i32 s4, 0x80
	v_cmp_eq_u16_sdwa s[12:13], v7, s4 src0_sel:BYTE_3 src1_sel:DWORD
	s_mov_b64 s[4:5], -1
                                        ; implicit-def: $sgpr10
	s_and_saveexec_b64 s[8:9], s[12:13]
; %bb.2746:
	s_mov_b32 s10, 0x7f800001
	s_xor_b64 s[4:5], exec, -1
; %bb.2747:
	s_or_b64 exec, exec, s[8:9]
	s_and_b64 s[4:5], s[4:5], exec
	s_or_saveexec_b64 s[6:7], s[6:7]
	v_mov_b32_e32 v2, s10
	s_xor_b64 exec, exec, s[6:7]
	s_cbranch_execz .LBB8_698
.LBB8_2748:
	v_mov_b32_e32 v2, 0
	v_cmp_ne_u16_sdwa s[8:9], v7, v2 src0_sel:BYTE_3 src1_sel:DWORD
	s_andn2_b64 s[4:5], s[4:5], exec
	s_and_b64 s[8:9], s[8:9], exec
	s_or_b64 s[4:5], s[4:5], s[8:9]
	s_or_b64 exec, exec, s[6:7]
	s_and_saveexec_b64 s[6:7], s[4:5]
	s_cbranch_execnz .LBB8_699
	s_branch .LBB8_700
.LBB8_2749:
	s_movk_i32 s4, 0x80
	v_cmp_eq_u16_sdwa s[12:13], v3, s4 src0_sel:BYTE_3 src1_sel:DWORD
	s_mov_b64 s[4:5], -1
                                        ; implicit-def: $sgpr10
	s_and_saveexec_b64 s[8:9], s[12:13]
; %bb.2750:
	s_mov_b32 s10, 0x7f800001
	s_xor_b64 s[4:5], exec, -1
; %bb.2751:
	s_or_b64 exec, exec, s[8:9]
	s_and_b64 s[4:5], s[4:5], exec
	s_or_saveexec_b64 s[6:7], s[6:7]
	v_mov_b32_e32 v6, s10
	s_xor_b64 exec, exec, s[6:7]
	s_cbranch_execz .LBB8_702
.LBB8_2752:
	v_mov_b32_e32 v6, 0
	v_cmp_ne_u16_sdwa s[8:9], v3, v6 src0_sel:BYTE_3 src1_sel:DWORD
	s_andn2_b64 s[4:5], s[4:5], exec
	s_and_b64 s[8:9], s[8:9], exec
	s_or_b64 s[4:5], s[4:5], s[8:9]
	s_or_b64 exec, exec, s[6:7]
	s_and_saveexec_b64 s[6:7], s[4:5]
	s_cbranch_execnz .LBB8_703
	s_branch .LBB8_704
.LBB8_2753:
	s_movk_i32 s4, 0x80
	v_cmp_eq_u16_sdwa s[12:13], v8, s4 src0_sel:BYTE_0 src1_sel:DWORD
	s_mov_b64 s[4:5], -1
                                        ; implicit-def: $sgpr10
	s_and_saveexec_b64 s[8:9], s[12:13]
; %bb.2754:
	s_mov_b32 s10, 0x7f800001
	s_xor_b64 s[4:5], exec, -1
; %bb.2755:
	s_or_b64 exec, exec, s[8:9]
	s_and_b64 s[4:5], s[4:5], exec
	s_or_saveexec_b64 s[6:7], s[6:7]
	v_mov_b32_e32 v2, s10
	s_xor_b64 exec, exec, s[6:7]
	s_cbranch_execz .LBB8_706
.LBB8_2756:
	v_mov_b32_e32 v2, 0
	v_cmp_ne_u16_sdwa s[8:9], v8, v2 src0_sel:BYTE_0 src1_sel:DWORD
	s_andn2_b64 s[4:5], s[4:5], exec
	s_and_b64 s[8:9], s[8:9], exec
	s_or_b64 s[4:5], s[4:5], s[8:9]
	s_or_b64 exec, exec, s[6:7]
	s_and_saveexec_b64 s[6:7], s[4:5]
	s_cbranch_execnz .LBB8_707
	s_branch .LBB8_708
.LBB8_2757:
	s_movk_i32 s4, 0x80
	v_cmp_eq_u16_sdwa s[12:13], v4, s4 src0_sel:BYTE_0 src1_sel:DWORD
	s_mov_b64 s[4:5], -1
                                        ; implicit-def: $sgpr10
	s_and_saveexec_b64 s[8:9], s[12:13]
; %bb.2758:
	s_mov_b32 s10, 0x7f800001
	s_xor_b64 s[4:5], exec, -1
; %bb.2759:
	s_or_b64 exec, exec, s[8:9]
	s_and_b64 s[4:5], s[4:5], exec
	s_or_saveexec_b64 s[6:7], s[6:7]
	v_mov_b32_e32 v3, s10
	s_xor_b64 exec, exec, s[6:7]
	s_cbranch_execz .LBB8_710
.LBB8_2760:
	v_mov_b32_e32 v3, 0
	v_cmp_ne_u16_sdwa s[8:9], v4, v3 src0_sel:BYTE_0 src1_sel:DWORD
	s_andn2_b64 s[4:5], s[4:5], exec
	s_and_b64 s[8:9], s[8:9], exec
	s_or_b64 s[4:5], s[4:5], s[8:9]
	s_or_b64 exec, exec, s[6:7]
	s_and_saveexec_b64 s[6:7], s[4:5]
	s_cbranch_execnz .LBB8_711
	s_branch .LBB8_712
.LBB8_2761:
	s_movk_i32 s4, 0x80
	v_cmp_eq_u16_sdwa s[12:13], v3, s4 src0_sel:BYTE_0 src1_sel:DWORD
	s_mov_b64 s[4:5], -1
                                        ; implicit-def: $sgpr10
	s_and_saveexec_b64 s[8:9], s[12:13]
; %bb.2762:
	s_mov_b32 s10, 0x7f800001
	s_xor_b64 s[4:5], exec, -1
; %bb.2763:
	s_or_b64 exec, exec, s[8:9]
	s_and_b64 s[4:5], s[4:5], exec
	s_or_saveexec_b64 s[6:7], s[6:7]
	v_mov_b32_e32 v2, s10
	s_xor_b64 exec, exec, s[6:7]
	s_cbranch_execz .LBB8_714
.LBB8_2764:
	v_mov_b32_e32 v2, 0
	v_cmp_ne_u16_sdwa s[8:9], v3, v2 src0_sel:BYTE_0 src1_sel:DWORD
	s_andn2_b64 s[4:5], s[4:5], exec
	s_and_b64 s[8:9], s[8:9], exec
	s_or_b64 s[4:5], s[4:5], s[8:9]
	s_or_b64 exec, exec, s[6:7]
	s_and_saveexec_b64 s[6:7], s[4:5]
	s_cbranch_execnz .LBB8_715
	s_branch .LBB8_716
.LBB8_2765:
	s_movk_i32 s4, 0x80
	v_cmp_eq_u16_sdwa s[12:13], v3, s4 src0_sel:BYTE_0 src1_sel:DWORD
	s_mov_b64 s[4:5], -1
                                        ; implicit-def: $sgpr10
	s_and_saveexec_b64 s[8:9], s[12:13]
; %bb.2766:
	s_mov_b32 s10, 0x7f800001
	s_xor_b64 s[4:5], exec, -1
; %bb.2767:
	s_or_b64 exec, exec, s[8:9]
	s_and_b64 s[4:5], s[4:5], exec
	s_or_saveexec_b64 s[6:7], s[6:7]
	v_mov_b32_e32 v6, s10
	s_xor_b64 exec, exec, s[6:7]
	s_cbranch_execz .LBB8_718
.LBB8_2768:
	v_mov_b32_e32 v6, 0
	v_cmp_ne_u16_sdwa s[8:9], v3, v6 src0_sel:BYTE_0 src1_sel:DWORD
	s_andn2_b64 s[4:5], s[4:5], exec
	s_and_b64 s[8:9], s[8:9], exec
	s_or_b64 s[4:5], s[4:5], s[8:9]
	s_or_b64 exec, exec, s[6:7]
	s_and_saveexec_b64 s[6:7], s[4:5]
	s_cbranch_execnz .LBB8_719
	s_branch .LBB8_720
.LBB8_2769:
	s_movk_i32 s4, 0x80
	v_cmp_eq_u16_e32 vcc, s4, v3
	s_mov_b64 s[4:5], -1
                                        ; implicit-def: $sgpr10
	s_and_saveexec_b64 s[8:9], vcc
; %bb.2770:
	s_mov_b32 s10, 0x7f800001
	s_xor_b64 s[4:5], exec, -1
; %bb.2771:
	s_or_b64 exec, exec, s[8:9]
	s_and_b64 s[4:5], s[4:5], exec
                                        ; implicit-def: $vgpr3
	s_or_saveexec_b64 s[6:7], s[6:7]
	v_mov_b32_e32 v2, s10
	s_xor_b64 exec, exec, s[6:7]
	s_cbranch_execz .LBB8_722
.LBB8_2772:
	v_cmp_ne_u16_e32 vcc, 0, v3
	s_andn2_b64 s[4:5], s[4:5], exec
	s_and_b64 s[8:9], vcc, exec
	v_mov_b32_e32 v2, 0
	s_or_b64 s[4:5], s[4:5], s[8:9]
	s_or_b64 exec, exec, s[6:7]
	s_and_saveexec_b64 s[6:7], s[4:5]
	s_cbranch_execnz .LBB8_723
	s_branch .LBB8_724
.LBB8_2773:
	s_movk_i32 s4, 0x80
	v_cmp_eq_u16_e32 vcc, s4, v3
	s_mov_b64 s[4:5], -1
                                        ; implicit-def: $sgpr10
	s_and_saveexec_b64 s[8:9], vcc
; %bb.2774:
	s_mov_b32 s10, 0x7f800001
	s_xor_b64 s[4:5], exec, -1
; %bb.2775:
	s_or_b64 exec, exec, s[8:9]
	s_and_b64 s[4:5], s[4:5], exec
                                        ; implicit-def: $vgpr3
	s_or_saveexec_b64 s[6:7], s[6:7]
	v_mov_b32_e32 v6, s10
	s_xor_b64 exec, exec, s[6:7]
	s_cbranch_execz .LBB8_726
.LBB8_2776:
	v_cmp_ne_u16_e32 vcc, 0, v3
	s_andn2_b64 s[4:5], s[4:5], exec
	s_and_b64 s[8:9], vcc, exec
	v_mov_b32_e32 v6, 0
	s_or_b64 s[4:5], s[4:5], s[8:9]
	s_or_b64 exec, exec, s[6:7]
	s_and_saveexec_b64 s[6:7], s[4:5]
	s_cbranch_execnz .LBB8_727
	s_branch .LBB8_728
.LBB8_2777:
	s_movk_i32 s4, 0x80
	v_cmp_eq_u16_sdwa s[12:13], v8, s4 src0_sel:BYTE_3 src1_sel:DWORD
	s_mov_b64 s[4:5], -1
                                        ; implicit-def: $sgpr10
	s_and_saveexec_b64 s[8:9], s[12:13]
; %bb.2778:
	s_mov_b32 s10, 0x7f800001
	s_xor_b64 s[4:5], exec, -1
; %bb.2779:
	s_or_b64 exec, exec, s[8:9]
	s_and_b64 s[4:5], s[4:5], exec
	s_or_saveexec_b64 s[6:7], s[6:7]
	v_mov_b32_e32 v2, s10
	s_xor_b64 exec, exec, s[6:7]
	s_cbranch_execz .LBB8_730
.LBB8_2780:
	v_mov_b32_e32 v2, 0
	v_cmp_ne_u16_sdwa s[8:9], v8, v2 src0_sel:BYTE_3 src1_sel:DWORD
	s_andn2_b64 s[4:5], s[4:5], exec
	s_and_b64 s[8:9], s[8:9], exec
	s_or_b64 s[4:5], s[4:5], s[8:9]
	s_or_b64 exec, exec, s[6:7]
	s_and_saveexec_b64 s[6:7], s[4:5]
	s_cbranch_execnz .LBB8_731
	s_branch .LBB8_732
.LBB8_2781:
	s_movk_i32 s4, 0x80
	v_cmp_eq_u16_sdwa s[12:13], v4, s4 src0_sel:BYTE_3 src1_sel:DWORD
	s_mov_b64 s[4:5], -1
                                        ; implicit-def: $sgpr10
	s_and_saveexec_b64 s[8:9], s[12:13]
; %bb.2782:
	s_mov_b32 s10, 0x7f800001
	s_xor_b64 s[4:5], exec, -1
; %bb.2783:
	s_or_b64 exec, exec, s[8:9]
	s_and_b64 s[4:5], s[4:5], exec
	s_or_saveexec_b64 s[6:7], s[6:7]
	v_mov_b32_e32 v3, s10
	s_xor_b64 exec, exec, s[6:7]
	s_cbranch_execz .LBB8_734
.LBB8_2784:
	v_mov_b32_e32 v3, 0
	v_cmp_ne_u16_sdwa s[8:9], v4, v3 src0_sel:BYTE_3 src1_sel:DWORD
	s_andn2_b64 s[4:5], s[4:5], exec
	s_and_b64 s[8:9], s[8:9], exec
	s_or_b64 s[4:5], s[4:5], s[8:9]
	s_or_b64 exec, exec, s[6:7]
	s_and_saveexec_b64 s[6:7], s[4:5]
	s_cbranch_execnz .LBB8_735
	s_branch .LBB8_736
.LBB8_2785:
	s_movk_i32 s4, 0x80
	v_cmp_eq_u16_sdwa s[12:13], v9, s4 src0_sel:BYTE_0 src1_sel:DWORD
	s_mov_b64 s[4:5], -1
                                        ; implicit-def: $sgpr10
	s_and_saveexec_b64 s[8:9], s[12:13]
; %bb.2786:
	s_mov_b32 s10, 0x7f800001
	s_xor_b64 s[4:5], exec, -1
; %bb.2787:
	s_or_b64 exec, exec, s[8:9]
	s_and_b64 s[4:5], s[4:5], exec
	s_or_saveexec_b64 s[6:7], s[6:7]
	v_mov_b32_e32 v2, s10
	s_xor_b64 exec, exec, s[6:7]
	s_cbranch_execz .LBB8_738
.LBB8_2788:
	v_mov_b32_e32 v2, 0
	v_cmp_ne_u16_sdwa s[8:9], v9, v2 src0_sel:BYTE_0 src1_sel:DWORD
	s_andn2_b64 s[4:5], s[4:5], exec
	s_and_b64 s[8:9], s[8:9], exec
	s_or_b64 s[4:5], s[4:5], s[8:9]
	s_or_b64 exec, exec, s[6:7]
	s_and_saveexec_b64 s[6:7], s[4:5]
	s_cbranch_execnz .LBB8_739
	s_branch .LBB8_740
.LBB8_2789:
	s_movk_i32 s4, 0x80
	v_cmp_eq_u16_sdwa s[12:13], v5, s4 src0_sel:BYTE_0 src1_sel:DWORD
	s_mov_b64 s[4:5], -1
                                        ; implicit-def: $sgpr10
	s_and_saveexec_b64 s[8:9], s[12:13]
; %bb.2790:
	s_mov_b32 s10, 0x7f800001
	s_xor_b64 s[4:5], exec, -1
; %bb.2791:
	s_or_b64 exec, exec, s[8:9]
	s_and_b64 s[4:5], s[4:5], exec
	s_or_saveexec_b64 s[6:7], s[6:7]
	v_mov_b32_e32 v3, s10
	s_xor_b64 exec, exec, s[6:7]
	s_cbranch_execz .LBB8_742
.LBB8_2792:
	v_mov_b32_e32 v3, 0
	v_cmp_ne_u16_sdwa s[8:9], v5, v3 src0_sel:BYTE_0 src1_sel:DWORD
	s_andn2_b64 s[4:5], s[4:5], exec
	s_and_b64 s[8:9], s[8:9], exec
	s_or_b64 s[4:5], s[4:5], s[8:9]
	s_or_b64 exec, exec, s[6:7]
	s_and_saveexec_b64 s[6:7], s[4:5]
	s_cbranch_execnz .LBB8_743
	s_branch .LBB8_744
.LBB8_2793:
	s_movk_i32 s4, 0x80
	v_cmp_eq_u16_sdwa s[12:13], v3, s4 src0_sel:BYTE_0 src1_sel:DWORD
	s_mov_b64 s[4:5], -1
                                        ; implicit-def: $sgpr10
	s_and_saveexec_b64 s[8:9], s[12:13]
; %bb.2794:
	s_mov_b32 s10, 0x7f800001
	s_xor_b64 s[4:5], exec, -1
; %bb.2795:
	s_or_b64 exec, exec, s[8:9]
	s_and_b64 s[4:5], s[4:5], exec
	s_or_saveexec_b64 s[6:7], s[6:7]
	v_mov_b32_e32 v2, s10
	s_xor_b64 exec, exec, s[6:7]
	s_cbranch_execz .LBB8_746
.LBB8_2796:
	v_mov_b32_e32 v2, 0
	v_cmp_ne_u16_sdwa s[8:9], v3, v2 src0_sel:BYTE_0 src1_sel:DWORD
	s_andn2_b64 s[4:5], s[4:5], exec
	s_and_b64 s[8:9], s[8:9], exec
	s_or_b64 s[4:5], s[4:5], s[8:9]
	s_or_b64 exec, exec, s[6:7]
	s_and_saveexec_b64 s[6:7], s[4:5]
	s_cbranch_execnz .LBB8_747
	s_branch .LBB8_748
.LBB8_2797:
	s_movk_i32 s4, 0x80
	v_cmp_eq_u16_sdwa s[12:13], v3, s4 src0_sel:BYTE_0 src1_sel:DWORD
	s_mov_b64 s[4:5], -1
                                        ; implicit-def: $sgpr10
	s_and_saveexec_b64 s[8:9], s[12:13]
; %bb.2798:
	s_mov_b32 s10, 0x7f800001
	s_xor_b64 s[4:5], exec, -1
; %bb.2799:
	s_or_b64 exec, exec, s[8:9]
	s_and_b64 s[4:5], s[4:5], exec
	s_or_saveexec_b64 s[6:7], s[6:7]
	v_mov_b32_e32 v4, s10
	s_xor_b64 exec, exec, s[6:7]
	s_cbranch_execz .LBB8_750
.LBB8_2800:
	v_mov_b32_e32 v4, 0
	v_cmp_ne_u16_sdwa s[8:9], v3, v4 src0_sel:BYTE_0 src1_sel:DWORD
	s_andn2_b64 s[4:5], s[4:5], exec
	s_and_b64 s[8:9], s[8:9], exec
	s_or_b64 s[4:5], s[4:5], s[8:9]
	s_or_b64 exec, exec, s[6:7]
	s_and_saveexec_b64 s[6:7], s[4:5]
	s_cbranch_execnz .LBB8_751
	s_branch .LBB8_752
.LBB8_2801:
	s_movk_i32 s4, 0x80
	v_cmp_eq_u16_e32 vcc, s4, v3
	s_mov_b64 s[4:5], -1
                                        ; implicit-def: $sgpr10
	s_and_saveexec_b64 s[8:9], vcc
; %bb.2802:
	s_mov_b32 s10, 0x7f800001
	s_xor_b64 s[4:5], exec, -1
; %bb.2803:
	s_or_b64 exec, exec, s[8:9]
	s_and_b64 s[4:5], s[4:5], exec
                                        ; implicit-def: $vgpr3
	s_or_saveexec_b64 s[6:7], s[6:7]
	v_mov_b32_e32 v2, s10
	s_xor_b64 exec, exec, s[6:7]
	s_cbranch_execz .LBB8_754
.LBB8_2804:
	v_cmp_ne_u16_e32 vcc, 0, v3
	s_andn2_b64 s[4:5], s[4:5], exec
	s_and_b64 s[8:9], vcc, exec
	v_mov_b32_e32 v2, 0
	s_or_b64 s[4:5], s[4:5], s[8:9]
	s_or_b64 exec, exec, s[6:7]
	s_and_saveexec_b64 s[6:7], s[4:5]
	s_cbranch_execnz .LBB8_755
	s_branch .LBB8_756
.LBB8_2805:
	s_movk_i32 s4, 0x80
	v_cmp_eq_u16_e32 vcc, s4, v3
	s_mov_b64 s[4:5], -1
                                        ; implicit-def: $sgpr10
	s_and_saveexec_b64 s[8:9], vcc
; %bb.2806:
	s_mov_b32 s10, 0x7f800001
	s_xor_b64 s[4:5], exec, -1
; %bb.2807:
	s_or_b64 exec, exec, s[8:9]
	s_and_b64 s[4:5], s[4:5], exec
                                        ; implicit-def: $vgpr3
	s_or_saveexec_b64 s[6:7], s[6:7]
	v_mov_b32_e32 v4, s10
	s_xor_b64 exec, exec, s[6:7]
	s_cbranch_execz .LBB8_758
.LBB8_2808:
	v_cmp_ne_u16_e32 vcc, 0, v3
	s_andn2_b64 s[4:5], s[4:5], exec
	s_and_b64 s[8:9], vcc, exec
	v_mov_b32_e32 v4, 0
	s_or_b64 s[4:5], s[4:5], s[8:9]
	s_or_b64 exec, exec, s[6:7]
	s_and_saveexec_b64 s[6:7], s[4:5]
	s_cbranch_execnz .LBB8_759
	s_branch .LBB8_760
.LBB8_2809:
	s_movk_i32 s4, 0x80
	v_cmp_eq_u16_sdwa s[12:13], v9, s4 src0_sel:BYTE_3 src1_sel:DWORD
	s_mov_b64 s[4:5], -1
                                        ; implicit-def: $sgpr10
	s_and_saveexec_b64 s[8:9], s[12:13]
; %bb.2810:
	s_mov_b32 s10, 0x7f800001
	s_xor_b64 s[4:5], exec, -1
; %bb.2811:
	s_or_b64 exec, exec, s[8:9]
	s_and_b64 s[4:5], s[4:5], exec
	s_or_saveexec_b64 s[6:7], s[6:7]
	v_mov_b32_e32 v2, s10
	s_xor_b64 exec, exec, s[6:7]
	s_cbranch_execz .LBB8_762
.LBB8_2812:
	v_mov_b32_e32 v2, 0
	v_cmp_ne_u16_sdwa s[8:9], v9, v2 src0_sel:BYTE_3 src1_sel:DWORD
	s_andn2_b64 s[4:5], s[4:5], exec
	s_and_b64 s[8:9], s[8:9], exec
	s_or_b64 s[4:5], s[4:5], s[8:9]
	s_or_b64 exec, exec, s[6:7]
	s_and_saveexec_b64 s[6:7], s[4:5]
	s_cbranch_execnz .LBB8_763
	s_branch .LBB8_764
.LBB8_2813:
	s_movk_i32 s4, 0x80
	v_cmp_eq_u16_sdwa s[12:13], v5, s4 src0_sel:BYTE_3 src1_sel:DWORD
	s_mov_b64 s[4:5], -1
                                        ; implicit-def: $sgpr10
	s_and_saveexec_b64 s[8:9], s[12:13]
; %bb.2814:
	s_mov_b32 s10, 0x7f800001
	s_xor_b64 s[4:5], exec, -1
; %bb.2815:
	s_or_b64 exec, exec, s[8:9]
	s_and_b64 s[4:5], s[4:5], exec
	s_or_saveexec_b64 s[6:7], s[6:7]
	v_mov_b32_e32 v3, s10
	s_xor_b64 exec, exec, s[6:7]
	s_cbranch_execz .LBB8_766
.LBB8_2816:
	v_mov_b32_e32 v3, 0
	v_cmp_ne_u16_sdwa s[8:9], v5, v3 src0_sel:BYTE_3 src1_sel:DWORD
	s_andn2_b64 s[4:5], s[4:5], exec
	s_and_b64 s[8:9], s[8:9], exec
	s_or_b64 s[4:5], s[4:5], s[8:9]
	s_or_b64 exec, exec, s[6:7]
	s_and_saveexec_b64 s[6:7], s[4:5]
	s_cbranch_execnz .LBB8_767
	s_branch .LBB8_768
.LBB8_2817:
	s_movk_i32 s4, 0x80
	v_cmp_eq_u16_sdwa s[12:13], v6, s4 src0_sel:BYTE_0 src1_sel:DWORD
	s_mov_b64 s[4:5], -1
                                        ; implicit-def: $sgpr10
	s_and_saveexec_b64 s[8:9], s[12:13]
; %bb.2818:
	s_mov_b32 s10, 0x7f800001
	s_xor_b64 s[4:5], exec, -1
; %bb.2819:
	s_or_b64 exec, exec, s[8:9]
	s_and_b64 s[4:5], s[4:5], exec
	s_or_saveexec_b64 s[6:7], s[6:7]
	v_mov_b32_e32 v12, s10
	s_xor_b64 exec, exec, s[6:7]
	s_cbranch_execz .LBB8_770
.LBB8_2820:
	v_mov_b32_e32 v12, 0
	v_cmp_ne_u16_sdwa s[8:9], v6, v12 src0_sel:BYTE_0 src1_sel:DWORD
	s_andn2_b64 s[4:5], s[4:5], exec
	s_and_b64 s[8:9], s[8:9], exec
	s_or_b64 s[4:5], s[4:5], s[8:9]
	s_or_b64 exec, exec, s[6:7]
	s_and_saveexec_b64 s[6:7], s[4:5]
	s_cbranch_execnz .LBB8_771
	s_branch .LBB8_772
.LBB8_2821:
	s_movk_i32 s4, 0x80
	v_cmp_eq_u16_sdwa s[12:13], v2, s4 src0_sel:BYTE_0 src1_sel:DWORD
	s_mov_b64 s[4:5], -1
                                        ; implicit-def: $sgpr10
	s_and_saveexec_b64 s[8:9], s[12:13]
; %bb.2822:
	s_mov_b32 s10, 0x7f800001
	s_xor_b64 s[4:5], exec, -1
; %bb.2823:
	s_or_b64 exec, exec, s[8:9]
	s_and_b64 s[4:5], s[4:5], exec
	s_or_saveexec_b64 s[6:7], s[6:7]
	v_mov_b32_e32 v13, s10
	s_xor_b64 exec, exec, s[6:7]
	s_cbranch_execz .LBB8_774
.LBB8_2824:
	v_mov_b32_e32 v13, 0
	v_cmp_ne_u16_sdwa s[8:9], v2, v13 src0_sel:BYTE_0 src1_sel:DWORD
	s_andn2_b64 s[4:5], s[4:5], exec
	s_and_b64 s[8:9], s[8:9], exec
	s_or_b64 s[4:5], s[4:5], s[8:9]
	s_or_b64 exec, exec, s[6:7]
	s_and_saveexec_b64 s[6:7], s[4:5]
	s_cbranch_execnz .LBB8_775
	s_branch .LBB8_776
.LBB8_2825:
	s_movk_i32 s4, 0x80
	v_cmp_eq_u16_sdwa s[12:13], v13, s4 src0_sel:BYTE_0 src1_sel:DWORD
	s_mov_b64 s[4:5], -1
                                        ; implicit-def: $sgpr10
	s_and_saveexec_b64 s[8:9], s[12:13]
; %bb.2826:
	s_mov_b32 s10, 0x7f800001
	s_xor_b64 s[4:5], exec, -1
; %bb.2827:
	s_or_b64 exec, exec, s[8:9]
	s_and_b64 s[4:5], s[4:5], exec
	s_or_saveexec_b64 s[6:7], s[6:7]
	v_mov_b32_e32 v12, s10
	s_xor_b64 exec, exec, s[6:7]
	s_cbranch_execz .LBB8_778
.LBB8_2828:
	v_mov_b32_e32 v12, 0
	v_cmp_ne_u16_sdwa s[8:9], v13, v12 src0_sel:BYTE_0 src1_sel:DWORD
	s_andn2_b64 s[4:5], s[4:5], exec
	s_and_b64 s[8:9], s[8:9], exec
	s_or_b64 s[4:5], s[4:5], s[8:9]
	s_or_b64 exec, exec, s[6:7]
	s_and_saveexec_b64 s[6:7], s[4:5]
	s_cbranch_execnz .LBB8_779
	s_branch .LBB8_780
.LBB8_2829:
	s_movk_i32 s4, 0x80
	v_cmp_eq_u16_sdwa s[12:13], v13, s4 src0_sel:BYTE_0 src1_sel:DWORD
	s_mov_b64 s[4:5], -1
                                        ; implicit-def: $sgpr10
	s_and_saveexec_b64 s[8:9], s[12:13]
; %bb.2830:
	s_mov_b32 s10, 0x7f800001
	s_xor_b64 s[4:5], exec, -1
; %bb.2831:
	s_or_b64 exec, exec, s[8:9]
	s_and_b64 s[4:5], s[4:5], exec
	s_or_saveexec_b64 s[6:7], s[6:7]
	v_mov_b32_e32 v14, s10
	s_xor_b64 exec, exec, s[6:7]
	s_cbranch_execz .LBB8_782
.LBB8_2832:
	v_mov_b32_e32 v14, 0
	v_cmp_ne_u16_sdwa s[8:9], v13, v14 src0_sel:BYTE_0 src1_sel:DWORD
	s_andn2_b64 s[4:5], s[4:5], exec
	s_and_b64 s[8:9], s[8:9], exec
	s_or_b64 s[4:5], s[4:5], s[8:9]
	s_or_b64 exec, exec, s[6:7]
	s_and_saveexec_b64 s[6:7], s[4:5]
	s_cbranch_execnz .LBB8_783
	s_branch .LBB8_784
.LBB8_2833:
	s_movk_i32 s4, 0x80
	v_cmp_eq_u16_e32 vcc, s4, v13
	s_mov_b64 s[4:5], -1
                                        ; implicit-def: $sgpr10
	s_and_saveexec_b64 s[8:9], vcc
; %bb.2834:
	s_mov_b32 s10, 0x7f800001
	s_xor_b64 s[4:5], exec, -1
; %bb.2835:
	s_or_b64 exec, exec, s[8:9]
	s_and_b64 s[4:5], s[4:5], exec
                                        ; implicit-def: $vgpr13
	s_or_saveexec_b64 s[6:7], s[6:7]
	v_mov_b32_e32 v12, s10
	s_xor_b64 exec, exec, s[6:7]
	s_cbranch_execz .LBB8_786
.LBB8_2836:
	v_cmp_ne_u16_e32 vcc, 0, v13
	s_andn2_b64 s[4:5], s[4:5], exec
	s_and_b64 s[8:9], vcc, exec
	v_mov_b32_e32 v12, 0
	s_or_b64 s[4:5], s[4:5], s[8:9]
	s_or_b64 exec, exec, s[6:7]
	s_and_saveexec_b64 s[6:7], s[4:5]
	s_cbranch_execnz .LBB8_787
	s_branch .LBB8_788
.LBB8_2837:
	s_movk_i32 s4, 0x80
	v_cmp_eq_u16_e32 vcc, s4, v13
	s_mov_b64 s[4:5], -1
                                        ; implicit-def: $sgpr10
	s_and_saveexec_b64 s[8:9], vcc
; %bb.2838:
	s_mov_b32 s10, 0x7f800001
	s_xor_b64 s[4:5], exec, -1
; %bb.2839:
	s_or_b64 exec, exec, s[8:9]
	s_and_b64 s[4:5], s[4:5], exec
                                        ; implicit-def: $vgpr13
	s_or_saveexec_b64 s[6:7], s[6:7]
	v_mov_b32_e32 v14, s10
	s_xor_b64 exec, exec, s[6:7]
	s_cbranch_execz .LBB8_790
.LBB8_2840:
	v_cmp_ne_u16_e32 vcc, 0, v13
	s_andn2_b64 s[4:5], s[4:5], exec
	s_and_b64 s[8:9], vcc, exec
	v_mov_b32_e32 v14, 0
	s_or_b64 s[4:5], s[4:5], s[8:9]
	s_or_b64 exec, exec, s[6:7]
	s_and_saveexec_b64 s[6:7], s[4:5]
	s_cbranch_execnz .LBB8_791
	s_branch .LBB8_792
.LBB8_2841:
	s_movk_i32 s4, 0x80
	v_cmp_eq_u16_sdwa s[12:13], v6, s4 src0_sel:BYTE_3 src1_sel:DWORD
	s_mov_b64 s[4:5], -1
                                        ; implicit-def: $sgpr10
	s_and_saveexec_b64 s[8:9], s[12:13]
; %bb.2842:
	s_mov_b32 s10, 0x7f800001
	s_xor_b64 s[4:5], exec, -1
; %bb.2843:
	s_or_b64 exec, exec, s[8:9]
	s_and_b64 s[4:5], s[4:5], exec
	s_or_saveexec_b64 s[6:7], s[6:7]
	v_mov_b32_e32 v12, s10
	s_xor_b64 exec, exec, s[6:7]
	s_cbranch_execz .LBB8_794
.LBB8_2844:
	v_mov_b32_e32 v12, 0
	v_cmp_ne_u16_sdwa s[8:9], v6, v12 src0_sel:BYTE_3 src1_sel:DWORD
	s_andn2_b64 s[4:5], s[4:5], exec
	s_and_b64 s[8:9], s[8:9], exec
	s_or_b64 s[4:5], s[4:5], s[8:9]
	s_or_b64 exec, exec, s[6:7]
	s_and_saveexec_b64 s[6:7], s[4:5]
	s_cbranch_execnz .LBB8_795
	s_branch .LBB8_796
.LBB8_2845:
	s_movk_i32 s4, 0x80
	v_cmp_eq_u16_sdwa s[12:13], v2, s4 src0_sel:BYTE_3 src1_sel:DWORD
	s_mov_b64 s[4:5], -1
                                        ; implicit-def: $sgpr10
	s_and_saveexec_b64 s[8:9], s[12:13]
; %bb.2846:
	s_mov_b32 s10, 0x7f800001
	s_xor_b64 s[4:5], exec, -1
; %bb.2847:
	s_or_b64 exec, exec, s[8:9]
	s_and_b64 s[4:5], s[4:5], exec
	s_or_saveexec_b64 s[6:7], s[6:7]
	v_mov_b32_e32 v6, s10
	s_xor_b64 exec, exec, s[6:7]
	s_cbranch_execz .LBB8_798
.LBB8_2848:
	v_mov_b32_e32 v6, 0
	v_cmp_ne_u16_sdwa s[8:9], v2, v6 src0_sel:BYTE_3 src1_sel:DWORD
	s_andn2_b64 s[4:5], s[4:5], exec
	s_and_b64 s[8:9], s[8:9], exec
	s_or_b64 s[4:5], s[4:5], s[8:9]
	s_or_b64 exec, exec, s[6:7]
	s_and_saveexec_b64 s[6:7], s[4:5]
	s_cbranch_execnz .LBB8_799
	s_branch .LBB8_800
.LBB8_2849:
	s_movk_i32 s4, 0x80
	v_cmp_eq_u16_sdwa s[12:13], v7, s4 src0_sel:BYTE_0 src1_sel:DWORD
	s_mov_b64 s[4:5], -1
                                        ; implicit-def: $sgpr10
	s_and_saveexec_b64 s[8:9], s[12:13]
; %bb.2850:
	s_mov_b32 s10, 0x7f800001
	s_xor_b64 s[4:5], exec, -1
; %bb.2851:
	s_or_b64 exec, exec, s[8:9]
	s_and_b64 s[4:5], s[4:5], exec
	s_or_saveexec_b64 s[6:7], s[6:7]
	v_mov_b32_e32 v2, s10
	s_xor_b64 exec, exec, s[6:7]
	s_cbranch_execz .LBB8_802
.LBB8_2852:
	v_mov_b32_e32 v2, 0
	v_cmp_ne_u16_sdwa s[8:9], v7, v2 src0_sel:BYTE_0 src1_sel:DWORD
	s_andn2_b64 s[4:5], s[4:5], exec
	s_and_b64 s[8:9], s[8:9], exec
	s_or_b64 s[4:5], s[4:5], s[8:9]
	s_or_b64 exec, exec, s[6:7]
	s_and_saveexec_b64 s[6:7], s[4:5]
	s_cbranch_execnz .LBB8_803
	s_branch .LBB8_804
.LBB8_2853:
	s_movk_i32 s4, 0x80
	v_cmp_eq_u16_sdwa s[12:13], v3, s4 src0_sel:BYTE_0 src1_sel:DWORD
	s_mov_b64 s[4:5], -1
                                        ; implicit-def: $sgpr10
	s_and_saveexec_b64 s[8:9], s[12:13]
; %bb.2854:
	s_mov_b32 s10, 0x7f800001
	s_xor_b64 s[4:5], exec, -1
; %bb.2855:
	s_or_b64 exec, exec, s[8:9]
	s_and_b64 s[4:5], s[4:5], exec
	s_or_saveexec_b64 s[6:7], s[6:7]
	v_mov_b32_e32 v6, s10
	s_xor_b64 exec, exec, s[6:7]
	s_cbranch_execz .LBB8_806
.LBB8_2856:
	v_mov_b32_e32 v6, 0
	v_cmp_ne_u16_sdwa s[8:9], v3, v6 src0_sel:BYTE_0 src1_sel:DWORD
	s_andn2_b64 s[4:5], s[4:5], exec
	s_and_b64 s[8:9], s[8:9], exec
	s_or_b64 s[4:5], s[4:5], s[8:9]
	s_or_b64 exec, exec, s[6:7]
	s_and_saveexec_b64 s[6:7], s[4:5]
	s_cbranch_execnz .LBB8_807
	s_branch .LBB8_808
.LBB8_2857:
	s_movk_i32 s4, 0x80
	v_cmp_eq_u16_sdwa s[12:13], v6, s4 src0_sel:BYTE_0 src1_sel:DWORD
	s_mov_b64 s[4:5], -1
                                        ; implicit-def: $sgpr10
	s_and_saveexec_b64 s[8:9], s[12:13]
; %bb.2858:
	s_mov_b32 s10, 0x7f800001
	s_xor_b64 s[4:5], exec, -1
; %bb.2859:
	s_or_b64 exec, exec, s[8:9]
	s_and_b64 s[4:5], s[4:5], exec
	s_or_saveexec_b64 s[6:7], s[6:7]
	v_mov_b32_e32 v2, s10
	s_xor_b64 exec, exec, s[6:7]
	s_cbranch_execz .LBB8_810
.LBB8_2860:
	v_mov_b32_e32 v2, 0
	v_cmp_ne_u16_sdwa s[8:9], v6, v2 src0_sel:BYTE_0 src1_sel:DWORD
	s_andn2_b64 s[4:5], s[4:5], exec
	s_and_b64 s[8:9], s[8:9], exec
	s_or_b64 s[4:5], s[4:5], s[8:9]
	s_or_b64 exec, exec, s[6:7]
	s_and_saveexec_b64 s[6:7], s[4:5]
	s_cbranch_execnz .LBB8_811
	s_branch .LBB8_812
.LBB8_2861:
	s_movk_i32 s4, 0x80
	v_cmp_eq_u16_sdwa s[12:13], v6, s4 src0_sel:BYTE_0 src1_sel:DWORD
	s_mov_b64 s[4:5], -1
                                        ; implicit-def: $sgpr10
	s_and_saveexec_b64 s[8:9], s[12:13]
; %bb.2862:
	s_mov_b32 s10, 0x7f800001
	s_xor_b64 s[4:5], exec, -1
; %bb.2863:
	s_or_b64 exec, exec, s[8:9]
	s_and_b64 s[4:5], s[4:5], exec
	s_or_saveexec_b64 s[6:7], s[6:7]
	v_mov_b32_e32 v12, s10
	s_xor_b64 exec, exec, s[6:7]
	s_cbranch_execz .LBB8_814
.LBB8_2864:
	v_mov_b32_e32 v12, 0
	v_cmp_ne_u16_sdwa s[8:9], v6, v12 src0_sel:BYTE_0 src1_sel:DWORD
	s_andn2_b64 s[4:5], s[4:5], exec
	s_and_b64 s[8:9], s[8:9], exec
	s_or_b64 s[4:5], s[4:5], s[8:9]
	s_or_b64 exec, exec, s[6:7]
	s_and_saveexec_b64 s[6:7], s[4:5]
	s_cbranch_execnz .LBB8_815
	s_branch .LBB8_816
.LBB8_2865:
	s_movk_i32 s4, 0x80
	v_cmp_eq_u16_e32 vcc, s4, v6
	s_mov_b64 s[4:5], -1
                                        ; implicit-def: $sgpr10
	s_and_saveexec_b64 s[8:9], vcc
; %bb.2866:
	s_mov_b32 s10, 0x7f800001
	s_xor_b64 s[4:5], exec, -1
; %bb.2867:
	s_or_b64 exec, exec, s[8:9]
	s_and_b64 s[4:5], s[4:5], exec
                                        ; implicit-def: $vgpr6
	s_or_saveexec_b64 s[6:7], s[6:7]
	v_mov_b32_e32 v2, s10
	s_xor_b64 exec, exec, s[6:7]
	s_cbranch_execz .LBB8_818
.LBB8_2868:
	v_cmp_ne_u16_e32 vcc, 0, v6
	s_andn2_b64 s[4:5], s[4:5], exec
	s_and_b64 s[8:9], vcc, exec
	v_mov_b32_e32 v2, 0
	s_or_b64 s[4:5], s[4:5], s[8:9]
	s_or_b64 exec, exec, s[6:7]
	s_and_saveexec_b64 s[6:7], s[4:5]
	s_cbranch_execnz .LBB8_819
	s_branch .LBB8_820
.LBB8_2869:
	s_movk_i32 s4, 0x80
	v_cmp_eq_u16_e32 vcc, s4, v6
	s_mov_b64 s[4:5], -1
                                        ; implicit-def: $sgpr10
	s_and_saveexec_b64 s[8:9], vcc
; %bb.2870:
	s_mov_b32 s10, 0x7f800001
	s_xor_b64 s[4:5], exec, -1
; %bb.2871:
	s_or_b64 exec, exec, s[8:9]
	s_and_b64 s[4:5], s[4:5], exec
                                        ; implicit-def: $vgpr6
	s_or_saveexec_b64 s[6:7], s[6:7]
	v_mov_b32_e32 v12, s10
	s_xor_b64 exec, exec, s[6:7]
	s_cbranch_execz .LBB8_822
.LBB8_2872:
	v_cmp_ne_u16_e32 vcc, 0, v6
	s_andn2_b64 s[4:5], s[4:5], exec
	s_and_b64 s[8:9], vcc, exec
	v_mov_b32_e32 v12, 0
	s_or_b64 s[4:5], s[4:5], s[8:9]
	s_or_b64 exec, exec, s[6:7]
	s_and_saveexec_b64 s[6:7], s[4:5]
	s_cbranch_execnz .LBB8_823
	s_branch .LBB8_824
.LBB8_2873:
	s_movk_i32 s4, 0x80
	v_cmp_eq_u16_sdwa s[12:13], v7, s4 src0_sel:BYTE_3 src1_sel:DWORD
	s_mov_b64 s[4:5], -1
                                        ; implicit-def: $sgpr10
	s_and_saveexec_b64 s[8:9], s[12:13]
; %bb.2874:
	s_mov_b32 s10, 0x7f800001
	s_xor_b64 s[4:5], exec, -1
; %bb.2875:
	s_or_b64 exec, exec, s[8:9]
	s_and_b64 s[4:5], s[4:5], exec
	s_or_saveexec_b64 s[6:7], s[6:7]
	v_mov_b32_e32 v2, s10
	s_xor_b64 exec, exec, s[6:7]
	s_cbranch_execz .LBB8_826
.LBB8_2876:
	v_mov_b32_e32 v2, 0
	v_cmp_ne_u16_sdwa s[8:9], v7, v2 src0_sel:BYTE_3 src1_sel:DWORD
	s_andn2_b64 s[4:5], s[4:5], exec
	s_and_b64 s[8:9], s[8:9], exec
	s_or_b64 s[4:5], s[4:5], s[8:9]
	s_or_b64 exec, exec, s[6:7]
	s_and_saveexec_b64 s[6:7], s[4:5]
	s_cbranch_execnz .LBB8_827
	s_branch .LBB8_828
.LBB8_2877:
	s_movk_i32 s4, 0x80
	v_cmp_eq_u16_sdwa s[12:13], v3, s4 src0_sel:BYTE_3 src1_sel:DWORD
	s_mov_b64 s[4:5], -1
                                        ; implicit-def: $sgpr10
	s_and_saveexec_b64 s[8:9], s[12:13]
; %bb.2878:
	s_mov_b32 s10, 0x7f800001
	s_xor_b64 s[4:5], exec, -1
; %bb.2879:
	s_or_b64 exec, exec, s[8:9]
	s_and_b64 s[4:5], s[4:5], exec
	s_or_saveexec_b64 s[6:7], s[6:7]
	v_mov_b32_e32 v6, s10
	s_xor_b64 exec, exec, s[6:7]
	s_cbranch_execz .LBB8_830
.LBB8_2880:
	v_mov_b32_e32 v6, 0
	v_cmp_ne_u16_sdwa s[8:9], v3, v6 src0_sel:BYTE_3 src1_sel:DWORD
	s_andn2_b64 s[4:5], s[4:5], exec
	s_and_b64 s[8:9], s[8:9], exec
	s_or_b64 s[4:5], s[4:5], s[8:9]
	s_or_b64 exec, exec, s[6:7]
	s_and_saveexec_b64 s[6:7], s[4:5]
	s_cbranch_execnz .LBB8_831
	s_branch .LBB8_832
.LBB8_2881:
	s_movk_i32 s4, 0x80
	v_cmp_eq_u16_sdwa s[12:13], v8, s4 src0_sel:BYTE_0 src1_sel:DWORD
	s_mov_b64 s[4:5], -1
                                        ; implicit-def: $sgpr10
	s_and_saveexec_b64 s[8:9], s[12:13]
; %bb.2882:
	s_mov_b32 s10, 0x7f800001
	s_xor_b64 s[4:5], exec, -1
; %bb.2883:
	s_or_b64 exec, exec, s[8:9]
	s_and_b64 s[4:5], s[4:5], exec
	s_or_saveexec_b64 s[6:7], s[6:7]
	v_mov_b32_e32 v2, s10
	s_xor_b64 exec, exec, s[6:7]
	s_cbranch_execz .LBB8_834
.LBB8_2884:
	v_mov_b32_e32 v2, 0
	v_cmp_ne_u16_sdwa s[8:9], v8, v2 src0_sel:BYTE_0 src1_sel:DWORD
	s_andn2_b64 s[4:5], s[4:5], exec
	s_and_b64 s[8:9], s[8:9], exec
	s_or_b64 s[4:5], s[4:5], s[8:9]
	s_or_b64 exec, exec, s[6:7]
	s_and_saveexec_b64 s[6:7], s[4:5]
	s_cbranch_execnz .LBB8_835
	s_branch .LBB8_836
.LBB8_2885:
	s_movk_i32 s4, 0x80
	v_cmp_eq_u16_sdwa s[12:13], v4, s4 src0_sel:BYTE_0 src1_sel:DWORD
	s_mov_b64 s[4:5], -1
                                        ; implicit-def: $sgpr10
	s_and_saveexec_b64 s[8:9], s[12:13]
; %bb.2886:
	s_mov_b32 s10, 0x7f800001
	s_xor_b64 s[4:5], exec, -1
; %bb.2887:
	s_or_b64 exec, exec, s[8:9]
	s_and_b64 s[4:5], s[4:5], exec
	s_or_saveexec_b64 s[6:7], s[6:7]
	v_mov_b32_e32 v3, s10
	s_xor_b64 exec, exec, s[6:7]
	s_cbranch_execz .LBB8_838
.LBB8_2888:
	v_mov_b32_e32 v3, 0
	v_cmp_ne_u16_sdwa s[8:9], v4, v3 src0_sel:BYTE_0 src1_sel:DWORD
	s_andn2_b64 s[4:5], s[4:5], exec
	s_and_b64 s[8:9], s[8:9], exec
	s_or_b64 s[4:5], s[4:5], s[8:9]
	s_or_b64 exec, exec, s[6:7]
	s_and_saveexec_b64 s[6:7], s[4:5]
	s_cbranch_execnz .LBB8_839
	s_branch .LBB8_840
.LBB8_2889:
	s_movk_i32 s4, 0x80
	v_cmp_eq_u16_sdwa s[12:13], v3, s4 src0_sel:BYTE_0 src1_sel:DWORD
	s_mov_b64 s[4:5], -1
                                        ; implicit-def: $sgpr10
	s_and_saveexec_b64 s[8:9], s[12:13]
; %bb.2890:
	s_mov_b32 s10, 0x7f800001
	s_xor_b64 s[4:5], exec, -1
; %bb.2891:
	s_or_b64 exec, exec, s[8:9]
	s_and_b64 s[4:5], s[4:5], exec
	s_or_saveexec_b64 s[6:7], s[6:7]
	v_mov_b32_e32 v2, s10
	s_xor_b64 exec, exec, s[6:7]
	s_cbranch_execz .LBB8_842
.LBB8_2892:
	v_mov_b32_e32 v2, 0
	v_cmp_ne_u16_sdwa s[8:9], v3, v2 src0_sel:BYTE_0 src1_sel:DWORD
	s_andn2_b64 s[4:5], s[4:5], exec
	s_and_b64 s[8:9], s[8:9], exec
	s_or_b64 s[4:5], s[4:5], s[8:9]
	s_or_b64 exec, exec, s[6:7]
	s_and_saveexec_b64 s[6:7], s[4:5]
	s_cbranch_execnz .LBB8_843
	s_branch .LBB8_844
.LBB8_2893:
	s_movk_i32 s4, 0x80
	v_cmp_eq_u16_sdwa s[12:13], v3, s4 src0_sel:BYTE_0 src1_sel:DWORD
	s_mov_b64 s[4:5], -1
                                        ; implicit-def: $sgpr10
	s_and_saveexec_b64 s[8:9], s[12:13]
; %bb.2894:
	s_mov_b32 s10, 0x7f800001
	s_xor_b64 s[4:5], exec, -1
; %bb.2895:
	s_or_b64 exec, exec, s[8:9]
	s_and_b64 s[4:5], s[4:5], exec
	s_or_saveexec_b64 s[6:7], s[6:7]
	v_mov_b32_e32 v6, s10
	s_xor_b64 exec, exec, s[6:7]
	s_cbranch_execz .LBB8_846
.LBB8_2896:
	v_mov_b32_e32 v6, 0
	v_cmp_ne_u16_sdwa s[8:9], v3, v6 src0_sel:BYTE_0 src1_sel:DWORD
	s_andn2_b64 s[4:5], s[4:5], exec
	s_and_b64 s[8:9], s[8:9], exec
	s_or_b64 s[4:5], s[4:5], s[8:9]
	s_or_b64 exec, exec, s[6:7]
	s_and_saveexec_b64 s[6:7], s[4:5]
	s_cbranch_execnz .LBB8_847
	s_branch .LBB8_848
.LBB8_2897:
	s_movk_i32 s4, 0x80
	v_cmp_eq_u16_e32 vcc, s4, v3
	s_mov_b64 s[4:5], -1
                                        ; implicit-def: $sgpr10
	s_and_saveexec_b64 s[8:9], vcc
; %bb.2898:
	s_mov_b32 s10, 0x7f800001
	s_xor_b64 s[4:5], exec, -1
; %bb.2899:
	s_or_b64 exec, exec, s[8:9]
	s_and_b64 s[4:5], s[4:5], exec
                                        ; implicit-def: $vgpr3
	s_or_saveexec_b64 s[6:7], s[6:7]
	v_mov_b32_e32 v2, s10
	s_xor_b64 exec, exec, s[6:7]
	s_cbranch_execz .LBB8_850
.LBB8_2900:
	v_cmp_ne_u16_e32 vcc, 0, v3
	s_andn2_b64 s[4:5], s[4:5], exec
	s_and_b64 s[8:9], vcc, exec
	v_mov_b32_e32 v2, 0
	s_or_b64 s[4:5], s[4:5], s[8:9]
	s_or_b64 exec, exec, s[6:7]
	s_and_saveexec_b64 s[6:7], s[4:5]
	s_cbranch_execnz .LBB8_851
	s_branch .LBB8_852
.LBB8_2901:
	s_movk_i32 s4, 0x80
	v_cmp_eq_u16_e32 vcc, s4, v3
	s_mov_b64 s[4:5], -1
                                        ; implicit-def: $sgpr10
	s_and_saveexec_b64 s[8:9], vcc
; %bb.2902:
	s_mov_b32 s10, 0x7f800001
	s_xor_b64 s[4:5], exec, -1
; %bb.2903:
	s_or_b64 exec, exec, s[8:9]
	s_and_b64 s[4:5], s[4:5], exec
                                        ; implicit-def: $vgpr3
	s_or_saveexec_b64 s[6:7], s[6:7]
	v_mov_b32_e32 v6, s10
	s_xor_b64 exec, exec, s[6:7]
	s_cbranch_execz .LBB8_854
.LBB8_2904:
	v_cmp_ne_u16_e32 vcc, 0, v3
	s_andn2_b64 s[4:5], s[4:5], exec
	s_and_b64 s[8:9], vcc, exec
	v_mov_b32_e32 v6, 0
	s_or_b64 s[4:5], s[4:5], s[8:9]
	s_or_b64 exec, exec, s[6:7]
	s_and_saveexec_b64 s[6:7], s[4:5]
	s_cbranch_execnz .LBB8_855
	s_branch .LBB8_856
.LBB8_2905:
	s_movk_i32 s4, 0x80
	v_cmp_eq_u16_sdwa s[12:13], v8, s4 src0_sel:BYTE_3 src1_sel:DWORD
	s_mov_b64 s[4:5], -1
                                        ; implicit-def: $sgpr10
	s_and_saveexec_b64 s[8:9], s[12:13]
; %bb.2906:
	s_mov_b32 s10, 0x7f800001
	s_xor_b64 s[4:5], exec, -1
; %bb.2907:
	s_or_b64 exec, exec, s[8:9]
	s_and_b64 s[4:5], s[4:5], exec
	s_or_saveexec_b64 s[6:7], s[6:7]
	v_mov_b32_e32 v2, s10
	s_xor_b64 exec, exec, s[6:7]
	s_cbranch_execz .LBB8_858
.LBB8_2908:
	v_mov_b32_e32 v2, 0
	v_cmp_ne_u16_sdwa s[8:9], v8, v2 src0_sel:BYTE_3 src1_sel:DWORD
	s_andn2_b64 s[4:5], s[4:5], exec
	s_and_b64 s[8:9], s[8:9], exec
	s_or_b64 s[4:5], s[4:5], s[8:9]
	s_or_b64 exec, exec, s[6:7]
	s_and_saveexec_b64 s[6:7], s[4:5]
	s_cbranch_execnz .LBB8_859
	s_branch .LBB8_860
.LBB8_2909:
	s_movk_i32 s4, 0x80
	v_cmp_eq_u16_sdwa s[12:13], v4, s4 src0_sel:BYTE_3 src1_sel:DWORD
	s_mov_b64 s[4:5], -1
                                        ; implicit-def: $sgpr10
	s_and_saveexec_b64 s[8:9], s[12:13]
; %bb.2910:
	s_mov_b32 s10, 0x7f800001
	s_xor_b64 s[4:5], exec, -1
; %bb.2911:
	s_or_b64 exec, exec, s[8:9]
	s_and_b64 s[4:5], s[4:5], exec
	s_or_saveexec_b64 s[6:7], s[6:7]
	v_mov_b32_e32 v3, s10
	s_xor_b64 exec, exec, s[6:7]
	s_cbranch_execz .LBB8_862
.LBB8_2912:
	v_mov_b32_e32 v3, 0
	v_cmp_ne_u16_sdwa s[8:9], v4, v3 src0_sel:BYTE_3 src1_sel:DWORD
	s_andn2_b64 s[4:5], s[4:5], exec
	s_and_b64 s[8:9], s[8:9], exec
	s_or_b64 s[4:5], s[4:5], s[8:9]
	s_or_b64 exec, exec, s[6:7]
	s_and_saveexec_b64 s[6:7], s[4:5]
	s_cbranch_execnz .LBB8_863
	s_branch .LBB8_864
.LBB8_2913:
	s_movk_i32 s4, 0x80
	v_cmp_eq_u16_sdwa s[12:13], v9, s4 src0_sel:BYTE_0 src1_sel:DWORD
	s_mov_b64 s[4:5], -1
                                        ; implicit-def: $sgpr10
	s_and_saveexec_b64 s[8:9], s[12:13]
; %bb.2914:
	s_mov_b32 s10, 0x7f800001
	s_xor_b64 s[4:5], exec, -1
; %bb.2915:
	s_or_b64 exec, exec, s[8:9]
	s_and_b64 s[4:5], s[4:5], exec
	s_or_saveexec_b64 s[6:7], s[6:7]
	v_mov_b32_e32 v2, s10
	s_xor_b64 exec, exec, s[6:7]
	s_cbranch_execz .LBB8_866
.LBB8_2916:
	v_mov_b32_e32 v2, 0
	v_cmp_ne_u16_sdwa s[8:9], v9, v2 src0_sel:BYTE_0 src1_sel:DWORD
	s_andn2_b64 s[4:5], s[4:5], exec
	s_and_b64 s[8:9], s[8:9], exec
	s_or_b64 s[4:5], s[4:5], s[8:9]
	s_or_b64 exec, exec, s[6:7]
	s_and_saveexec_b64 s[6:7], s[4:5]
	s_cbranch_execnz .LBB8_867
	s_branch .LBB8_868
.LBB8_2917:
	s_movk_i32 s4, 0x80
	v_cmp_eq_u16_sdwa s[12:13], v5, s4 src0_sel:BYTE_0 src1_sel:DWORD
	s_mov_b64 s[4:5], -1
                                        ; implicit-def: $sgpr10
	s_and_saveexec_b64 s[8:9], s[12:13]
; %bb.2918:
	s_mov_b32 s10, 0x7f800001
	s_xor_b64 s[4:5], exec, -1
; %bb.2919:
	s_or_b64 exec, exec, s[8:9]
	s_and_b64 s[4:5], s[4:5], exec
	s_or_saveexec_b64 s[6:7], s[6:7]
	v_mov_b32_e32 v3, s10
	s_xor_b64 exec, exec, s[6:7]
	s_cbranch_execz .LBB8_870
.LBB8_2920:
	v_mov_b32_e32 v3, 0
	v_cmp_ne_u16_sdwa s[8:9], v5, v3 src0_sel:BYTE_0 src1_sel:DWORD
	s_andn2_b64 s[4:5], s[4:5], exec
	s_and_b64 s[8:9], s[8:9], exec
	s_or_b64 s[4:5], s[4:5], s[8:9]
	s_or_b64 exec, exec, s[6:7]
	s_and_saveexec_b64 s[6:7], s[4:5]
	s_cbranch_execnz .LBB8_871
	s_branch .LBB8_872
.LBB8_2921:
	s_movk_i32 s4, 0x80
	v_cmp_eq_u16_sdwa s[12:13], v3, s4 src0_sel:BYTE_0 src1_sel:DWORD
	s_mov_b64 s[4:5], -1
                                        ; implicit-def: $sgpr10
	s_and_saveexec_b64 s[8:9], s[12:13]
; %bb.2922:
	s_mov_b32 s10, 0x7f800001
	s_xor_b64 s[4:5], exec, -1
; %bb.2923:
	s_or_b64 exec, exec, s[8:9]
	s_and_b64 s[4:5], s[4:5], exec
	s_or_saveexec_b64 s[6:7], s[6:7]
	v_mov_b32_e32 v2, s10
	s_xor_b64 exec, exec, s[6:7]
	s_cbranch_execz .LBB8_874
.LBB8_2924:
	v_mov_b32_e32 v2, 0
	v_cmp_ne_u16_sdwa s[8:9], v3, v2 src0_sel:BYTE_0 src1_sel:DWORD
	s_andn2_b64 s[4:5], s[4:5], exec
	s_and_b64 s[8:9], s[8:9], exec
	s_or_b64 s[4:5], s[4:5], s[8:9]
	s_or_b64 exec, exec, s[6:7]
	s_and_saveexec_b64 s[6:7], s[4:5]
	s_cbranch_execnz .LBB8_875
	s_branch .LBB8_876
.LBB8_2925:
	s_movk_i32 s4, 0x80
	v_cmp_eq_u16_sdwa s[12:13], v3, s4 src0_sel:BYTE_0 src1_sel:DWORD
	s_mov_b64 s[4:5], -1
                                        ; implicit-def: $sgpr10
	s_and_saveexec_b64 s[8:9], s[12:13]
; %bb.2926:
	s_mov_b32 s10, 0x7f800001
	s_xor_b64 s[4:5], exec, -1
; %bb.2927:
	s_or_b64 exec, exec, s[8:9]
	s_and_b64 s[4:5], s[4:5], exec
	s_or_saveexec_b64 s[6:7], s[6:7]
	v_mov_b32_e32 v4, s10
	s_xor_b64 exec, exec, s[6:7]
	s_cbranch_execz .LBB8_878
.LBB8_2928:
	v_mov_b32_e32 v4, 0
	v_cmp_ne_u16_sdwa s[8:9], v3, v4 src0_sel:BYTE_0 src1_sel:DWORD
	s_andn2_b64 s[4:5], s[4:5], exec
	s_and_b64 s[8:9], s[8:9], exec
	s_or_b64 s[4:5], s[4:5], s[8:9]
	s_or_b64 exec, exec, s[6:7]
	s_and_saveexec_b64 s[6:7], s[4:5]
	s_cbranch_execnz .LBB8_879
	s_branch .LBB8_880
.LBB8_2929:
	s_movk_i32 s4, 0x80
	v_cmp_eq_u16_e32 vcc, s4, v3
	s_mov_b64 s[4:5], -1
                                        ; implicit-def: $sgpr10
	s_and_saveexec_b64 s[8:9], vcc
; %bb.2930:
	s_mov_b32 s10, 0x7f800001
	s_xor_b64 s[4:5], exec, -1
; %bb.2931:
	s_or_b64 exec, exec, s[8:9]
	s_and_b64 s[4:5], s[4:5], exec
                                        ; implicit-def: $vgpr3
	s_or_saveexec_b64 s[6:7], s[6:7]
	v_mov_b32_e32 v2, s10
	s_xor_b64 exec, exec, s[6:7]
	s_cbranch_execz .LBB8_882
.LBB8_2932:
	v_cmp_ne_u16_e32 vcc, 0, v3
	s_andn2_b64 s[4:5], s[4:5], exec
	s_and_b64 s[8:9], vcc, exec
	v_mov_b32_e32 v2, 0
	s_or_b64 s[4:5], s[4:5], s[8:9]
	s_or_b64 exec, exec, s[6:7]
	s_and_saveexec_b64 s[6:7], s[4:5]
	s_cbranch_execnz .LBB8_883
	s_branch .LBB8_884
.LBB8_2933:
	s_movk_i32 s4, 0x80
	v_cmp_eq_u16_e32 vcc, s4, v3
	s_mov_b64 s[4:5], -1
                                        ; implicit-def: $sgpr10
	s_and_saveexec_b64 s[8:9], vcc
; %bb.2934:
	s_mov_b32 s10, 0x7f800001
	s_xor_b64 s[4:5], exec, -1
; %bb.2935:
	s_or_b64 exec, exec, s[8:9]
	s_and_b64 s[4:5], s[4:5], exec
                                        ; implicit-def: $vgpr3
	s_or_saveexec_b64 s[6:7], s[6:7]
	v_mov_b32_e32 v4, s10
	s_xor_b64 exec, exec, s[6:7]
	s_cbranch_execz .LBB8_886
.LBB8_2936:
	v_cmp_ne_u16_e32 vcc, 0, v3
	s_andn2_b64 s[4:5], s[4:5], exec
	s_and_b64 s[8:9], vcc, exec
	v_mov_b32_e32 v4, 0
	s_or_b64 s[4:5], s[4:5], s[8:9]
	s_or_b64 exec, exec, s[6:7]
	s_and_saveexec_b64 s[6:7], s[4:5]
	s_cbranch_execnz .LBB8_887
	s_branch .LBB8_888
.LBB8_2937:
	s_movk_i32 s4, 0x80
	v_cmp_eq_u16_sdwa s[12:13], v9, s4 src0_sel:BYTE_3 src1_sel:DWORD
	s_mov_b64 s[4:5], -1
                                        ; implicit-def: $sgpr10
	s_and_saveexec_b64 s[8:9], s[12:13]
; %bb.2938:
	s_mov_b32 s10, 0x7f800001
	s_xor_b64 s[4:5], exec, -1
; %bb.2939:
	s_or_b64 exec, exec, s[8:9]
	s_and_b64 s[4:5], s[4:5], exec
	s_or_saveexec_b64 s[6:7], s[6:7]
	v_mov_b32_e32 v2, s10
	s_xor_b64 exec, exec, s[6:7]
	s_cbranch_execz .LBB8_890
.LBB8_2940:
	v_mov_b32_e32 v2, 0
	v_cmp_ne_u16_sdwa s[8:9], v9, v2 src0_sel:BYTE_3 src1_sel:DWORD
	s_andn2_b64 s[4:5], s[4:5], exec
	s_and_b64 s[8:9], s[8:9], exec
	s_or_b64 s[4:5], s[4:5], s[8:9]
	s_or_b64 exec, exec, s[6:7]
	s_and_saveexec_b64 s[6:7], s[4:5]
	s_cbranch_execnz .LBB8_891
	s_branch .LBB8_892
.LBB8_2941:
	s_movk_i32 s4, 0x80
	v_cmp_eq_u16_sdwa s[12:13], v5, s4 src0_sel:BYTE_3 src1_sel:DWORD
	s_mov_b64 s[4:5], -1
                                        ; implicit-def: $sgpr10
	s_and_saveexec_b64 s[8:9], s[12:13]
; %bb.2942:
	s_mov_b32 s10, 0x7f800001
	s_xor_b64 s[4:5], exec, -1
; %bb.2943:
	s_or_b64 exec, exec, s[8:9]
	s_and_b64 s[4:5], s[4:5], exec
	s_or_saveexec_b64 s[6:7], s[6:7]
	v_mov_b32_e32 v3, s10
	s_xor_b64 exec, exec, s[6:7]
	s_cbranch_execz .LBB8_894
.LBB8_2944:
	v_mov_b32_e32 v3, 0
	v_cmp_ne_u16_sdwa s[8:9], v5, v3 src0_sel:BYTE_3 src1_sel:DWORD
	s_andn2_b64 s[4:5], s[4:5], exec
	s_and_b64 s[8:9], s[8:9], exec
	s_or_b64 s[4:5], s[4:5], s[8:9]
	s_or_b64 exec, exec, s[6:7]
	s_and_saveexec_b64 s[6:7], s[4:5]
	s_cbranch_execnz .LBB8_895
	s_branch .LBB8_896
.LBB8_2945:
	s_movk_i32 s4, 0x80
	v_cmp_eq_u16_sdwa s[12:13], v6, s4 src0_sel:BYTE_0 src1_sel:DWORD
	s_mov_b64 s[4:5], -1
                                        ; implicit-def: $sgpr10
	s_and_saveexec_b64 s[8:9], s[12:13]
; %bb.2946:
	s_mov_b32 s10, 0x7f800001
	s_xor_b64 s[4:5], exec, -1
; %bb.2947:
	s_or_b64 exec, exec, s[8:9]
	s_and_b64 s[4:5], s[4:5], exec
	s_or_saveexec_b64 s[6:7], s[6:7]
	v_mov_b32_e32 v12, s10
	s_xor_b64 exec, exec, s[6:7]
	s_cbranch_execz .LBB8_898
.LBB8_2948:
	v_mov_b32_e32 v12, 0
	v_cmp_ne_u16_sdwa s[8:9], v6, v12 src0_sel:BYTE_0 src1_sel:DWORD
	s_andn2_b64 s[4:5], s[4:5], exec
	s_and_b64 s[8:9], s[8:9], exec
	s_or_b64 s[4:5], s[4:5], s[8:9]
	s_or_b64 exec, exec, s[6:7]
	s_and_saveexec_b64 s[6:7], s[4:5]
	s_cbranch_execnz .LBB8_899
	s_branch .LBB8_900
.LBB8_2949:
	s_movk_i32 s4, 0x80
	v_cmp_eq_u16_sdwa s[12:13], v2, s4 src0_sel:BYTE_0 src1_sel:DWORD
	s_mov_b64 s[4:5], -1
                                        ; implicit-def: $sgpr10
	s_and_saveexec_b64 s[8:9], s[12:13]
; %bb.2950:
	s_mov_b32 s10, 0x7f800001
	s_xor_b64 s[4:5], exec, -1
; %bb.2951:
	s_or_b64 exec, exec, s[8:9]
	s_and_b64 s[4:5], s[4:5], exec
	s_or_saveexec_b64 s[6:7], s[6:7]
	v_mov_b32_e32 v13, s10
	s_xor_b64 exec, exec, s[6:7]
	s_cbranch_execz .LBB8_902
.LBB8_2952:
	v_mov_b32_e32 v13, 0
	v_cmp_ne_u16_sdwa s[8:9], v2, v13 src0_sel:BYTE_0 src1_sel:DWORD
	s_andn2_b64 s[4:5], s[4:5], exec
	s_and_b64 s[8:9], s[8:9], exec
	s_or_b64 s[4:5], s[4:5], s[8:9]
	s_or_b64 exec, exec, s[6:7]
	s_and_saveexec_b64 s[6:7], s[4:5]
	s_cbranch_execnz .LBB8_903
	s_branch .LBB8_904
.LBB8_2953:
	s_movk_i32 s4, 0x80
	v_cmp_eq_u16_sdwa s[12:13], v13, s4 src0_sel:BYTE_0 src1_sel:DWORD
	s_mov_b64 s[4:5], -1
                                        ; implicit-def: $sgpr10
	s_and_saveexec_b64 s[8:9], s[12:13]
; %bb.2954:
	s_mov_b32 s10, 0x7f800001
	s_xor_b64 s[4:5], exec, -1
; %bb.2955:
	s_or_b64 exec, exec, s[8:9]
	s_and_b64 s[4:5], s[4:5], exec
	s_or_saveexec_b64 s[6:7], s[6:7]
	v_mov_b32_e32 v12, s10
	s_xor_b64 exec, exec, s[6:7]
	s_cbranch_execz .LBB8_906
.LBB8_2956:
	v_mov_b32_e32 v12, 0
	v_cmp_ne_u16_sdwa s[8:9], v13, v12 src0_sel:BYTE_0 src1_sel:DWORD
	s_andn2_b64 s[4:5], s[4:5], exec
	s_and_b64 s[8:9], s[8:9], exec
	s_or_b64 s[4:5], s[4:5], s[8:9]
	s_or_b64 exec, exec, s[6:7]
	s_and_saveexec_b64 s[6:7], s[4:5]
	s_cbranch_execnz .LBB8_907
	s_branch .LBB8_908
.LBB8_2957:
	s_movk_i32 s4, 0x80
	v_cmp_eq_u16_sdwa s[12:13], v13, s4 src0_sel:BYTE_0 src1_sel:DWORD
	s_mov_b64 s[4:5], -1
                                        ; implicit-def: $sgpr10
	s_and_saveexec_b64 s[8:9], s[12:13]
; %bb.2958:
	s_mov_b32 s10, 0x7f800001
	s_xor_b64 s[4:5], exec, -1
; %bb.2959:
	s_or_b64 exec, exec, s[8:9]
	s_and_b64 s[4:5], s[4:5], exec
	s_or_saveexec_b64 s[6:7], s[6:7]
	v_mov_b32_e32 v14, s10
	s_xor_b64 exec, exec, s[6:7]
	s_cbranch_execz .LBB8_910
.LBB8_2960:
	v_mov_b32_e32 v14, 0
	v_cmp_ne_u16_sdwa s[8:9], v13, v14 src0_sel:BYTE_0 src1_sel:DWORD
	s_andn2_b64 s[4:5], s[4:5], exec
	s_and_b64 s[8:9], s[8:9], exec
	s_or_b64 s[4:5], s[4:5], s[8:9]
	s_or_b64 exec, exec, s[6:7]
	s_and_saveexec_b64 s[6:7], s[4:5]
	s_cbranch_execnz .LBB8_911
	s_branch .LBB8_912
.LBB8_2961:
	s_movk_i32 s4, 0x80
	v_cmp_eq_u16_e32 vcc, s4, v13
	s_mov_b64 s[4:5], -1
                                        ; implicit-def: $sgpr10
	s_and_saveexec_b64 s[8:9], vcc
; %bb.2962:
	s_mov_b32 s10, 0x7f800001
	s_xor_b64 s[4:5], exec, -1
; %bb.2963:
	s_or_b64 exec, exec, s[8:9]
	s_and_b64 s[4:5], s[4:5], exec
                                        ; implicit-def: $vgpr13
	s_or_saveexec_b64 s[6:7], s[6:7]
	v_mov_b32_e32 v12, s10
	s_xor_b64 exec, exec, s[6:7]
	s_cbranch_execz .LBB8_914
.LBB8_2964:
	v_cmp_ne_u16_e32 vcc, 0, v13
	s_andn2_b64 s[4:5], s[4:5], exec
	s_and_b64 s[8:9], vcc, exec
	v_mov_b32_e32 v12, 0
	s_or_b64 s[4:5], s[4:5], s[8:9]
	s_or_b64 exec, exec, s[6:7]
	s_and_saveexec_b64 s[6:7], s[4:5]
	s_cbranch_execnz .LBB8_915
	s_branch .LBB8_916
.LBB8_2965:
	s_movk_i32 s4, 0x80
	v_cmp_eq_u16_e32 vcc, s4, v13
	s_mov_b64 s[4:5], -1
                                        ; implicit-def: $sgpr10
	s_and_saveexec_b64 s[8:9], vcc
; %bb.2966:
	s_mov_b32 s10, 0x7f800001
	s_xor_b64 s[4:5], exec, -1
; %bb.2967:
	s_or_b64 exec, exec, s[8:9]
	s_and_b64 s[4:5], s[4:5], exec
                                        ; implicit-def: $vgpr13
	s_or_saveexec_b64 s[6:7], s[6:7]
	v_mov_b32_e32 v14, s10
	s_xor_b64 exec, exec, s[6:7]
	s_cbranch_execz .LBB8_918
.LBB8_2968:
	v_cmp_ne_u16_e32 vcc, 0, v13
	s_andn2_b64 s[4:5], s[4:5], exec
	s_and_b64 s[8:9], vcc, exec
	v_mov_b32_e32 v14, 0
	s_or_b64 s[4:5], s[4:5], s[8:9]
	s_or_b64 exec, exec, s[6:7]
	s_and_saveexec_b64 s[6:7], s[4:5]
	s_cbranch_execnz .LBB8_919
	s_branch .LBB8_920
.LBB8_2969:
	s_movk_i32 s4, 0x80
	v_cmp_eq_u16_sdwa s[12:13], v6, s4 src0_sel:BYTE_3 src1_sel:DWORD
	s_mov_b64 s[4:5], -1
                                        ; implicit-def: $sgpr10
	s_and_saveexec_b64 s[8:9], s[12:13]
; %bb.2970:
	s_mov_b32 s10, 0x7f800001
	s_xor_b64 s[4:5], exec, -1
; %bb.2971:
	s_or_b64 exec, exec, s[8:9]
	s_and_b64 s[4:5], s[4:5], exec
	s_or_saveexec_b64 s[6:7], s[6:7]
	v_mov_b32_e32 v12, s10
	s_xor_b64 exec, exec, s[6:7]
	s_cbranch_execz .LBB8_922
.LBB8_2972:
	v_mov_b32_e32 v12, 0
	v_cmp_ne_u16_sdwa s[8:9], v6, v12 src0_sel:BYTE_3 src1_sel:DWORD
	s_andn2_b64 s[4:5], s[4:5], exec
	s_and_b64 s[8:9], s[8:9], exec
	s_or_b64 s[4:5], s[4:5], s[8:9]
	s_or_b64 exec, exec, s[6:7]
	s_and_saveexec_b64 s[6:7], s[4:5]
	s_cbranch_execnz .LBB8_923
	s_branch .LBB8_924
.LBB8_2973:
	s_movk_i32 s4, 0x80
	v_cmp_eq_u16_sdwa s[12:13], v2, s4 src0_sel:BYTE_3 src1_sel:DWORD
	s_mov_b64 s[4:5], -1
                                        ; implicit-def: $sgpr10
	s_and_saveexec_b64 s[8:9], s[12:13]
; %bb.2974:
	s_mov_b32 s10, 0x7f800001
	s_xor_b64 s[4:5], exec, -1
; %bb.2975:
	s_or_b64 exec, exec, s[8:9]
	s_and_b64 s[4:5], s[4:5], exec
	s_or_saveexec_b64 s[6:7], s[6:7]
	v_mov_b32_e32 v6, s10
	s_xor_b64 exec, exec, s[6:7]
	s_cbranch_execz .LBB8_926
.LBB8_2976:
	v_mov_b32_e32 v6, 0
	v_cmp_ne_u16_sdwa s[8:9], v2, v6 src0_sel:BYTE_3 src1_sel:DWORD
	s_andn2_b64 s[4:5], s[4:5], exec
	s_and_b64 s[8:9], s[8:9], exec
	s_or_b64 s[4:5], s[4:5], s[8:9]
	s_or_b64 exec, exec, s[6:7]
	s_and_saveexec_b64 s[6:7], s[4:5]
	s_cbranch_execnz .LBB8_927
	s_branch .LBB8_928
.LBB8_2977:
	s_movk_i32 s4, 0x80
	v_cmp_eq_u16_sdwa s[12:13], v7, s4 src0_sel:BYTE_0 src1_sel:DWORD
	s_mov_b64 s[4:5], -1
                                        ; implicit-def: $sgpr10
	s_and_saveexec_b64 s[8:9], s[12:13]
; %bb.2978:
	s_mov_b32 s10, 0x7f800001
	s_xor_b64 s[4:5], exec, -1
; %bb.2979:
	s_or_b64 exec, exec, s[8:9]
	s_and_b64 s[4:5], s[4:5], exec
	s_or_saveexec_b64 s[6:7], s[6:7]
	v_mov_b32_e32 v2, s10
	s_xor_b64 exec, exec, s[6:7]
	s_cbranch_execz .LBB8_930
.LBB8_2980:
	v_mov_b32_e32 v2, 0
	v_cmp_ne_u16_sdwa s[8:9], v7, v2 src0_sel:BYTE_0 src1_sel:DWORD
	s_andn2_b64 s[4:5], s[4:5], exec
	s_and_b64 s[8:9], s[8:9], exec
	s_or_b64 s[4:5], s[4:5], s[8:9]
	s_or_b64 exec, exec, s[6:7]
	s_and_saveexec_b64 s[6:7], s[4:5]
	s_cbranch_execnz .LBB8_931
	s_branch .LBB8_932
.LBB8_2981:
	s_movk_i32 s4, 0x80
	v_cmp_eq_u16_sdwa s[12:13], v3, s4 src0_sel:BYTE_0 src1_sel:DWORD
	s_mov_b64 s[4:5], -1
                                        ; implicit-def: $sgpr10
	s_and_saveexec_b64 s[8:9], s[12:13]
; %bb.2982:
	s_mov_b32 s10, 0x7f800001
	s_xor_b64 s[4:5], exec, -1
; %bb.2983:
	s_or_b64 exec, exec, s[8:9]
	s_and_b64 s[4:5], s[4:5], exec
	s_or_saveexec_b64 s[6:7], s[6:7]
	v_mov_b32_e32 v6, s10
	s_xor_b64 exec, exec, s[6:7]
	s_cbranch_execz .LBB8_934
.LBB8_2984:
	v_mov_b32_e32 v6, 0
	v_cmp_ne_u16_sdwa s[8:9], v3, v6 src0_sel:BYTE_0 src1_sel:DWORD
	s_andn2_b64 s[4:5], s[4:5], exec
	s_and_b64 s[8:9], s[8:9], exec
	s_or_b64 s[4:5], s[4:5], s[8:9]
	s_or_b64 exec, exec, s[6:7]
	s_and_saveexec_b64 s[6:7], s[4:5]
	s_cbranch_execnz .LBB8_935
	s_branch .LBB8_936
.LBB8_2985:
	s_movk_i32 s4, 0x80
	v_cmp_eq_u16_sdwa s[12:13], v6, s4 src0_sel:BYTE_0 src1_sel:DWORD
	s_mov_b64 s[4:5], -1
                                        ; implicit-def: $sgpr10
	s_and_saveexec_b64 s[8:9], s[12:13]
; %bb.2986:
	s_mov_b32 s10, 0x7f800001
	s_xor_b64 s[4:5], exec, -1
; %bb.2987:
	s_or_b64 exec, exec, s[8:9]
	s_and_b64 s[4:5], s[4:5], exec
	s_or_saveexec_b64 s[6:7], s[6:7]
	v_mov_b32_e32 v2, s10
	s_xor_b64 exec, exec, s[6:7]
	s_cbranch_execz .LBB8_938
.LBB8_2988:
	v_mov_b32_e32 v2, 0
	v_cmp_ne_u16_sdwa s[8:9], v6, v2 src0_sel:BYTE_0 src1_sel:DWORD
	s_andn2_b64 s[4:5], s[4:5], exec
	s_and_b64 s[8:9], s[8:9], exec
	s_or_b64 s[4:5], s[4:5], s[8:9]
	s_or_b64 exec, exec, s[6:7]
	s_and_saveexec_b64 s[6:7], s[4:5]
	s_cbranch_execnz .LBB8_939
	s_branch .LBB8_940
.LBB8_2989:
	s_movk_i32 s4, 0x80
	v_cmp_eq_u16_sdwa s[12:13], v6, s4 src0_sel:BYTE_0 src1_sel:DWORD
	s_mov_b64 s[4:5], -1
                                        ; implicit-def: $sgpr10
	s_and_saveexec_b64 s[8:9], s[12:13]
; %bb.2990:
	s_mov_b32 s10, 0x7f800001
	s_xor_b64 s[4:5], exec, -1
; %bb.2991:
	s_or_b64 exec, exec, s[8:9]
	s_and_b64 s[4:5], s[4:5], exec
	s_or_saveexec_b64 s[6:7], s[6:7]
	v_mov_b32_e32 v12, s10
	s_xor_b64 exec, exec, s[6:7]
	s_cbranch_execz .LBB8_942
.LBB8_2992:
	v_mov_b32_e32 v12, 0
	v_cmp_ne_u16_sdwa s[8:9], v6, v12 src0_sel:BYTE_0 src1_sel:DWORD
	s_andn2_b64 s[4:5], s[4:5], exec
	s_and_b64 s[8:9], s[8:9], exec
	s_or_b64 s[4:5], s[4:5], s[8:9]
	s_or_b64 exec, exec, s[6:7]
	s_and_saveexec_b64 s[6:7], s[4:5]
	s_cbranch_execnz .LBB8_943
	s_branch .LBB8_944
.LBB8_2993:
	s_movk_i32 s4, 0x80
	v_cmp_eq_u16_e32 vcc, s4, v6
	s_mov_b64 s[4:5], -1
                                        ; implicit-def: $sgpr10
	s_and_saveexec_b64 s[8:9], vcc
; %bb.2994:
	s_mov_b32 s10, 0x7f800001
	s_xor_b64 s[4:5], exec, -1
; %bb.2995:
	s_or_b64 exec, exec, s[8:9]
	s_and_b64 s[4:5], s[4:5], exec
                                        ; implicit-def: $vgpr6
	s_or_saveexec_b64 s[6:7], s[6:7]
	v_mov_b32_e32 v2, s10
	s_xor_b64 exec, exec, s[6:7]
	s_cbranch_execz .LBB8_946
.LBB8_2996:
	v_cmp_ne_u16_e32 vcc, 0, v6
	s_andn2_b64 s[4:5], s[4:5], exec
	s_and_b64 s[8:9], vcc, exec
	v_mov_b32_e32 v2, 0
	s_or_b64 s[4:5], s[4:5], s[8:9]
	s_or_b64 exec, exec, s[6:7]
	s_and_saveexec_b64 s[6:7], s[4:5]
	s_cbranch_execnz .LBB8_947
	s_branch .LBB8_948
.LBB8_2997:
	s_movk_i32 s4, 0x80
	v_cmp_eq_u16_e32 vcc, s4, v6
	s_mov_b64 s[4:5], -1
                                        ; implicit-def: $sgpr10
	s_and_saveexec_b64 s[8:9], vcc
; %bb.2998:
	s_mov_b32 s10, 0x7f800001
	s_xor_b64 s[4:5], exec, -1
; %bb.2999:
	s_or_b64 exec, exec, s[8:9]
	s_and_b64 s[4:5], s[4:5], exec
                                        ; implicit-def: $vgpr6
	s_or_saveexec_b64 s[6:7], s[6:7]
	v_mov_b32_e32 v12, s10
	s_xor_b64 exec, exec, s[6:7]
	s_cbranch_execz .LBB8_950
.LBB8_3000:
	v_cmp_ne_u16_e32 vcc, 0, v6
	s_andn2_b64 s[4:5], s[4:5], exec
	s_and_b64 s[8:9], vcc, exec
	v_mov_b32_e32 v12, 0
	s_or_b64 s[4:5], s[4:5], s[8:9]
	s_or_b64 exec, exec, s[6:7]
	s_and_saveexec_b64 s[6:7], s[4:5]
	s_cbranch_execnz .LBB8_951
	s_branch .LBB8_952
.LBB8_3001:
	s_movk_i32 s4, 0x80
	v_cmp_eq_u16_sdwa s[12:13], v7, s4 src0_sel:BYTE_3 src1_sel:DWORD
	s_mov_b64 s[4:5], -1
                                        ; implicit-def: $sgpr10
	s_and_saveexec_b64 s[8:9], s[12:13]
; %bb.3002:
	s_mov_b32 s10, 0x7f800001
	s_xor_b64 s[4:5], exec, -1
; %bb.3003:
	s_or_b64 exec, exec, s[8:9]
	s_and_b64 s[4:5], s[4:5], exec
	s_or_saveexec_b64 s[6:7], s[6:7]
	v_mov_b32_e32 v2, s10
	s_xor_b64 exec, exec, s[6:7]
	s_cbranch_execz .LBB8_954
.LBB8_3004:
	v_mov_b32_e32 v2, 0
	v_cmp_ne_u16_sdwa s[8:9], v7, v2 src0_sel:BYTE_3 src1_sel:DWORD
	s_andn2_b64 s[4:5], s[4:5], exec
	s_and_b64 s[8:9], s[8:9], exec
	s_or_b64 s[4:5], s[4:5], s[8:9]
	s_or_b64 exec, exec, s[6:7]
	s_and_saveexec_b64 s[6:7], s[4:5]
	s_cbranch_execnz .LBB8_955
	s_branch .LBB8_956
.LBB8_3005:
	s_movk_i32 s4, 0x80
	v_cmp_eq_u16_sdwa s[12:13], v3, s4 src0_sel:BYTE_3 src1_sel:DWORD
	s_mov_b64 s[4:5], -1
                                        ; implicit-def: $sgpr10
	s_and_saveexec_b64 s[8:9], s[12:13]
; %bb.3006:
	s_mov_b32 s10, 0x7f800001
	s_xor_b64 s[4:5], exec, -1
; %bb.3007:
	s_or_b64 exec, exec, s[8:9]
	s_and_b64 s[4:5], s[4:5], exec
	s_or_saveexec_b64 s[6:7], s[6:7]
	v_mov_b32_e32 v6, s10
	s_xor_b64 exec, exec, s[6:7]
	s_cbranch_execz .LBB8_958
.LBB8_3008:
	v_mov_b32_e32 v6, 0
	v_cmp_ne_u16_sdwa s[8:9], v3, v6 src0_sel:BYTE_3 src1_sel:DWORD
	s_andn2_b64 s[4:5], s[4:5], exec
	s_and_b64 s[8:9], s[8:9], exec
	s_or_b64 s[4:5], s[4:5], s[8:9]
	s_or_b64 exec, exec, s[6:7]
	s_and_saveexec_b64 s[6:7], s[4:5]
	s_cbranch_execnz .LBB8_959
	s_branch .LBB8_960
.LBB8_3009:
	s_movk_i32 s4, 0x80
	v_cmp_eq_u16_sdwa s[12:13], v8, s4 src0_sel:BYTE_0 src1_sel:DWORD
	s_mov_b64 s[4:5], -1
                                        ; implicit-def: $sgpr10
	s_and_saveexec_b64 s[8:9], s[12:13]
; %bb.3010:
	s_mov_b32 s10, 0x7f800001
	s_xor_b64 s[4:5], exec, -1
; %bb.3011:
	s_or_b64 exec, exec, s[8:9]
	s_and_b64 s[4:5], s[4:5], exec
	s_or_saveexec_b64 s[6:7], s[6:7]
	v_mov_b32_e32 v2, s10
	s_xor_b64 exec, exec, s[6:7]
	s_cbranch_execz .LBB8_962
.LBB8_3012:
	v_mov_b32_e32 v2, 0
	v_cmp_ne_u16_sdwa s[8:9], v8, v2 src0_sel:BYTE_0 src1_sel:DWORD
	s_andn2_b64 s[4:5], s[4:5], exec
	s_and_b64 s[8:9], s[8:9], exec
	s_or_b64 s[4:5], s[4:5], s[8:9]
	s_or_b64 exec, exec, s[6:7]
	s_and_saveexec_b64 s[6:7], s[4:5]
	s_cbranch_execnz .LBB8_963
	s_branch .LBB8_964
.LBB8_3013:
	s_movk_i32 s4, 0x80
	v_cmp_eq_u16_sdwa s[12:13], v4, s4 src0_sel:BYTE_0 src1_sel:DWORD
	s_mov_b64 s[4:5], -1
                                        ; implicit-def: $sgpr10
	s_and_saveexec_b64 s[8:9], s[12:13]
; %bb.3014:
	s_mov_b32 s10, 0x7f800001
	s_xor_b64 s[4:5], exec, -1
; %bb.3015:
	s_or_b64 exec, exec, s[8:9]
	s_and_b64 s[4:5], s[4:5], exec
	s_or_saveexec_b64 s[6:7], s[6:7]
	v_mov_b32_e32 v3, s10
	s_xor_b64 exec, exec, s[6:7]
	s_cbranch_execz .LBB8_966
.LBB8_3016:
	v_mov_b32_e32 v3, 0
	v_cmp_ne_u16_sdwa s[8:9], v4, v3 src0_sel:BYTE_0 src1_sel:DWORD
	s_andn2_b64 s[4:5], s[4:5], exec
	s_and_b64 s[8:9], s[8:9], exec
	s_or_b64 s[4:5], s[4:5], s[8:9]
	s_or_b64 exec, exec, s[6:7]
	s_and_saveexec_b64 s[6:7], s[4:5]
	s_cbranch_execnz .LBB8_967
	s_branch .LBB8_968
.LBB8_3017:
	s_movk_i32 s4, 0x80
	v_cmp_eq_u16_sdwa s[12:13], v3, s4 src0_sel:BYTE_0 src1_sel:DWORD
	s_mov_b64 s[4:5], -1
                                        ; implicit-def: $sgpr10
	s_and_saveexec_b64 s[8:9], s[12:13]
; %bb.3018:
	s_mov_b32 s10, 0x7f800001
	s_xor_b64 s[4:5], exec, -1
; %bb.3019:
	s_or_b64 exec, exec, s[8:9]
	s_and_b64 s[4:5], s[4:5], exec
	s_or_saveexec_b64 s[6:7], s[6:7]
	v_mov_b32_e32 v2, s10
	s_xor_b64 exec, exec, s[6:7]
	s_cbranch_execz .LBB8_970
.LBB8_3020:
	v_mov_b32_e32 v2, 0
	v_cmp_ne_u16_sdwa s[8:9], v3, v2 src0_sel:BYTE_0 src1_sel:DWORD
	s_andn2_b64 s[4:5], s[4:5], exec
	s_and_b64 s[8:9], s[8:9], exec
	s_or_b64 s[4:5], s[4:5], s[8:9]
	s_or_b64 exec, exec, s[6:7]
	s_and_saveexec_b64 s[6:7], s[4:5]
	s_cbranch_execnz .LBB8_971
	s_branch .LBB8_972
.LBB8_3021:
	s_movk_i32 s4, 0x80
	v_cmp_eq_u16_sdwa s[12:13], v3, s4 src0_sel:BYTE_0 src1_sel:DWORD
	s_mov_b64 s[4:5], -1
                                        ; implicit-def: $sgpr10
	s_and_saveexec_b64 s[8:9], s[12:13]
; %bb.3022:
	s_mov_b32 s10, 0x7f800001
	s_xor_b64 s[4:5], exec, -1
; %bb.3023:
	s_or_b64 exec, exec, s[8:9]
	s_and_b64 s[4:5], s[4:5], exec
	s_or_saveexec_b64 s[6:7], s[6:7]
	v_mov_b32_e32 v6, s10
	s_xor_b64 exec, exec, s[6:7]
	s_cbranch_execz .LBB8_974
.LBB8_3024:
	v_mov_b32_e32 v6, 0
	v_cmp_ne_u16_sdwa s[8:9], v3, v6 src0_sel:BYTE_0 src1_sel:DWORD
	s_andn2_b64 s[4:5], s[4:5], exec
	s_and_b64 s[8:9], s[8:9], exec
	s_or_b64 s[4:5], s[4:5], s[8:9]
	s_or_b64 exec, exec, s[6:7]
	s_and_saveexec_b64 s[6:7], s[4:5]
	s_cbranch_execnz .LBB8_975
	s_branch .LBB8_976
.LBB8_3025:
	s_movk_i32 s4, 0x80
	v_cmp_eq_u16_e32 vcc, s4, v3
	s_mov_b64 s[4:5], -1
                                        ; implicit-def: $sgpr10
	s_and_saveexec_b64 s[8:9], vcc
; %bb.3026:
	s_mov_b32 s10, 0x7f800001
	s_xor_b64 s[4:5], exec, -1
; %bb.3027:
	s_or_b64 exec, exec, s[8:9]
	s_and_b64 s[4:5], s[4:5], exec
                                        ; implicit-def: $vgpr3
	s_or_saveexec_b64 s[6:7], s[6:7]
	v_mov_b32_e32 v2, s10
	s_xor_b64 exec, exec, s[6:7]
	s_cbranch_execz .LBB8_978
.LBB8_3028:
	v_cmp_ne_u16_e32 vcc, 0, v3
	s_andn2_b64 s[4:5], s[4:5], exec
	s_and_b64 s[8:9], vcc, exec
	v_mov_b32_e32 v2, 0
	s_or_b64 s[4:5], s[4:5], s[8:9]
	s_or_b64 exec, exec, s[6:7]
	s_and_saveexec_b64 s[6:7], s[4:5]
	s_cbranch_execnz .LBB8_979
	s_branch .LBB8_980
.LBB8_3029:
	s_movk_i32 s4, 0x80
	v_cmp_eq_u16_e32 vcc, s4, v3
	s_mov_b64 s[4:5], -1
                                        ; implicit-def: $sgpr10
	s_and_saveexec_b64 s[8:9], vcc
; %bb.3030:
	s_mov_b32 s10, 0x7f800001
	s_xor_b64 s[4:5], exec, -1
; %bb.3031:
	s_or_b64 exec, exec, s[8:9]
	s_and_b64 s[4:5], s[4:5], exec
                                        ; implicit-def: $vgpr3
	s_or_saveexec_b64 s[6:7], s[6:7]
	v_mov_b32_e32 v6, s10
	s_xor_b64 exec, exec, s[6:7]
	s_cbranch_execz .LBB8_982
.LBB8_3032:
	v_cmp_ne_u16_e32 vcc, 0, v3
	s_andn2_b64 s[4:5], s[4:5], exec
	s_and_b64 s[8:9], vcc, exec
	v_mov_b32_e32 v6, 0
	s_or_b64 s[4:5], s[4:5], s[8:9]
	s_or_b64 exec, exec, s[6:7]
	s_and_saveexec_b64 s[6:7], s[4:5]
	s_cbranch_execnz .LBB8_983
	s_branch .LBB8_984
.LBB8_3033:
	s_movk_i32 s4, 0x80
	v_cmp_eq_u16_sdwa s[12:13], v8, s4 src0_sel:BYTE_3 src1_sel:DWORD
	s_mov_b64 s[4:5], -1
                                        ; implicit-def: $sgpr10
	s_and_saveexec_b64 s[8:9], s[12:13]
; %bb.3034:
	s_mov_b32 s10, 0x7f800001
	s_xor_b64 s[4:5], exec, -1
; %bb.3035:
	s_or_b64 exec, exec, s[8:9]
	s_and_b64 s[4:5], s[4:5], exec
	s_or_saveexec_b64 s[6:7], s[6:7]
	v_mov_b32_e32 v2, s10
	s_xor_b64 exec, exec, s[6:7]
	s_cbranch_execz .LBB8_986
.LBB8_3036:
	v_mov_b32_e32 v2, 0
	v_cmp_ne_u16_sdwa s[8:9], v8, v2 src0_sel:BYTE_3 src1_sel:DWORD
	s_andn2_b64 s[4:5], s[4:5], exec
	s_and_b64 s[8:9], s[8:9], exec
	s_or_b64 s[4:5], s[4:5], s[8:9]
	s_or_b64 exec, exec, s[6:7]
	s_and_saveexec_b64 s[6:7], s[4:5]
	s_cbranch_execnz .LBB8_987
	s_branch .LBB8_988
.LBB8_3037:
	s_movk_i32 s4, 0x80
	v_cmp_eq_u16_sdwa s[12:13], v4, s4 src0_sel:BYTE_3 src1_sel:DWORD
	s_mov_b64 s[4:5], -1
                                        ; implicit-def: $sgpr10
	s_and_saveexec_b64 s[8:9], s[12:13]
; %bb.3038:
	s_mov_b32 s10, 0x7f800001
	s_xor_b64 s[4:5], exec, -1
; %bb.3039:
	s_or_b64 exec, exec, s[8:9]
	s_and_b64 s[4:5], s[4:5], exec
	s_or_saveexec_b64 s[6:7], s[6:7]
	v_mov_b32_e32 v3, s10
	s_xor_b64 exec, exec, s[6:7]
	s_cbranch_execz .LBB8_990
.LBB8_3040:
	v_mov_b32_e32 v3, 0
	v_cmp_ne_u16_sdwa s[8:9], v4, v3 src0_sel:BYTE_3 src1_sel:DWORD
	s_andn2_b64 s[4:5], s[4:5], exec
	s_and_b64 s[8:9], s[8:9], exec
	s_or_b64 s[4:5], s[4:5], s[8:9]
	s_or_b64 exec, exec, s[6:7]
	s_and_saveexec_b64 s[6:7], s[4:5]
	s_cbranch_execnz .LBB8_991
	s_branch .LBB8_992
.LBB8_3041:
	s_movk_i32 s4, 0x80
	v_cmp_eq_u16_sdwa s[12:13], v9, s4 src0_sel:BYTE_0 src1_sel:DWORD
	s_mov_b64 s[4:5], -1
                                        ; implicit-def: $sgpr10
	s_and_saveexec_b64 s[8:9], s[12:13]
; %bb.3042:
	s_mov_b32 s10, 0x7f800001
	s_xor_b64 s[4:5], exec, -1
; %bb.3043:
	s_or_b64 exec, exec, s[8:9]
	s_and_b64 s[4:5], s[4:5], exec
	s_or_saveexec_b64 s[6:7], s[6:7]
	v_mov_b32_e32 v2, s10
	s_xor_b64 exec, exec, s[6:7]
	s_cbranch_execz .LBB8_994
.LBB8_3044:
	v_mov_b32_e32 v2, 0
	v_cmp_ne_u16_sdwa s[8:9], v9, v2 src0_sel:BYTE_0 src1_sel:DWORD
	s_andn2_b64 s[4:5], s[4:5], exec
	s_and_b64 s[8:9], s[8:9], exec
	s_or_b64 s[4:5], s[4:5], s[8:9]
	s_or_b64 exec, exec, s[6:7]
	s_and_saveexec_b64 s[6:7], s[4:5]
	s_cbranch_execnz .LBB8_995
	s_branch .LBB8_996
.LBB8_3045:
	s_movk_i32 s4, 0x80
	v_cmp_eq_u16_sdwa s[12:13], v5, s4 src0_sel:BYTE_0 src1_sel:DWORD
	s_mov_b64 s[4:5], -1
                                        ; implicit-def: $sgpr10
	s_and_saveexec_b64 s[8:9], s[12:13]
; %bb.3046:
	s_mov_b32 s10, 0x7f800001
	s_xor_b64 s[4:5], exec, -1
; %bb.3047:
	s_or_b64 exec, exec, s[8:9]
	s_and_b64 s[4:5], s[4:5], exec
	s_or_saveexec_b64 s[6:7], s[6:7]
	v_mov_b32_e32 v3, s10
	s_xor_b64 exec, exec, s[6:7]
	s_cbranch_execz .LBB8_998
.LBB8_3048:
	v_mov_b32_e32 v3, 0
	v_cmp_ne_u16_sdwa s[8:9], v5, v3 src0_sel:BYTE_0 src1_sel:DWORD
	s_andn2_b64 s[4:5], s[4:5], exec
	s_and_b64 s[8:9], s[8:9], exec
	s_or_b64 s[4:5], s[4:5], s[8:9]
	s_or_b64 exec, exec, s[6:7]
	s_and_saveexec_b64 s[6:7], s[4:5]
	s_cbranch_execnz .LBB8_999
	s_branch .LBB8_1000
.LBB8_3049:
	s_movk_i32 s4, 0x80
	v_cmp_eq_u16_sdwa s[12:13], v3, s4 src0_sel:BYTE_0 src1_sel:DWORD
	s_mov_b64 s[4:5], -1
                                        ; implicit-def: $sgpr10
	s_and_saveexec_b64 s[8:9], s[12:13]
; %bb.3050:
	s_mov_b32 s10, 0x7f800001
	s_xor_b64 s[4:5], exec, -1
; %bb.3051:
	s_or_b64 exec, exec, s[8:9]
	s_and_b64 s[4:5], s[4:5], exec
	s_or_saveexec_b64 s[6:7], s[6:7]
	v_mov_b32_e32 v2, s10
	s_xor_b64 exec, exec, s[6:7]
	s_cbranch_execz .LBB8_1002
.LBB8_3052:
	v_mov_b32_e32 v2, 0
	v_cmp_ne_u16_sdwa s[8:9], v3, v2 src0_sel:BYTE_0 src1_sel:DWORD
	s_andn2_b64 s[4:5], s[4:5], exec
	s_and_b64 s[8:9], s[8:9], exec
	s_or_b64 s[4:5], s[4:5], s[8:9]
	s_or_b64 exec, exec, s[6:7]
	s_and_saveexec_b64 s[6:7], s[4:5]
	s_cbranch_execnz .LBB8_1003
	s_branch .LBB8_1004
.LBB8_3053:
	s_movk_i32 s4, 0x80
	v_cmp_eq_u16_sdwa s[12:13], v3, s4 src0_sel:BYTE_0 src1_sel:DWORD
	s_mov_b64 s[4:5], -1
                                        ; implicit-def: $sgpr10
	s_and_saveexec_b64 s[8:9], s[12:13]
; %bb.3054:
	s_mov_b32 s10, 0x7f800001
	s_xor_b64 s[4:5], exec, -1
; %bb.3055:
	s_or_b64 exec, exec, s[8:9]
	s_and_b64 s[4:5], s[4:5], exec
	s_or_saveexec_b64 s[6:7], s[6:7]
	v_mov_b32_e32 v4, s10
	s_xor_b64 exec, exec, s[6:7]
	s_cbranch_execz .LBB8_1006
.LBB8_3056:
	v_mov_b32_e32 v4, 0
	v_cmp_ne_u16_sdwa s[8:9], v3, v4 src0_sel:BYTE_0 src1_sel:DWORD
	s_andn2_b64 s[4:5], s[4:5], exec
	s_and_b64 s[8:9], s[8:9], exec
	s_or_b64 s[4:5], s[4:5], s[8:9]
	s_or_b64 exec, exec, s[6:7]
	s_and_saveexec_b64 s[6:7], s[4:5]
	s_cbranch_execnz .LBB8_1007
	s_branch .LBB8_1008
.LBB8_3057:
	s_movk_i32 s4, 0x80
	v_cmp_eq_u16_e32 vcc, s4, v3
	s_mov_b64 s[4:5], -1
                                        ; implicit-def: $sgpr10
	s_and_saveexec_b64 s[8:9], vcc
; %bb.3058:
	s_mov_b32 s10, 0x7f800001
	s_xor_b64 s[4:5], exec, -1
; %bb.3059:
	s_or_b64 exec, exec, s[8:9]
	s_and_b64 s[4:5], s[4:5], exec
                                        ; implicit-def: $vgpr3
	s_or_saveexec_b64 s[6:7], s[6:7]
	v_mov_b32_e32 v2, s10
	s_xor_b64 exec, exec, s[6:7]
	s_cbranch_execz .LBB8_1010
.LBB8_3060:
	v_cmp_ne_u16_e32 vcc, 0, v3
	s_andn2_b64 s[4:5], s[4:5], exec
	s_and_b64 s[8:9], vcc, exec
	v_mov_b32_e32 v2, 0
	s_or_b64 s[4:5], s[4:5], s[8:9]
	s_or_b64 exec, exec, s[6:7]
	s_and_saveexec_b64 s[6:7], s[4:5]
	s_cbranch_execnz .LBB8_1011
	s_branch .LBB8_1012
.LBB8_3061:
	s_movk_i32 s4, 0x80
	v_cmp_eq_u16_e32 vcc, s4, v3
	s_mov_b64 s[4:5], -1
                                        ; implicit-def: $sgpr10
	s_and_saveexec_b64 s[8:9], vcc
; %bb.3062:
	s_mov_b32 s10, 0x7f800001
	s_xor_b64 s[4:5], exec, -1
; %bb.3063:
	s_or_b64 exec, exec, s[8:9]
	s_and_b64 s[4:5], s[4:5], exec
                                        ; implicit-def: $vgpr3
	s_or_saveexec_b64 s[6:7], s[6:7]
	v_mov_b32_e32 v4, s10
	s_xor_b64 exec, exec, s[6:7]
	s_cbranch_execz .LBB8_1014
.LBB8_3064:
	v_cmp_ne_u16_e32 vcc, 0, v3
	s_andn2_b64 s[4:5], s[4:5], exec
	s_and_b64 s[8:9], vcc, exec
	v_mov_b32_e32 v4, 0
	s_or_b64 s[4:5], s[4:5], s[8:9]
	s_or_b64 exec, exec, s[6:7]
	s_and_saveexec_b64 s[6:7], s[4:5]
	s_cbranch_execnz .LBB8_1015
	s_branch .LBB8_1016
.LBB8_3065:
	s_movk_i32 s4, 0x80
	v_cmp_eq_u16_sdwa s[12:13], v9, s4 src0_sel:BYTE_3 src1_sel:DWORD
	s_mov_b64 s[4:5], -1
                                        ; implicit-def: $sgpr10
	s_and_saveexec_b64 s[8:9], s[12:13]
; %bb.3066:
	s_mov_b32 s10, 0x7f800001
	s_xor_b64 s[4:5], exec, -1
; %bb.3067:
	s_or_b64 exec, exec, s[8:9]
	s_and_b64 s[4:5], s[4:5], exec
	s_or_saveexec_b64 s[6:7], s[6:7]
	v_mov_b32_e32 v2, s10
	s_xor_b64 exec, exec, s[6:7]
	s_cbranch_execz .LBB8_1018
.LBB8_3068:
	v_mov_b32_e32 v2, 0
	v_cmp_ne_u16_sdwa s[8:9], v9, v2 src0_sel:BYTE_3 src1_sel:DWORD
	s_andn2_b64 s[4:5], s[4:5], exec
	s_and_b64 s[8:9], s[8:9], exec
	s_or_b64 s[4:5], s[4:5], s[8:9]
	s_or_b64 exec, exec, s[6:7]
	s_and_saveexec_b64 s[6:7], s[4:5]
	s_cbranch_execnz .LBB8_1019
	s_branch .LBB8_1020
.LBB8_3069:
	s_movk_i32 s4, 0x80
	v_cmp_eq_u16_sdwa s[12:13], v5, s4 src0_sel:BYTE_3 src1_sel:DWORD
	s_mov_b64 s[4:5], -1
                                        ; implicit-def: $sgpr10
	s_and_saveexec_b64 s[8:9], s[12:13]
; %bb.3070:
	s_mov_b32 s10, 0x7f800001
	s_xor_b64 s[4:5], exec, -1
; %bb.3071:
	s_or_b64 exec, exec, s[8:9]
	s_and_b64 s[4:5], s[4:5], exec
	s_or_saveexec_b64 s[6:7], s[6:7]
	v_mov_b32_e32 v3, s10
	s_xor_b64 exec, exec, s[6:7]
	s_cbranch_execz .LBB8_1022
.LBB8_3072:
	v_mov_b32_e32 v3, 0
	v_cmp_ne_u16_sdwa s[8:9], v5, v3 src0_sel:BYTE_3 src1_sel:DWORD
	s_andn2_b64 s[4:5], s[4:5], exec
	s_and_b64 s[8:9], s[8:9], exec
	s_or_b64 s[4:5], s[4:5], s[8:9]
	s_or_b64 exec, exec, s[6:7]
	s_and_saveexec_b64 s[6:7], s[4:5]
	s_cbranch_execnz .LBB8_1023
	s_branch .LBB8_1024
.LBB8_3073:
	s_movk_i32 s4, 0x80
	v_cmp_eq_u16_sdwa s[12:13], v6, s4 src0_sel:BYTE_0 src1_sel:DWORD
	s_mov_b64 s[4:5], -1
                                        ; implicit-def: $sgpr10
	s_and_saveexec_b64 s[8:9], s[12:13]
; %bb.3074:
	s_mov_b32 s10, 0x7f800001
	s_xor_b64 s[4:5], exec, -1
; %bb.3075:
	s_or_b64 exec, exec, s[8:9]
	s_and_b64 s[4:5], s[4:5], exec
	s_or_saveexec_b64 s[6:7], s[6:7]
	v_mov_b32_e32 v12, s10
	s_xor_b64 exec, exec, s[6:7]
	s_cbranch_execz .LBB8_1026
.LBB8_3076:
	v_mov_b32_e32 v12, 0
	v_cmp_ne_u16_sdwa s[8:9], v6, v12 src0_sel:BYTE_0 src1_sel:DWORD
	s_andn2_b64 s[4:5], s[4:5], exec
	s_and_b64 s[8:9], s[8:9], exec
	s_or_b64 s[4:5], s[4:5], s[8:9]
	s_or_b64 exec, exec, s[6:7]
	s_and_saveexec_b64 s[6:7], s[4:5]
	s_cbranch_execnz .LBB8_1027
	s_branch .LBB8_1028
.LBB8_3077:
	s_movk_i32 s4, 0x80
	v_cmp_eq_u16_sdwa s[12:13], v2, s4 src0_sel:BYTE_0 src1_sel:DWORD
	s_mov_b64 s[4:5], -1
                                        ; implicit-def: $sgpr10
	s_and_saveexec_b64 s[8:9], s[12:13]
; %bb.3078:
	s_mov_b32 s10, 0x7f800001
	s_xor_b64 s[4:5], exec, -1
; %bb.3079:
	s_or_b64 exec, exec, s[8:9]
	s_and_b64 s[4:5], s[4:5], exec
	s_or_saveexec_b64 s[6:7], s[6:7]
	v_mov_b32_e32 v13, s10
	s_xor_b64 exec, exec, s[6:7]
	s_cbranch_execz .LBB8_1030
.LBB8_3080:
	v_mov_b32_e32 v13, 0
	v_cmp_ne_u16_sdwa s[8:9], v2, v13 src0_sel:BYTE_0 src1_sel:DWORD
	s_andn2_b64 s[4:5], s[4:5], exec
	s_and_b64 s[8:9], s[8:9], exec
	s_or_b64 s[4:5], s[4:5], s[8:9]
	s_or_b64 exec, exec, s[6:7]
	s_and_saveexec_b64 s[6:7], s[4:5]
	s_cbranch_execnz .LBB8_1031
	s_branch .LBB8_1032
.LBB8_3081:
	s_movk_i32 s4, 0x80
	v_cmp_eq_u16_sdwa s[12:13], v13, s4 src0_sel:BYTE_0 src1_sel:DWORD
	s_mov_b64 s[4:5], -1
                                        ; implicit-def: $sgpr10
	s_and_saveexec_b64 s[8:9], s[12:13]
; %bb.3082:
	s_mov_b32 s10, 0x7f800001
	s_xor_b64 s[4:5], exec, -1
; %bb.3083:
	s_or_b64 exec, exec, s[8:9]
	s_and_b64 s[4:5], s[4:5], exec
	s_or_saveexec_b64 s[6:7], s[6:7]
	v_mov_b32_e32 v12, s10
	s_xor_b64 exec, exec, s[6:7]
	s_cbranch_execz .LBB8_1034
.LBB8_3084:
	v_mov_b32_e32 v12, 0
	v_cmp_ne_u16_sdwa s[8:9], v13, v12 src0_sel:BYTE_0 src1_sel:DWORD
	s_andn2_b64 s[4:5], s[4:5], exec
	s_and_b64 s[8:9], s[8:9], exec
	s_or_b64 s[4:5], s[4:5], s[8:9]
	s_or_b64 exec, exec, s[6:7]
	s_and_saveexec_b64 s[6:7], s[4:5]
	s_cbranch_execnz .LBB8_1035
	s_branch .LBB8_1036
.LBB8_3085:
	s_movk_i32 s4, 0x80
	v_cmp_eq_u16_sdwa s[12:13], v13, s4 src0_sel:BYTE_0 src1_sel:DWORD
	s_mov_b64 s[4:5], -1
                                        ; implicit-def: $sgpr10
	s_and_saveexec_b64 s[8:9], s[12:13]
; %bb.3086:
	s_mov_b32 s10, 0x7f800001
	s_xor_b64 s[4:5], exec, -1
; %bb.3087:
	s_or_b64 exec, exec, s[8:9]
	s_and_b64 s[4:5], s[4:5], exec
	s_or_saveexec_b64 s[6:7], s[6:7]
	v_mov_b32_e32 v14, s10
	s_xor_b64 exec, exec, s[6:7]
	s_cbranch_execz .LBB8_1038
.LBB8_3088:
	v_mov_b32_e32 v14, 0
	v_cmp_ne_u16_sdwa s[8:9], v13, v14 src0_sel:BYTE_0 src1_sel:DWORD
	s_andn2_b64 s[4:5], s[4:5], exec
	s_and_b64 s[8:9], s[8:9], exec
	s_or_b64 s[4:5], s[4:5], s[8:9]
	s_or_b64 exec, exec, s[6:7]
	s_and_saveexec_b64 s[6:7], s[4:5]
	s_cbranch_execnz .LBB8_1039
	s_branch .LBB8_1040
.LBB8_3089:
	s_movk_i32 s4, 0x80
	v_cmp_eq_u16_e32 vcc, s4, v13
	s_mov_b64 s[4:5], -1
                                        ; implicit-def: $sgpr10
	s_and_saveexec_b64 s[8:9], vcc
; %bb.3090:
	s_mov_b32 s10, 0x7f800001
	s_xor_b64 s[4:5], exec, -1
; %bb.3091:
	s_or_b64 exec, exec, s[8:9]
	s_and_b64 s[4:5], s[4:5], exec
                                        ; implicit-def: $vgpr13
	s_or_saveexec_b64 s[6:7], s[6:7]
	v_mov_b32_e32 v12, s10
	s_xor_b64 exec, exec, s[6:7]
	s_cbranch_execz .LBB8_1042
.LBB8_3092:
	v_cmp_ne_u16_e32 vcc, 0, v13
	s_andn2_b64 s[4:5], s[4:5], exec
	s_and_b64 s[8:9], vcc, exec
	v_mov_b32_e32 v12, 0
	s_or_b64 s[4:5], s[4:5], s[8:9]
	s_or_b64 exec, exec, s[6:7]
	s_and_saveexec_b64 s[6:7], s[4:5]
	s_cbranch_execnz .LBB8_1043
	s_branch .LBB8_1044
.LBB8_3093:
	s_movk_i32 s4, 0x80
	v_cmp_eq_u16_e32 vcc, s4, v13
	s_mov_b64 s[4:5], -1
                                        ; implicit-def: $sgpr10
	s_and_saveexec_b64 s[8:9], vcc
; %bb.3094:
	s_mov_b32 s10, 0x7f800001
	s_xor_b64 s[4:5], exec, -1
; %bb.3095:
	s_or_b64 exec, exec, s[8:9]
	s_and_b64 s[4:5], s[4:5], exec
                                        ; implicit-def: $vgpr13
	s_or_saveexec_b64 s[6:7], s[6:7]
	v_mov_b32_e32 v14, s10
	s_xor_b64 exec, exec, s[6:7]
	s_cbranch_execz .LBB8_1046
.LBB8_3096:
	v_cmp_ne_u16_e32 vcc, 0, v13
	s_andn2_b64 s[4:5], s[4:5], exec
	s_and_b64 s[8:9], vcc, exec
	v_mov_b32_e32 v14, 0
	s_or_b64 s[4:5], s[4:5], s[8:9]
	s_or_b64 exec, exec, s[6:7]
	s_and_saveexec_b64 s[6:7], s[4:5]
	s_cbranch_execnz .LBB8_1047
	s_branch .LBB8_1048
.LBB8_3097:
	s_movk_i32 s4, 0x80
	v_cmp_eq_u16_sdwa s[12:13], v6, s4 src0_sel:BYTE_3 src1_sel:DWORD
	s_mov_b64 s[4:5], -1
                                        ; implicit-def: $sgpr10
	s_and_saveexec_b64 s[8:9], s[12:13]
; %bb.3098:
	s_mov_b32 s10, 0x7f800001
	s_xor_b64 s[4:5], exec, -1
; %bb.3099:
	s_or_b64 exec, exec, s[8:9]
	s_and_b64 s[4:5], s[4:5], exec
	s_or_saveexec_b64 s[6:7], s[6:7]
	v_mov_b32_e32 v12, s10
	s_xor_b64 exec, exec, s[6:7]
	s_cbranch_execz .LBB8_1050
.LBB8_3100:
	v_mov_b32_e32 v12, 0
	v_cmp_ne_u16_sdwa s[8:9], v6, v12 src0_sel:BYTE_3 src1_sel:DWORD
	s_andn2_b64 s[4:5], s[4:5], exec
	s_and_b64 s[8:9], s[8:9], exec
	s_or_b64 s[4:5], s[4:5], s[8:9]
	s_or_b64 exec, exec, s[6:7]
	s_and_saveexec_b64 s[6:7], s[4:5]
	s_cbranch_execnz .LBB8_1051
	s_branch .LBB8_1052
.LBB8_3101:
	s_movk_i32 s4, 0x80
	v_cmp_eq_u16_sdwa s[12:13], v2, s4 src0_sel:BYTE_3 src1_sel:DWORD
	s_mov_b64 s[4:5], -1
                                        ; implicit-def: $sgpr10
	s_and_saveexec_b64 s[8:9], s[12:13]
; %bb.3102:
	s_mov_b32 s10, 0x7f800001
	s_xor_b64 s[4:5], exec, -1
; %bb.3103:
	s_or_b64 exec, exec, s[8:9]
	s_and_b64 s[4:5], s[4:5], exec
	s_or_saveexec_b64 s[6:7], s[6:7]
	v_mov_b32_e32 v6, s10
	s_xor_b64 exec, exec, s[6:7]
	s_cbranch_execz .LBB8_1054
.LBB8_3104:
	v_mov_b32_e32 v6, 0
	v_cmp_ne_u16_sdwa s[8:9], v2, v6 src0_sel:BYTE_3 src1_sel:DWORD
	s_andn2_b64 s[4:5], s[4:5], exec
	s_and_b64 s[8:9], s[8:9], exec
	s_or_b64 s[4:5], s[4:5], s[8:9]
	s_or_b64 exec, exec, s[6:7]
	s_and_saveexec_b64 s[6:7], s[4:5]
	s_cbranch_execnz .LBB8_1055
	s_branch .LBB8_1056
.LBB8_3105:
	s_movk_i32 s4, 0x80
	v_cmp_eq_u16_sdwa s[12:13], v7, s4 src0_sel:BYTE_0 src1_sel:DWORD
	s_mov_b64 s[4:5], -1
                                        ; implicit-def: $sgpr10
	s_and_saveexec_b64 s[8:9], s[12:13]
; %bb.3106:
	s_mov_b32 s10, 0x7f800001
	s_xor_b64 s[4:5], exec, -1
; %bb.3107:
	s_or_b64 exec, exec, s[8:9]
	s_and_b64 s[4:5], s[4:5], exec
	s_or_saveexec_b64 s[6:7], s[6:7]
	v_mov_b32_e32 v2, s10
	s_xor_b64 exec, exec, s[6:7]
	s_cbranch_execz .LBB8_1058
.LBB8_3108:
	v_mov_b32_e32 v2, 0
	v_cmp_ne_u16_sdwa s[8:9], v7, v2 src0_sel:BYTE_0 src1_sel:DWORD
	s_andn2_b64 s[4:5], s[4:5], exec
	s_and_b64 s[8:9], s[8:9], exec
	s_or_b64 s[4:5], s[4:5], s[8:9]
	s_or_b64 exec, exec, s[6:7]
	s_and_saveexec_b64 s[6:7], s[4:5]
	s_cbranch_execnz .LBB8_1059
	s_branch .LBB8_1060
.LBB8_3109:
	s_movk_i32 s4, 0x80
	v_cmp_eq_u16_sdwa s[12:13], v3, s4 src0_sel:BYTE_0 src1_sel:DWORD
	s_mov_b64 s[4:5], -1
                                        ; implicit-def: $sgpr10
	s_and_saveexec_b64 s[8:9], s[12:13]
; %bb.3110:
	s_mov_b32 s10, 0x7f800001
	s_xor_b64 s[4:5], exec, -1
; %bb.3111:
	s_or_b64 exec, exec, s[8:9]
	s_and_b64 s[4:5], s[4:5], exec
	s_or_saveexec_b64 s[6:7], s[6:7]
	v_mov_b32_e32 v6, s10
	s_xor_b64 exec, exec, s[6:7]
	s_cbranch_execz .LBB8_1062
.LBB8_3112:
	v_mov_b32_e32 v6, 0
	v_cmp_ne_u16_sdwa s[8:9], v3, v6 src0_sel:BYTE_0 src1_sel:DWORD
	s_andn2_b64 s[4:5], s[4:5], exec
	s_and_b64 s[8:9], s[8:9], exec
	s_or_b64 s[4:5], s[4:5], s[8:9]
	s_or_b64 exec, exec, s[6:7]
	s_and_saveexec_b64 s[6:7], s[4:5]
	s_cbranch_execnz .LBB8_1063
	s_branch .LBB8_1064
.LBB8_3113:
	s_movk_i32 s4, 0x80
	v_cmp_eq_u16_sdwa s[12:13], v6, s4 src0_sel:BYTE_0 src1_sel:DWORD
	s_mov_b64 s[4:5], -1
                                        ; implicit-def: $sgpr10
	s_and_saveexec_b64 s[8:9], s[12:13]
; %bb.3114:
	s_mov_b32 s10, 0x7f800001
	s_xor_b64 s[4:5], exec, -1
; %bb.3115:
	s_or_b64 exec, exec, s[8:9]
	s_and_b64 s[4:5], s[4:5], exec
	s_or_saveexec_b64 s[6:7], s[6:7]
	v_mov_b32_e32 v2, s10
	s_xor_b64 exec, exec, s[6:7]
	s_cbranch_execz .LBB8_1066
.LBB8_3116:
	v_mov_b32_e32 v2, 0
	v_cmp_ne_u16_sdwa s[8:9], v6, v2 src0_sel:BYTE_0 src1_sel:DWORD
	s_andn2_b64 s[4:5], s[4:5], exec
	s_and_b64 s[8:9], s[8:9], exec
	s_or_b64 s[4:5], s[4:5], s[8:9]
	s_or_b64 exec, exec, s[6:7]
	s_and_saveexec_b64 s[6:7], s[4:5]
	s_cbranch_execnz .LBB8_1067
	s_branch .LBB8_1068
.LBB8_3117:
	s_movk_i32 s4, 0x80
	v_cmp_eq_u16_sdwa s[12:13], v6, s4 src0_sel:BYTE_0 src1_sel:DWORD
	s_mov_b64 s[4:5], -1
                                        ; implicit-def: $sgpr10
	s_and_saveexec_b64 s[8:9], s[12:13]
; %bb.3118:
	s_mov_b32 s10, 0x7f800001
	s_xor_b64 s[4:5], exec, -1
; %bb.3119:
	s_or_b64 exec, exec, s[8:9]
	s_and_b64 s[4:5], s[4:5], exec
	s_or_saveexec_b64 s[6:7], s[6:7]
	v_mov_b32_e32 v12, s10
	s_xor_b64 exec, exec, s[6:7]
	s_cbranch_execz .LBB8_1070
.LBB8_3120:
	v_mov_b32_e32 v12, 0
	v_cmp_ne_u16_sdwa s[8:9], v6, v12 src0_sel:BYTE_0 src1_sel:DWORD
	s_andn2_b64 s[4:5], s[4:5], exec
	s_and_b64 s[8:9], s[8:9], exec
	s_or_b64 s[4:5], s[4:5], s[8:9]
	s_or_b64 exec, exec, s[6:7]
	s_and_saveexec_b64 s[6:7], s[4:5]
	s_cbranch_execnz .LBB8_1071
	s_branch .LBB8_1072
.LBB8_3121:
	s_movk_i32 s4, 0x80
	v_cmp_eq_u16_e32 vcc, s4, v6
	s_mov_b64 s[4:5], -1
                                        ; implicit-def: $sgpr10
	s_and_saveexec_b64 s[8:9], vcc
; %bb.3122:
	s_mov_b32 s10, 0x7f800001
	s_xor_b64 s[4:5], exec, -1
; %bb.3123:
	s_or_b64 exec, exec, s[8:9]
	s_and_b64 s[4:5], s[4:5], exec
                                        ; implicit-def: $vgpr6
	s_or_saveexec_b64 s[6:7], s[6:7]
	v_mov_b32_e32 v2, s10
	s_xor_b64 exec, exec, s[6:7]
	s_cbranch_execz .LBB8_1074
.LBB8_3124:
	v_cmp_ne_u16_e32 vcc, 0, v6
	s_andn2_b64 s[4:5], s[4:5], exec
	s_and_b64 s[8:9], vcc, exec
	v_mov_b32_e32 v2, 0
	s_or_b64 s[4:5], s[4:5], s[8:9]
	s_or_b64 exec, exec, s[6:7]
	s_and_saveexec_b64 s[6:7], s[4:5]
	s_cbranch_execnz .LBB8_1075
	s_branch .LBB8_1076
.LBB8_3125:
	s_movk_i32 s4, 0x80
	v_cmp_eq_u16_e32 vcc, s4, v6
	s_mov_b64 s[4:5], -1
                                        ; implicit-def: $sgpr10
	s_and_saveexec_b64 s[8:9], vcc
; %bb.3126:
	s_mov_b32 s10, 0x7f800001
	s_xor_b64 s[4:5], exec, -1
; %bb.3127:
	s_or_b64 exec, exec, s[8:9]
	s_and_b64 s[4:5], s[4:5], exec
                                        ; implicit-def: $vgpr6
	s_or_saveexec_b64 s[6:7], s[6:7]
	v_mov_b32_e32 v12, s10
	s_xor_b64 exec, exec, s[6:7]
	s_cbranch_execz .LBB8_1078
.LBB8_3128:
	v_cmp_ne_u16_e32 vcc, 0, v6
	s_andn2_b64 s[4:5], s[4:5], exec
	s_and_b64 s[8:9], vcc, exec
	v_mov_b32_e32 v12, 0
	s_or_b64 s[4:5], s[4:5], s[8:9]
	s_or_b64 exec, exec, s[6:7]
	s_and_saveexec_b64 s[6:7], s[4:5]
	s_cbranch_execnz .LBB8_1079
	s_branch .LBB8_1080
.LBB8_3129:
	s_movk_i32 s4, 0x80
	v_cmp_eq_u16_sdwa s[12:13], v7, s4 src0_sel:BYTE_3 src1_sel:DWORD
	s_mov_b64 s[4:5], -1
                                        ; implicit-def: $sgpr10
	s_and_saveexec_b64 s[8:9], s[12:13]
; %bb.3130:
	s_mov_b32 s10, 0x7f800001
	s_xor_b64 s[4:5], exec, -1
; %bb.3131:
	s_or_b64 exec, exec, s[8:9]
	s_and_b64 s[4:5], s[4:5], exec
	s_or_saveexec_b64 s[6:7], s[6:7]
	v_mov_b32_e32 v2, s10
	s_xor_b64 exec, exec, s[6:7]
	s_cbranch_execz .LBB8_1082
.LBB8_3132:
	v_mov_b32_e32 v2, 0
	v_cmp_ne_u16_sdwa s[8:9], v7, v2 src0_sel:BYTE_3 src1_sel:DWORD
	s_andn2_b64 s[4:5], s[4:5], exec
	s_and_b64 s[8:9], s[8:9], exec
	s_or_b64 s[4:5], s[4:5], s[8:9]
	s_or_b64 exec, exec, s[6:7]
	s_and_saveexec_b64 s[6:7], s[4:5]
	s_cbranch_execnz .LBB8_1083
	s_branch .LBB8_1084
.LBB8_3133:
	s_movk_i32 s4, 0x80
	v_cmp_eq_u16_sdwa s[12:13], v3, s4 src0_sel:BYTE_3 src1_sel:DWORD
	s_mov_b64 s[4:5], -1
                                        ; implicit-def: $sgpr10
	s_and_saveexec_b64 s[8:9], s[12:13]
; %bb.3134:
	s_mov_b32 s10, 0x7f800001
	s_xor_b64 s[4:5], exec, -1
; %bb.3135:
	s_or_b64 exec, exec, s[8:9]
	s_and_b64 s[4:5], s[4:5], exec
	s_or_saveexec_b64 s[6:7], s[6:7]
	v_mov_b32_e32 v6, s10
	s_xor_b64 exec, exec, s[6:7]
	s_cbranch_execz .LBB8_1086
.LBB8_3136:
	v_mov_b32_e32 v6, 0
	v_cmp_ne_u16_sdwa s[8:9], v3, v6 src0_sel:BYTE_3 src1_sel:DWORD
	s_andn2_b64 s[4:5], s[4:5], exec
	s_and_b64 s[8:9], s[8:9], exec
	s_or_b64 s[4:5], s[4:5], s[8:9]
	s_or_b64 exec, exec, s[6:7]
	s_and_saveexec_b64 s[6:7], s[4:5]
	s_cbranch_execnz .LBB8_1087
	s_branch .LBB8_1088
.LBB8_3137:
	s_movk_i32 s4, 0x80
	v_cmp_eq_u16_sdwa s[12:13], v8, s4 src0_sel:BYTE_0 src1_sel:DWORD
	s_mov_b64 s[4:5], -1
                                        ; implicit-def: $sgpr10
	s_and_saveexec_b64 s[8:9], s[12:13]
; %bb.3138:
	s_mov_b32 s10, 0x7f800001
	s_xor_b64 s[4:5], exec, -1
; %bb.3139:
	s_or_b64 exec, exec, s[8:9]
	s_and_b64 s[4:5], s[4:5], exec
	s_or_saveexec_b64 s[6:7], s[6:7]
	v_mov_b32_e32 v2, s10
	s_xor_b64 exec, exec, s[6:7]
	s_cbranch_execz .LBB8_1090
.LBB8_3140:
	v_mov_b32_e32 v2, 0
	v_cmp_ne_u16_sdwa s[8:9], v8, v2 src0_sel:BYTE_0 src1_sel:DWORD
	s_andn2_b64 s[4:5], s[4:5], exec
	s_and_b64 s[8:9], s[8:9], exec
	s_or_b64 s[4:5], s[4:5], s[8:9]
	s_or_b64 exec, exec, s[6:7]
	s_and_saveexec_b64 s[6:7], s[4:5]
	s_cbranch_execnz .LBB8_1091
	s_branch .LBB8_1092
.LBB8_3141:
	s_movk_i32 s4, 0x80
	v_cmp_eq_u16_sdwa s[12:13], v4, s4 src0_sel:BYTE_0 src1_sel:DWORD
	s_mov_b64 s[4:5], -1
                                        ; implicit-def: $sgpr10
	s_and_saveexec_b64 s[8:9], s[12:13]
; %bb.3142:
	s_mov_b32 s10, 0x7f800001
	s_xor_b64 s[4:5], exec, -1
; %bb.3143:
	s_or_b64 exec, exec, s[8:9]
	s_and_b64 s[4:5], s[4:5], exec
	s_or_saveexec_b64 s[6:7], s[6:7]
	v_mov_b32_e32 v3, s10
	s_xor_b64 exec, exec, s[6:7]
	s_cbranch_execz .LBB8_1094
.LBB8_3144:
	v_mov_b32_e32 v3, 0
	v_cmp_ne_u16_sdwa s[8:9], v4, v3 src0_sel:BYTE_0 src1_sel:DWORD
	s_andn2_b64 s[4:5], s[4:5], exec
	s_and_b64 s[8:9], s[8:9], exec
	s_or_b64 s[4:5], s[4:5], s[8:9]
	s_or_b64 exec, exec, s[6:7]
	s_and_saveexec_b64 s[6:7], s[4:5]
	s_cbranch_execnz .LBB8_1095
	s_branch .LBB8_1096
.LBB8_3145:
	s_movk_i32 s4, 0x80
	v_cmp_eq_u16_sdwa s[12:13], v3, s4 src0_sel:BYTE_0 src1_sel:DWORD
	s_mov_b64 s[4:5], -1
                                        ; implicit-def: $sgpr10
	s_and_saveexec_b64 s[8:9], s[12:13]
; %bb.3146:
	s_mov_b32 s10, 0x7f800001
	s_xor_b64 s[4:5], exec, -1
; %bb.3147:
	s_or_b64 exec, exec, s[8:9]
	s_and_b64 s[4:5], s[4:5], exec
	s_or_saveexec_b64 s[6:7], s[6:7]
	v_mov_b32_e32 v2, s10
	s_xor_b64 exec, exec, s[6:7]
	s_cbranch_execz .LBB8_1098
.LBB8_3148:
	v_mov_b32_e32 v2, 0
	v_cmp_ne_u16_sdwa s[8:9], v3, v2 src0_sel:BYTE_0 src1_sel:DWORD
	s_andn2_b64 s[4:5], s[4:5], exec
	s_and_b64 s[8:9], s[8:9], exec
	s_or_b64 s[4:5], s[4:5], s[8:9]
	s_or_b64 exec, exec, s[6:7]
	s_and_saveexec_b64 s[6:7], s[4:5]
	s_cbranch_execnz .LBB8_1099
	s_branch .LBB8_1100
.LBB8_3149:
	s_movk_i32 s4, 0x80
	v_cmp_eq_u16_sdwa s[12:13], v3, s4 src0_sel:BYTE_0 src1_sel:DWORD
	s_mov_b64 s[4:5], -1
                                        ; implicit-def: $sgpr10
	s_and_saveexec_b64 s[8:9], s[12:13]
; %bb.3150:
	s_mov_b32 s10, 0x7f800001
	s_xor_b64 s[4:5], exec, -1
; %bb.3151:
	s_or_b64 exec, exec, s[8:9]
	s_and_b64 s[4:5], s[4:5], exec
	s_or_saveexec_b64 s[6:7], s[6:7]
	v_mov_b32_e32 v6, s10
	s_xor_b64 exec, exec, s[6:7]
	s_cbranch_execz .LBB8_1102
.LBB8_3152:
	v_mov_b32_e32 v6, 0
	v_cmp_ne_u16_sdwa s[8:9], v3, v6 src0_sel:BYTE_0 src1_sel:DWORD
	s_andn2_b64 s[4:5], s[4:5], exec
	s_and_b64 s[8:9], s[8:9], exec
	s_or_b64 s[4:5], s[4:5], s[8:9]
	s_or_b64 exec, exec, s[6:7]
	s_and_saveexec_b64 s[6:7], s[4:5]
	s_cbranch_execnz .LBB8_1103
	s_branch .LBB8_1104
.LBB8_3153:
	s_movk_i32 s4, 0x80
	v_cmp_eq_u16_e32 vcc, s4, v3
	s_mov_b64 s[4:5], -1
                                        ; implicit-def: $sgpr10
	s_and_saveexec_b64 s[8:9], vcc
; %bb.3154:
	s_mov_b32 s10, 0x7f800001
	s_xor_b64 s[4:5], exec, -1
; %bb.3155:
	s_or_b64 exec, exec, s[8:9]
	s_and_b64 s[4:5], s[4:5], exec
                                        ; implicit-def: $vgpr3
	s_or_saveexec_b64 s[6:7], s[6:7]
	v_mov_b32_e32 v2, s10
	s_xor_b64 exec, exec, s[6:7]
	s_cbranch_execz .LBB8_1106
.LBB8_3156:
	v_cmp_ne_u16_e32 vcc, 0, v3
	s_andn2_b64 s[4:5], s[4:5], exec
	s_and_b64 s[8:9], vcc, exec
	v_mov_b32_e32 v2, 0
	s_or_b64 s[4:5], s[4:5], s[8:9]
	s_or_b64 exec, exec, s[6:7]
	s_and_saveexec_b64 s[6:7], s[4:5]
	s_cbranch_execnz .LBB8_1107
	s_branch .LBB8_1108
.LBB8_3157:
	s_movk_i32 s4, 0x80
	v_cmp_eq_u16_e32 vcc, s4, v3
	s_mov_b64 s[4:5], -1
                                        ; implicit-def: $sgpr10
	s_and_saveexec_b64 s[8:9], vcc
; %bb.3158:
	s_mov_b32 s10, 0x7f800001
	s_xor_b64 s[4:5], exec, -1
; %bb.3159:
	s_or_b64 exec, exec, s[8:9]
	s_and_b64 s[4:5], s[4:5], exec
                                        ; implicit-def: $vgpr3
	s_or_saveexec_b64 s[6:7], s[6:7]
	v_mov_b32_e32 v6, s10
	s_xor_b64 exec, exec, s[6:7]
	s_cbranch_execz .LBB8_1110
.LBB8_3160:
	v_cmp_ne_u16_e32 vcc, 0, v3
	s_andn2_b64 s[4:5], s[4:5], exec
	s_and_b64 s[8:9], vcc, exec
	v_mov_b32_e32 v6, 0
	s_or_b64 s[4:5], s[4:5], s[8:9]
	s_or_b64 exec, exec, s[6:7]
	s_and_saveexec_b64 s[6:7], s[4:5]
	s_cbranch_execnz .LBB8_1111
	s_branch .LBB8_1112
.LBB8_3161:
	s_movk_i32 s4, 0x80
	v_cmp_eq_u16_sdwa s[12:13], v8, s4 src0_sel:BYTE_3 src1_sel:DWORD
	s_mov_b64 s[4:5], -1
                                        ; implicit-def: $sgpr10
	s_and_saveexec_b64 s[8:9], s[12:13]
; %bb.3162:
	s_mov_b32 s10, 0x7f800001
	s_xor_b64 s[4:5], exec, -1
; %bb.3163:
	s_or_b64 exec, exec, s[8:9]
	s_and_b64 s[4:5], s[4:5], exec
	s_or_saveexec_b64 s[6:7], s[6:7]
	v_mov_b32_e32 v2, s10
	s_xor_b64 exec, exec, s[6:7]
	s_cbranch_execz .LBB8_1114
.LBB8_3164:
	v_mov_b32_e32 v2, 0
	v_cmp_ne_u16_sdwa s[8:9], v8, v2 src0_sel:BYTE_3 src1_sel:DWORD
	s_andn2_b64 s[4:5], s[4:5], exec
	s_and_b64 s[8:9], s[8:9], exec
	s_or_b64 s[4:5], s[4:5], s[8:9]
	s_or_b64 exec, exec, s[6:7]
	s_and_saveexec_b64 s[6:7], s[4:5]
	s_cbranch_execnz .LBB8_1115
	s_branch .LBB8_1116
.LBB8_3165:
	s_movk_i32 s4, 0x80
	v_cmp_eq_u16_sdwa s[12:13], v4, s4 src0_sel:BYTE_3 src1_sel:DWORD
	s_mov_b64 s[4:5], -1
                                        ; implicit-def: $sgpr10
	s_and_saveexec_b64 s[8:9], s[12:13]
; %bb.3166:
	s_mov_b32 s10, 0x7f800001
	s_xor_b64 s[4:5], exec, -1
; %bb.3167:
	s_or_b64 exec, exec, s[8:9]
	s_and_b64 s[4:5], s[4:5], exec
	s_or_saveexec_b64 s[6:7], s[6:7]
	v_mov_b32_e32 v3, s10
	s_xor_b64 exec, exec, s[6:7]
	s_cbranch_execz .LBB8_1118
.LBB8_3168:
	v_mov_b32_e32 v3, 0
	v_cmp_ne_u16_sdwa s[8:9], v4, v3 src0_sel:BYTE_3 src1_sel:DWORD
	s_andn2_b64 s[4:5], s[4:5], exec
	s_and_b64 s[8:9], s[8:9], exec
	s_or_b64 s[4:5], s[4:5], s[8:9]
	s_or_b64 exec, exec, s[6:7]
	s_and_saveexec_b64 s[6:7], s[4:5]
	s_cbranch_execnz .LBB8_1119
	s_branch .LBB8_1120
.LBB8_3169:
	s_movk_i32 s4, 0x80
	v_cmp_eq_u16_sdwa s[12:13], v9, s4 src0_sel:BYTE_0 src1_sel:DWORD
	s_mov_b64 s[4:5], -1
                                        ; implicit-def: $sgpr10
	s_and_saveexec_b64 s[8:9], s[12:13]
; %bb.3170:
	s_mov_b32 s10, 0x7f800001
	s_xor_b64 s[4:5], exec, -1
; %bb.3171:
	s_or_b64 exec, exec, s[8:9]
	s_and_b64 s[4:5], s[4:5], exec
	s_or_saveexec_b64 s[6:7], s[6:7]
	v_mov_b32_e32 v2, s10
	s_xor_b64 exec, exec, s[6:7]
	s_cbranch_execz .LBB8_1122
.LBB8_3172:
	v_mov_b32_e32 v2, 0
	v_cmp_ne_u16_sdwa s[8:9], v9, v2 src0_sel:BYTE_0 src1_sel:DWORD
	s_andn2_b64 s[4:5], s[4:5], exec
	s_and_b64 s[8:9], s[8:9], exec
	s_or_b64 s[4:5], s[4:5], s[8:9]
	s_or_b64 exec, exec, s[6:7]
	s_and_saveexec_b64 s[6:7], s[4:5]
	s_cbranch_execnz .LBB8_1123
	s_branch .LBB8_1124
.LBB8_3173:
	s_movk_i32 s4, 0x80
	v_cmp_eq_u16_sdwa s[12:13], v5, s4 src0_sel:BYTE_0 src1_sel:DWORD
	s_mov_b64 s[4:5], -1
                                        ; implicit-def: $sgpr10
	s_and_saveexec_b64 s[8:9], s[12:13]
; %bb.3174:
	s_mov_b32 s10, 0x7f800001
	s_xor_b64 s[4:5], exec, -1
; %bb.3175:
	s_or_b64 exec, exec, s[8:9]
	s_and_b64 s[4:5], s[4:5], exec
	s_or_saveexec_b64 s[6:7], s[6:7]
	v_mov_b32_e32 v3, s10
	s_xor_b64 exec, exec, s[6:7]
	s_cbranch_execz .LBB8_1126
.LBB8_3176:
	v_mov_b32_e32 v3, 0
	v_cmp_ne_u16_sdwa s[8:9], v5, v3 src0_sel:BYTE_0 src1_sel:DWORD
	s_andn2_b64 s[4:5], s[4:5], exec
	s_and_b64 s[8:9], s[8:9], exec
	s_or_b64 s[4:5], s[4:5], s[8:9]
	s_or_b64 exec, exec, s[6:7]
	s_and_saveexec_b64 s[6:7], s[4:5]
	s_cbranch_execnz .LBB8_1127
	s_branch .LBB8_1128
.LBB8_3177:
	s_movk_i32 s4, 0x80
	v_cmp_eq_u16_sdwa s[12:13], v3, s4 src0_sel:BYTE_0 src1_sel:DWORD
	s_mov_b64 s[4:5], -1
                                        ; implicit-def: $sgpr10
	s_and_saveexec_b64 s[8:9], s[12:13]
; %bb.3178:
	s_mov_b32 s10, 0x7f800001
	s_xor_b64 s[4:5], exec, -1
; %bb.3179:
	s_or_b64 exec, exec, s[8:9]
	s_and_b64 s[4:5], s[4:5], exec
	s_or_saveexec_b64 s[6:7], s[6:7]
	v_mov_b32_e32 v2, s10
	s_xor_b64 exec, exec, s[6:7]
	s_cbranch_execz .LBB8_1130
.LBB8_3180:
	v_mov_b32_e32 v2, 0
	v_cmp_ne_u16_sdwa s[8:9], v3, v2 src0_sel:BYTE_0 src1_sel:DWORD
	s_andn2_b64 s[4:5], s[4:5], exec
	s_and_b64 s[8:9], s[8:9], exec
	s_or_b64 s[4:5], s[4:5], s[8:9]
	s_or_b64 exec, exec, s[6:7]
	s_and_saveexec_b64 s[6:7], s[4:5]
	s_cbranch_execnz .LBB8_1131
	s_branch .LBB8_1132
.LBB8_3181:
	s_movk_i32 s4, 0x80
	v_cmp_eq_u16_sdwa s[12:13], v3, s4 src0_sel:BYTE_0 src1_sel:DWORD
	s_mov_b64 s[4:5], -1
                                        ; implicit-def: $sgpr10
	s_and_saveexec_b64 s[8:9], s[12:13]
; %bb.3182:
	s_mov_b32 s10, 0x7f800001
	s_xor_b64 s[4:5], exec, -1
; %bb.3183:
	s_or_b64 exec, exec, s[8:9]
	s_and_b64 s[4:5], s[4:5], exec
	s_or_saveexec_b64 s[6:7], s[6:7]
	v_mov_b32_e32 v4, s10
	s_xor_b64 exec, exec, s[6:7]
	s_cbranch_execz .LBB8_1134
.LBB8_3184:
	v_mov_b32_e32 v4, 0
	v_cmp_ne_u16_sdwa s[8:9], v3, v4 src0_sel:BYTE_0 src1_sel:DWORD
	s_andn2_b64 s[4:5], s[4:5], exec
	s_and_b64 s[8:9], s[8:9], exec
	s_or_b64 s[4:5], s[4:5], s[8:9]
	s_or_b64 exec, exec, s[6:7]
	s_and_saveexec_b64 s[6:7], s[4:5]
	s_cbranch_execnz .LBB8_1135
	s_branch .LBB8_1136
.LBB8_3185:
	s_movk_i32 s4, 0x80
	v_cmp_eq_u16_e32 vcc, s4, v3
	s_mov_b64 s[4:5], -1
                                        ; implicit-def: $sgpr10
	s_and_saveexec_b64 s[8:9], vcc
; %bb.3186:
	s_mov_b32 s10, 0x7f800001
	s_xor_b64 s[4:5], exec, -1
; %bb.3187:
	s_or_b64 exec, exec, s[8:9]
	s_and_b64 s[4:5], s[4:5], exec
                                        ; implicit-def: $vgpr3
	s_or_saveexec_b64 s[6:7], s[6:7]
	v_mov_b32_e32 v2, s10
	s_xor_b64 exec, exec, s[6:7]
	s_cbranch_execz .LBB8_1138
.LBB8_3188:
	v_cmp_ne_u16_e32 vcc, 0, v3
	s_andn2_b64 s[4:5], s[4:5], exec
	s_and_b64 s[8:9], vcc, exec
	v_mov_b32_e32 v2, 0
	s_or_b64 s[4:5], s[4:5], s[8:9]
	s_or_b64 exec, exec, s[6:7]
	s_and_saveexec_b64 s[6:7], s[4:5]
	s_cbranch_execnz .LBB8_1139
	s_branch .LBB8_1140
.LBB8_3189:
	s_movk_i32 s4, 0x80
	v_cmp_eq_u16_e32 vcc, s4, v3
	s_mov_b64 s[4:5], -1
                                        ; implicit-def: $sgpr10
	s_and_saveexec_b64 s[8:9], vcc
; %bb.3190:
	s_mov_b32 s10, 0x7f800001
	s_xor_b64 s[4:5], exec, -1
; %bb.3191:
	s_or_b64 exec, exec, s[8:9]
	s_and_b64 s[4:5], s[4:5], exec
                                        ; implicit-def: $vgpr3
	s_or_saveexec_b64 s[6:7], s[6:7]
	v_mov_b32_e32 v4, s10
	s_xor_b64 exec, exec, s[6:7]
	s_cbranch_execz .LBB8_1142
.LBB8_3192:
	v_cmp_ne_u16_e32 vcc, 0, v3
	s_andn2_b64 s[4:5], s[4:5], exec
	s_and_b64 s[8:9], vcc, exec
	v_mov_b32_e32 v4, 0
	s_or_b64 s[4:5], s[4:5], s[8:9]
	s_or_b64 exec, exec, s[6:7]
	s_and_saveexec_b64 s[6:7], s[4:5]
	s_cbranch_execnz .LBB8_1143
	s_branch .LBB8_1144
.LBB8_3193:
	s_movk_i32 s4, 0x80
	v_cmp_eq_u16_sdwa s[12:13], v9, s4 src0_sel:BYTE_3 src1_sel:DWORD
	s_mov_b64 s[4:5], -1
                                        ; implicit-def: $sgpr10
	s_and_saveexec_b64 s[8:9], s[12:13]
; %bb.3194:
	s_mov_b32 s10, 0x7f800001
	s_xor_b64 s[4:5], exec, -1
; %bb.3195:
	s_or_b64 exec, exec, s[8:9]
	s_and_b64 s[4:5], s[4:5], exec
	s_or_saveexec_b64 s[6:7], s[6:7]
	v_mov_b32_e32 v2, s10
	s_xor_b64 exec, exec, s[6:7]
	s_cbranch_execz .LBB8_1146
.LBB8_3196:
	v_mov_b32_e32 v2, 0
	v_cmp_ne_u16_sdwa s[8:9], v9, v2 src0_sel:BYTE_3 src1_sel:DWORD
	s_andn2_b64 s[4:5], s[4:5], exec
	s_and_b64 s[8:9], s[8:9], exec
	s_or_b64 s[4:5], s[4:5], s[8:9]
	s_or_b64 exec, exec, s[6:7]
	s_and_saveexec_b64 s[6:7], s[4:5]
	s_cbranch_execnz .LBB8_1147
	s_branch .LBB8_1148
.LBB8_3197:
	s_movk_i32 s4, 0x80
	v_cmp_eq_u16_sdwa s[12:13], v5, s4 src0_sel:BYTE_3 src1_sel:DWORD
	s_mov_b64 s[4:5], -1
                                        ; implicit-def: $sgpr10
	s_and_saveexec_b64 s[8:9], s[12:13]
; %bb.3198:
	s_mov_b32 s10, 0x7f800001
	s_xor_b64 s[4:5], exec, -1
; %bb.3199:
	s_or_b64 exec, exec, s[8:9]
	s_and_b64 s[4:5], s[4:5], exec
	s_or_saveexec_b64 s[6:7], s[6:7]
	v_mov_b32_e32 v3, s10
	s_xor_b64 exec, exec, s[6:7]
	s_cbranch_execz .LBB8_1150
.LBB8_3200:
	v_mov_b32_e32 v3, 0
	v_cmp_ne_u16_sdwa s[8:9], v5, v3 src0_sel:BYTE_3 src1_sel:DWORD
	s_andn2_b64 s[4:5], s[4:5], exec
	s_and_b64 s[8:9], s[8:9], exec
	s_or_b64 s[4:5], s[4:5], s[8:9]
	s_or_b64 exec, exec, s[6:7]
	s_and_saveexec_b64 s[6:7], s[4:5]
	s_cbranch_execnz .LBB8_1151
	s_branch .LBB8_1152
.LBB8_3201:
	s_movk_i32 s4, 0x80
	v_cmp_eq_u16_sdwa s[12:13], v6, s4 src0_sel:BYTE_0 src1_sel:DWORD
	s_mov_b64 s[4:5], -1
                                        ; implicit-def: $sgpr10
	s_and_saveexec_b64 s[8:9], s[12:13]
; %bb.3202:
	s_mov_b32 s10, 0x7f800001
	s_xor_b64 s[4:5], exec, -1
; %bb.3203:
	s_or_b64 exec, exec, s[8:9]
	s_and_b64 s[4:5], s[4:5], exec
	s_or_saveexec_b64 s[6:7], s[6:7]
	v_mov_b32_e32 v12, s10
	s_xor_b64 exec, exec, s[6:7]
	s_cbranch_execz .LBB8_1154
.LBB8_3204:
	v_mov_b32_e32 v12, 0
	v_cmp_ne_u16_sdwa s[8:9], v6, v12 src0_sel:BYTE_0 src1_sel:DWORD
	s_andn2_b64 s[4:5], s[4:5], exec
	s_and_b64 s[8:9], s[8:9], exec
	s_or_b64 s[4:5], s[4:5], s[8:9]
	s_or_b64 exec, exec, s[6:7]
	s_and_saveexec_b64 s[6:7], s[4:5]
	s_cbranch_execnz .LBB8_1155
	s_branch .LBB8_1156
.LBB8_3205:
	s_movk_i32 s4, 0x80
	v_cmp_eq_u16_sdwa s[12:13], v2, s4 src0_sel:BYTE_0 src1_sel:DWORD
	s_mov_b64 s[4:5], -1
                                        ; implicit-def: $sgpr10
	s_and_saveexec_b64 s[8:9], s[12:13]
; %bb.3206:
	s_mov_b32 s10, 0x7f800001
	s_xor_b64 s[4:5], exec, -1
; %bb.3207:
	s_or_b64 exec, exec, s[8:9]
	s_and_b64 s[4:5], s[4:5], exec
	s_or_saveexec_b64 s[6:7], s[6:7]
	v_mov_b32_e32 v13, s10
	s_xor_b64 exec, exec, s[6:7]
	s_cbranch_execz .LBB8_1158
.LBB8_3208:
	v_mov_b32_e32 v13, 0
	v_cmp_ne_u16_sdwa s[8:9], v2, v13 src0_sel:BYTE_0 src1_sel:DWORD
	s_andn2_b64 s[4:5], s[4:5], exec
	s_and_b64 s[8:9], s[8:9], exec
	s_or_b64 s[4:5], s[4:5], s[8:9]
	s_or_b64 exec, exec, s[6:7]
	s_and_saveexec_b64 s[6:7], s[4:5]
	s_cbranch_execnz .LBB8_1159
	s_branch .LBB8_1160
.LBB8_3209:
	s_movk_i32 s4, 0x80
	v_cmp_eq_u16_sdwa s[12:13], v13, s4 src0_sel:BYTE_0 src1_sel:DWORD
	s_mov_b64 s[4:5], -1
                                        ; implicit-def: $sgpr10
	s_and_saveexec_b64 s[8:9], s[12:13]
; %bb.3210:
	s_mov_b32 s10, 0x7f800001
	s_xor_b64 s[4:5], exec, -1
; %bb.3211:
	s_or_b64 exec, exec, s[8:9]
	s_and_b64 s[4:5], s[4:5], exec
	s_or_saveexec_b64 s[6:7], s[6:7]
	v_mov_b32_e32 v12, s10
	s_xor_b64 exec, exec, s[6:7]
	s_cbranch_execz .LBB8_1162
.LBB8_3212:
	v_mov_b32_e32 v12, 0
	v_cmp_ne_u16_sdwa s[8:9], v13, v12 src0_sel:BYTE_0 src1_sel:DWORD
	s_andn2_b64 s[4:5], s[4:5], exec
	s_and_b64 s[8:9], s[8:9], exec
	s_or_b64 s[4:5], s[4:5], s[8:9]
	s_or_b64 exec, exec, s[6:7]
	s_and_saveexec_b64 s[6:7], s[4:5]
	s_cbranch_execnz .LBB8_1163
	s_branch .LBB8_1164
.LBB8_3213:
	s_movk_i32 s4, 0x80
	v_cmp_eq_u16_sdwa s[12:13], v13, s4 src0_sel:BYTE_0 src1_sel:DWORD
	s_mov_b64 s[4:5], -1
                                        ; implicit-def: $sgpr10
	s_and_saveexec_b64 s[8:9], s[12:13]
; %bb.3214:
	s_mov_b32 s10, 0x7f800001
	s_xor_b64 s[4:5], exec, -1
; %bb.3215:
	s_or_b64 exec, exec, s[8:9]
	s_and_b64 s[4:5], s[4:5], exec
	s_or_saveexec_b64 s[6:7], s[6:7]
	v_mov_b32_e32 v14, s10
	s_xor_b64 exec, exec, s[6:7]
	s_cbranch_execz .LBB8_1166
.LBB8_3216:
	v_mov_b32_e32 v14, 0
	v_cmp_ne_u16_sdwa s[8:9], v13, v14 src0_sel:BYTE_0 src1_sel:DWORD
	s_andn2_b64 s[4:5], s[4:5], exec
	s_and_b64 s[8:9], s[8:9], exec
	s_or_b64 s[4:5], s[4:5], s[8:9]
	s_or_b64 exec, exec, s[6:7]
	s_and_saveexec_b64 s[6:7], s[4:5]
	s_cbranch_execnz .LBB8_1167
	s_branch .LBB8_1168
.LBB8_3217:
	s_movk_i32 s4, 0x80
	v_cmp_eq_u16_e32 vcc, s4, v13
	s_mov_b64 s[4:5], -1
                                        ; implicit-def: $sgpr10
	s_and_saveexec_b64 s[8:9], vcc
; %bb.3218:
	s_mov_b32 s10, 0x7f800001
	s_xor_b64 s[4:5], exec, -1
; %bb.3219:
	s_or_b64 exec, exec, s[8:9]
	s_and_b64 s[4:5], s[4:5], exec
                                        ; implicit-def: $vgpr13
	s_or_saveexec_b64 s[6:7], s[6:7]
	v_mov_b32_e32 v12, s10
	s_xor_b64 exec, exec, s[6:7]
	s_cbranch_execz .LBB8_1170
.LBB8_3220:
	v_cmp_ne_u16_e32 vcc, 0, v13
	s_andn2_b64 s[4:5], s[4:5], exec
	s_and_b64 s[8:9], vcc, exec
	v_mov_b32_e32 v12, 0
	s_or_b64 s[4:5], s[4:5], s[8:9]
	s_or_b64 exec, exec, s[6:7]
	s_and_saveexec_b64 s[6:7], s[4:5]
	s_cbranch_execnz .LBB8_1171
	s_branch .LBB8_1172
.LBB8_3221:
	s_movk_i32 s4, 0x80
	v_cmp_eq_u16_e32 vcc, s4, v13
	s_mov_b64 s[4:5], -1
                                        ; implicit-def: $sgpr10
	s_and_saveexec_b64 s[8:9], vcc
; %bb.3222:
	s_mov_b32 s10, 0x7f800001
	s_xor_b64 s[4:5], exec, -1
; %bb.3223:
	s_or_b64 exec, exec, s[8:9]
	s_and_b64 s[4:5], s[4:5], exec
                                        ; implicit-def: $vgpr13
	s_or_saveexec_b64 s[6:7], s[6:7]
	v_mov_b32_e32 v14, s10
	s_xor_b64 exec, exec, s[6:7]
	s_cbranch_execz .LBB8_1174
.LBB8_3224:
	v_cmp_ne_u16_e32 vcc, 0, v13
	s_andn2_b64 s[4:5], s[4:5], exec
	s_and_b64 s[8:9], vcc, exec
	v_mov_b32_e32 v14, 0
	s_or_b64 s[4:5], s[4:5], s[8:9]
	s_or_b64 exec, exec, s[6:7]
	s_and_saveexec_b64 s[6:7], s[4:5]
	s_cbranch_execnz .LBB8_1175
	s_branch .LBB8_1176
.LBB8_3225:
	s_movk_i32 s4, 0x80
	v_cmp_eq_u16_sdwa s[12:13], v6, s4 src0_sel:BYTE_3 src1_sel:DWORD
	s_mov_b64 s[4:5], -1
                                        ; implicit-def: $sgpr10
	s_and_saveexec_b64 s[8:9], s[12:13]
; %bb.3226:
	s_mov_b32 s10, 0x7f800001
	s_xor_b64 s[4:5], exec, -1
; %bb.3227:
	s_or_b64 exec, exec, s[8:9]
	s_and_b64 s[4:5], s[4:5], exec
	s_or_saveexec_b64 s[6:7], s[6:7]
	v_mov_b32_e32 v12, s10
	s_xor_b64 exec, exec, s[6:7]
	s_cbranch_execz .LBB8_1178
.LBB8_3228:
	v_mov_b32_e32 v12, 0
	v_cmp_ne_u16_sdwa s[8:9], v6, v12 src0_sel:BYTE_3 src1_sel:DWORD
	s_andn2_b64 s[4:5], s[4:5], exec
	s_and_b64 s[8:9], s[8:9], exec
	s_or_b64 s[4:5], s[4:5], s[8:9]
	s_or_b64 exec, exec, s[6:7]
	s_and_saveexec_b64 s[6:7], s[4:5]
	s_cbranch_execnz .LBB8_1179
	s_branch .LBB8_1180
.LBB8_3229:
	s_movk_i32 s4, 0x80
	v_cmp_eq_u16_sdwa s[12:13], v2, s4 src0_sel:BYTE_3 src1_sel:DWORD
	s_mov_b64 s[4:5], -1
                                        ; implicit-def: $sgpr10
	s_and_saveexec_b64 s[8:9], s[12:13]
; %bb.3230:
	s_mov_b32 s10, 0x7f800001
	s_xor_b64 s[4:5], exec, -1
; %bb.3231:
	s_or_b64 exec, exec, s[8:9]
	s_and_b64 s[4:5], s[4:5], exec
	s_or_saveexec_b64 s[6:7], s[6:7]
	v_mov_b32_e32 v6, s10
	s_xor_b64 exec, exec, s[6:7]
	s_cbranch_execz .LBB8_1182
.LBB8_3232:
	v_mov_b32_e32 v6, 0
	v_cmp_ne_u16_sdwa s[8:9], v2, v6 src0_sel:BYTE_3 src1_sel:DWORD
	s_andn2_b64 s[4:5], s[4:5], exec
	s_and_b64 s[8:9], s[8:9], exec
	s_or_b64 s[4:5], s[4:5], s[8:9]
	s_or_b64 exec, exec, s[6:7]
	s_and_saveexec_b64 s[6:7], s[4:5]
	s_cbranch_execnz .LBB8_1183
	s_branch .LBB8_1184
.LBB8_3233:
	s_movk_i32 s4, 0x80
	v_cmp_eq_u16_sdwa s[12:13], v7, s4 src0_sel:BYTE_0 src1_sel:DWORD
	s_mov_b64 s[4:5], -1
                                        ; implicit-def: $sgpr10
	s_and_saveexec_b64 s[8:9], s[12:13]
; %bb.3234:
	s_mov_b32 s10, 0x7f800001
	s_xor_b64 s[4:5], exec, -1
; %bb.3235:
	s_or_b64 exec, exec, s[8:9]
	s_and_b64 s[4:5], s[4:5], exec
	s_or_saveexec_b64 s[6:7], s[6:7]
	v_mov_b32_e32 v2, s10
	s_xor_b64 exec, exec, s[6:7]
	s_cbranch_execz .LBB8_1186
.LBB8_3236:
	v_mov_b32_e32 v2, 0
	v_cmp_ne_u16_sdwa s[8:9], v7, v2 src0_sel:BYTE_0 src1_sel:DWORD
	s_andn2_b64 s[4:5], s[4:5], exec
	s_and_b64 s[8:9], s[8:9], exec
	s_or_b64 s[4:5], s[4:5], s[8:9]
	s_or_b64 exec, exec, s[6:7]
	s_and_saveexec_b64 s[6:7], s[4:5]
	s_cbranch_execnz .LBB8_1187
	s_branch .LBB8_1188
.LBB8_3237:
	s_movk_i32 s4, 0x80
	v_cmp_eq_u16_sdwa s[12:13], v3, s4 src0_sel:BYTE_0 src1_sel:DWORD
	s_mov_b64 s[4:5], -1
                                        ; implicit-def: $sgpr10
	s_and_saveexec_b64 s[8:9], s[12:13]
; %bb.3238:
	s_mov_b32 s10, 0x7f800001
	s_xor_b64 s[4:5], exec, -1
; %bb.3239:
	s_or_b64 exec, exec, s[8:9]
	s_and_b64 s[4:5], s[4:5], exec
	s_or_saveexec_b64 s[6:7], s[6:7]
	v_mov_b32_e32 v6, s10
	s_xor_b64 exec, exec, s[6:7]
	s_cbranch_execz .LBB8_1190
.LBB8_3240:
	v_mov_b32_e32 v6, 0
	v_cmp_ne_u16_sdwa s[8:9], v3, v6 src0_sel:BYTE_0 src1_sel:DWORD
	s_andn2_b64 s[4:5], s[4:5], exec
	s_and_b64 s[8:9], s[8:9], exec
	s_or_b64 s[4:5], s[4:5], s[8:9]
	s_or_b64 exec, exec, s[6:7]
	s_and_saveexec_b64 s[6:7], s[4:5]
	s_cbranch_execnz .LBB8_1191
	s_branch .LBB8_1192
.LBB8_3241:
	s_movk_i32 s4, 0x80
	v_cmp_eq_u16_sdwa s[12:13], v6, s4 src0_sel:BYTE_0 src1_sel:DWORD
	s_mov_b64 s[4:5], -1
                                        ; implicit-def: $sgpr10
	s_and_saveexec_b64 s[8:9], s[12:13]
; %bb.3242:
	s_mov_b32 s10, 0x7f800001
	s_xor_b64 s[4:5], exec, -1
; %bb.3243:
	s_or_b64 exec, exec, s[8:9]
	s_and_b64 s[4:5], s[4:5], exec
	s_or_saveexec_b64 s[6:7], s[6:7]
	v_mov_b32_e32 v2, s10
	s_xor_b64 exec, exec, s[6:7]
	s_cbranch_execz .LBB8_1194
.LBB8_3244:
	v_mov_b32_e32 v2, 0
	v_cmp_ne_u16_sdwa s[8:9], v6, v2 src0_sel:BYTE_0 src1_sel:DWORD
	s_andn2_b64 s[4:5], s[4:5], exec
	s_and_b64 s[8:9], s[8:9], exec
	s_or_b64 s[4:5], s[4:5], s[8:9]
	s_or_b64 exec, exec, s[6:7]
	s_and_saveexec_b64 s[6:7], s[4:5]
	s_cbranch_execnz .LBB8_1195
	s_branch .LBB8_1196
.LBB8_3245:
	s_movk_i32 s4, 0x80
	v_cmp_eq_u16_sdwa s[12:13], v6, s4 src0_sel:BYTE_0 src1_sel:DWORD
	s_mov_b64 s[4:5], -1
                                        ; implicit-def: $sgpr10
	s_and_saveexec_b64 s[8:9], s[12:13]
; %bb.3246:
	s_mov_b32 s10, 0x7f800001
	s_xor_b64 s[4:5], exec, -1
; %bb.3247:
	s_or_b64 exec, exec, s[8:9]
	s_and_b64 s[4:5], s[4:5], exec
	s_or_saveexec_b64 s[6:7], s[6:7]
	v_mov_b32_e32 v12, s10
	s_xor_b64 exec, exec, s[6:7]
	s_cbranch_execz .LBB8_1198
.LBB8_3248:
	v_mov_b32_e32 v12, 0
	v_cmp_ne_u16_sdwa s[8:9], v6, v12 src0_sel:BYTE_0 src1_sel:DWORD
	s_andn2_b64 s[4:5], s[4:5], exec
	s_and_b64 s[8:9], s[8:9], exec
	s_or_b64 s[4:5], s[4:5], s[8:9]
	s_or_b64 exec, exec, s[6:7]
	s_and_saveexec_b64 s[6:7], s[4:5]
	s_cbranch_execnz .LBB8_1199
	s_branch .LBB8_1200
.LBB8_3249:
	s_movk_i32 s4, 0x80
	v_cmp_eq_u16_e32 vcc, s4, v6
	s_mov_b64 s[4:5], -1
                                        ; implicit-def: $sgpr10
	s_and_saveexec_b64 s[8:9], vcc
; %bb.3250:
	s_mov_b32 s10, 0x7f800001
	s_xor_b64 s[4:5], exec, -1
; %bb.3251:
	s_or_b64 exec, exec, s[8:9]
	s_and_b64 s[4:5], s[4:5], exec
                                        ; implicit-def: $vgpr6
	s_or_saveexec_b64 s[6:7], s[6:7]
	v_mov_b32_e32 v2, s10
	s_xor_b64 exec, exec, s[6:7]
	s_cbranch_execz .LBB8_1202
.LBB8_3252:
	v_cmp_ne_u16_e32 vcc, 0, v6
	s_andn2_b64 s[4:5], s[4:5], exec
	s_and_b64 s[8:9], vcc, exec
	v_mov_b32_e32 v2, 0
	s_or_b64 s[4:5], s[4:5], s[8:9]
	s_or_b64 exec, exec, s[6:7]
	s_and_saveexec_b64 s[6:7], s[4:5]
	s_cbranch_execnz .LBB8_1203
	s_branch .LBB8_1204
.LBB8_3253:
	s_movk_i32 s4, 0x80
	v_cmp_eq_u16_e32 vcc, s4, v6
	s_mov_b64 s[4:5], -1
                                        ; implicit-def: $sgpr10
	s_and_saveexec_b64 s[8:9], vcc
; %bb.3254:
	s_mov_b32 s10, 0x7f800001
	s_xor_b64 s[4:5], exec, -1
; %bb.3255:
	s_or_b64 exec, exec, s[8:9]
	s_and_b64 s[4:5], s[4:5], exec
                                        ; implicit-def: $vgpr6
	s_or_saveexec_b64 s[6:7], s[6:7]
	v_mov_b32_e32 v12, s10
	s_xor_b64 exec, exec, s[6:7]
	s_cbranch_execz .LBB8_1206
.LBB8_3256:
	v_cmp_ne_u16_e32 vcc, 0, v6
	s_andn2_b64 s[4:5], s[4:5], exec
	s_and_b64 s[8:9], vcc, exec
	v_mov_b32_e32 v12, 0
	s_or_b64 s[4:5], s[4:5], s[8:9]
	s_or_b64 exec, exec, s[6:7]
	s_and_saveexec_b64 s[6:7], s[4:5]
	s_cbranch_execnz .LBB8_1207
	s_branch .LBB8_1208
.LBB8_3257:
	s_movk_i32 s4, 0x80
	v_cmp_eq_u16_sdwa s[12:13], v7, s4 src0_sel:BYTE_3 src1_sel:DWORD
	s_mov_b64 s[4:5], -1
                                        ; implicit-def: $sgpr10
	s_and_saveexec_b64 s[8:9], s[12:13]
; %bb.3258:
	s_mov_b32 s10, 0x7f800001
	s_xor_b64 s[4:5], exec, -1
; %bb.3259:
	s_or_b64 exec, exec, s[8:9]
	s_and_b64 s[4:5], s[4:5], exec
	s_or_saveexec_b64 s[6:7], s[6:7]
	v_mov_b32_e32 v2, s10
	s_xor_b64 exec, exec, s[6:7]
	s_cbranch_execz .LBB8_1210
.LBB8_3260:
	v_mov_b32_e32 v2, 0
	v_cmp_ne_u16_sdwa s[8:9], v7, v2 src0_sel:BYTE_3 src1_sel:DWORD
	s_andn2_b64 s[4:5], s[4:5], exec
	s_and_b64 s[8:9], s[8:9], exec
	s_or_b64 s[4:5], s[4:5], s[8:9]
	s_or_b64 exec, exec, s[6:7]
	s_and_saveexec_b64 s[6:7], s[4:5]
	s_cbranch_execnz .LBB8_1211
	s_branch .LBB8_1212
.LBB8_3261:
	s_movk_i32 s4, 0x80
	v_cmp_eq_u16_sdwa s[12:13], v3, s4 src0_sel:BYTE_3 src1_sel:DWORD
	s_mov_b64 s[4:5], -1
                                        ; implicit-def: $sgpr10
	s_and_saveexec_b64 s[8:9], s[12:13]
; %bb.3262:
	s_mov_b32 s10, 0x7f800001
	s_xor_b64 s[4:5], exec, -1
; %bb.3263:
	s_or_b64 exec, exec, s[8:9]
	s_and_b64 s[4:5], s[4:5], exec
	s_or_saveexec_b64 s[6:7], s[6:7]
	v_mov_b32_e32 v6, s10
	s_xor_b64 exec, exec, s[6:7]
	s_cbranch_execz .LBB8_1214
.LBB8_3264:
	v_mov_b32_e32 v6, 0
	v_cmp_ne_u16_sdwa s[8:9], v3, v6 src0_sel:BYTE_3 src1_sel:DWORD
	s_andn2_b64 s[4:5], s[4:5], exec
	s_and_b64 s[8:9], s[8:9], exec
	s_or_b64 s[4:5], s[4:5], s[8:9]
	s_or_b64 exec, exec, s[6:7]
	s_and_saveexec_b64 s[6:7], s[4:5]
	s_cbranch_execnz .LBB8_1215
	s_branch .LBB8_1216
.LBB8_3265:
	s_movk_i32 s4, 0x80
	v_cmp_eq_u16_sdwa s[12:13], v8, s4 src0_sel:BYTE_0 src1_sel:DWORD
	s_mov_b64 s[4:5], -1
                                        ; implicit-def: $sgpr10
	s_and_saveexec_b64 s[8:9], s[12:13]
; %bb.3266:
	s_mov_b32 s10, 0x7f800001
	s_xor_b64 s[4:5], exec, -1
; %bb.3267:
	s_or_b64 exec, exec, s[8:9]
	s_and_b64 s[4:5], s[4:5], exec
	s_or_saveexec_b64 s[6:7], s[6:7]
	v_mov_b32_e32 v2, s10
	s_xor_b64 exec, exec, s[6:7]
	s_cbranch_execz .LBB8_1218
.LBB8_3268:
	v_mov_b32_e32 v2, 0
	v_cmp_ne_u16_sdwa s[8:9], v8, v2 src0_sel:BYTE_0 src1_sel:DWORD
	s_andn2_b64 s[4:5], s[4:5], exec
	s_and_b64 s[8:9], s[8:9], exec
	s_or_b64 s[4:5], s[4:5], s[8:9]
	s_or_b64 exec, exec, s[6:7]
	s_and_saveexec_b64 s[6:7], s[4:5]
	s_cbranch_execnz .LBB8_1219
	s_branch .LBB8_1220
.LBB8_3269:
	s_movk_i32 s4, 0x80
	v_cmp_eq_u16_sdwa s[12:13], v4, s4 src0_sel:BYTE_0 src1_sel:DWORD
	s_mov_b64 s[4:5], -1
                                        ; implicit-def: $sgpr10
	s_and_saveexec_b64 s[8:9], s[12:13]
; %bb.3270:
	s_mov_b32 s10, 0x7f800001
	s_xor_b64 s[4:5], exec, -1
; %bb.3271:
	s_or_b64 exec, exec, s[8:9]
	s_and_b64 s[4:5], s[4:5], exec
	s_or_saveexec_b64 s[6:7], s[6:7]
	v_mov_b32_e32 v3, s10
	s_xor_b64 exec, exec, s[6:7]
	s_cbranch_execz .LBB8_1222
.LBB8_3272:
	v_mov_b32_e32 v3, 0
	v_cmp_ne_u16_sdwa s[8:9], v4, v3 src0_sel:BYTE_0 src1_sel:DWORD
	s_andn2_b64 s[4:5], s[4:5], exec
	s_and_b64 s[8:9], s[8:9], exec
	s_or_b64 s[4:5], s[4:5], s[8:9]
	s_or_b64 exec, exec, s[6:7]
	s_and_saveexec_b64 s[6:7], s[4:5]
	s_cbranch_execnz .LBB8_1223
	s_branch .LBB8_1224
.LBB8_3273:
	s_movk_i32 s4, 0x80
	v_cmp_eq_u16_sdwa s[12:13], v3, s4 src0_sel:BYTE_0 src1_sel:DWORD
	s_mov_b64 s[4:5], -1
                                        ; implicit-def: $sgpr10
	s_and_saveexec_b64 s[8:9], s[12:13]
; %bb.3274:
	s_mov_b32 s10, 0x7f800001
	s_xor_b64 s[4:5], exec, -1
; %bb.3275:
	s_or_b64 exec, exec, s[8:9]
	s_and_b64 s[4:5], s[4:5], exec
	s_or_saveexec_b64 s[6:7], s[6:7]
	v_mov_b32_e32 v2, s10
	s_xor_b64 exec, exec, s[6:7]
	s_cbranch_execz .LBB8_1226
.LBB8_3276:
	v_mov_b32_e32 v2, 0
	v_cmp_ne_u16_sdwa s[8:9], v3, v2 src0_sel:BYTE_0 src1_sel:DWORD
	s_andn2_b64 s[4:5], s[4:5], exec
	s_and_b64 s[8:9], s[8:9], exec
	s_or_b64 s[4:5], s[4:5], s[8:9]
	s_or_b64 exec, exec, s[6:7]
	s_and_saveexec_b64 s[6:7], s[4:5]
	s_cbranch_execnz .LBB8_1227
	s_branch .LBB8_1228
.LBB8_3277:
	s_movk_i32 s4, 0x80
	v_cmp_eq_u16_sdwa s[12:13], v3, s4 src0_sel:BYTE_0 src1_sel:DWORD
	s_mov_b64 s[4:5], -1
                                        ; implicit-def: $sgpr10
	s_and_saveexec_b64 s[8:9], s[12:13]
; %bb.3278:
	s_mov_b32 s10, 0x7f800001
	s_xor_b64 s[4:5], exec, -1
; %bb.3279:
	s_or_b64 exec, exec, s[8:9]
	s_and_b64 s[4:5], s[4:5], exec
	s_or_saveexec_b64 s[6:7], s[6:7]
	v_mov_b32_e32 v6, s10
	s_xor_b64 exec, exec, s[6:7]
	s_cbranch_execz .LBB8_1230
.LBB8_3280:
	v_mov_b32_e32 v6, 0
	v_cmp_ne_u16_sdwa s[8:9], v3, v6 src0_sel:BYTE_0 src1_sel:DWORD
	s_andn2_b64 s[4:5], s[4:5], exec
	s_and_b64 s[8:9], s[8:9], exec
	s_or_b64 s[4:5], s[4:5], s[8:9]
	s_or_b64 exec, exec, s[6:7]
	s_and_saveexec_b64 s[6:7], s[4:5]
	s_cbranch_execnz .LBB8_1231
	s_branch .LBB8_1232
.LBB8_3281:
	s_movk_i32 s4, 0x80
	v_cmp_eq_u16_e32 vcc, s4, v3
	s_mov_b64 s[4:5], -1
                                        ; implicit-def: $sgpr10
	s_and_saveexec_b64 s[8:9], vcc
; %bb.3282:
	s_mov_b32 s10, 0x7f800001
	s_xor_b64 s[4:5], exec, -1
; %bb.3283:
	s_or_b64 exec, exec, s[8:9]
	s_and_b64 s[4:5], s[4:5], exec
                                        ; implicit-def: $vgpr3
	s_or_saveexec_b64 s[6:7], s[6:7]
	v_mov_b32_e32 v2, s10
	s_xor_b64 exec, exec, s[6:7]
	s_cbranch_execz .LBB8_1234
.LBB8_3284:
	v_cmp_ne_u16_e32 vcc, 0, v3
	s_andn2_b64 s[4:5], s[4:5], exec
	s_and_b64 s[8:9], vcc, exec
	v_mov_b32_e32 v2, 0
	s_or_b64 s[4:5], s[4:5], s[8:9]
	s_or_b64 exec, exec, s[6:7]
	s_and_saveexec_b64 s[6:7], s[4:5]
	s_cbranch_execnz .LBB8_1235
	s_branch .LBB8_1236
.LBB8_3285:
	s_movk_i32 s4, 0x80
	v_cmp_eq_u16_e32 vcc, s4, v3
	s_mov_b64 s[4:5], -1
                                        ; implicit-def: $sgpr10
	s_and_saveexec_b64 s[8:9], vcc
; %bb.3286:
	s_mov_b32 s10, 0x7f800001
	s_xor_b64 s[4:5], exec, -1
; %bb.3287:
	s_or_b64 exec, exec, s[8:9]
	s_and_b64 s[4:5], s[4:5], exec
                                        ; implicit-def: $vgpr3
	s_or_saveexec_b64 s[6:7], s[6:7]
	v_mov_b32_e32 v6, s10
	s_xor_b64 exec, exec, s[6:7]
	s_cbranch_execz .LBB8_1238
.LBB8_3288:
	v_cmp_ne_u16_e32 vcc, 0, v3
	s_andn2_b64 s[4:5], s[4:5], exec
	s_and_b64 s[8:9], vcc, exec
	v_mov_b32_e32 v6, 0
	s_or_b64 s[4:5], s[4:5], s[8:9]
	s_or_b64 exec, exec, s[6:7]
	s_and_saveexec_b64 s[6:7], s[4:5]
	s_cbranch_execnz .LBB8_1239
	s_branch .LBB8_1240
.LBB8_3289:
	s_movk_i32 s4, 0x80
	v_cmp_eq_u16_sdwa s[12:13], v8, s4 src0_sel:BYTE_3 src1_sel:DWORD
	s_mov_b64 s[4:5], -1
                                        ; implicit-def: $sgpr10
	s_and_saveexec_b64 s[8:9], s[12:13]
; %bb.3290:
	s_mov_b32 s10, 0x7f800001
	s_xor_b64 s[4:5], exec, -1
; %bb.3291:
	s_or_b64 exec, exec, s[8:9]
	s_and_b64 s[4:5], s[4:5], exec
	s_or_saveexec_b64 s[6:7], s[6:7]
	v_mov_b32_e32 v2, s10
	s_xor_b64 exec, exec, s[6:7]
	s_cbranch_execz .LBB8_1242
.LBB8_3292:
	v_mov_b32_e32 v2, 0
	v_cmp_ne_u16_sdwa s[8:9], v8, v2 src0_sel:BYTE_3 src1_sel:DWORD
	s_andn2_b64 s[4:5], s[4:5], exec
	s_and_b64 s[8:9], s[8:9], exec
	s_or_b64 s[4:5], s[4:5], s[8:9]
	s_or_b64 exec, exec, s[6:7]
	s_and_saveexec_b64 s[6:7], s[4:5]
	s_cbranch_execnz .LBB8_1243
	s_branch .LBB8_1244
.LBB8_3293:
	s_movk_i32 s4, 0x80
	v_cmp_eq_u16_sdwa s[12:13], v4, s4 src0_sel:BYTE_3 src1_sel:DWORD
	s_mov_b64 s[4:5], -1
                                        ; implicit-def: $sgpr10
	s_and_saveexec_b64 s[8:9], s[12:13]
; %bb.3294:
	s_mov_b32 s10, 0x7f800001
	s_xor_b64 s[4:5], exec, -1
; %bb.3295:
	s_or_b64 exec, exec, s[8:9]
	s_and_b64 s[4:5], s[4:5], exec
	s_or_saveexec_b64 s[6:7], s[6:7]
	v_mov_b32_e32 v3, s10
	s_xor_b64 exec, exec, s[6:7]
	s_cbranch_execz .LBB8_1246
.LBB8_3296:
	v_mov_b32_e32 v3, 0
	v_cmp_ne_u16_sdwa s[8:9], v4, v3 src0_sel:BYTE_3 src1_sel:DWORD
	s_andn2_b64 s[4:5], s[4:5], exec
	s_and_b64 s[8:9], s[8:9], exec
	s_or_b64 s[4:5], s[4:5], s[8:9]
	s_or_b64 exec, exec, s[6:7]
	s_and_saveexec_b64 s[6:7], s[4:5]
	s_cbranch_execnz .LBB8_1247
	s_branch .LBB8_1248
.LBB8_3297:
	s_movk_i32 s4, 0x80
	v_cmp_eq_u16_sdwa s[12:13], v9, s4 src0_sel:BYTE_0 src1_sel:DWORD
	s_mov_b64 s[4:5], -1
                                        ; implicit-def: $sgpr10
	s_and_saveexec_b64 s[8:9], s[12:13]
; %bb.3298:
	s_mov_b32 s10, 0x7f800001
	s_xor_b64 s[4:5], exec, -1
; %bb.3299:
	s_or_b64 exec, exec, s[8:9]
	s_and_b64 s[4:5], s[4:5], exec
	s_or_saveexec_b64 s[6:7], s[6:7]
	v_mov_b32_e32 v2, s10
	s_xor_b64 exec, exec, s[6:7]
	s_cbranch_execz .LBB8_1250
.LBB8_3300:
	v_mov_b32_e32 v2, 0
	v_cmp_ne_u16_sdwa s[8:9], v9, v2 src0_sel:BYTE_0 src1_sel:DWORD
	s_andn2_b64 s[4:5], s[4:5], exec
	s_and_b64 s[8:9], s[8:9], exec
	s_or_b64 s[4:5], s[4:5], s[8:9]
	s_or_b64 exec, exec, s[6:7]
	s_and_saveexec_b64 s[6:7], s[4:5]
	s_cbranch_execnz .LBB8_1251
	s_branch .LBB8_1252
.LBB8_3301:
	s_movk_i32 s4, 0x80
	v_cmp_eq_u16_sdwa s[12:13], v5, s4 src0_sel:BYTE_0 src1_sel:DWORD
	s_mov_b64 s[4:5], -1
                                        ; implicit-def: $sgpr10
	s_and_saveexec_b64 s[8:9], s[12:13]
; %bb.3302:
	s_mov_b32 s10, 0x7f800001
	s_xor_b64 s[4:5], exec, -1
; %bb.3303:
	s_or_b64 exec, exec, s[8:9]
	s_and_b64 s[4:5], s[4:5], exec
	s_or_saveexec_b64 s[6:7], s[6:7]
	v_mov_b32_e32 v3, s10
	s_xor_b64 exec, exec, s[6:7]
	s_cbranch_execz .LBB8_1254
.LBB8_3304:
	v_mov_b32_e32 v3, 0
	v_cmp_ne_u16_sdwa s[8:9], v5, v3 src0_sel:BYTE_0 src1_sel:DWORD
	s_andn2_b64 s[4:5], s[4:5], exec
	s_and_b64 s[8:9], s[8:9], exec
	s_or_b64 s[4:5], s[4:5], s[8:9]
	s_or_b64 exec, exec, s[6:7]
	s_and_saveexec_b64 s[6:7], s[4:5]
	s_cbranch_execnz .LBB8_1255
	s_branch .LBB8_1256
.LBB8_3305:
	s_movk_i32 s4, 0x80
	v_cmp_eq_u16_sdwa s[12:13], v3, s4 src0_sel:BYTE_0 src1_sel:DWORD
	s_mov_b64 s[4:5], -1
                                        ; implicit-def: $sgpr10
	s_and_saveexec_b64 s[8:9], s[12:13]
; %bb.3306:
	s_mov_b32 s10, 0x7f800001
	s_xor_b64 s[4:5], exec, -1
; %bb.3307:
	s_or_b64 exec, exec, s[8:9]
	s_and_b64 s[4:5], s[4:5], exec
	s_or_saveexec_b64 s[6:7], s[6:7]
	v_mov_b32_e32 v2, s10
	s_xor_b64 exec, exec, s[6:7]
	s_cbranch_execz .LBB8_1258
.LBB8_3308:
	v_mov_b32_e32 v2, 0
	v_cmp_ne_u16_sdwa s[8:9], v3, v2 src0_sel:BYTE_0 src1_sel:DWORD
	s_andn2_b64 s[4:5], s[4:5], exec
	s_and_b64 s[8:9], s[8:9], exec
	s_or_b64 s[4:5], s[4:5], s[8:9]
	s_or_b64 exec, exec, s[6:7]
	s_and_saveexec_b64 s[6:7], s[4:5]
	s_cbranch_execnz .LBB8_1259
	s_branch .LBB8_1260
.LBB8_3309:
	s_movk_i32 s4, 0x80
	v_cmp_eq_u16_sdwa s[12:13], v3, s4 src0_sel:BYTE_0 src1_sel:DWORD
	s_mov_b64 s[4:5], -1
                                        ; implicit-def: $sgpr10
	s_and_saveexec_b64 s[8:9], s[12:13]
; %bb.3310:
	s_mov_b32 s10, 0x7f800001
	s_xor_b64 s[4:5], exec, -1
; %bb.3311:
	s_or_b64 exec, exec, s[8:9]
	s_and_b64 s[4:5], s[4:5], exec
	s_or_saveexec_b64 s[6:7], s[6:7]
	v_mov_b32_e32 v4, s10
	s_xor_b64 exec, exec, s[6:7]
	s_cbranch_execz .LBB8_1262
.LBB8_3312:
	v_mov_b32_e32 v4, 0
	v_cmp_ne_u16_sdwa s[8:9], v3, v4 src0_sel:BYTE_0 src1_sel:DWORD
	s_andn2_b64 s[4:5], s[4:5], exec
	s_and_b64 s[8:9], s[8:9], exec
	s_or_b64 s[4:5], s[4:5], s[8:9]
	s_or_b64 exec, exec, s[6:7]
	s_and_saveexec_b64 s[6:7], s[4:5]
	s_cbranch_execnz .LBB8_1263
	s_branch .LBB8_1264
.LBB8_3313:
	s_movk_i32 s4, 0x80
	v_cmp_eq_u16_e32 vcc, s4, v3
	s_mov_b64 s[4:5], -1
                                        ; implicit-def: $sgpr10
	s_and_saveexec_b64 s[8:9], vcc
; %bb.3314:
	s_mov_b32 s10, 0x7f800001
	s_xor_b64 s[4:5], exec, -1
; %bb.3315:
	s_or_b64 exec, exec, s[8:9]
	s_and_b64 s[4:5], s[4:5], exec
                                        ; implicit-def: $vgpr3
	s_or_saveexec_b64 s[6:7], s[6:7]
	v_mov_b32_e32 v2, s10
	s_xor_b64 exec, exec, s[6:7]
	s_cbranch_execz .LBB8_1266
.LBB8_3316:
	v_cmp_ne_u16_e32 vcc, 0, v3
	s_andn2_b64 s[4:5], s[4:5], exec
	s_and_b64 s[8:9], vcc, exec
	v_mov_b32_e32 v2, 0
	s_or_b64 s[4:5], s[4:5], s[8:9]
	s_or_b64 exec, exec, s[6:7]
	s_and_saveexec_b64 s[6:7], s[4:5]
	s_cbranch_execnz .LBB8_1267
	s_branch .LBB8_1268
.LBB8_3317:
	s_movk_i32 s4, 0x80
	v_cmp_eq_u16_e32 vcc, s4, v3
	s_mov_b64 s[4:5], -1
                                        ; implicit-def: $sgpr10
	s_and_saveexec_b64 s[8:9], vcc
; %bb.3318:
	s_mov_b32 s10, 0x7f800001
	s_xor_b64 s[4:5], exec, -1
; %bb.3319:
	s_or_b64 exec, exec, s[8:9]
	s_and_b64 s[4:5], s[4:5], exec
                                        ; implicit-def: $vgpr3
	s_or_saveexec_b64 s[6:7], s[6:7]
	v_mov_b32_e32 v4, s10
	s_xor_b64 exec, exec, s[6:7]
	s_cbranch_execz .LBB8_1270
.LBB8_3320:
	v_cmp_ne_u16_e32 vcc, 0, v3
	s_andn2_b64 s[4:5], s[4:5], exec
	s_and_b64 s[8:9], vcc, exec
	v_mov_b32_e32 v4, 0
	s_or_b64 s[4:5], s[4:5], s[8:9]
	s_or_b64 exec, exec, s[6:7]
	s_and_saveexec_b64 s[6:7], s[4:5]
	s_cbranch_execnz .LBB8_1271
	s_branch .LBB8_1272
.LBB8_3321:
	s_movk_i32 s4, 0x80
	v_cmp_eq_u16_sdwa s[12:13], v9, s4 src0_sel:BYTE_3 src1_sel:DWORD
	s_mov_b64 s[4:5], -1
                                        ; implicit-def: $sgpr10
	s_and_saveexec_b64 s[8:9], s[12:13]
; %bb.3322:
	s_mov_b32 s10, 0x7f800001
	s_xor_b64 s[4:5], exec, -1
; %bb.3323:
	s_or_b64 exec, exec, s[8:9]
	s_and_b64 s[4:5], s[4:5], exec
	s_or_saveexec_b64 s[6:7], s[6:7]
	v_mov_b32_e32 v2, s10
	s_xor_b64 exec, exec, s[6:7]
	s_cbranch_execz .LBB8_1274
.LBB8_3324:
	v_mov_b32_e32 v2, 0
	v_cmp_ne_u16_sdwa s[8:9], v9, v2 src0_sel:BYTE_3 src1_sel:DWORD
	s_andn2_b64 s[4:5], s[4:5], exec
	s_and_b64 s[8:9], s[8:9], exec
	s_or_b64 s[4:5], s[4:5], s[8:9]
	s_or_b64 exec, exec, s[6:7]
	s_and_saveexec_b64 s[6:7], s[4:5]
	s_cbranch_execnz .LBB8_1275
	s_branch .LBB8_1276
.LBB8_3325:
	s_movk_i32 s4, 0x80
	v_cmp_eq_u16_sdwa s[12:13], v5, s4 src0_sel:BYTE_3 src1_sel:DWORD
	s_mov_b64 s[4:5], -1
                                        ; implicit-def: $sgpr10
	s_and_saveexec_b64 s[8:9], s[12:13]
; %bb.3326:
	s_mov_b32 s10, 0x7f800001
	s_xor_b64 s[4:5], exec, -1
; %bb.3327:
	s_or_b64 exec, exec, s[8:9]
	s_and_b64 s[4:5], s[4:5], exec
	s_or_saveexec_b64 s[6:7], s[6:7]
	v_mov_b32_e32 v3, s10
	s_xor_b64 exec, exec, s[6:7]
	s_cbranch_execz .LBB8_1278
.LBB8_3328:
	v_mov_b32_e32 v3, 0
	v_cmp_ne_u16_sdwa s[8:9], v5, v3 src0_sel:BYTE_3 src1_sel:DWORD
	s_andn2_b64 s[4:5], s[4:5], exec
	s_and_b64 s[8:9], s[8:9], exec
	s_or_b64 s[4:5], s[4:5], s[8:9]
	s_or_b64 exec, exec, s[6:7]
	s_and_saveexec_b64 s[6:7], s[4:5]
	s_cbranch_execnz .LBB8_1279
	s_branch .LBB8_1280
.LBB8_3329:
	s_movk_i32 s4, 0x80
	v_cmp_eq_u16_sdwa s[12:13], v6, s4 src0_sel:BYTE_0 src1_sel:DWORD
	s_mov_b64 s[4:5], -1
                                        ; implicit-def: $sgpr10
	s_and_saveexec_b64 s[8:9], s[12:13]
; %bb.3330:
	s_mov_b32 s10, 0x7f800001
	s_xor_b64 s[4:5], exec, -1
; %bb.3331:
	s_or_b64 exec, exec, s[8:9]
	s_and_b64 s[4:5], s[4:5], exec
	s_or_saveexec_b64 s[6:7], s[6:7]
	v_mov_b32_e32 v12, s10
	s_xor_b64 exec, exec, s[6:7]
	s_cbranch_execz .LBB8_1282
.LBB8_3332:
	v_mov_b32_e32 v12, 0
	v_cmp_ne_u16_sdwa s[8:9], v6, v12 src0_sel:BYTE_0 src1_sel:DWORD
	s_andn2_b64 s[4:5], s[4:5], exec
	s_and_b64 s[8:9], s[8:9], exec
	s_or_b64 s[4:5], s[4:5], s[8:9]
	s_or_b64 exec, exec, s[6:7]
	s_and_saveexec_b64 s[6:7], s[4:5]
	s_cbranch_execnz .LBB8_1283
	s_branch .LBB8_1284
.LBB8_3333:
	s_movk_i32 s4, 0x80
	v_cmp_eq_u16_sdwa s[12:13], v2, s4 src0_sel:BYTE_0 src1_sel:DWORD
	s_mov_b64 s[4:5], -1
                                        ; implicit-def: $sgpr10
	s_and_saveexec_b64 s[8:9], s[12:13]
; %bb.3334:
	s_mov_b32 s10, 0x7f800001
	s_xor_b64 s[4:5], exec, -1
; %bb.3335:
	s_or_b64 exec, exec, s[8:9]
	s_and_b64 s[4:5], s[4:5], exec
	s_or_saveexec_b64 s[6:7], s[6:7]
	v_mov_b32_e32 v13, s10
	s_xor_b64 exec, exec, s[6:7]
	s_cbranch_execz .LBB8_1286
.LBB8_3336:
	v_mov_b32_e32 v13, 0
	v_cmp_ne_u16_sdwa s[8:9], v2, v13 src0_sel:BYTE_0 src1_sel:DWORD
	s_andn2_b64 s[4:5], s[4:5], exec
	s_and_b64 s[8:9], s[8:9], exec
	s_or_b64 s[4:5], s[4:5], s[8:9]
	s_or_b64 exec, exec, s[6:7]
	s_and_saveexec_b64 s[6:7], s[4:5]
	s_cbranch_execnz .LBB8_1287
	s_branch .LBB8_1288
.LBB8_3337:
	s_movk_i32 s4, 0x80
	v_cmp_eq_u16_sdwa s[12:13], v13, s4 src0_sel:BYTE_0 src1_sel:DWORD
	s_mov_b64 s[4:5], -1
                                        ; implicit-def: $sgpr10
	s_and_saveexec_b64 s[8:9], s[12:13]
; %bb.3338:
	s_mov_b32 s10, 0x7f800001
	s_xor_b64 s[4:5], exec, -1
; %bb.3339:
	s_or_b64 exec, exec, s[8:9]
	s_and_b64 s[4:5], s[4:5], exec
	s_or_saveexec_b64 s[6:7], s[6:7]
	v_mov_b32_e32 v12, s10
	s_xor_b64 exec, exec, s[6:7]
	s_cbranch_execz .LBB8_1290
.LBB8_3340:
	v_mov_b32_e32 v12, 0
	v_cmp_ne_u16_sdwa s[8:9], v13, v12 src0_sel:BYTE_0 src1_sel:DWORD
	s_andn2_b64 s[4:5], s[4:5], exec
	s_and_b64 s[8:9], s[8:9], exec
	s_or_b64 s[4:5], s[4:5], s[8:9]
	s_or_b64 exec, exec, s[6:7]
	s_and_saveexec_b64 s[6:7], s[4:5]
	s_cbranch_execnz .LBB8_1291
	s_branch .LBB8_1292
.LBB8_3341:
	s_movk_i32 s4, 0x80
	v_cmp_eq_u16_sdwa s[12:13], v13, s4 src0_sel:BYTE_0 src1_sel:DWORD
	s_mov_b64 s[4:5], -1
                                        ; implicit-def: $sgpr10
	s_and_saveexec_b64 s[8:9], s[12:13]
; %bb.3342:
	s_mov_b32 s10, 0x7f800001
	s_xor_b64 s[4:5], exec, -1
; %bb.3343:
	s_or_b64 exec, exec, s[8:9]
	s_and_b64 s[4:5], s[4:5], exec
	s_or_saveexec_b64 s[6:7], s[6:7]
	v_mov_b32_e32 v14, s10
	s_xor_b64 exec, exec, s[6:7]
	s_cbranch_execz .LBB8_1294
.LBB8_3344:
	v_mov_b32_e32 v14, 0
	v_cmp_ne_u16_sdwa s[8:9], v13, v14 src0_sel:BYTE_0 src1_sel:DWORD
	s_andn2_b64 s[4:5], s[4:5], exec
	s_and_b64 s[8:9], s[8:9], exec
	s_or_b64 s[4:5], s[4:5], s[8:9]
	s_or_b64 exec, exec, s[6:7]
	s_and_saveexec_b64 s[6:7], s[4:5]
	s_cbranch_execnz .LBB8_1295
	s_branch .LBB8_1296
.LBB8_3345:
	s_movk_i32 s4, 0x80
	v_cmp_eq_u16_e32 vcc, s4, v13
	s_mov_b64 s[4:5], -1
                                        ; implicit-def: $sgpr10
	s_and_saveexec_b64 s[8:9], vcc
; %bb.3346:
	s_mov_b32 s10, 0x7f800001
	s_xor_b64 s[4:5], exec, -1
; %bb.3347:
	s_or_b64 exec, exec, s[8:9]
	s_and_b64 s[4:5], s[4:5], exec
                                        ; implicit-def: $vgpr13
	s_or_saveexec_b64 s[6:7], s[6:7]
	v_mov_b32_e32 v12, s10
	s_xor_b64 exec, exec, s[6:7]
	s_cbranch_execz .LBB8_1298
.LBB8_3348:
	v_cmp_ne_u16_e32 vcc, 0, v13
	s_andn2_b64 s[4:5], s[4:5], exec
	s_and_b64 s[8:9], vcc, exec
	v_mov_b32_e32 v12, 0
	s_or_b64 s[4:5], s[4:5], s[8:9]
	s_or_b64 exec, exec, s[6:7]
	s_and_saveexec_b64 s[6:7], s[4:5]
	s_cbranch_execnz .LBB8_1299
	s_branch .LBB8_1300
.LBB8_3349:
	s_movk_i32 s4, 0x80
	v_cmp_eq_u16_e32 vcc, s4, v13
	s_mov_b64 s[4:5], -1
                                        ; implicit-def: $sgpr10
	s_and_saveexec_b64 s[8:9], vcc
; %bb.3350:
	s_mov_b32 s10, 0x7f800001
	s_xor_b64 s[4:5], exec, -1
; %bb.3351:
	s_or_b64 exec, exec, s[8:9]
	s_and_b64 s[4:5], s[4:5], exec
                                        ; implicit-def: $vgpr13
	s_or_saveexec_b64 s[6:7], s[6:7]
	v_mov_b32_e32 v14, s10
	s_xor_b64 exec, exec, s[6:7]
	s_cbranch_execz .LBB8_1302
.LBB8_3352:
	v_cmp_ne_u16_e32 vcc, 0, v13
	s_andn2_b64 s[4:5], s[4:5], exec
	s_and_b64 s[8:9], vcc, exec
	v_mov_b32_e32 v14, 0
	s_or_b64 s[4:5], s[4:5], s[8:9]
	s_or_b64 exec, exec, s[6:7]
	s_and_saveexec_b64 s[6:7], s[4:5]
	s_cbranch_execnz .LBB8_1303
	s_branch .LBB8_1304
.LBB8_3353:
	s_movk_i32 s4, 0x80
	v_cmp_eq_u16_sdwa s[12:13], v6, s4 src0_sel:BYTE_3 src1_sel:DWORD
	s_mov_b64 s[4:5], -1
                                        ; implicit-def: $sgpr10
	s_and_saveexec_b64 s[8:9], s[12:13]
; %bb.3354:
	s_mov_b32 s10, 0x7f800001
	s_xor_b64 s[4:5], exec, -1
; %bb.3355:
	s_or_b64 exec, exec, s[8:9]
	s_and_b64 s[4:5], s[4:5], exec
	s_or_saveexec_b64 s[6:7], s[6:7]
	v_mov_b32_e32 v12, s10
	s_xor_b64 exec, exec, s[6:7]
	s_cbranch_execz .LBB8_1306
.LBB8_3356:
	v_mov_b32_e32 v12, 0
	v_cmp_ne_u16_sdwa s[8:9], v6, v12 src0_sel:BYTE_3 src1_sel:DWORD
	s_andn2_b64 s[4:5], s[4:5], exec
	s_and_b64 s[8:9], s[8:9], exec
	s_or_b64 s[4:5], s[4:5], s[8:9]
	s_or_b64 exec, exec, s[6:7]
	s_and_saveexec_b64 s[6:7], s[4:5]
	s_cbranch_execnz .LBB8_1307
	s_branch .LBB8_1308
.LBB8_3357:
	s_movk_i32 s4, 0x80
	v_cmp_eq_u16_sdwa s[12:13], v2, s4 src0_sel:BYTE_3 src1_sel:DWORD
	s_mov_b64 s[4:5], -1
                                        ; implicit-def: $sgpr10
	s_and_saveexec_b64 s[8:9], s[12:13]
; %bb.3358:
	s_mov_b32 s10, 0x7f800001
	s_xor_b64 s[4:5], exec, -1
; %bb.3359:
	s_or_b64 exec, exec, s[8:9]
	s_and_b64 s[4:5], s[4:5], exec
	s_or_saveexec_b64 s[6:7], s[6:7]
	v_mov_b32_e32 v6, s10
	s_xor_b64 exec, exec, s[6:7]
	s_cbranch_execz .LBB8_1310
.LBB8_3360:
	v_mov_b32_e32 v6, 0
	v_cmp_ne_u16_sdwa s[8:9], v2, v6 src0_sel:BYTE_3 src1_sel:DWORD
	s_andn2_b64 s[4:5], s[4:5], exec
	s_and_b64 s[8:9], s[8:9], exec
	s_or_b64 s[4:5], s[4:5], s[8:9]
	s_or_b64 exec, exec, s[6:7]
	s_and_saveexec_b64 s[6:7], s[4:5]
	s_cbranch_execnz .LBB8_1311
	s_branch .LBB8_1312
.LBB8_3361:
	s_movk_i32 s4, 0x80
	v_cmp_eq_u16_sdwa s[12:13], v7, s4 src0_sel:BYTE_0 src1_sel:DWORD
	s_mov_b64 s[4:5], -1
                                        ; implicit-def: $sgpr10
	s_and_saveexec_b64 s[8:9], s[12:13]
; %bb.3362:
	s_mov_b32 s10, 0x7f800001
	s_xor_b64 s[4:5], exec, -1
; %bb.3363:
	s_or_b64 exec, exec, s[8:9]
	s_and_b64 s[4:5], s[4:5], exec
	s_or_saveexec_b64 s[6:7], s[6:7]
	v_mov_b32_e32 v2, s10
	s_xor_b64 exec, exec, s[6:7]
	s_cbranch_execz .LBB8_1314
.LBB8_3364:
	v_mov_b32_e32 v2, 0
	v_cmp_ne_u16_sdwa s[8:9], v7, v2 src0_sel:BYTE_0 src1_sel:DWORD
	s_andn2_b64 s[4:5], s[4:5], exec
	s_and_b64 s[8:9], s[8:9], exec
	s_or_b64 s[4:5], s[4:5], s[8:9]
	s_or_b64 exec, exec, s[6:7]
	s_and_saveexec_b64 s[6:7], s[4:5]
	s_cbranch_execnz .LBB8_1315
	s_branch .LBB8_1316
.LBB8_3365:
	s_movk_i32 s4, 0x80
	v_cmp_eq_u16_sdwa s[12:13], v3, s4 src0_sel:BYTE_0 src1_sel:DWORD
	s_mov_b64 s[4:5], -1
                                        ; implicit-def: $sgpr10
	s_and_saveexec_b64 s[8:9], s[12:13]
; %bb.3366:
	s_mov_b32 s10, 0x7f800001
	s_xor_b64 s[4:5], exec, -1
; %bb.3367:
	s_or_b64 exec, exec, s[8:9]
	s_and_b64 s[4:5], s[4:5], exec
	s_or_saveexec_b64 s[6:7], s[6:7]
	v_mov_b32_e32 v6, s10
	s_xor_b64 exec, exec, s[6:7]
	s_cbranch_execz .LBB8_1318
.LBB8_3368:
	v_mov_b32_e32 v6, 0
	v_cmp_ne_u16_sdwa s[8:9], v3, v6 src0_sel:BYTE_0 src1_sel:DWORD
	s_andn2_b64 s[4:5], s[4:5], exec
	s_and_b64 s[8:9], s[8:9], exec
	s_or_b64 s[4:5], s[4:5], s[8:9]
	s_or_b64 exec, exec, s[6:7]
	s_and_saveexec_b64 s[6:7], s[4:5]
	s_cbranch_execnz .LBB8_1319
	s_branch .LBB8_1320
.LBB8_3369:
	s_movk_i32 s4, 0x80
	v_cmp_eq_u16_sdwa s[12:13], v6, s4 src0_sel:BYTE_0 src1_sel:DWORD
	s_mov_b64 s[4:5], -1
                                        ; implicit-def: $sgpr10
	s_and_saveexec_b64 s[8:9], s[12:13]
; %bb.3370:
	s_mov_b32 s10, 0x7f800001
	s_xor_b64 s[4:5], exec, -1
; %bb.3371:
	s_or_b64 exec, exec, s[8:9]
	s_and_b64 s[4:5], s[4:5], exec
	s_or_saveexec_b64 s[6:7], s[6:7]
	v_mov_b32_e32 v2, s10
	s_xor_b64 exec, exec, s[6:7]
	s_cbranch_execz .LBB8_1322
.LBB8_3372:
	v_mov_b32_e32 v2, 0
	v_cmp_ne_u16_sdwa s[8:9], v6, v2 src0_sel:BYTE_0 src1_sel:DWORD
	s_andn2_b64 s[4:5], s[4:5], exec
	s_and_b64 s[8:9], s[8:9], exec
	s_or_b64 s[4:5], s[4:5], s[8:9]
	s_or_b64 exec, exec, s[6:7]
	s_and_saveexec_b64 s[6:7], s[4:5]
	s_cbranch_execnz .LBB8_1323
	s_branch .LBB8_1324
.LBB8_3373:
	s_movk_i32 s4, 0x80
	v_cmp_eq_u16_sdwa s[12:13], v6, s4 src0_sel:BYTE_0 src1_sel:DWORD
	s_mov_b64 s[4:5], -1
                                        ; implicit-def: $sgpr10
	s_and_saveexec_b64 s[8:9], s[12:13]
; %bb.3374:
	s_mov_b32 s10, 0x7f800001
	s_xor_b64 s[4:5], exec, -1
; %bb.3375:
	s_or_b64 exec, exec, s[8:9]
	s_and_b64 s[4:5], s[4:5], exec
	s_or_saveexec_b64 s[6:7], s[6:7]
	v_mov_b32_e32 v12, s10
	s_xor_b64 exec, exec, s[6:7]
	s_cbranch_execz .LBB8_1326
.LBB8_3376:
	v_mov_b32_e32 v12, 0
	v_cmp_ne_u16_sdwa s[8:9], v6, v12 src0_sel:BYTE_0 src1_sel:DWORD
	s_andn2_b64 s[4:5], s[4:5], exec
	s_and_b64 s[8:9], s[8:9], exec
	s_or_b64 s[4:5], s[4:5], s[8:9]
	s_or_b64 exec, exec, s[6:7]
	s_and_saveexec_b64 s[6:7], s[4:5]
	s_cbranch_execnz .LBB8_1327
	s_branch .LBB8_1328
.LBB8_3377:
	s_movk_i32 s4, 0x80
	v_cmp_eq_u16_e32 vcc, s4, v6
	s_mov_b64 s[4:5], -1
                                        ; implicit-def: $sgpr10
	s_and_saveexec_b64 s[8:9], vcc
; %bb.3378:
	s_mov_b32 s10, 0x7f800001
	s_xor_b64 s[4:5], exec, -1
; %bb.3379:
	s_or_b64 exec, exec, s[8:9]
	s_and_b64 s[4:5], s[4:5], exec
                                        ; implicit-def: $vgpr6
	s_or_saveexec_b64 s[6:7], s[6:7]
	v_mov_b32_e32 v2, s10
	s_xor_b64 exec, exec, s[6:7]
	s_cbranch_execz .LBB8_1330
.LBB8_3380:
	v_cmp_ne_u16_e32 vcc, 0, v6
	s_andn2_b64 s[4:5], s[4:5], exec
	s_and_b64 s[8:9], vcc, exec
	v_mov_b32_e32 v2, 0
	s_or_b64 s[4:5], s[4:5], s[8:9]
	s_or_b64 exec, exec, s[6:7]
	s_and_saveexec_b64 s[6:7], s[4:5]
	s_cbranch_execnz .LBB8_1331
	s_branch .LBB8_1332
.LBB8_3381:
	s_movk_i32 s4, 0x80
	v_cmp_eq_u16_e32 vcc, s4, v6
	s_mov_b64 s[4:5], -1
                                        ; implicit-def: $sgpr10
	s_and_saveexec_b64 s[8:9], vcc
; %bb.3382:
	s_mov_b32 s10, 0x7f800001
	s_xor_b64 s[4:5], exec, -1
; %bb.3383:
	s_or_b64 exec, exec, s[8:9]
	s_and_b64 s[4:5], s[4:5], exec
                                        ; implicit-def: $vgpr6
	s_or_saveexec_b64 s[6:7], s[6:7]
	v_mov_b32_e32 v12, s10
	s_xor_b64 exec, exec, s[6:7]
	s_cbranch_execz .LBB8_1334
.LBB8_3384:
	v_cmp_ne_u16_e32 vcc, 0, v6
	s_andn2_b64 s[4:5], s[4:5], exec
	s_and_b64 s[8:9], vcc, exec
	v_mov_b32_e32 v12, 0
	s_or_b64 s[4:5], s[4:5], s[8:9]
	s_or_b64 exec, exec, s[6:7]
	s_and_saveexec_b64 s[6:7], s[4:5]
	s_cbranch_execnz .LBB8_1335
	s_branch .LBB8_1336
.LBB8_3385:
	s_movk_i32 s4, 0x80
	v_cmp_eq_u16_sdwa s[12:13], v7, s4 src0_sel:BYTE_3 src1_sel:DWORD
	s_mov_b64 s[4:5], -1
                                        ; implicit-def: $sgpr10
	s_and_saveexec_b64 s[8:9], s[12:13]
; %bb.3386:
	s_mov_b32 s10, 0x7f800001
	s_xor_b64 s[4:5], exec, -1
; %bb.3387:
	s_or_b64 exec, exec, s[8:9]
	s_and_b64 s[4:5], s[4:5], exec
	s_or_saveexec_b64 s[6:7], s[6:7]
	v_mov_b32_e32 v2, s10
	s_xor_b64 exec, exec, s[6:7]
	s_cbranch_execz .LBB8_1338
.LBB8_3388:
	v_mov_b32_e32 v2, 0
	v_cmp_ne_u16_sdwa s[8:9], v7, v2 src0_sel:BYTE_3 src1_sel:DWORD
	s_andn2_b64 s[4:5], s[4:5], exec
	s_and_b64 s[8:9], s[8:9], exec
	s_or_b64 s[4:5], s[4:5], s[8:9]
	s_or_b64 exec, exec, s[6:7]
	s_and_saveexec_b64 s[6:7], s[4:5]
	s_cbranch_execnz .LBB8_1339
	s_branch .LBB8_1340
.LBB8_3389:
	s_movk_i32 s4, 0x80
	v_cmp_eq_u16_sdwa s[12:13], v3, s4 src0_sel:BYTE_3 src1_sel:DWORD
	s_mov_b64 s[4:5], -1
                                        ; implicit-def: $sgpr10
	s_and_saveexec_b64 s[8:9], s[12:13]
; %bb.3390:
	s_mov_b32 s10, 0x7f800001
	s_xor_b64 s[4:5], exec, -1
; %bb.3391:
	s_or_b64 exec, exec, s[8:9]
	s_and_b64 s[4:5], s[4:5], exec
	s_or_saveexec_b64 s[6:7], s[6:7]
	v_mov_b32_e32 v6, s10
	s_xor_b64 exec, exec, s[6:7]
	s_cbranch_execz .LBB8_1342
.LBB8_3392:
	v_mov_b32_e32 v6, 0
	v_cmp_ne_u16_sdwa s[8:9], v3, v6 src0_sel:BYTE_3 src1_sel:DWORD
	s_andn2_b64 s[4:5], s[4:5], exec
	s_and_b64 s[8:9], s[8:9], exec
	s_or_b64 s[4:5], s[4:5], s[8:9]
	s_or_b64 exec, exec, s[6:7]
	s_and_saveexec_b64 s[6:7], s[4:5]
	s_cbranch_execnz .LBB8_1343
	s_branch .LBB8_1344
.LBB8_3393:
	s_movk_i32 s4, 0x80
	v_cmp_eq_u16_sdwa s[12:13], v8, s4 src0_sel:BYTE_0 src1_sel:DWORD
	s_mov_b64 s[4:5], -1
                                        ; implicit-def: $sgpr10
	s_and_saveexec_b64 s[8:9], s[12:13]
; %bb.3394:
	s_mov_b32 s10, 0x7f800001
	s_xor_b64 s[4:5], exec, -1
; %bb.3395:
	s_or_b64 exec, exec, s[8:9]
	s_and_b64 s[4:5], s[4:5], exec
	s_or_saveexec_b64 s[6:7], s[6:7]
	v_mov_b32_e32 v2, s10
	s_xor_b64 exec, exec, s[6:7]
	s_cbranch_execz .LBB8_1346
.LBB8_3396:
	v_mov_b32_e32 v2, 0
	v_cmp_ne_u16_sdwa s[8:9], v8, v2 src0_sel:BYTE_0 src1_sel:DWORD
	s_andn2_b64 s[4:5], s[4:5], exec
	s_and_b64 s[8:9], s[8:9], exec
	s_or_b64 s[4:5], s[4:5], s[8:9]
	s_or_b64 exec, exec, s[6:7]
	s_and_saveexec_b64 s[6:7], s[4:5]
	s_cbranch_execnz .LBB8_1347
	s_branch .LBB8_1348
.LBB8_3397:
	s_movk_i32 s4, 0x80
	v_cmp_eq_u16_sdwa s[12:13], v4, s4 src0_sel:BYTE_0 src1_sel:DWORD
	s_mov_b64 s[4:5], -1
                                        ; implicit-def: $sgpr10
	s_and_saveexec_b64 s[8:9], s[12:13]
; %bb.3398:
	s_mov_b32 s10, 0x7f800001
	s_xor_b64 s[4:5], exec, -1
; %bb.3399:
	s_or_b64 exec, exec, s[8:9]
	s_and_b64 s[4:5], s[4:5], exec
	s_or_saveexec_b64 s[6:7], s[6:7]
	v_mov_b32_e32 v3, s10
	s_xor_b64 exec, exec, s[6:7]
	s_cbranch_execz .LBB8_1350
.LBB8_3400:
	v_mov_b32_e32 v3, 0
	v_cmp_ne_u16_sdwa s[8:9], v4, v3 src0_sel:BYTE_0 src1_sel:DWORD
	s_andn2_b64 s[4:5], s[4:5], exec
	s_and_b64 s[8:9], s[8:9], exec
	s_or_b64 s[4:5], s[4:5], s[8:9]
	s_or_b64 exec, exec, s[6:7]
	s_and_saveexec_b64 s[6:7], s[4:5]
	s_cbranch_execnz .LBB8_1351
	s_branch .LBB8_1352
.LBB8_3401:
	s_movk_i32 s4, 0x80
	v_cmp_eq_u16_sdwa s[12:13], v3, s4 src0_sel:BYTE_0 src1_sel:DWORD
	s_mov_b64 s[4:5], -1
                                        ; implicit-def: $sgpr10
	s_and_saveexec_b64 s[8:9], s[12:13]
; %bb.3402:
	s_mov_b32 s10, 0x7f800001
	s_xor_b64 s[4:5], exec, -1
; %bb.3403:
	s_or_b64 exec, exec, s[8:9]
	s_and_b64 s[4:5], s[4:5], exec
	s_or_saveexec_b64 s[6:7], s[6:7]
	v_mov_b32_e32 v2, s10
	s_xor_b64 exec, exec, s[6:7]
	s_cbranch_execz .LBB8_1354
.LBB8_3404:
	v_mov_b32_e32 v2, 0
	v_cmp_ne_u16_sdwa s[8:9], v3, v2 src0_sel:BYTE_0 src1_sel:DWORD
	s_andn2_b64 s[4:5], s[4:5], exec
	s_and_b64 s[8:9], s[8:9], exec
	s_or_b64 s[4:5], s[4:5], s[8:9]
	s_or_b64 exec, exec, s[6:7]
	s_and_saveexec_b64 s[6:7], s[4:5]
	s_cbranch_execnz .LBB8_1355
	s_branch .LBB8_1356
.LBB8_3405:
	s_movk_i32 s4, 0x80
	v_cmp_eq_u16_sdwa s[12:13], v3, s4 src0_sel:BYTE_0 src1_sel:DWORD
	s_mov_b64 s[4:5], -1
                                        ; implicit-def: $sgpr10
	s_and_saveexec_b64 s[8:9], s[12:13]
; %bb.3406:
	s_mov_b32 s10, 0x7f800001
	s_xor_b64 s[4:5], exec, -1
; %bb.3407:
	s_or_b64 exec, exec, s[8:9]
	s_and_b64 s[4:5], s[4:5], exec
	s_or_saveexec_b64 s[6:7], s[6:7]
	v_mov_b32_e32 v6, s10
	s_xor_b64 exec, exec, s[6:7]
	s_cbranch_execz .LBB8_1358
.LBB8_3408:
	v_mov_b32_e32 v6, 0
	v_cmp_ne_u16_sdwa s[8:9], v3, v6 src0_sel:BYTE_0 src1_sel:DWORD
	s_andn2_b64 s[4:5], s[4:5], exec
	s_and_b64 s[8:9], s[8:9], exec
	s_or_b64 s[4:5], s[4:5], s[8:9]
	s_or_b64 exec, exec, s[6:7]
	s_and_saveexec_b64 s[6:7], s[4:5]
	s_cbranch_execnz .LBB8_1359
	s_branch .LBB8_1360
.LBB8_3409:
	s_movk_i32 s4, 0x80
	v_cmp_eq_u16_e32 vcc, s4, v3
	s_mov_b64 s[4:5], -1
                                        ; implicit-def: $sgpr10
	s_and_saveexec_b64 s[8:9], vcc
; %bb.3410:
	s_mov_b32 s10, 0x7f800001
	s_xor_b64 s[4:5], exec, -1
; %bb.3411:
	s_or_b64 exec, exec, s[8:9]
	s_and_b64 s[4:5], s[4:5], exec
                                        ; implicit-def: $vgpr3
	s_or_saveexec_b64 s[6:7], s[6:7]
	v_mov_b32_e32 v2, s10
	s_xor_b64 exec, exec, s[6:7]
	s_cbranch_execz .LBB8_1362
.LBB8_3412:
	v_cmp_ne_u16_e32 vcc, 0, v3
	s_andn2_b64 s[4:5], s[4:5], exec
	s_and_b64 s[8:9], vcc, exec
	v_mov_b32_e32 v2, 0
	s_or_b64 s[4:5], s[4:5], s[8:9]
	s_or_b64 exec, exec, s[6:7]
	s_and_saveexec_b64 s[6:7], s[4:5]
	s_cbranch_execnz .LBB8_1363
	s_branch .LBB8_1364
.LBB8_3413:
	s_movk_i32 s4, 0x80
	v_cmp_eq_u16_e32 vcc, s4, v3
	s_mov_b64 s[4:5], -1
                                        ; implicit-def: $sgpr10
	s_and_saveexec_b64 s[8:9], vcc
; %bb.3414:
	s_mov_b32 s10, 0x7f800001
	s_xor_b64 s[4:5], exec, -1
; %bb.3415:
	s_or_b64 exec, exec, s[8:9]
	s_and_b64 s[4:5], s[4:5], exec
                                        ; implicit-def: $vgpr3
	s_or_saveexec_b64 s[6:7], s[6:7]
	v_mov_b32_e32 v6, s10
	s_xor_b64 exec, exec, s[6:7]
	s_cbranch_execz .LBB8_1366
.LBB8_3416:
	v_cmp_ne_u16_e32 vcc, 0, v3
	s_andn2_b64 s[4:5], s[4:5], exec
	s_and_b64 s[8:9], vcc, exec
	v_mov_b32_e32 v6, 0
	s_or_b64 s[4:5], s[4:5], s[8:9]
	s_or_b64 exec, exec, s[6:7]
	s_and_saveexec_b64 s[6:7], s[4:5]
	s_cbranch_execnz .LBB8_1367
	s_branch .LBB8_1368
.LBB8_3417:
	s_movk_i32 s4, 0x80
	v_cmp_eq_u16_sdwa s[12:13], v8, s4 src0_sel:BYTE_3 src1_sel:DWORD
	s_mov_b64 s[4:5], -1
                                        ; implicit-def: $sgpr10
	s_and_saveexec_b64 s[8:9], s[12:13]
; %bb.3418:
	s_mov_b32 s10, 0x7f800001
	s_xor_b64 s[4:5], exec, -1
; %bb.3419:
	s_or_b64 exec, exec, s[8:9]
	s_and_b64 s[4:5], s[4:5], exec
	s_or_saveexec_b64 s[6:7], s[6:7]
	v_mov_b32_e32 v2, s10
	s_xor_b64 exec, exec, s[6:7]
	s_cbranch_execz .LBB8_1370
.LBB8_3420:
	v_mov_b32_e32 v2, 0
	v_cmp_ne_u16_sdwa s[8:9], v8, v2 src0_sel:BYTE_3 src1_sel:DWORD
	s_andn2_b64 s[4:5], s[4:5], exec
	s_and_b64 s[8:9], s[8:9], exec
	s_or_b64 s[4:5], s[4:5], s[8:9]
	s_or_b64 exec, exec, s[6:7]
	s_and_saveexec_b64 s[6:7], s[4:5]
	s_cbranch_execnz .LBB8_1371
	s_branch .LBB8_1372
.LBB8_3421:
	s_movk_i32 s4, 0x80
	v_cmp_eq_u16_sdwa s[12:13], v4, s4 src0_sel:BYTE_3 src1_sel:DWORD
	s_mov_b64 s[4:5], -1
                                        ; implicit-def: $sgpr10
	s_and_saveexec_b64 s[8:9], s[12:13]
; %bb.3422:
	s_mov_b32 s10, 0x7f800001
	s_xor_b64 s[4:5], exec, -1
; %bb.3423:
	s_or_b64 exec, exec, s[8:9]
	s_and_b64 s[4:5], s[4:5], exec
	s_or_saveexec_b64 s[6:7], s[6:7]
	v_mov_b32_e32 v3, s10
	s_xor_b64 exec, exec, s[6:7]
	s_cbranch_execz .LBB8_1374
.LBB8_3424:
	v_mov_b32_e32 v3, 0
	v_cmp_ne_u16_sdwa s[8:9], v4, v3 src0_sel:BYTE_3 src1_sel:DWORD
	s_andn2_b64 s[4:5], s[4:5], exec
	s_and_b64 s[8:9], s[8:9], exec
	s_or_b64 s[4:5], s[4:5], s[8:9]
	s_or_b64 exec, exec, s[6:7]
	s_and_saveexec_b64 s[6:7], s[4:5]
	s_cbranch_execnz .LBB8_1375
	s_branch .LBB8_1376
.LBB8_3425:
	s_movk_i32 s4, 0x80
	v_cmp_eq_u16_sdwa s[12:13], v9, s4 src0_sel:BYTE_0 src1_sel:DWORD
	s_mov_b64 s[4:5], -1
                                        ; implicit-def: $sgpr10
	s_and_saveexec_b64 s[8:9], s[12:13]
; %bb.3426:
	s_mov_b32 s10, 0x7f800001
	s_xor_b64 s[4:5], exec, -1
; %bb.3427:
	s_or_b64 exec, exec, s[8:9]
	s_and_b64 s[4:5], s[4:5], exec
	s_or_saveexec_b64 s[6:7], s[6:7]
	v_mov_b32_e32 v2, s10
	s_xor_b64 exec, exec, s[6:7]
	s_cbranch_execz .LBB8_1378
.LBB8_3428:
	v_mov_b32_e32 v2, 0
	v_cmp_ne_u16_sdwa s[8:9], v9, v2 src0_sel:BYTE_0 src1_sel:DWORD
	s_andn2_b64 s[4:5], s[4:5], exec
	s_and_b64 s[8:9], s[8:9], exec
	s_or_b64 s[4:5], s[4:5], s[8:9]
	s_or_b64 exec, exec, s[6:7]
	s_and_saveexec_b64 s[6:7], s[4:5]
	s_cbranch_execnz .LBB8_1379
	s_branch .LBB8_1380
.LBB8_3429:
	s_movk_i32 s4, 0x80
	v_cmp_eq_u16_sdwa s[12:13], v5, s4 src0_sel:BYTE_0 src1_sel:DWORD
	s_mov_b64 s[4:5], -1
                                        ; implicit-def: $sgpr10
	s_and_saveexec_b64 s[8:9], s[12:13]
; %bb.3430:
	s_mov_b32 s10, 0x7f800001
	s_xor_b64 s[4:5], exec, -1
; %bb.3431:
	s_or_b64 exec, exec, s[8:9]
	s_and_b64 s[4:5], s[4:5], exec
	s_or_saveexec_b64 s[6:7], s[6:7]
	v_mov_b32_e32 v3, s10
	s_xor_b64 exec, exec, s[6:7]
	s_cbranch_execz .LBB8_1382
.LBB8_3432:
	v_mov_b32_e32 v3, 0
	v_cmp_ne_u16_sdwa s[8:9], v5, v3 src0_sel:BYTE_0 src1_sel:DWORD
	s_andn2_b64 s[4:5], s[4:5], exec
	s_and_b64 s[8:9], s[8:9], exec
	s_or_b64 s[4:5], s[4:5], s[8:9]
	s_or_b64 exec, exec, s[6:7]
	s_and_saveexec_b64 s[6:7], s[4:5]
	s_cbranch_execnz .LBB8_1383
	s_branch .LBB8_1384
.LBB8_3433:
	s_movk_i32 s4, 0x80
	v_cmp_eq_u16_sdwa s[12:13], v3, s4 src0_sel:BYTE_0 src1_sel:DWORD
	s_mov_b64 s[4:5], -1
                                        ; implicit-def: $sgpr10
	s_and_saveexec_b64 s[8:9], s[12:13]
; %bb.3434:
	s_mov_b32 s10, 0x7f800001
	s_xor_b64 s[4:5], exec, -1
; %bb.3435:
	s_or_b64 exec, exec, s[8:9]
	s_and_b64 s[4:5], s[4:5], exec
	s_or_saveexec_b64 s[6:7], s[6:7]
	v_mov_b32_e32 v2, s10
	s_xor_b64 exec, exec, s[6:7]
	s_cbranch_execz .LBB8_1386
.LBB8_3436:
	v_mov_b32_e32 v2, 0
	v_cmp_ne_u16_sdwa s[8:9], v3, v2 src0_sel:BYTE_0 src1_sel:DWORD
	s_andn2_b64 s[4:5], s[4:5], exec
	s_and_b64 s[8:9], s[8:9], exec
	s_or_b64 s[4:5], s[4:5], s[8:9]
	s_or_b64 exec, exec, s[6:7]
	s_and_saveexec_b64 s[6:7], s[4:5]
	s_cbranch_execnz .LBB8_1387
	s_branch .LBB8_1388
.LBB8_3437:
	s_movk_i32 s4, 0x80
	v_cmp_eq_u16_sdwa s[12:13], v3, s4 src0_sel:BYTE_0 src1_sel:DWORD
	s_mov_b64 s[4:5], -1
                                        ; implicit-def: $sgpr10
	s_and_saveexec_b64 s[8:9], s[12:13]
; %bb.3438:
	s_mov_b32 s10, 0x7f800001
	s_xor_b64 s[4:5], exec, -1
; %bb.3439:
	s_or_b64 exec, exec, s[8:9]
	s_and_b64 s[4:5], s[4:5], exec
	s_or_saveexec_b64 s[6:7], s[6:7]
	v_mov_b32_e32 v4, s10
	s_xor_b64 exec, exec, s[6:7]
	s_cbranch_execz .LBB8_1390
.LBB8_3440:
	v_mov_b32_e32 v4, 0
	v_cmp_ne_u16_sdwa s[8:9], v3, v4 src0_sel:BYTE_0 src1_sel:DWORD
	s_andn2_b64 s[4:5], s[4:5], exec
	s_and_b64 s[8:9], s[8:9], exec
	s_or_b64 s[4:5], s[4:5], s[8:9]
	s_or_b64 exec, exec, s[6:7]
	s_and_saveexec_b64 s[6:7], s[4:5]
	s_cbranch_execnz .LBB8_1391
	s_branch .LBB8_1392
.LBB8_3441:
	s_movk_i32 s4, 0x80
	v_cmp_eq_u16_e32 vcc, s4, v3
	s_mov_b64 s[4:5], -1
                                        ; implicit-def: $sgpr10
	s_and_saveexec_b64 s[8:9], vcc
; %bb.3442:
	s_mov_b32 s10, 0x7f800001
	s_xor_b64 s[4:5], exec, -1
; %bb.3443:
	s_or_b64 exec, exec, s[8:9]
	s_and_b64 s[4:5], s[4:5], exec
                                        ; implicit-def: $vgpr3
	s_or_saveexec_b64 s[6:7], s[6:7]
	v_mov_b32_e32 v2, s10
	s_xor_b64 exec, exec, s[6:7]
	s_cbranch_execz .LBB8_1394
.LBB8_3444:
	v_cmp_ne_u16_e32 vcc, 0, v3
	s_andn2_b64 s[4:5], s[4:5], exec
	s_and_b64 s[8:9], vcc, exec
	v_mov_b32_e32 v2, 0
	s_or_b64 s[4:5], s[4:5], s[8:9]
	s_or_b64 exec, exec, s[6:7]
	s_and_saveexec_b64 s[6:7], s[4:5]
	s_cbranch_execnz .LBB8_1395
	s_branch .LBB8_1396
.LBB8_3445:
	s_movk_i32 s4, 0x80
	v_cmp_eq_u16_e32 vcc, s4, v3
	s_mov_b64 s[4:5], -1
                                        ; implicit-def: $sgpr10
	s_and_saveexec_b64 s[8:9], vcc
; %bb.3446:
	s_mov_b32 s10, 0x7f800001
	s_xor_b64 s[4:5], exec, -1
; %bb.3447:
	s_or_b64 exec, exec, s[8:9]
	s_and_b64 s[4:5], s[4:5], exec
                                        ; implicit-def: $vgpr3
	s_or_saveexec_b64 s[6:7], s[6:7]
	v_mov_b32_e32 v4, s10
	s_xor_b64 exec, exec, s[6:7]
	s_cbranch_execz .LBB8_1398
.LBB8_3448:
	v_cmp_ne_u16_e32 vcc, 0, v3
	s_andn2_b64 s[4:5], s[4:5], exec
	s_and_b64 s[8:9], vcc, exec
	v_mov_b32_e32 v4, 0
	s_or_b64 s[4:5], s[4:5], s[8:9]
	s_or_b64 exec, exec, s[6:7]
	s_and_saveexec_b64 s[6:7], s[4:5]
	s_cbranch_execnz .LBB8_1399
	s_branch .LBB8_1400
.LBB8_3449:
	s_movk_i32 s4, 0x80
	v_cmp_eq_u16_sdwa s[12:13], v9, s4 src0_sel:BYTE_3 src1_sel:DWORD
	s_mov_b64 s[4:5], -1
                                        ; implicit-def: $sgpr10
	s_and_saveexec_b64 s[8:9], s[12:13]
; %bb.3450:
	s_mov_b32 s10, 0x7f800001
	s_xor_b64 s[4:5], exec, -1
; %bb.3451:
	s_or_b64 exec, exec, s[8:9]
	s_and_b64 s[4:5], s[4:5], exec
	s_or_saveexec_b64 s[6:7], s[6:7]
	v_mov_b32_e32 v2, s10
	s_xor_b64 exec, exec, s[6:7]
	s_cbranch_execz .LBB8_1402
.LBB8_3452:
	v_mov_b32_e32 v2, 0
	v_cmp_ne_u16_sdwa s[8:9], v9, v2 src0_sel:BYTE_3 src1_sel:DWORD
	s_andn2_b64 s[4:5], s[4:5], exec
	s_and_b64 s[8:9], s[8:9], exec
	s_or_b64 s[4:5], s[4:5], s[8:9]
	s_or_b64 exec, exec, s[6:7]
	s_and_saveexec_b64 s[6:7], s[4:5]
	s_cbranch_execnz .LBB8_1403
	s_branch .LBB8_1404
.LBB8_3453:
	s_movk_i32 s4, 0x80
	v_cmp_eq_u16_sdwa s[12:13], v5, s4 src0_sel:BYTE_3 src1_sel:DWORD
	s_mov_b64 s[4:5], -1
                                        ; implicit-def: $sgpr10
	s_and_saveexec_b64 s[8:9], s[12:13]
; %bb.3454:
	s_mov_b32 s10, 0x7f800001
	s_xor_b64 s[4:5], exec, -1
; %bb.3455:
	s_or_b64 exec, exec, s[8:9]
	s_and_b64 s[4:5], s[4:5], exec
	s_or_saveexec_b64 s[6:7], s[6:7]
	v_mov_b32_e32 v3, s10
	s_xor_b64 exec, exec, s[6:7]
	s_cbranch_execz .LBB8_1406
.LBB8_3456:
	v_mov_b32_e32 v3, 0
	v_cmp_ne_u16_sdwa s[8:9], v5, v3 src0_sel:BYTE_3 src1_sel:DWORD
	s_andn2_b64 s[4:5], s[4:5], exec
	s_and_b64 s[8:9], s[8:9], exec
	s_or_b64 s[4:5], s[4:5], s[8:9]
	s_or_b64 exec, exec, s[6:7]
	s_and_saveexec_b64 s[6:7], s[4:5]
	s_cbranch_execnz .LBB8_1407
	s_branch .LBB8_1408
.LBB8_3457:
	s_movk_i32 s4, 0x80
	v_cmp_eq_u16_sdwa s[12:13], v6, s4 src0_sel:BYTE_0 src1_sel:DWORD
	s_mov_b64 s[4:5], -1
                                        ; implicit-def: $sgpr10
	s_and_saveexec_b64 s[8:9], s[12:13]
; %bb.3458:
	s_mov_b32 s10, 0x7f800001
	s_xor_b64 s[4:5], exec, -1
; %bb.3459:
	s_or_b64 exec, exec, s[8:9]
	s_and_b64 s[4:5], s[4:5], exec
	s_or_saveexec_b64 s[6:7], s[6:7]
	v_mov_b32_e32 v12, s10
	s_xor_b64 exec, exec, s[6:7]
	s_cbranch_execz .LBB8_1410
.LBB8_3460:
	v_mov_b32_e32 v12, 0
	v_cmp_ne_u16_sdwa s[8:9], v6, v12 src0_sel:BYTE_0 src1_sel:DWORD
	s_andn2_b64 s[4:5], s[4:5], exec
	s_and_b64 s[8:9], s[8:9], exec
	s_or_b64 s[4:5], s[4:5], s[8:9]
	s_or_b64 exec, exec, s[6:7]
	s_and_saveexec_b64 s[6:7], s[4:5]
	s_cbranch_execnz .LBB8_1411
	s_branch .LBB8_1412
.LBB8_3461:
	s_movk_i32 s4, 0x80
	v_cmp_eq_u16_sdwa s[12:13], v2, s4 src0_sel:BYTE_0 src1_sel:DWORD
	s_mov_b64 s[4:5], -1
                                        ; implicit-def: $sgpr10
	s_and_saveexec_b64 s[8:9], s[12:13]
; %bb.3462:
	s_mov_b32 s10, 0x7f800001
	s_xor_b64 s[4:5], exec, -1
; %bb.3463:
	s_or_b64 exec, exec, s[8:9]
	s_and_b64 s[4:5], s[4:5], exec
	s_or_saveexec_b64 s[6:7], s[6:7]
	v_mov_b32_e32 v13, s10
	s_xor_b64 exec, exec, s[6:7]
	s_cbranch_execz .LBB8_1414
.LBB8_3464:
	v_mov_b32_e32 v13, 0
	v_cmp_ne_u16_sdwa s[8:9], v2, v13 src0_sel:BYTE_0 src1_sel:DWORD
	s_andn2_b64 s[4:5], s[4:5], exec
	s_and_b64 s[8:9], s[8:9], exec
	s_or_b64 s[4:5], s[4:5], s[8:9]
	s_or_b64 exec, exec, s[6:7]
	s_and_saveexec_b64 s[6:7], s[4:5]
	s_cbranch_execnz .LBB8_1415
	s_branch .LBB8_1416
.LBB8_3465:
	s_movk_i32 s4, 0x80
	v_cmp_eq_u16_sdwa s[12:13], v13, s4 src0_sel:BYTE_0 src1_sel:DWORD
	s_mov_b64 s[4:5], -1
                                        ; implicit-def: $sgpr10
	s_and_saveexec_b64 s[8:9], s[12:13]
; %bb.3466:
	s_mov_b32 s10, 0x7f800001
	s_xor_b64 s[4:5], exec, -1
; %bb.3467:
	s_or_b64 exec, exec, s[8:9]
	s_and_b64 s[4:5], s[4:5], exec
	s_or_saveexec_b64 s[6:7], s[6:7]
	v_mov_b32_e32 v12, s10
	s_xor_b64 exec, exec, s[6:7]
	s_cbranch_execz .LBB8_1418
.LBB8_3468:
	v_mov_b32_e32 v12, 0
	v_cmp_ne_u16_sdwa s[8:9], v13, v12 src0_sel:BYTE_0 src1_sel:DWORD
	s_andn2_b64 s[4:5], s[4:5], exec
	s_and_b64 s[8:9], s[8:9], exec
	s_or_b64 s[4:5], s[4:5], s[8:9]
	s_or_b64 exec, exec, s[6:7]
	s_and_saveexec_b64 s[6:7], s[4:5]
	s_cbranch_execnz .LBB8_1419
	s_branch .LBB8_1420
.LBB8_3469:
	s_movk_i32 s4, 0x80
	v_cmp_eq_u16_sdwa s[12:13], v13, s4 src0_sel:BYTE_0 src1_sel:DWORD
	s_mov_b64 s[4:5], -1
                                        ; implicit-def: $sgpr10
	s_and_saveexec_b64 s[8:9], s[12:13]
; %bb.3470:
	s_mov_b32 s10, 0x7f800001
	s_xor_b64 s[4:5], exec, -1
; %bb.3471:
	s_or_b64 exec, exec, s[8:9]
	s_and_b64 s[4:5], s[4:5], exec
	s_or_saveexec_b64 s[6:7], s[6:7]
	v_mov_b32_e32 v14, s10
	s_xor_b64 exec, exec, s[6:7]
	s_cbranch_execz .LBB8_1422
.LBB8_3472:
	v_mov_b32_e32 v14, 0
	v_cmp_ne_u16_sdwa s[8:9], v13, v14 src0_sel:BYTE_0 src1_sel:DWORD
	s_andn2_b64 s[4:5], s[4:5], exec
	s_and_b64 s[8:9], s[8:9], exec
	s_or_b64 s[4:5], s[4:5], s[8:9]
	s_or_b64 exec, exec, s[6:7]
	s_and_saveexec_b64 s[6:7], s[4:5]
	s_cbranch_execnz .LBB8_1423
	s_branch .LBB8_1424
.LBB8_3473:
	s_movk_i32 s4, 0x80
	v_cmp_eq_u16_e32 vcc, s4, v13
	s_mov_b64 s[4:5], -1
                                        ; implicit-def: $sgpr10
	s_and_saveexec_b64 s[8:9], vcc
; %bb.3474:
	s_mov_b32 s10, 0x7f800001
	s_xor_b64 s[4:5], exec, -1
; %bb.3475:
	s_or_b64 exec, exec, s[8:9]
	s_and_b64 s[4:5], s[4:5], exec
                                        ; implicit-def: $vgpr13
	s_or_saveexec_b64 s[6:7], s[6:7]
	v_mov_b32_e32 v12, s10
	s_xor_b64 exec, exec, s[6:7]
	s_cbranch_execz .LBB8_1426
.LBB8_3476:
	v_cmp_ne_u16_e32 vcc, 0, v13
	s_andn2_b64 s[4:5], s[4:5], exec
	s_and_b64 s[8:9], vcc, exec
	v_mov_b32_e32 v12, 0
	s_or_b64 s[4:5], s[4:5], s[8:9]
	s_or_b64 exec, exec, s[6:7]
	s_and_saveexec_b64 s[6:7], s[4:5]
	s_cbranch_execnz .LBB8_1427
	s_branch .LBB8_1428
.LBB8_3477:
	s_movk_i32 s4, 0x80
	v_cmp_eq_u16_e32 vcc, s4, v13
	s_mov_b64 s[4:5], -1
                                        ; implicit-def: $sgpr10
	s_and_saveexec_b64 s[8:9], vcc
; %bb.3478:
	s_mov_b32 s10, 0x7f800001
	s_xor_b64 s[4:5], exec, -1
; %bb.3479:
	s_or_b64 exec, exec, s[8:9]
	s_and_b64 s[4:5], s[4:5], exec
                                        ; implicit-def: $vgpr13
	s_or_saveexec_b64 s[6:7], s[6:7]
	v_mov_b32_e32 v14, s10
	s_xor_b64 exec, exec, s[6:7]
	s_cbranch_execz .LBB8_1430
.LBB8_3480:
	v_cmp_ne_u16_e32 vcc, 0, v13
	s_andn2_b64 s[4:5], s[4:5], exec
	s_and_b64 s[8:9], vcc, exec
	v_mov_b32_e32 v14, 0
	s_or_b64 s[4:5], s[4:5], s[8:9]
	s_or_b64 exec, exec, s[6:7]
	s_and_saveexec_b64 s[6:7], s[4:5]
	s_cbranch_execnz .LBB8_1431
	s_branch .LBB8_1432
.LBB8_3481:
	s_movk_i32 s4, 0x80
	v_cmp_eq_u16_sdwa s[12:13], v6, s4 src0_sel:BYTE_3 src1_sel:DWORD
	s_mov_b64 s[4:5], -1
                                        ; implicit-def: $sgpr10
	s_and_saveexec_b64 s[8:9], s[12:13]
; %bb.3482:
	s_mov_b32 s10, 0x7f800001
	s_xor_b64 s[4:5], exec, -1
; %bb.3483:
	s_or_b64 exec, exec, s[8:9]
	s_and_b64 s[4:5], s[4:5], exec
	s_or_saveexec_b64 s[6:7], s[6:7]
	v_mov_b32_e32 v12, s10
	s_xor_b64 exec, exec, s[6:7]
	s_cbranch_execz .LBB8_1434
.LBB8_3484:
	v_mov_b32_e32 v12, 0
	v_cmp_ne_u16_sdwa s[8:9], v6, v12 src0_sel:BYTE_3 src1_sel:DWORD
	s_andn2_b64 s[4:5], s[4:5], exec
	s_and_b64 s[8:9], s[8:9], exec
	s_or_b64 s[4:5], s[4:5], s[8:9]
	s_or_b64 exec, exec, s[6:7]
	s_and_saveexec_b64 s[6:7], s[4:5]
	s_cbranch_execnz .LBB8_1435
	s_branch .LBB8_1436
.LBB8_3485:
	s_movk_i32 s4, 0x80
	v_cmp_eq_u16_sdwa s[12:13], v2, s4 src0_sel:BYTE_3 src1_sel:DWORD
	s_mov_b64 s[4:5], -1
                                        ; implicit-def: $sgpr10
	s_and_saveexec_b64 s[8:9], s[12:13]
; %bb.3486:
	s_mov_b32 s10, 0x7f800001
	s_xor_b64 s[4:5], exec, -1
; %bb.3487:
	s_or_b64 exec, exec, s[8:9]
	s_and_b64 s[4:5], s[4:5], exec
	s_or_saveexec_b64 s[6:7], s[6:7]
	v_mov_b32_e32 v6, s10
	s_xor_b64 exec, exec, s[6:7]
	s_cbranch_execz .LBB8_1438
.LBB8_3488:
	v_mov_b32_e32 v6, 0
	v_cmp_ne_u16_sdwa s[8:9], v2, v6 src0_sel:BYTE_3 src1_sel:DWORD
	s_andn2_b64 s[4:5], s[4:5], exec
	s_and_b64 s[8:9], s[8:9], exec
	s_or_b64 s[4:5], s[4:5], s[8:9]
	s_or_b64 exec, exec, s[6:7]
	s_and_saveexec_b64 s[6:7], s[4:5]
	s_cbranch_execnz .LBB8_1439
	s_branch .LBB8_1440
.LBB8_3489:
	s_movk_i32 s4, 0x80
	v_cmp_eq_u16_sdwa s[12:13], v7, s4 src0_sel:BYTE_0 src1_sel:DWORD
	s_mov_b64 s[4:5], -1
                                        ; implicit-def: $sgpr10
	s_and_saveexec_b64 s[8:9], s[12:13]
; %bb.3490:
	s_mov_b32 s10, 0x7f800001
	s_xor_b64 s[4:5], exec, -1
; %bb.3491:
	s_or_b64 exec, exec, s[8:9]
	s_and_b64 s[4:5], s[4:5], exec
	s_or_saveexec_b64 s[6:7], s[6:7]
	v_mov_b32_e32 v2, s10
	s_xor_b64 exec, exec, s[6:7]
	s_cbranch_execz .LBB8_1442
.LBB8_3492:
	v_mov_b32_e32 v2, 0
	v_cmp_ne_u16_sdwa s[8:9], v7, v2 src0_sel:BYTE_0 src1_sel:DWORD
	s_andn2_b64 s[4:5], s[4:5], exec
	s_and_b64 s[8:9], s[8:9], exec
	s_or_b64 s[4:5], s[4:5], s[8:9]
	s_or_b64 exec, exec, s[6:7]
	s_and_saveexec_b64 s[6:7], s[4:5]
	s_cbranch_execnz .LBB8_1443
	s_branch .LBB8_1444
.LBB8_3493:
	s_movk_i32 s4, 0x80
	v_cmp_eq_u16_sdwa s[12:13], v3, s4 src0_sel:BYTE_0 src1_sel:DWORD
	s_mov_b64 s[4:5], -1
                                        ; implicit-def: $sgpr10
	s_and_saveexec_b64 s[8:9], s[12:13]
; %bb.3494:
	s_mov_b32 s10, 0x7f800001
	s_xor_b64 s[4:5], exec, -1
; %bb.3495:
	s_or_b64 exec, exec, s[8:9]
	s_and_b64 s[4:5], s[4:5], exec
	s_or_saveexec_b64 s[6:7], s[6:7]
	v_mov_b32_e32 v6, s10
	s_xor_b64 exec, exec, s[6:7]
	s_cbranch_execz .LBB8_1446
.LBB8_3496:
	v_mov_b32_e32 v6, 0
	v_cmp_ne_u16_sdwa s[8:9], v3, v6 src0_sel:BYTE_0 src1_sel:DWORD
	s_andn2_b64 s[4:5], s[4:5], exec
	s_and_b64 s[8:9], s[8:9], exec
	s_or_b64 s[4:5], s[4:5], s[8:9]
	s_or_b64 exec, exec, s[6:7]
	s_and_saveexec_b64 s[6:7], s[4:5]
	s_cbranch_execnz .LBB8_1447
	s_branch .LBB8_1448
.LBB8_3497:
	s_movk_i32 s4, 0x80
	v_cmp_eq_u16_sdwa s[12:13], v6, s4 src0_sel:BYTE_0 src1_sel:DWORD
	s_mov_b64 s[4:5], -1
                                        ; implicit-def: $sgpr10
	s_and_saveexec_b64 s[8:9], s[12:13]
; %bb.3498:
	s_mov_b32 s10, 0x7f800001
	s_xor_b64 s[4:5], exec, -1
; %bb.3499:
	s_or_b64 exec, exec, s[8:9]
	s_and_b64 s[4:5], s[4:5], exec
	s_or_saveexec_b64 s[6:7], s[6:7]
	v_mov_b32_e32 v2, s10
	s_xor_b64 exec, exec, s[6:7]
	s_cbranch_execz .LBB8_1450
.LBB8_3500:
	v_mov_b32_e32 v2, 0
	v_cmp_ne_u16_sdwa s[8:9], v6, v2 src0_sel:BYTE_0 src1_sel:DWORD
	s_andn2_b64 s[4:5], s[4:5], exec
	s_and_b64 s[8:9], s[8:9], exec
	s_or_b64 s[4:5], s[4:5], s[8:9]
	s_or_b64 exec, exec, s[6:7]
	s_and_saveexec_b64 s[6:7], s[4:5]
	s_cbranch_execnz .LBB8_1451
	s_branch .LBB8_1452
.LBB8_3501:
	s_movk_i32 s4, 0x80
	v_cmp_eq_u16_sdwa s[12:13], v6, s4 src0_sel:BYTE_0 src1_sel:DWORD
	s_mov_b64 s[4:5], -1
                                        ; implicit-def: $sgpr10
	s_and_saveexec_b64 s[8:9], s[12:13]
; %bb.3502:
	s_mov_b32 s10, 0x7f800001
	s_xor_b64 s[4:5], exec, -1
; %bb.3503:
	s_or_b64 exec, exec, s[8:9]
	s_and_b64 s[4:5], s[4:5], exec
	s_or_saveexec_b64 s[6:7], s[6:7]
	v_mov_b32_e32 v12, s10
	s_xor_b64 exec, exec, s[6:7]
	s_cbranch_execz .LBB8_1454
.LBB8_3504:
	v_mov_b32_e32 v12, 0
	v_cmp_ne_u16_sdwa s[8:9], v6, v12 src0_sel:BYTE_0 src1_sel:DWORD
	s_andn2_b64 s[4:5], s[4:5], exec
	s_and_b64 s[8:9], s[8:9], exec
	s_or_b64 s[4:5], s[4:5], s[8:9]
	s_or_b64 exec, exec, s[6:7]
	s_and_saveexec_b64 s[6:7], s[4:5]
	s_cbranch_execnz .LBB8_1455
	s_branch .LBB8_1456
.LBB8_3505:
	s_movk_i32 s4, 0x80
	v_cmp_eq_u16_e32 vcc, s4, v6
	s_mov_b64 s[4:5], -1
                                        ; implicit-def: $sgpr10
	s_and_saveexec_b64 s[8:9], vcc
; %bb.3506:
	s_mov_b32 s10, 0x7f800001
	s_xor_b64 s[4:5], exec, -1
; %bb.3507:
	s_or_b64 exec, exec, s[8:9]
	s_and_b64 s[4:5], s[4:5], exec
                                        ; implicit-def: $vgpr6
	s_or_saveexec_b64 s[6:7], s[6:7]
	v_mov_b32_e32 v2, s10
	s_xor_b64 exec, exec, s[6:7]
	s_cbranch_execz .LBB8_1458
.LBB8_3508:
	v_cmp_ne_u16_e32 vcc, 0, v6
	s_andn2_b64 s[4:5], s[4:5], exec
	s_and_b64 s[8:9], vcc, exec
	v_mov_b32_e32 v2, 0
	s_or_b64 s[4:5], s[4:5], s[8:9]
	s_or_b64 exec, exec, s[6:7]
	s_and_saveexec_b64 s[6:7], s[4:5]
	s_cbranch_execnz .LBB8_1459
	s_branch .LBB8_1460
.LBB8_3509:
	s_movk_i32 s4, 0x80
	v_cmp_eq_u16_e32 vcc, s4, v6
	s_mov_b64 s[4:5], -1
                                        ; implicit-def: $sgpr10
	s_and_saveexec_b64 s[8:9], vcc
; %bb.3510:
	s_mov_b32 s10, 0x7f800001
	s_xor_b64 s[4:5], exec, -1
; %bb.3511:
	s_or_b64 exec, exec, s[8:9]
	s_and_b64 s[4:5], s[4:5], exec
                                        ; implicit-def: $vgpr6
	s_or_saveexec_b64 s[6:7], s[6:7]
	v_mov_b32_e32 v12, s10
	s_xor_b64 exec, exec, s[6:7]
	s_cbranch_execz .LBB8_1462
.LBB8_3512:
	v_cmp_ne_u16_e32 vcc, 0, v6
	s_andn2_b64 s[4:5], s[4:5], exec
	s_and_b64 s[8:9], vcc, exec
	v_mov_b32_e32 v12, 0
	s_or_b64 s[4:5], s[4:5], s[8:9]
	s_or_b64 exec, exec, s[6:7]
	s_and_saveexec_b64 s[6:7], s[4:5]
	s_cbranch_execnz .LBB8_1463
	s_branch .LBB8_1464
.LBB8_3513:
	s_movk_i32 s4, 0x80
	v_cmp_eq_u16_sdwa s[12:13], v7, s4 src0_sel:BYTE_3 src1_sel:DWORD
	s_mov_b64 s[4:5], -1
                                        ; implicit-def: $sgpr10
	s_and_saveexec_b64 s[8:9], s[12:13]
; %bb.3514:
	s_mov_b32 s10, 0x7f800001
	s_xor_b64 s[4:5], exec, -1
; %bb.3515:
	s_or_b64 exec, exec, s[8:9]
	s_and_b64 s[4:5], s[4:5], exec
	s_or_saveexec_b64 s[6:7], s[6:7]
	v_mov_b32_e32 v2, s10
	s_xor_b64 exec, exec, s[6:7]
	s_cbranch_execz .LBB8_1466
.LBB8_3516:
	v_mov_b32_e32 v2, 0
	v_cmp_ne_u16_sdwa s[8:9], v7, v2 src0_sel:BYTE_3 src1_sel:DWORD
	s_andn2_b64 s[4:5], s[4:5], exec
	s_and_b64 s[8:9], s[8:9], exec
	s_or_b64 s[4:5], s[4:5], s[8:9]
	s_or_b64 exec, exec, s[6:7]
	s_and_saveexec_b64 s[6:7], s[4:5]
	s_cbranch_execnz .LBB8_1467
	s_branch .LBB8_1468
.LBB8_3517:
	s_movk_i32 s4, 0x80
	v_cmp_eq_u16_sdwa s[12:13], v3, s4 src0_sel:BYTE_3 src1_sel:DWORD
	s_mov_b64 s[4:5], -1
                                        ; implicit-def: $sgpr10
	s_and_saveexec_b64 s[8:9], s[12:13]
; %bb.3518:
	s_mov_b32 s10, 0x7f800001
	s_xor_b64 s[4:5], exec, -1
; %bb.3519:
	s_or_b64 exec, exec, s[8:9]
	s_and_b64 s[4:5], s[4:5], exec
	s_or_saveexec_b64 s[6:7], s[6:7]
	v_mov_b32_e32 v6, s10
	s_xor_b64 exec, exec, s[6:7]
	s_cbranch_execz .LBB8_1470
.LBB8_3520:
	v_mov_b32_e32 v6, 0
	v_cmp_ne_u16_sdwa s[8:9], v3, v6 src0_sel:BYTE_3 src1_sel:DWORD
	s_andn2_b64 s[4:5], s[4:5], exec
	s_and_b64 s[8:9], s[8:9], exec
	s_or_b64 s[4:5], s[4:5], s[8:9]
	s_or_b64 exec, exec, s[6:7]
	s_and_saveexec_b64 s[6:7], s[4:5]
	s_cbranch_execnz .LBB8_1471
	s_branch .LBB8_1472
.LBB8_3521:
	s_movk_i32 s4, 0x80
	v_cmp_eq_u16_sdwa s[12:13], v8, s4 src0_sel:BYTE_0 src1_sel:DWORD
	s_mov_b64 s[4:5], -1
                                        ; implicit-def: $sgpr10
	s_and_saveexec_b64 s[8:9], s[12:13]
; %bb.3522:
	s_mov_b32 s10, 0x7f800001
	s_xor_b64 s[4:5], exec, -1
; %bb.3523:
	s_or_b64 exec, exec, s[8:9]
	s_and_b64 s[4:5], s[4:5], exec
	s_or_saveexec_b64 s[6:7], s[6:7]
	v_mov_b32_e32 v2, s10
	s_xor_b64 exec, exec, s[6:7]
	s_cbranch_execz .LBB8_1474
.LBB8_3524:
	v_mov_b32_e32 v2, 0
	v_cmp_ne_u16_sdwa s[8:9], v8, v2 src0_sel:BYTE_0 src1_sel:DWORD
	s_andn2_b64 s[4:5], s[4:5], exec
	s_and_b64 s[8:9], s[8:9], exec
	s_or_b64 s[4:5], s[4:5], s[8:9]
	s_or_b64 exec, exec, s[6:7]
	s_and_saveexec_b64 s[6:7], s[4:5]
	s_cbranch_execnz .LBB8_1475
	s_branch .LBB8_1476
.LBB8_3525:
	s_movk_i32 s4, 0x80
	v_cmp_eq_u16_sdwa s[12:13], v4, s4 src0_sel:BYTE_0 src1_sel:DWORD
	s_mov_b64 s[4:5], -1
                                        ; implicit-def: $sgpr10
	s_and_saveexec_b64 s[8:9], s[12:13]
; %bb.3526:
	s_mov_b32 s10, 0x7f800001
	s_xor_b64 s[4:5], exec, -1
; %bb.3527:
	s_or_b64 exec, exec, s[8:9]
	s_and_b64 s[4:5], s[4:5], exec
	s_or_saveexec_b64 s[6:7], s[6:7]
	v_mov_b32_e32 v3, s10
	s_xor_b64 exec, exec, s[6:7]
	s_cbranch_execz .LBB8_1478
.LBB8_3528:
	v_mov_b32_e32 v3, 0
	v_cmp_ne_u16_sdwa s[8:9], v4, v3 src0_sel:BYTE_0 src1_sel:DWORD
	s_andn2_b64 s[4:5], s[4:5], exec
	s_and_b64 s[8:9], s[8:9], exec
	s_or_b64 s[4:5], s[4:5], s[8:9]
	s_or_b64 exec, exec, s[6:7]
	s_and_saveexec_b64 s[6:7], s[4:5]
	s_cbranch_execnz .LBB8_1479
	s_branch .LBB8_1480
.LBB8_3529:
	s_movk_i32 s4, 0x80
	v_cmp_eq_u16_sdwa s[12:13], v3, s4 src0_sel:BYTE_0 src1_sel:DWORD
	s_mov_b64 s[4:5], -1
                                        ; implicit-def: $sgpr10
	s_and_saveexec_b64 s[8:9], s[12:13]
; %bb.3530:
	s_mov_b32 s10, 0x7f800001
	s_xor_b64 s[4:5], exec, -1
; %bb.3531:
	s_or_b64 exec, exec, s[8:9]
	s_and_b64 s[4:5], s[4:5], exec
	s_or_saveexec_b64 s[6:7], s[6:7]
	v_mov_b32_e32 v2, s10
	s_xor_b64 exec, exec, s[6:7]
	s_cbranch_execz .LBB8_1482
.LBB8_3532:
	v_mov_b32_e32 v2, 0
	v_cmp_ne_u16_sdwa s[8:9], v3, v2 src0_sel:BYTE_0 src1_sel:DWORD
	s_andn2_b64 s[4:5], s[4:5], exec
	s_and_b64 s[8:9], s[8:9], exec
	s_or_b64 s[4:5], s[4:5], s[8:9]
	s_or_b64 exec, exec, s[6:7]
	s_and_saveexec_b64 s[6:7], s[4:5]
	s_cbranch_execnz .LBB8_1483
	s_branch .LBB8_1484
.LBB8_3533:
	s_movk_i32 s4, 0x80
	v_cmp_eq_u16_sdwa s[12:13], v3, s4 src0_sel:BYTE_0 src1_sel:DWORD
	s_mov_b64 s[4:5], -1
                                        ; implicit-def: $sgpr10
	s_and_saveexec_b64 s[8:9], s[12:13]
; %bb.3534:
	s_mov_b32 s10, 0x7f800001
	s_xor_b64 s[4:5], exec, -1
; %bb.3535:
	s_or_b64 exec, exec, s[8:9]
	s_and_b64 s[4:5], s[4:5], exec
	s_or_saveexec_b64 s[6:7], s[6:7]
	v_mov_b32_e32 v6, s10
	s_xor_b64 exec, exec, s[6:7]
	s_cbranch_execz .LBB8_1486
.LBB8_3536:
	v_mov_b32_e32 v6, 0
	v_cmp_ne_u16_sdwa s[8:9], v3, v6 src0_sel:BYTE_0 src1_sel:DWORD
	s_andn2_b64 s[4:5], s[4:5], exec
	s_and_b64 s[8:9], s[8:9], exec
	s_or_b64 s[4:5], s[4:5], s[8:9]
	s_or_b64 exec, exec, s[6:7]
	s_and_saveexec_b64 s[6:7], s[4:5]
	s_cbranch_execnz .LBB8_1487
	s_branch .LBB8_1488
.LBB8_3537:
	s_movk_i32 s4, 0x80
	v_cmp_eq_u16_e32 vcc, s4, v3
	s_mov_b64 s[4:5], -1
                                        ; implicit-def: $sgpr10
	s_and_saveexec_b64 s[8:9], vcc
; %bb.3538:
	s_mov_b32 s10, 0x7f800001
	s_xor_b64 s[4:5], exec, -1
; %bb.3539:
	s_or_b64 exec, exec, s[8:9]
	s_and_b64 s[4:5], s[4:5], exec
                                        ; implicit-def: $vgpr3
	s_or_saveexec_b64 s[6:7], s[6:7]
	v_mov_b32_e32 v2, s10
	s_xor_b64 exec, exec, s[6:7]
	s_cbranch_execz .LBB8_1490
.LBB8_3540:
	v_cmp_ne_u16_e32 vcc, 0, v3
	s_andn2_b64 s[4:5], s[4:5], exec
	s_and_b64 s[8:9], vcc, exec
	v_mov_b32_e32 v2, 0
	s_or_b64 s[4:5], s[4:5], s[8:9]
	s_or_b64 exec, exec, s[6:7]
	s_and_saveexec_b64 s[6:7], s[4:5]
	s_cbranch_execnz .LBB8_1491
	s_branch .LBB8_1492
.LBB8_3541:
	s_movk_i32 s4, 0x80
	v_cmp_eq_u16_e32 vcc, s4, v3
	s_mov_b64 s[4:5], -1
                                        ; implicit-def: $sgpr10
	s_and_saveexec_b64 s[8:9], vcc
; %bb.3542:
	s_mov_b32 s10, 0x7f800001
	s_xor_b64 s[4:5], exec, -1
; %bb.3543:
	s_or_b64 exec, exec, s[8:9]
	s_and_b64 s[4:5], s[4:5], exec
                                        ; implicit-def: $vgpr3
	s_or_saveexec_b64 s[6:7], s[6:7]
	v_mov_b32_e32 v6, s10
	s_xor_b64 exec, exec, s[6:7]
	s_cbranch_execz .LBB8_1494
.LBB8_3544:
	v_cmp_ne_u16_e32 vcc, 0, v3
	s_andn2_b64 s[4:5], s[4:5], exec
	s_and_b64 s[8:9], vcc, exec
	v_mov_b32_e32 v6, 0
	s_or_b64 s[4:5], s[4:5], s[8:9]
	s_or_b64 exec, exec, s[6:7]
	s_and_saveexec_b64 s[6:7], s[4:5]
	s_cbranch_execnz .LBB8_1495
	s_branch .LBB8_1496
.LBB8_3545:
	s_movk_i32 s4, 0x80
	v_cmp_eq_u16_sdwa s[12:13], v8, s4 src0_sel:BYTE_3 src1_sel:DWORD
	s_mov_b64 s[4:5], -1
                                        ; implicit-def: $sgpr10
	s_and_saveexec_b64 s[8:9], s[12:13]
; %bb.3546:
	s_mov_b32 s10, 0x7f800001
	s_xor_b64 s[4:5], exec, -1
; %bb.3547:
	s_or_b64 exec, exec, s[8:9]
	s_and_b64 s[4:5], s[4:5], exec
	s_or_saveexec_b64 s[6:7], s[6:7]
	v_mov_b32_e32 v2, s10
	s_xor_b64 exec, exec, s[6:7]
	s_cbranch_execz .LBB8_1498
.LBB8_3548:
	v_mov_b32_e32 v2, 0
	v_cmp_ne_u16_sdwa s[8:9], v8, v2 src0_sel:BYTE_3 src1_sel:DWORD
	s_andn2_b64 s[4:5], s[4:5], exec
	s_and_b64 s[8:9], s[8:9], exec
	s_or_b64 s[4:5], s[4:5], s[8:9]
	s_or_b64 exec, exec, s[6:7]
	s_and_saveexec_b64 s[6:7], s[4:5]
	s_cbranch_execnz .LBB8_1499
	s_branch .LBB8_1500
.LBB8_3549:
	s_movk_i32 s4, 0x80
	v_cmp_eq_u16_sdwa s[12:13], v4, s4 src0_sel:BYTE_3 src1_sel:DWORD
	s_mov_b64 s[4:5], -1
                                        ; implicit-def: $sgpr10
	s_and_saveexec_b64 s[8:9], s[12:13]
; %bb.3550:
	s_mov_b32 s10, 0x7f800001
	s_xor_b64 s[4:5], exec, -1
; %bb.3551:
	s_or_b64 exec, exec, s[8:9]
	s_and_b64 s[4:5], s[4:5], exec
	s_or_saveexec_b64 s[6:7], s[6:7]
	v_mov_b32_e32 v3, s10
	s_xor_b64 exec, exec, s[6:7]
	s_cbranch_execz .LBB8_1502
.LBB8_3552:
	v_mov_b32_e32 v3, 0
	v_cmp_ne_u16_sdwa s[8:9], v4, v3 src0_sel:BYTE_3 src1_sel:DWORD
	s_andn2_b64 s[4:5], s[4:5], exec
	s_and_b64 s[8:9], s[8:9], exec
	s_or_b64 s[4:5], s[4:5], s[8:9]
	s_or_b64 exec, exec, s[6:7]
	s_and_saveexec_b64 s[6:7], s[4:5]
	s_cbranch_execnz .LBB8_1503
	s_branch .LBB8_1504
.LBB8_3553:
	s_movk_i32 s4, 0x80
	v_cmp_eq_u16_sdwa s[12:13], v9, s4 src0_sel:BYTE_0 src1_sel:DWORD
	s_mov_b64 s[4:5], -1
                                        ; implicit-def: $sgpr10
	s_and_saveexec_b64 s[8:9], s[12:13]
; %bb.3554:
	s_mov_b32 s10, 0x7f800001
	s_xor_b64 s[4:5], exec, -1
; %bb.3555:
	s_or_b64 exec, exec, s[8:9]
	s_and_b64 s[4:5], s[4:5], exec
	s_or_saveexec_b64 s[6:7], s[6:7]
	v_mov_b32_e32 v2, s10
	s_xor_b64 exec, exec, s[6:7]
	s_cbranch_execz .LBB8_1506
.LBB8_3556:
	v_mov_b32_e32 v2, 0
	v_cmp_ne_u16_sdwa s[8:9], v9, v2 src0_sel:BYTE_0 src1_sel:DWORD
	s_andn2_b64 s[4:5], s[4:5], exec
	s_and_b64 s[8:9], s[8:9], exec
	s_or_b64 s[4:5], s[4:5], s[8:9]
	s_or_b64 exec, exec, s[6:7]
	s_and_saveexec_b64 s[6:7], s[4:5]
	s_cbranch_execnz .LBB8_1507
	s_branch .LBB8_1508
.LBB8_3557:
	s_movk_i32 s4, 0x80
	v_cmp_eq_u16_sdwa s[12:13], v5, s4 src0_sel:BYTE_0 src1_sel:DWORD
	s_mov_b64 s[4:5], -1
                                        ; implicit-def: $sgpr10
	s_and_saveexec_b64 s[8:9], s[12:13]
; %bb.3558:
	s_mov_b32 s10, 0x7f800001
	s_xor_b64 s[4:5], exec, -1
; %bb.3559:
	s_or_b64 exec, exec, s[8:9]
	s_and_b64 s[4:5], s[4:5], exec
	s_or_saveexec_b64 s[6:7], s[6:7]
	v_mov_b32_e32 v3, s10
	s_xor_b64 exec, exec, s[6:7]
	s_cbranch_execz .LBB8_1510
.LBB8_3560:
	v_mov_b32_e32 v3, 0
	v_cmp_ne_u16_sdwa s[8:9], v5, v3 src0_sel:BYTE_0 src1_sel:DWORD
	s_andn2_b64 s[4:5], s[4:5], exec
	s_and_b64 s[8:9], s[8:9], exec
	s_or_b64 s[4:5], s[4:5], s[8:9]
	s_or_b64 exec, exec, s[6:7]
	s_and_saveexec_b64 s[6:7], s[4:5]
	s_cbranch_execnz .LBB8_1511
	s_branch .LBB8_1512
.LBB8_3561:
	s_movk_i32 s4, 0x80
	v_cmp_eq_u16_sdwa s[12:13], v3, s4 src0_sel:BYTE_0 src1_sel:DWORD
	s_mov_b64 s[4:5], -1
                                        ; implicit-def: $sgpr10
	s_and_saveexec_b64 s[8:9], s[12:13]
; %bb.3562:
	s_mov_b32 s10, 0x7f800001
	s_xor_b64 s[4:5], exec, -1
; %bb.3563:
	s_or_b64 exec, exec, s[8:9]
	s_and_b64 s[4:5], s[4:5], exec
	s_or_saveexec_b64 s[6:7], s[6:7]
	v_mov_b32_e32 v2, s10
	s_xor_b64 exec, exec, s[6:7]
	s_cbranch_execz .LBB8_1514
.LBB8_3564:
	v_mov_b32_e32 v2, 0
	v_cmp_ne_u16_sdwa s[8:9], v3, v2 src0_sel:BYTE_0 src1_sel:DWORD
	s_andn2_b64 s[4:5], s[4:5], exec
	s_and_b64 s[8:9], s[8:9], exec
	s_or_b64 s[4:5], s[4:5], s[8:9]
	s_or_b64 exec, exec, s[6:7]
	s_and_saveexec_b64 s[6:7], s[4:5]
	s_cbranch_execnz .LBB8_1515
	s_branch .LBB8_1516
.LBB8_3565:
	s_movk_i32 s4, 0x80
	v_cmp_eq_u16_sdwa s[12:13], v3, s4 src0_sel:BYTE_0 src1_sel:DWORD
	s_mov_b64 s[4:5], -1
                                        ; implicit-def: $sgpr10
	s_and_saveexec_b64 s[8:9], s[12:13]
; %bb.3566:
	s_mov_b32 s10, 0x7f800001
	s_xor_b64 s[4:5], exec, -1
; %bb.3567:
	s_or_b64 exec, exec, s[8:9]
	s_and_b64 s[4:5], s[4:5], exec
	s_or_saveexec_b64 s[6:7], s[6:7]
	v_mov_b32_e32 v4, s10
	s_xor_b64 exec, exec, s[6:7]
	s_cbranch_execz .LBB8_1518
.LBB8_3568:
	v_mov_b32_e32 v4, 0
	v_cmp_ne_u16_sdwa s[8:9], v3, v4 src0_sel:BYTE_0 src1_sel:DWORD
	s_andn2_b64 s[4:5], s[4:5], exec
	s_and_b64 s[8:9], s[8:9], exec
	s_or_b64 s[4:5], s[4:5], s[8:9]
	s_or_b64 exec, exec, s[6:7]
	s_and_saveexec_b64 s[6:7], s[4:5]
	s_cbranch_execnz .LBB8_1519
	s_branch .LBB8_1520
.LBB8_3569:
	s_movk_i32 s4, 0x80
	v_cmp_eq_u16_e32 vcc, s4, v3
	s_mov_b64 s[4:5], -1
                                        ; implicit-def: $sgpr10
	s_and_saveexec_b64 s[8:9], vcc
; %bb.3570:
	s_mov_b32 s10, 0x7f800001
	s_xor_b64 s[4:5], exec, -1
; %bb.3571:
	s_or_b64 exec, exec, s[8:9]
	s_and_b64 s[4:5], s[4:5], exec
                                        ; implicit-def: $vgpr3
	s_or_saveexec_b64 s[6:7], s[6:7]
	v_mov_b32_e32 v2, s10
	s_xor_b64 exec, exec, s[6:7]
	s_cbranch_execz .LBB8_1522
.LBB8_3572:
	v_cmp_ne_u16_e32 vcc, 0, v3
	s_andn2_b64 s[4:5], s[4:5], exec
	s_and_b64 s[8:9], vcc, exec
	v_mov_b32_e32 v2, 0
	s_or_b64 s[4:5], s[4:5], s[8:9]
	s_or_b64 exec, exec, s[6:7]
	s_and_saveexec_b64 s[6:7], s[4:5]
	s_cbranch_execnz .LBB8_1523
	s_branch .LBB8_1524
.LBB8_3573:
	s_movk_i32 s4, 0x80
	v_cmp_eq_u16_e32 vcc, s4, v3
	s_mov_b64 s[4:5], -1
                                        ; implicit-def: $sgpr10
	s_and_saveexec_b64 s[8:9], vcc
; %bb.3574:
	s_mov_b32 s10, 0x7f800001
	s_xor_b64 s[4:5], exec, -1
; %bb.3575:
	s_or_b64 exec, exec, s[8:9]
	s_and_b64 s[4:5], s[4:5], exec
                                        ; implicit-def: $vgpr3
	s_or_saveexec_b64 s[6:7], s[6:7]
	v_mov_b32_e32 v4, s10
	s_xor_b64 exec, exec, s[6:7]
	s_cbranch_execz .LBB8_1526
.LBB8_3576:
	v_cmp_ne_u16_e32 vcc, 0, v3
	s_andn2_b64 s[4:5], s[4:5], exec
	s_and_b64 s[8:9], vcc, exec
	v_mov_b32_e32 v4, 0
	s_or_b64 s[4:5], s[4:5], s[8:9]
	s_or_b64 exec, exec, s[6:7]
	s_and_saveexec_b64 s[6:7], s[4:5]
	s_cbranch_execnz .LBB8_1527
	s_branch .LBB8_1528
.LBB8_3577:
	s_movk_i32 s4, 0x80
	v_cmp_eq_u16_sdwa s[12:13], v9, s4 src0_sel:BYTE_3 src1_sel:DWORD
	s_mov_b64 s[4:5], -1
                                        ; implicit-def: $sgpr10
	s_and_saveexec_b64 s[8:9], s[12:13]
; %bb.3578:
	s_mov_b32 s10, 0x7f800001
	s_xor_b64 s[4:5], exec, -1
; %bb.3579:
	s_or_b64 exec, exec, s[8:9]
	s_and_b64 s[4:5], s[4:5], exec
	s_or_saveexec_b64 s[6:7], s[6:7]
	v_mov_b32_e32 v2, s10
	s_xor_b64 exec, exec, s[6:7]
	s_cbranch_execz .LBB8_1530
.LBB8_3580:
	v_mov_b32_e32 v2, 0
	v_cmp_ne_u16_sdwa s[8:9], v9, v2 src0_sel:BYTE_3 src1_sel:DWORD
	s_andn2_b64 s[4:5], s[4:5], exec
	s_and_b64 s[8:9], s[8:9], exec
	s_or_b64 s[4:5], s[4:5], s[8:9]
	s_or_b64 exec, exec, s[6:7]
	s_and_saveexec_b64 s[6:7], s[4:5]
	s_cbranch_execnz .LBB8_1531
	s_branch .LBB8_1532
.LBB8_3581:
	s_movk_i32 s4, 0x80
	v_cmp_eq_u16_sdwa s[12:13], v5, s4 src0_sel:BYTE_3 src1_sel:DWORD
	s_mov_b64 s[4:5], -1
                                        ; implicit-def: $sgpr10
	s_and_saveexec_b64 s[8:9], s[12:13]
; %bb.3582:
	s_mov_b32 s10, 0x7f800001
	s_xor_b64 s[4:5], exec, -1
; %bb.3583:
	s_or_b64 exec, exec, s[8:9]
	s_and_b64 s[4:5], s[4:5], exec
	s_or_saveexec_b64 s[6:7], s[6:7]
	v_mov_b32_e32 v3, s10
	s_xor_b64 exec, exec, s[6:7]
	s_cbranch_execz .LBB8_1534
.LBB8_3584:
	v_mov_b32_e32 v3, 0
	v_cmp_ne_u16_sdwa s[8:9], v5, v3 src0_sel:BYTE_3 src1_sel:DWORD
	s_andn2_b64 s[4:5], s[4:5], exec
	s_and_b64 s[8:9], s[8:9], exec
	s_or_b64 s[4:5], s[4:5], s[8:9]
	s_or_b64 exec, exec, s[6:7]
	s_and_saveexec_b64 s[6:7], s[4:5]
	s_cbranch_execnz .LBB8_1535
	s_branch .LBB8_1536
.LBB8_3585:
	s_movk_i32 s4, 0x80
	v_cmp_eq_u16_sdwa s[12:13], v6, s4 src0_sel:BYTE_0 src1_sel:DWORD
	s_mov_b64 s[4:5], -1
                                        ; implicit-def: $sgpr10
	s_and_saveexec_b64 s[8:9], s[12:13]
; %bb.3586:
	s_mov_b32 s10, 0x7f800001
	s_xor_b64 s[4:5], exec, -1
; %bb.3587:
	s_or_b64 exec, exec, s[8:9]
	s_and_b64 s[4:5], s[4:5], exec
	s_or_saveexec_b64 s[6:7], s[6:7]
	v_mov_b32_e32 v12, s10
	s_xor_b64 exec, exec, s[6:7]
	s_cbranch_execz .LBB8_1538
.LBB8_3588:
	v_mov_b32_e32 v12, 0
	v_cmp_ne_u16_sdwa s[8:9], v6, v12 src0_sel:BYTE_0 src1_sel:DWORD
	s_andn2_b64 s[4:5], s[4:5], exec
	s_and_b64 s[8:9], s[8:9], exec
	s_or_b64 s[4:5], s[4:5], s[8:9]
	s_or_b64 exec, exec, s[6:7]
	s_and_saveexec_b64 s[6:7], s[4:5]
	s_cbranch_execnz .LBB8_1539
	s_branch .LBB8_1540
.LBB8_3589:
	s_movk_i32 s4, 0x80
	v_cmp_eq_u16_sdwa s[12:13], v2, s4 src0_sel:BYTE_0 src1_sel:DWORD
	s_mov_b64 s[4:5], -1
                                        ; implicit-def: $sgpr10
	s_and_saveexec_b64 s[8:9], s[12:13]
; %bb.3590:
	s_mov_b32 s10, 0x7f800001
	s_xor_b64 s[4:5], exec, -1
; %bb.3591:
	s_or_b64 exec, exec, s[8:9]
	s_and_b64 s[4:5], s[4:5], exec
	s_or_saveexec_b64 s[6:7], s[6:7]
	v_mov_b32_e32 v13, s10
	s_xor_b64 exec, exec, s[6:7]
	s_cbranch_execz .LBB8_1542
.LBB8_3592:
	v_mov_b32_e32 v13, 0
	v_cmp_ne_u16_sdwa s[8:9], v2, v13 src0_sel:BYTE_0 src1_sel:DWORD
	s_andn2_b64 s[4:5], s[4:5], exec
	s_and_b64 s[8:9], s[8:9], exec
	s_or_b64 s[4:5], s[4:5], s[8:9]
	s_or_b64 exec, exec, s[6:7]
	s_and_saveexec_b64 s[6:7], s[4:5]
	s_cbranch_execnz .LBB8_1543
	s_branch .LBB8_1544
.LBB8_3593:
	s_movk_i32 s4, 0x80
	v_cmp_eq_u16_sdwa s[12:13], v13, s4 src0_sel:BYTE_0 src1_sel:DWORD
	s_mov_b64 s[4:5], -1
                                        ; implicit-def: $sgpr10
	s_and_saveexec_b64 s[8:9], s[12:13]
; %bb.3594:
	s_mov_b32 s10, 0x7f800001
	s_xor_b64 s[4:5], exec, -1
; %bb.3595:
	s_or_b64 exec, exec, s[8:9]
	s_and_b64 s[4:5], s[4:5], exec
	s_or_saveexec_b64 s[6:7], s[6:7]
	v_mov_b32_e32 v12, s10
	s_xor_b64 exec, exec, s[6:7]
	s_cbranch_execz .LBB8_1546
.LBB8_3596:
	v_mov_b32_e32 v12, 0
	v_cmp_ne_u16_sdwa s[8:9], v13, v12 src0_sel:BYTE_0 src1_sel:DWORD
	s_andn2_b64 s[4:5], s[4:5], exec
	s_and_b64 s[8:9], s[8:9], exec
	s_or_b64 s[4:5], s[4:5], s[8:9]
	s_or_b64 exec, exec, s[6:7]
	s_and_saveexec_b64 s[6:7], s[4:5]
	s_cbranch_execnz .LBB8_1547
	s_branch .LBB8_1548
.LBB8_3597:
	s_movk_i32 s4, 0x80
	v_cmp_eq_u16_sdwa s[12:13], v13, s4 src0_sel:BYTE_0 src1_sel:DWORD
	s_mov_b64 s[4:5], -1
                                        ; implicit-def: $sgpr10
	s_and_saveexec_b64 s[8:9], s[12:13]
; %bb.3598:
	s_mov_b32 s10, 0x7f800001
	s_xor_b64 s[4:5], exec, -1
; %bb.3599:
	s_or_b64 exec, exec, s[8:9]
	s_and_b64 s[4:5], s[4:5], exec
	s_or_saveexec_b64 s[6:7], s[6:7]
	v_mov_b32_e32 v14, s10
	s_xor_b64 exec, exec, s[6:7]
	s_cbranch_execz .LBB8_1550
.LBB8_3600:
	v_mov_b32_e32 v14, 0
	v_cmp_ne_u16_sdwa s[8:9], v13, v14 src0_sel:BYTE_0 src1_sel:DWORD
	s_andn2_b64 s[4:5], s[4:5], exec
	s_and_b64 s[8:9], s[8:9], exec
	s_or_b64 s[4:5], s[4:5], s[8:9]
	s_or_b64 exec, exec, s[6:7]
	s_and_saveexec_b64 s[6:7], s[4:5]
	s_cbranch_execnz .LBB8_1551
	s_branch .LBB8_1552
.LBB8_3601:
	s_movk_i32 s4, 0x80
	v_cmp_eq_u16_e32 vcc, s4, v13
	s_mov_b64 s[4:5], -1
                                        ; implicit-def: $sgpr10
	s_and_saveexec_b64 s[8:9], vcc
; %bb.3602:
	s_mov_b32 s10, 0x7f800001
	s_xor_b64 s[4:5], exec, -1
; %bb.3603:
	s_or_b64 exec, exec, s[8:9]
	s_and_b64 s[4:5], s[4:5], exec
                                        ; implicit-def: $vgpr13
	s_or_saveexec_b64 s[6:7], s[6:7]
	v_mov_b32_e32 v12, s10
	s_xor_b64 exec, exec, s[6:7]
	s_cbranch_execz .LBB8_1554
.LBB8_3604:
	v_cmp_ne_u16_e32 vcc, 0, v13
	s_andn2_b64 s[4:5], s[4:5], exec
	s_and_b64 s[8:9], vcc, exec
	v_mov_b32_e32 v12, 0
	s_or_b64 s[4:5], s[4:5], s[8:9]
	s_or_b64 exec, exec, s[6:7]
	s_and_saveexec_b64 s[6:7], s[4:5]
	s_cbranch_execnz .LBB8_1555
	s_branch .LBB8_1556
.LBB8_3605:
	s_movk_i32 s4, 0x80
	v_cmp_eq_u16_e32 vcc, s4, v13
	s_mov_b64 s[4:5], -1
                                        ; implicit-def: $sgpr10
	s_and_saveexec_b64 s[8:9], vcc
; %bb.3606:
	s_mov_b32 s10, 0x7f800001
	s_xor_b64 s[4:5], exec, -1
; %bb.3607:
	s_or_b64 exec, exec, s[8:9]
	s_and_b64 s[4:5], s[4:5], exec
                                        ; implicit-def: $vgpr13
	s_or_saveexec_b64 s[6:7], s[6:7]
	v_mov_b32_e32 v14, s10
	s_xor_b64 exec, exec, s[6:7]
	s_cbranch_execz .LBB8_1558
.LBB8_3608:
	v_cmp_ne_u16_e32 vcc, 0, v13
	s_andn2_b64 s[4:5], s[4:5], exec
	s_and_b64 s[8:9], vcc, exec
	v_mov_b32_e32 v14, 0
	s_or_b64 s[4:5], s[4:5], s[8:9]
	s_or_b64 exec, exec, s[6:7]
	s_and_saveexec_b64 s[6:7], s[4:5]
	s_cbranch_execnz .LBB8_1559
	s_branch .LBB8_1560
.LBB8_3609:
	s_movk_i32 s4, 0x80
	v_cmp_eq_u16_sdwa s[12:13], v6, s4 src0_sel:BYTE_3 src1_sel:DWORD
	s_mov_b64 s[4:5], -1
                                        ; implicit-def: $sgpr10
	s_and_saveexec_b64 s[8:9], s[12:13]
; %bb.3610:
	s_mov_b32 s10, 0x7f800001
	s_xor_b64 s[4:5], exec, -1
; %bb.3611:
	s_or_b64 exec, exec, s[8:9]
	s_and_b64 s[4:5], s[4:5], exec
	s_or_saveexec_b64 s[6:7], s[6:7]
	v_mov_b32_e32 v12, s10
	s_xor_b64 exec, exec, s[6:7]
	s_cbranch_execz .LBB8_1562
.LBB8_3612:
	v_mov_b32_e32 v12, 0
	v_cmp_ne_u16_sdwa s[8:9], v6, v12 src0_sel:BYTE_3 src1_sel:DWORD
	s_andn2_b64 s[4:5], s[4:5], exec
	s_and_b64 s[8:9], s[8:9], exec
	s_or_b64 s[4:5], s[4:5], s[8:9]
	s_or_b64 exec, exec, s[6:7]
	s_and_saveexec_b64 s[6:7], s[4:5]
	s_cbranch_execnz .LBB8_1563
	s_branch .LBB8_1564
.LBB8_3613:
	s_movk_i32 s4, 0x80
	v_cmp_eq_u16_sdwa s[12:13], v2, s4 src0_sel:BYTE_3 src1_sel:DWORD
	s_mov_b64 s[4:5], -1
                                        ; implicit-def: $sgpr10
	s_and_saveexec_b64 s[8:9], s[12:13]
; %bb.3614:
	s_mov_b32 s10, 0x7f800001
	s_xor_b64 s[4:5], exec, -1
; %bb.3615:
	s_or_b64 exec, exec, s[8:9]
	s_and_b64 s[4:5], s[4:5], exec
	s_or_saveexec_b64 s[6:7], s[6:7]
	v_mov_b32_e32 v6, s10
	s_xor_b64 exec, exec, s[6:7]
	s_cbranch_execz .LBB8_1566
.LBB8_3616:
	v_mov_b32_e32 v6, 0
	v_cmp_ne_u16_sdwa s[8:9], v2, v6 src0_sel:BYTE_3 src1_sel:DWORD
	s_andn2_b64 s[4:5], s[4:5], exec
	s_and_b64 s[8:9], s[8:9], exec
	s_or_b64 s[4:5], s[4:5], s[8:9]
	s_or_b64 exec, exec, s[6:7]
	s_and_saveexec_b64 s[6:7], s[4:5]
	s_cbranch_execnz .LBB8_1567
	s_branch .LBB8_1568
.LBB8_3617:
	s_movk_i32 s4, 0x80
	v_cmp_eq_u16_sdwa s[12:13], v7, s4 src0_sel:BYTE_0 src1_sel:DWORD
	s_mov_b64 s[4:5], -1
                                        ; implicit-def: $sgpr10
	s_and_saveexec_b64 s[8:9], s[12:13]
; %bb.3618:
	s_mov_b32 s10, 0x7f800001
	s_xor_b64 s[4:5], exec, -1
; %bb.3619:
	s_or_b64 exec, exec, s[8:9]
	s_and_b64 s[4:5], s[4:5], exec
	s_or_saveexec_b64 s[6:7], s[6:7]
	v_mov_b32_e32 v2, s10
	s_xor_b64 exec, exec, s[6:7]
	s_cbranch_execz .LBB8_1570
.LBB8_3620:
	v_mov_b32_e32 v2, 0
	v_cmp_ne_u16_sdwa s[8:9], v7, v2 src0_sel:BYTE_0 src1_sel:DWORD
	s_andn2_b64 s[4:5], s[4:5], exec
	s_and_b64 s[8:9], s[8:9], exec
	s_or_b64 s[4:5], s[4:5], s[8:9]
	s_or_b64 exec, exec, s[6:7]
	s_and_saveexec_b64 s[6:7], s[4:5]
	s_cbranch_execnz .LBB8_1571
	s_branch .LBB8_1572
.LBB8_3621:
	s_movk_i32 s4, 0x80
	v_cmp_eq_u16_sdwa s[12:13], v3, s4 src0_sel:BYTE_0 src1_sel:DWORD
	s_mov_b64 s[4:5], -1
                                        ; implicit-def: $sgpr10
	s_and_saveexec_b64 s[8:9], s[12:13]
; %bb.3622:
	s_mov_b32 s10, 0x7f800001
	s_xor_b64 s[4:5], exec, -1
; %bb.3623:
	s_or_b64 exec, exec, s[8:9]
	s_and_b64 s[4:5], s[4:5], exec
	s_or_saveexec_b64 s[6:7], s[6:7]
	v_mov_b32_e32 v6, s10
	s_xor_b64 exec, exec, s[6:7]
	s_cbranch_execz .LBB8_1574
.LBB8_3624:
	v_mov_b32_e32 v6, 0
	v_cmp_ne_u16_sdwa s[8:9], v3, v6 src0_sel:BYTE_0 src1_sel:DWORD
	s_andn2_b64 s[4:5], s[4:5], exec
	s_and_b64 s[8:9], s[8:9], exec
	s_or_b64 s[4:5], s[4:5], s[8:9]
	s_or_b64 exec, exec, s[6:7]
	s_and_saveexec_b64 s[6:7], s[4:5]
	s_cbranch_execnz .LBB8_1575
	s_branch .LBB8_1576
.LBB8_3625:
	s_movk_i32 s4, 0x80
	v_cmp_eq_u16_sdwa s[12:13], v6, s4 src0_sel:BYTE_0 src1_sel:DWORD
	s_mov_b64 s[4:5], -1
                                        ; implicit-def: $sgpr10
	s_and_saveexec_b64 s[8:9], s[12:13]
; %bb.3626:
	s_mov_b32 s10, 0x7f800001
	s_xor_b64 s[4:5], exec, -1
; %bb.3627:
	s_or_b64 exec, exec, s[8:9]
	s_and_b64 s[4:5], s[4:5], exec
	s_or_saveexec_b64 s[6:7], s[6:7]
	v_mov_b32_e32 v2, s10
	s_xor_b64 exec, exec, s[6:7]
	s_cbranch_execz .LBB8_1578
.LBB8_3628:
	v_mov_b32_e32 v2, 0
	v_cmp_ne_u16_sdwa s[8:9], v6, v2 src0_sel:BYTE_0 src1_sel:DWORD
	s_andn2_b64 s[4:5], s[4:5], exec
	s_and_b64 s[8:9], s[8:9], exec
	s_or_b64 s[4:5], s[4:5], s[8:9]
	s_or_b64 exec, exec, s[6:7]
	s_and_saveexec_b64 s[6:7], s[4:5]
	s_cbranch_execnz .LBB8_1579
	s_branch .LBB8_1580
.LBB8_3629:
	s_movk_i32 s4, 0x80
	v_cmp_eq_u16_sdwa s[12:13], v6, s4 src0_sel:BYTE_0 src1_sel:DWORD
	s_mov_b64 s[4:5], -1
                                        ; implicit-def: $sgpr10
	s_and_saveexec_b64 s[8:9], s[12:13]
; %bb.3630:
	s_mov_b32 s10, 0x7f800001
	s_xor_b64 s[4:5], exec, -1
; %bb.3631:
	s_or_b64 exec, exec, s[8:9]
	s_and_b64 s[4:5], s[4:5], exec
	s_or_saveexec_b64 s[6:7], s[6:7]
	v_mov_b32_e32 v12, s10
	s_xor_b64 exec, exec, s[6:7]
	s_cbranch_execz .LBB8_1582
.LBB8_3632:
	v_mov_b32_e32 v12, 0
	v_cmp_ne_u16_sdwa s[8:9], v6, v12 src0_sel:BYTE_0 src1_sel:DWORD
	s_andn2_b64 s[4:5], s[4:5], exec
	s_and_b64 s[8:9], s[8:9], exec
	s_or_b64 s[4:5], s[4:5], s[8:9]
	s_or_b64 exec, exec, s[6:7]
	s_and_saveexec_b64 s[6:7], s[4:5]
	s_cbranch_execnz .LBB8_1583
	s_branch .LBB8_1584
.LBB8_3633:
	s_movk_i32 s4, 0x80
	v_cmp_eq_u16_e32 vcc, s4, v6
	s_mov_b64 s[4:5], -1
                                        ; implicit-def: $sgpr10
	s_and_saveexec_b64 s[8:9], vcc
; %bb.3634:
	s_mov_b32 s10, 0x7f800001
	s_xor_b64 s[4:5], exec, -1
; %bb.3635:
	s_or_b64 exec, exec, s[8:9]
	s_and_b64 s[4:5], s[4:5], exec
                                        ; implicit-def: $vgpr6
	s_or_saveexec_b64 s[6:7], s[6:7]
	v_mov_b32_e32 v2, s10
	s_xor_b64 exec, exec, s[6:7]
	s_cbranch_execz .LBB8_1586
.LBB8_3636:
	v_cmp_ne_u16_e32 vcc, 0, v6
	s_andn2_b64 s[4:5], s[4:5], exec
	s_and_b64 s[8:9], vcc, exec
	v_mov_b32_e32 v2, 0
	s_or_b64 s[4:5], s[4:5], s[8:9]
	s_or_b64 exec, exec, s[6:7]
	s_and_saveexec_b64 s[6:7], s[4:5]
	s_cbranch_execnz .LBB8_1587
	s_branch .LBB8_1588
.LBB8_3637:
	s_movk_i32 s4, 0x80
	v_cmp_eq_u16_e32 vcc, s4, v6
	s_mov_b64 s[4:5], -1
                                        ; implicit-def: $sgpr10
	s_and_saveexec_b64 s[8:9], vcc
; %bb.3638:
	s_mov_b32 s10, 0x7f800001
	s_xor_b64 s[4:5], exec, -1
; %bb.3639:
	s_or_b64 exec, exec, s[8:9]
	s_and_b64 s[4:5], s[4:5], exec
                                        ; implicit-def: $vgpr6
	s_or_saveexec_b64 s[6:7], s[6:7]
	v_mov_b32_e32 v12, s10
	s_xor_b64 exec, exec, s[6:7]
	s_cbranch_execz .LBB8_1590
.LBB8_3640:
	v_cmp_ne_u16_e32 vcc, 0, v6
	s_andn2_b64 s[4:5], s[4:5], exec
	s_and_b64 s[8:9], vcc, exec
	v_mov_b32_e32 v12, 0
	s_or_b64 s[4:5], s[4:5], s[8:9]
	s_or_b64 exec, exec, s[6:7]
	s_and_saveexec_b64 s[6:7], s[4:5]
	s_cbranch_execnz .LBB8_1591
	s_branch .LBB8_1592
.LBB8_3641:
	s_movk_i32 s4, 0x80
	v_cmp_eq_u16_sdwa s[12:13], v7, s4 src0_sel:BYTE_3 src1_sel:DWORD
	s_mov_b64 s[4:5], -1
                                        ; implicit-def: $sgpr10
	s_and_saveexec_b64 s[8:9], s[12:13]
; %bb.3642:
	s_mov_b32 s10, 0x7f800001
	s_xor_b64 s[4:5], exec, -1
; %bb.3643:
	s_or_b64 exec, exec, s[8:9]
	s_and_b64 s[4:5], s[4:5], exec
	s_or_saveexec_b64 s[6:7], s[6:7]
	v_mov_b32_e32 v2, s10
	s_xor_b64 exec, exec, s[6:7]
	s_cbranch_execz .LBB8_1594
.LBB8_3644:
	v_mov_b32_e32 v2, 0
	v_cmp_ne_u16_sdwa s[8:9], v7, v2 src0_sel:BYTE_3 src1_sel:DWORD
	s_andn2_b64 s[4:5], s[4:5], exec
	s_and_b64 s[8:9], s[8:9], exec
	s_or_b64 s[4:5], s[4:5], s[8:9]
	s_or_b64 exec, exec, s[6:7]
	s_and_saveexec_b64 s[6:7], s[4:5]
	s_cbranch_execnz .LBB8_1595
	s_branch .LBB8_1596
.LBB8_3645:
	s_movk_i32 s4, 0x80
	v_cmp_eq_u16_sdwa s[12:13], v3, s4 src0_sel:BYTE_3 src1_sel:DWORD
	s_mov_b64 s[4:5], -1
                                        ; implicit-def: $sgpr10
	s_and_saveexec_b64 s[8:9], s[12:13]
; %bb.3646:
	s_mov_b32 s10, 0x7f800001
	s_xor_b64 s[4:5], exec, -1
; %bb.3647:
	s_or_b64 exec, exec, s[8:9]
	s_and_b64 s[4:5], s[4:5], exec
	s_or_saveexec_b64 s[6:7], s[6:7]
	v_mov_b32_e32 v6, s10
	s_xor_b64 exec, exec, s[6:7]
	s_cbranch_execz .LBB8_1598
.LBB8_3648:
	v_mov_b32_e32 v6, 0
	v_cmp_ne_u16_sdwa s[8:9], v3, v6 src0_sel:BYTE_3 src1_sel:DWORD
	s_andn2_b64 s[4:5], s[4:5], exec
	s_and_b64 s[8:9], s[8:9], exec
	s_or_b64 s[4:5], s[4:5], s[8:9]
	s_or_b64 exec, exec, s[6:7]
	s_and_saveexec_b64 s[6:7], s[4:5]
	s_cbranch_execnz .LBB8_1599
	s_branch .LBB8_1600
.LBB8_3649:
	s_movk_i32 s4, 0x80
	v_cmp_eq_u16_sdwa s[12:13], v8, s4 src0_sel:BYTE_0 src1_sel:DWORD
	s_mov_b64 s[4:5], -1
                                        ; implicit-def: $sgpr10
	s_and_saveexec_b64 s[8:9], s[12:13]
; %bb.3650:
	s_mov_b32 s10, 0x7f800001
	s_xor_b64 s[4:5], exec, -1
; %bb.3651:
	s_or_b64 exec, exec, s[8:9]
	s_and_b64 s[4:5], s[4:5], exec
	s_or_saveexec_b64 s[6:7], s[6:7]
	v_mov_b32_e32 v2, s10
	s_xor_b64 exec, exec, s[6:7]
	s_cbranch_execz .LBB8_1602
.LBB8_3652:
	v_mov_b32_e32 v2, 0
	v_cmp_ne_u16_sdwa s[8:9], v8, v2 src0_sel:BYTE_0 src1_sel:DWORD
	s_andn2_b64 s[4:5], s[4:5], exec
	s_and_b64 s[8:9], s[8:9], exec
	s_or_b64 s[4:5], s[4:5], s[8:9]
	s_or_b64 exec, exec, s[6:7]
	s_and_saveexec_b64 s[6:7], s[4:5]
	s_cbranch_execnz .LBB8_1603
	s_branch .LBB8_1604
.LBB8_3653:
	s_movk_i32 s4, 0x80
	v_cmp_eq_u16_sdwa s[12:13], v4, s4 src0_sel:BYTE_0 src1_sel:DWORD
	s_mov_b64 s[4:5], -1
                                        ; implicit-def: $sgpr10
	s_and_saveexec_b64 s[8:9], s[12:13]
; %bb.3654:
	s_mov_b32 s10, 0x7f800001
	s_xor_b64 s[4:5], exec, -1
; %bb.3655:
	s_or_b64 exec, exec, s[8:9]
	s_and_b64 s[4:5], s[4:5], exec
	s_or_saveexec_b64 s[6:7], s[6:7]
	v_mov_b32_e32 v3, s10
	s_xor_b64 exec, exec, s[6:7]
	s_cbranch_execz .LBB8_1606
.LBB8_3656:
	v_mov_b32_e32 v3, 0
	v_cmp_ne_u16_sdwa s[8:9], v4, v3 src0_sel:BYTE_0 src1_sel:DWORD
	s_andn2_b64 s[4:5], s[4:5], exec
	s_and_b64 s[8:9], s[8:9], exec
	s_or_b64 s[4:5], s[4:5], s[8:9]
	s_or_b64 exec, exec, s[6:7]
	s_and_saveexec_b64 s[6:7], s[4:5]
	s_cbranch_execnz .LBB8_1607
	s_branch .LBB8_1608
.LBB8_3657:
	s_movk_i32 s4, 0x80
	v_cmp_eq_u16_sdwa s[12:13], v3, s4 src0_sel:BYTE_0 src1_sel:DWORD
	s_mov_b64 s[4:5], -1
                                        ; implicit-def: $sgpr10
	s_and_saveexec_b64 s[8:9], s[12:13]
; %bb.3658:
	s_mov_b32 s10, 0x7f800001
	s_xor_b64 s[4:5], exec, -1
; %bb.3659:
	s_or_b64 exec, exec, s[8:9]
	s_and_b64 s[4:5], s[4:5], exec
	s_or_saveexec_b64 s[6:7], s[6:7]
	v_mov_b32_e32 v2, s10
	s_xor_b64 exec, exec, s[6:7]
	s_cbranch_execz .LBB8_1610
.LBB8_3660:
	v_mov_b32_e32 v2, 0
	v_cmp_ne_u16_sdwa s[8:9], v3, v2 src0_sel:BYTE_0 src1_sel:DWORD
	s_andn2_b64 s[4:5], s[4:5], exec
	s_and_b64 s[8:9], s[8:9], exec
	s_or_b64 s[4:5], s[4:5], s[8:9]
	s_or_b64 exec, exec, s[6:7]
	s_and_saveexec_b64 s[6:7], s[4:5]
	s_cbranch_execnz .LBB8_1611
	s_branch .LBB8_1612
.LBB8_3661:
	s_movk_i32 s4, 0x80
	v_cmp_eq_u16_sdwa s[12:13], v3, s4 src0_sel:BYTE_0 src1_sel:DWORD
	s_mov_b64 s[4:5], -1
                                        ; implicit-def: $sgpr10
	s_and_saveexec_b64 s[8:9], s[12:13]
; %bb.3662:
	s_mov_b32 s10, 0x7f800001
	s_xor_b64 s[4:5], exec, -1
; %bb.3663:
	s_or_b64 exec, exec, s[8:9]
	s_and_b64 s[4:5], s[4:5], exec
	s_or_saveexec_b64 s[6:7], s[6:7]
	v_mov_b32_e32 v6, s10
	s_xor_b64 exec, exec, s[6:7]
	s_cbranch_execz .LBB8_1614
.LBB8_3664:
	v_mov_b32_e32 v6, 0
	v_cmp_ne_u16_sdwa s[8:9], v3, v6 src0_sel:BYTE_0 src1_sel:DWORD
	s_andn2_b64 s[4:5], s[4:5], exec
	s_and_b64 s[8:9], s[8:9], exec
	s_or_b64 s[4:5], s[4:5], s[8:9]
	s_or_b64 exec, exec, s[6:7]
	s_and_saveexec_b64 s[6:7], s[4:5]
	s_cbranch_execnz .LBB8_1615
	s_branch .LBB8_1616
.LBB8_3665:
	s_movk_i32 s4, 0x80
	v_cmp_eq_u16_e32 vcc, s4, v3
	s_mov_b64 s[4:5], -1
                                        ; implicit-def: $sgpr10
	s_and_saveexec_b64 s[8:9], vcc
; %bb.3666:
	s_mov_b32 s10, 0x7f800001
	s_xor_b64 s[4:5], exec, -1
; %bb.3667:
	s_or_b64 exec, exec, s[8:9]
	s_and_b64 s[4:5], s[4:5], exec
                                        ; implicit-def: $vgpr3
	s_or_saveexec_b64 s[6:7], s[6:7]
	v_mov_b32_e32 v2, s10
	s_xor_b64 exec, exec, s[6:7]
	s_cbranch_execz .LBB8_1618
.LBB8_3668:
	v_cmp_ne_u16_e32 vcc, 0, v3
	s_andn2_b64 s[4:5], s[4:5], exec
	s_and_b64 s[8:9], vcc, exec
	v_mov_b32_e32 v2, 0
	s_or_b64 s[4:5], s[4:5], s[8:9]
	s_or_b64 exec, exec, s[6:7]
	s_and_saveexec_b64 s[6:7], s[4:5]
	s_cbranch_execnz .LBB8_1619
	s_branch .LBB8_1620
.LBB8_3669:
	s_movk_i32 s4, 0x80
	v_cmp_eq_u16_e32 vcc, s4, v3
	s_mov_b64 s[4:5], -1
                                        ; implicit-def: $sgpr10
	s_and_saveexec_b64 s[8:9], vcc
; %bb.3670:
	s_mov_b32 s10, 0x7f800001
	s_xor_b64 s[4:5], exec, -1
; %bb.3671:
	s_or_b64 exec, exec, s[8:9]
	s_and_b64 s[4:5], s[4:5], exec
                                        ; implicit-def: $vgpr3
	s_or_saveexec_b64 s[6:7], s[6:7]
	v_mov_b32_e32 v6, s10
	s_xor_b64 exec, exec, s[6:7]
	s_cbranch_execz .LBB8_1622
.LBB8_3672:
	v_cmp_ne_u16_e32 vcc, 0, v3
	s_andn2_b64 s[4:5], s[4:5], exec
	s_and_b64 s[8:9], vcc, exec
	v_mov_b32_e32 v6, 0
	s_or_b64 s[4:5], s[4:5], s[8:9]
	s_or_b64 exec, exec, s[6:7]
	s_and_saveexec_b64 s[6:7], s[4:5]
	s_cbranch_execnz .LBB8_1623
	s_branch .LBB8_1624
.LBB8_3673:
	s_movk_i32 s4, 0x80
	v_cmp_eq_u16_sdwa s[12:13], v8, s4 src0_sel:BYTE_3 src1_sel:DWORD
	s_mov_b64 s[4:5], -1
                                        ; implicit-def: $sgpr10
	s_and_saveexec_b64 s[8:9], s[12:13]
; %bb.3674:
	s_mov_b32 s10, 0x7f800001
	s_xor_b64 s[4:5], exec, -1
; %bb.3675:
	s_or_b64 exec, exec, s[8:9]
	s_and_b64 s[4:5], s[4:5], exec
	s_or_saveexec_b64 s[6:7], s[6:7]
	v_mov_b32_e32 v2, s10
	s_xor_b64 exec, exec, s[6:7]
	s_cbranch_execz .LBB8_1626
.LBB8_3676:
	v_mov_b32_e32 v2, 0
	v_cmp_ne_u16_sdwa s[8:9], v8, v2 src0_sel:BYTE_3 src1_sel:DWORD
	s_andn2_b64 s[4:5], s[4:5], exec
	s_and_b64 s[8:9], s[8:9], exec
	s_or_b64 s[4:5], s[4:5], s[8:9]
	s_or_b64 exec, exec, s[6:7]
	s_and_saveexec_b64 s[6:7], s[4:5]
	s_cbranch_execnz .LBB8_1627
	s_branch .LBB8_1628
.LBB8_3677:
	s_movk_i32 s4, 0x80
	v_cmp_eq_u16_sdwa s[12:13], v4, s4 src0_sel:BYTE_3 src1_sel:DWORD
	s_mov_b64 s[4:5], -1
                                        ; implicit-def: $sgpr10
	s_and_saveexec_b64 s[8:9], s[12:13]
; %bb.3678:
	s_mov_b32 s10, 0x7f800001
	s_xor_b64 s[4:5], exec, -1
; %bb.3679:
	s_or_b64 exec, exec, s[8:9]
	s_and_b64 s[4:5], s[4:5], exec
	s_or_saveexec_b64 s[6:7], s[6:7]
	v_mov_b32_e32 v3, s10
	s_xor_b64 exec, exec, s[6:7]
	s_cbranch_execz .LBB8_1630
.LBB8_3680:
	v_mov_b32_e32 v3, 0
	v_cmp_ne_u16_sdwa s[8:9], v4, v3 src0_sel:BYTE_3 src1_sel:DWORD
	s_andn2_b64 s[4:5], s[4:5], exec
	s_and_b64 s[8:9], s[8:9], exec
	s_or_b64 s[4:5], s[4:5], s[8:9]
	s_or_b64 exec, exec, s[6:7]
	s_and_saveexec_b64 s[6:7], s[4:5]
	s_cbranch_execnz .LBB8_1631
	s_branch .LBB8_1632
.LBB8_3681:
	s_movk_i32 s4, 0x80
	v_cmp_eq_u16_sdwa s[12:13], v9, s4 src0_sel:BYTE_0 src1_sel:DWORD
	s_mov_b64 s[4:5], -1
                                        ; implicit-def: $sgpr10
	s_and_saveexec_b64 s[8:9], s[12:13]
; %bb.3682:
	s_mov_b32 s10, 0x7f800001
	s_xor_b64 s[4:5], exec, -1
; %bb.3683:
	s_or_b64 exec, exec, s[8:9]
	s_and_b64 s[4:5], s[4:5], exec
	s_or_saveexec_b64 s[6:7], s[6:7]
	v_mov_b32_e32 v2, s10
	s_xor_b64 exec, exec, s[6:7]
	s_cbranch_execz .LBB8_1634
.LBB8_3684:
	v_mov_b32_e32 v2, 0
	v_cmp_ne_u16_sdwa s[8:9], v9, v2 src0_sel:BYTE_0 src1_sel:DWORD
	s_andn2_b64 s[4:5], s[4:5], exec
	s_and_b64 s[8:9], s[8:9], exec
	s_or_b64 s[4:5], s[4:5], s[8:9]
	s_or_b64 exec, exec, s[6:7]
	s_and_saveexec_b64 s[6:7], s[4:5]
	s_cbranch_execnz .LBB8_1635
	s_branch .LBB8_1636
.LBB8_3685:
	s_movk_i32 s4, 0x80
	v_cmp_eq_u16_sdwa s[12:13], v5, s4 src0_sel:BYTE_0 src1_sel:DWORD
	s_mov_b64 s[4:5], -1
                                        ; implicit-def: $sgpr10
	s_and_saveexec_b64 s[8:9], s[12:13]
; %bb.3686:
	s_mov_b32 s10, 0x7f800001
	s_xor_b64 s[4:5], exec, -1
; %bb.3687:
	s_or_b64 exec, exec, s[8:9]
	s_and_b64 s[4:5], s[4:5], exec
	s_or_saveexec_b64 s[6:7], s[6:7]
	v_mov_b32_e32 v3, s10
	s_xor_b64 exec, exec, s[6:7]
	s_cbranch_execz .LBB8_1638
.LBB8_3688:
	v_mov_b32_e32 v3, 0
	v_cmp_ne_u16_sdwa s[8:9], v5, v3 src0_sel:BYTE_0 src1_sel:DWORD
	s_andn2_b64 s[4:5], s[4:5], exec
	s_and_b64 s[8:9], s[8:9], exec
	s_or_b64 s[4:5], s[4:5], s[8:9]
	s_or_b64 exec, exec, s[6:7]
	s_and_saveexec_b64 s[6:7], s[4:5]
	s_cbranch_execnz .LBB8_1639
	s_branch .LBB8_1640
.LBB8_3689:
	s_movk_i32 s4, 0x80
	v_cmp_eq_u16_sdwa s[12:13], v3, s4 src0_sel:BYTE_0 src1_sel:DWORD
	s_mov_b64 s[4:5], -1
                                        ; implicit-def: $sgpr10
	s_and_saveexec_b64 s[8:9], s[12:13]
; %bb.3690:
	s_mov_b32 s10, 0x7f800001
	s_xor_b64 s[4:5], exec, -1
; %bb.3691:
	s_or_b64 exec, exec, s[8:9]
	s_and_b64 s[4:5], s[4:5], exec
	s_or_saveexec_b64 s[6:7], s[6:7]
	v_mov_b32_e32 v2, s10
	s_xor_b64 exec, exec, s[6:7]
	s_cbranch_execz .LBB8_1642
.LBB8_3692:
	v_mov_b32_e32 v2, 0
	v_cmp_ne_u16_sdwa s[8:9], v3, v2 src0_sel:BYTE_0 src1_sel:DWORD
	s_andn2_b64 s[4:5], s[4:5], exec
	s_and_b64 s[8:9], s[8:9], exec
	s_or_b64 s[4:5], s[4:5], s[8:9]
	s_or_b64 exec, exec, s[6:7]
	s_and_saveexec_b64 s[6:7], s[4:5]
	s_cbranch_execnz .LBB8_1643
	s_branch .LBB8_1644
.LBB8_3693:
	s_movk_i32 s4, 0x80
	v_cmp_eq_u16_sdwa s[12:13], v3, s4 src0_sel:BYTE_0 src1_sel:DWORD
	s_mov_b64 s[4:5], -1
                                        ; implicit-def: $sgpr10
	s_and_saveexec_b64 s[8:9], s[12:13]
; %bb.3694:
	s_mov_b32 s10, 0x7f800001
	s_xor_b64 s[4:5], exec, -1
; %bb.3695:
	s_or_b64 exec, exec, s[8:9]
	s_and_b64 s[4:5], s[4:5], exec
	s_or_saveexec_b64 s[6:7], s[6:7]
	v_mov_b32_e32 v4, s10
	s_xor_b64 exec, exec, s[6:7]
	s_cbranch_execz .LBB8_1646
.LBB8_3696:
	v_mov_b32_e32 v4, 0
	v_cmp_ne_u16_sdwa s[8:9], v3, v4 src0_sel:BYTE_0 src1_sel:DWORD
	s_andn2_b64 s[4:5], s[4:5], exec
	s_and_b64 s[8:9], s[8:9], exec
	s_or_b64 s[4:5], s[4:5], s[8:9]
	s_or_b64 exec, exec, s[6:7]
	s_and_saveexec_b64 s[6:7], s[4:5]
	s_cbranch_execnz .LBB8_1647
	s_branch .LBB8_1648
.LBB8_3697:
	s_movk_i32 s4, 0x80
	v_cmp_eq_u16_e32 vcc, s4, v3
	s_mov_b64 s[4:5], -1
                                        ; implicit-def: $sgpr10
	s_and_saveexec_b64 s[8:9], vcc
; %bb.3698:
	s_mov_b32 s10, 0x7f800001
	s_xor_b64 s[4:5], exec, -1
; %bb.3699:
	s_or_b64 exec, exec, s[8:9]
	s_and_b64 s[4:5], s[4:5], exec
                                        ; implicit-def: $vgpr3
	s_or_saveexec_b64 s[6:7], s[6:7]
	v_mov_b32_e32 v2, s10
	s_xor_b64 exec, exec, s[6:7]
	s_cbranch_execz .LBB8_1650
.LBB8_3700:
	v_cmp_ne_u16_e32 vcc, 0, v3
	s_andn2_b64 s[4:5], s[4:5], exec
	s_and_b64 s[8:9], vcc, exec
	v_mov_b32_e32 v2, 0
	s_or_b64 s[4:5], s[4:5], s[8:9]
	s_or_b64 exec, exec, s[6:7]
	s_and_saveexec_b64 s[6:7], s[4:5]
	s_cbranch_execnz .LBB8_1651
	s_branch .LBB8_1652
.LBB8_3701:
	s_movk_i32 s4, 0x80
	v_cmp_eq_u16_e32 vcc, s4, v3
	s_mov_b64 s[4:5], -1
                                        ; implicit-def: $sgpr10
	s_and_saveexec_b64 s[8:9], vcc
; %bb.3702:
	s_mov_b32 s10, 0x7f800001
	s_xor_b64 s[4:5], exec, -1
; %bb.3703:
	s_or_b64 exec, exec, s[8:9]
	s_and_b64 s[4:5], s[4:5], exec
                                        ; implicit-def: $vgpr3
	s_or_saveexec_b64 s[6:7], s[6:7]
	v_mov_b32_e32 v4, s10
	s_xor_b64 exec, exec, s[6:7]
	s_cbranch_execz .LBB8_1654
.LBB8_3704:
	v_cmp_ne_u16_e32 vcc, 0, v3
	s_andn2_b64 s[4:5], s[4:5], exec
	s_and_b64 s[8:9], vcc, exec
	v_mov_b32_e32 v4, 0
	s_or_b64 s[4:5], s[4:5], s[8:9]
	s_or_b64 exec, exec, s[6:7]
	s_and_saveexec_b64 s[6:7], s[4:5]
	s_cbranch_execnz .LBB8_1655
	s_branch .LBB8_1656
.LBB8_3705:
	s_movk_i32 s4, 0x80
	v_cmp_eq_u16_sdwa s[12:13], v9, s4 src0_sel:BYTE_3 src1_sel:DWORD
	s_mov_b64 s[4:5], -1
                                        ; implicit-def: $sgpr10
	s_and_saveexec_b64 s[8:9], s[12:13]
; %bb.3706:
	s_mov_b32 s10, 0x7f800001
	s_xor_b64 s[4:5], exec, -1
; %bb.3707:
	s_or_b64 exec, exec, s[8:9]
	s_and_b64 s[4:5], s[4:5], exec
	s_or_saveexec_b64 s[6:7], s[6:7]
	v_mov_b32_e32 v2, s10
	s_xor_b64 exec, exec, s[6:7]
	s_cbranch_execz .LBB8_1658
.LBB8_3708:
	v_mov_b32_e32 v2, 0
	v_cmp_ne_u16_sdwa s[8:9], v9, v2 src0_sel:BYTE_3 src1_sel:DWORD
	s_andn2_b64 s[4:5], s[4:5], exec
	s_and_b64 s[8:9], s[8:9], exec
	s_or_b64 s[4:5], s[4:5], s[8:9]
	s_or_b64 exec, exec, s[6:7]
	s_and_saveexec_b64 s[6:7], s[4:5]
	s_cbranch_execnz .LBB8_1659
	s_branch .LBB8_1660
.LBB8_3709:
	s_movk_i32 s4, 0x80
	v_cmp_eq_u16_sdwa s[12:13], v5, s4 src0_sel:BYTE_3 src1_sel:DWORD
	s_mov_b64 s[4:5], -1
                                        ; implicit-def: $sgpr10
	s_and_saveexec_b64 s[8:9], s[12:13]
; %bb.3710:
	s_mov_b32 s10, 0x7f800001
	s_xor_b64 s[4:5], exec, -1
; %bb.3711:
	s_or_b64 exec, exec, s[8:9]
	s_and_b64 s[4:5], s[4:5], exec
	s_or_saveexec_b64 s[6:7], s[6:7]
	v_mov_b32_e32 v3, s10
	s_xor_b64 exec, exec, s[6:7]
	s_cbranch_execz .LBB8_1662
.LBB8_3712:
	v_mov_b32_e32 v3, 0
	v_cmp_ne_u16_sdwa s[8:9], v5, v3 src0_sel:BYTE_3 src1_sel:DWORD
	s_andn2_b64 s[4:5], s[4:5], exec
	s_and_b64 s[8:9], s[8:9], exec
	s_or_b64 s[4:5], s[4:5], s[8:9]
	s_or_b64 exec, exec, s[6:7]
	s_and_saveexec_b64 s[6:7], s[4:5]
	s_cbranch_execnz .LBB8_1663
	s_branch .LBB8_1664
.LBB8_3713:
	s_movk_i32 s4, 0x80
	v_cmp_eq_u16_sdwa s[12:13], v6, s4 src0_sel:BYTE_0 src1_sel:DWORD
	s_mov_b64 s[4:5], -1
                                        ; implicit-def: $sgpr10
	s_and_saveexec_b64 s[8:9], s[12:13]
; %bb.3714:
	s_mov_b32 s10, 0x7f800001
	s_xor_b64 s[4:5], exec, -1
; %bb.3715:
	s_or_b64 exec, exec, s[8:9]
	s_and_b64 s[4:5], s[4:5], exec
	s_or_saveexec_b64 s[6:7], s[6:7]
	v_mov_b32_e32 v12, s10
	s_xor_b64 exec, exec, s[6:7]
	s_cbranch_execz .LBB8_1666
.LBB8_3716:
	v_mov_b32_e32 v12, 0
	v_cmp_ne_u16_sdwa s[8:9], v6, v12 src0_sel:BYTE_0 src1_sel:DWORD
	s_andn2_b64 s[4:5], s[4:5], exec
	s_and_b64 s[8:9], s[8:9], exec
	s_or_b64 s[4:5], s[4:5], s[8:9]
	s_or_b64 exec, exec, s[6:7]
	s_and_saveexec_b64 s[6:7], s[4:5]
	s_cbranch_execnz .LBB8_1667
	s_branch .LBB8_1668
.LBB8_3717:
	s_movk_i32 s4, 0x80
	v_cmp_eq_u16_sdwa s[12:13], v2, s4 src0_sel:BYTE_0 src1_sel:DWORD
	s_mov_b64 s[4:5], -1
                                        ; implicit-def: $sgpr10
	s_and_saveexec_b64 s[8:9], s[12:13]
; %bb.3718:
	s_mov_b32 s10, 0x7f800001
	s_xor_b64 s[4:5], exec, -1
; %bb.3719:
	s_or_b64 exec, exec, s[8:9]
	s_and_b64 s[4:5], s[4:5], exec
	s_or_saveexec_b64 s[6:7], s[6:7]
	v_mov_b32_e32 v13, s10
	s_xor_b64 exec, exec, s[6:7]
	s_cbranch_execz .LBB8_1670
.LBB8_3720:
	v_mov_b32_e32 v13, 0
	v_cmp_ne_u16_sdwa s[8:9], v2, v13 src0_sel:BYTE_0 src1_sel:DWORD
	s_andn2_b64 s[4:5], s[4:5], exec
	s_and_b64 s[8:9], s[8:9], exec
	s_or_b64 s[4:5], s[4:5], s[8:9]
	s_or_b64 exec, exec, s[6:7]
	s_and_saveexec_b64 s[6:7], s[4:5]
	s_cbranch_execnz .LBB8_1671
	s_branch .LBB8_1672
.LBB8_3721:
	s_movk_i32 s4, 0x80
	v_cmp_eq_u16_sdwa s[12:13], v13, s4 src0_sel:BYTE_0 src1_sel:DWORD
	s_mov_b64 s[4:5], -1
                                        ; implicit-def: $sgpr10
	s_and_saveexec_b64 s[8:9], s[12:13]
; %bb.3722:
	s_mov_b32 s10, 0x7f800001
	s_xor_b64 s[4:5], exec, -1
; %bb.3723:
	s_or_b64 exec, exec, s[8:9]
	s_and_b64 s[4:5], s[4:5], exec
	s_or_saveexec_b64 s[6:7], s[6:7]
	v_mov_b32_e32 v12, s10
	s_xor_b64 exec, exec, s[6:7]
	s_cbranch_execz .LBB8_1674
.LBB8_3724:
	v_mov_b32_e32 v12, 0
	v_cmp_ne_u16_sdwa s[8:9], v13, v12 src0_sel:BYTE_0 src1_sel:DWORD
	s_andn2_b64 s[4:5], s[4:5], exec
	s_and_b64 s[8:9], s[8:9], exec
	s_or_b64 s[4:5], s[4:5], s[8:9]
	s_or_b64 exec, exec, s[6:7]
	s_and_saveexec_b64 s[6:7], s[4:5]
	s_cbranch_execnz .LBB8_1675
	s_branch .LBB8_1676
.LBB8_3725:
	s_movk_i32 s4, 0x80
	v_cmp_eq_u16_sdwa s[12:13], v13, s4 src0_sel:BYTE_0 src1_sel:DWORD
	s_mov_b64 s[4:5], -1
                                        ; implicit-def: $sgpr10
	s_and_saveexec_b64 s[8:9], s[12:13]
; %bb.3726:
	s_mov_b32 s10, 0x7f800001
	s_xor_b64 s[4:5], exec, -1
; %bb.3727:
	s_or_b64 exec, exec, s[8:9]
	s_and_b64 s[4:5], s[4:5], exec
	s_or_saveexec_b64 s[6:7], s[6:7]
	v_mov_b32_e32 v14, s10
	s_xor_b64 exec, exec, s[6:7]
	s_cbranch_execz .LBB8_1678
.LBB8_3728:
	v_mov_b32_e32 v14, 0
	v_cmp_ne_u16_sdwa s[8:9], v13, v14 src0_sel:BYTE_0 src1_sel:DWORD
	s_andn2_b64 s[4:5], s[4:5], exec
	s_and_b64 s[8:9], s[8:9], exec
	s_or_b64 s[4:5], s[4:5], s[8:9]
	s_or_b64 exec, exec, s[6:7]
	s_and_saveexec_b64 s[6:7], s[4:5]
	s_cbranch_execnz .LBB8_1679
	s_branch .LBB8_1680
.LBB8_3729:
	s_movk_i32 s4, 0x80
	v_cmp_eq_u16_e32 vcc, s4, v13
	s_mov_b64 s[4:5], -1
                                        ; implicit-def: $sgpr10
	s_and_saveexec_b64 s[8:9], vcc
; %bb.3730:
	s_mov_b32 s10, 0x7f800001
	s_xor_b64 s[4:5], exec, -1
; %bb.3731:
	s_or_b64 exec, exec, s[8:9]
	s_and_b64 s[4:5], s[4:5], exec
                                        ; implicit-def: $vgpr13
	s_or_saveexec_b64 s[6:7], s[6:7]
	v_mov_b32_e32 v12, s10
	s_xor_b64 exec, exec, s[6:7]
	s_cbranch_execz .LBB8_1682
.LBB8_3732:
	v_cmp_ne_u16_e32 vcc, 0, v13
	s_andn2_b64 s[4:5], s[4:5], exec
	s_and_b64 s[8:9], vcc, exec
	v_mov_b32_e32 v12, 0
	s_or_b64 s[4:5], s[4:5], s[8:9]
	s_or_b64 exec, exec, s[6:7]
	s_and_saveexec_b64 s[6:7], s[4:5]
	s_cbranch_execnz .LBB8_1683
	s_branch .LBB8_1684
.LBB8_3733:
	s_movk_i32 s4, 0x80
	v_cmp_eq_u16_e32 vcc, s4, v13
	s_mov_b64 s[4:5], -1
                                        ; implicit-def: $sgpr10
	s_and_saveexec_b64 s[8:9], vcc
; %bb.3734:
	s_mov_b32 s10, 0x7f800001
	s_xor_b64 s[4:5], exec, -1
; %bb.3735:
	s_or_b64 exec, exec, s[8:9]
	s_and_b64 s[4:5], s[4:5], exec
                                        ; implicit-def: $vgpr13
	s_or_saveexec_b64 s[6:7], s[6:7]
	v_mov_b32_e32 v14, s10
	s_xor_b64 exec, exec, s[6:7]
	s_cbranch_execz .LBB8_1686
.LBB8_3736:
	v_cmp_ne_u16_e32 vcc, 0, v13
	s_andn2_b64 s[4:5], s[4:5], exec
	s_and_b64 s[8:9], vcc, exec
	v_mov_b32_e32 v14, 0
	s_or_b64 s[4:5], s[4:5], s[8:9]
	s_or_b64 exec, exec, s[6:7]
	s_and_saveexec_b64 s[6:7], s[4:5]
	s_cbranch_execnz .LBB8_1687
	s_branch .LBB8_1688
.LBB8_3737:
	s_movk_i32 s4, 0x80
	v_cmp_eq_u16_sdwa s[12:13], v6, s4 src0_sel:BYTE_3 src1_sel:DWORD
	s_mov_b64 s[4:5], -1
                                        ; implicit-def: $sgpr10
	s_and_saveexec_b64 s[8:9], s[12:13]
; %bb.3738:
	s_mov_b32 s10, 0x7f800001
	s_xor_b64 s[4:5], exec, -1
; %bb.3739:
	s_or_b64 exec, exec, s[8:9]
	s_and_b64 s[4:5], s[4:5], exec
	s_or_saveexec_b64 s[6:7], s[6:7]
	v_mov_b32_e32 v12, s10
	s_xor_b64 exec, exec, s[6:7]
	s_cbranch_execz .LBB8_1690
.LBB8_3740:
	v_mov_b32_e32 v12, 0
	v_cmp_ne_u16_sdwa s[8:9], v6, v12 src0_sel:BYTE_3 src1_sel:DWORD
	s_andn2_b64 s[4:5], s[4:5], exec
	s_and_b64 s[8:9], s[8:9], exec
	s_or_b64 s[4:5], s[4:5], s[8:9]
	s_or_b64 exec, exec, s[6:7]
	s_and_saveexec_b64 s[6:7], s[4:5]
	s_cbranch_execnz .LBB8_1691
	s_branch .LBB8_1692
.LBB8_3741:
	s_movk_i32 s4, 0x80
	v_cmp_eq_u16_sdwa s[12:13], v2, s4 src0_sel:BYTE_3 src1_sel:DWORD
	s_mov_b64 s[4:5], -1
                                        ; implicit-def: $sgpr10
	s_and_saveexec_b64 s[8:9], s[12:13]
; %bb.3742:
	s_mov_b32 s10, 0x7f800001
	s_xor_b64 s[4:5], exec, -1
; %bb.3743:
	s_or_b64 exec, exec, s[8:9]
	s_and_b64 s[4:5], s[4:5], exec
	s_or_saveexec_b64 s[6:7], s[6:7]
	v_mov_b32_e32 v6, s10
	s_xor_b64 exec, exec, s[6:7]
	s_cbranch_execz .LBB8_1694
.LBB8_3744:
	v_mov_b32_e32 v6, 0
	v_cmp_ne_u16_sdwa s[8:9], v2, v6 src0_sel:BYTE_3 src1_sel:DWORD
	s_andn2_b64 s[4:5], s[4:5], exec
	s_and_b64 s[8:9], s[8:9], exec
	s_or_b64 s[4:5], s[4:5], s[8:9]
	s_or_b64 exec, exec, s[6:7]
	s_and_saveexec_b64 s[6:7], s[4:5]
	s_cbranch_execnz .LBB8_1695
	s_branch .LBB8_1696
.LBB8_3745:
	s_movk_i32 s4, 0x80
	v_cmp_eq_u16_sdwa s[12:13], v7, s4 src0_sel:BYTE_0 src1_sel:DWORD
	s_mov_b64 s[4:5], -1
                                        ; implicit-def: $sgpr10
	s_and_saveexec_b64 s[8:9], s[12:13]
; %bb.3746:
	s_mov_b32 s10, 0x7f800001
	s_xor_b64 s[4:5], exec, -1
; %bb.3747:
	s_or_b64 exec, exec, s[8:9]
	s_and_b64 s[4:5], s[4:5], exec
	s_or_saveexec_b64 s[6:7], s[6:7]
	v_mov_b32_e32 v2, s10
	s_xor_b64 exec, exec, s[6:7]
	s_cbranch_execz .LBB8_1698
.LBB8_3748:
	v_mov_b32_e32 v2, 0
	v_cmp_ne_u16_sdwa s[8:9], v7, v2 src0_sel:BYTE_0 src1_sel:DWORD
	s_andn2_b64 s[4:5], s[4:5], exec
	s_and_b64 s[8:9], s[8:9], exec
	s_or_b64 s[4:5], s[4:5], s[8:9]
	s_or_b64 exec, exec, s[6:7]
	s_and_saveexec_b64 s[6:7], s[4:5]
	s_cbranch_execnz .LBB8_1699
	s_branch .LBB8_1700
.LBB8_3749:
	s_movk_i32 s4, 0x80
	v_cmp_eq_u16_sdwa s[12:13], v3, s4 src0_sel:BYTE_0 src1_sel:DWORD
	s_mov_b64 s[4:5], -1
                                        ; implicit-def: $sgpr10
	s_and_saveexec_b64 s[8:9], s[12:13]
; %bb.3750:
	s_mov_b32 s10, 0x7f800001
	s_xor_b64 s[4:5], exec, -1
; %bb.3751:
	s_or_b64 exec, exec, s[8:9]
	s_and_b64 s[4:5], s[4:5], exec
	s_or_saveexec_b64 s[6:7], s[6:7]
	v_mov_b32_e32 v6, s10
	s_xor_b64 exec, exec, s[6:7]
	s_cbranch_execz .LBB8_1702
.LBB8_3752:
	v_mov_b32_e32 v6, 0
	v_cmp_ne_u16_sdwa s[8:9], v3, v6 src0_sel:BYTE_0 src1_sel:DWORD
	s_andn2_b64 s[4:5], s[4:5], exec
	s_and_b64 s[8:9], s[8:9], exec
	s_or_b64 s[4:5], s[4:5], s[8:9]
	s_or_b64 exec, exec, s[6:7]
	s_and_saveexec_b64 s[6:7], s[4:5]
	s_cbranch_execnz .LBB8_1703
	s_branch .LBB8_1704
.LBB8_3753:
	s_movk_i32 s4, 0x80
	v_cmp_eq_u16_sdwa s[12:13], v6, s4 src0_sel:BYTE_0 src1_sel:DWORD
	s_mov_b64 s[4:5], -1
                                        ; implicit-def: $sgpr10
	s_and_saveexec_b64 s[8:9], s[12:13]
; %bb.3754:
	s_mov_b32 s10, 0x7f800001
	s_xor_b64 s[4:5], exec, -1
; %bb.3755:
	s_or_b64 exec, exec, s[8:9]
	s_and_b64 s[4:5], s[4:5], exec
	s_or_saveexec_b64 s[6:7], s[6:7]
	v_mov_b32_e32 v2, s10
	s_xor_b64 exec, exec, s[6:7]
	s_cbranch_execz .LBB8_1706
.LBB8_3756:
	v_mov_b32_e32 v2, 0
	v_cmp_ne_u16_sdwa s[8:9], v6, v2 src0_sel:BYTE_0 src1_sel:DWORD
	s_andn2_b64 s[4:5], s[4:5], exec
	s_and_b64 s[8:9], s[8:9], exec
	s_or_b64 s[4:5], s[4:5], s[8:9]
	s_or_b64 exec, exec, s[6:7]
	s_and_saveexec_b64 s[6:7], s[4:5]
	s_cbranch_execnz .LBB8_1707
	s_branch .LBB8_1708
.LBB8_3757:
	s_movk_i32 s4, 0x80
	v_cmp_eq_u16_sdwa s[12:13], v6, s4 src0_sel:BYTE_0 src1_sel:DWORD
	s_mov_b64 s[4:5], -1
                                        ; implicit-def: $sgpr10
	s_and_saveexec_b64 s[8:9], s[12:13]
; %bb.3758:
	s_mov_b32 s10, 0x7f800001
	s_xor_b64 s[4:5], exec, -1
; %bb.3759:
	s_or_b64 exec, exec, s[8:9]
	s_and_b64 s[4:5], s[4:5], exec
	s_or_saveexec_b64 s[6:7], s[6:7]
	v_mov_b32_e32 v12, s10
	s_xor_b64 exec, exec, s[6:7]
	s_cbranch_execz .LBB8_1710
.LBB8_3760:
	v_mov_b32_e32 v12, 0
	v_cmp_ne_u16_sdwa s[8:9], v6, v12 src0_sel:BYTE_0 src1_sel:DWORD
	s_andn2_b64 s[4:5], s[4:5], exec
	s_and_b64 s[8:9], s[8:9], exec
	s_or_b64 s[4:5], s[4:5], s[8:9]
	s_or_b64 exec, exec, s[6:7]
	s_and_saveexec_b64 s[6:7], s[4:5]
	s_cbranch_execnz .LBB8_1711
	s_branch .LBB8_1712
.LBB8_3761:
	s_movk_i32 s4, 0x80
	v_cmp_eq_u16_e32 vcc, s4, v6
	s_mov_b64 s[4:5], -1
                                        ; implicit-def: $sgpr10
	s_and_saveexec_b64 s[8:9], vcc
; %bb.3762:
	s_mov_b32 s10, 0x7f800001
	s_xor_b64 s[4:5], exec, -1
; %bb.3763:
	s_or_b64 exec, exec, s[8:9]
	s_and_b64 s[4:5], s[4:5], exec
                                        ; implicit-def: $vgpr6
	s_or_saveexec_b64 s[6:7], s[6:7]
	v_mov_b32_e32 v2, s10
	s_xor_b64 exec, exec, s[6:7]
	s_cbranch_execz .LBB8_1714
.LBB8_3764:
	v_cmp_ne_u16_e32 vcc, 0, v6
	s_andn2_b64 s[4:5], s[4:5], exec
	s_and_b64 s[8:9], vcc, exec
	v_mov_b32_e32 v2, 0
	s_or_b64 s[4:5], s[4:5], s[8:9]
	s_or_b64 exec, exec, s[6:7]
	s_and_saveexec_b64 s[6:7], s[4:5]
	s_cbranch_execnz .LBB8_1715
	s_branch .LBB8_1716
.LBB8_3765:
	s_movk_i32 s4, 0x80
	v_cmp_eq_u16_e32 vcc, s4, v6
	s_mov_b64 s[4:5], -1
                                        ; implicit-def: $sgpr10
	s_and_saveexec_b64 s[8:9], vcc
; %bb.3766:
	s_mov_b32 s10, 0x7f800001
	s_xor_b64 s[4:5], exec, -1
; %bb.3767:
	s_or_b64 exec, exec, s[8:9]
	s_and_b64 s[4:5], s[4:5], exec
                                        ; implicit-def: $vgpr6
	s_or_saveexec_b64 s[6:7], s[6:7]
	v_mov_b32_e32 v12, s10
	s_xor_b64 exec, exec, s[6:7]
	s_cbranch_execz .LBB8_1718
.LBB8_3768:
	v_cmp_ne_u16_e32 vcc, 0, v6
	s_andn2_b64 s[4:5], s[4:5], exec
	s_and_b64 s[8:9], vcc, exec
	v_mov_b32_e32 v12, 0
	s_or_b64 s[4:5], s[4:5], s[8:9]
	s_or_b64 exec, exec, s[6:7]
	s_and_saveexec_b64 s[6:7], s[4:5]
	s_cbranch_execnz .LBB8_1719
	s_branch .LBB8_1720
.LBB8_3769:
	s_movk_i32 s4, 0x80
	v_cmp_eq_u16_sdwa s[12:13], v7, s4 src0_sel:BYTE_3 src1_sel:DWORD
	s_mov_b64 s[4:5], -1
                                        ; implicit-def: $sgpr10
	s_and_saveexec_b64 s[8:9], s[12:13]
; %bb.3770:
	s_mov_b32 s10, 0x7f800001
	s_xor_b64 s[4:5], exec, -1
; %bb.3771:
	s_or_b64 exec, exec, s[8:9]
	s_and_b64 s[4:5], s[4:5], exec
	s_or_saveexec_b64 s[6:7], s[6:7]
	v_mov_b32_e32 v2, s10
	s_xor_b64 exec, exec, s[6:7]
	s_cbranch_execz .LBB8_1722
.LBB8_3772:
	v_mov_b32_e32 v2, 0
	v_cmp_ne_u16_sdwa s[8:9], v7, v2 src0_sel:BYTE_3 src1_sel:DWORD
	s_andn2_b64 s[4:5], s[4:5], exec
	s_and_b64 s[8:9], s[8:9], exec
	s_or_b64 s[4:5], s[4:5], s[8:9]
	s_or_b64 exec, exec, s[6:7]
	s_and_saveexec_b64 s[6:7], s[4:5]
	s_cbranch_execnz .LBB8_1723
	s_branch .LBB8_1724
.LBB8_3773:
	s_movk_i32 s4, 0x80
	v_cmp_eq_u16_sdwa s[12:13], v3, s4 src0_sel:BYTE_3 src1_sel:DWORD
	s_mov_b64 s[4:5], -1
                                        ; implicit-def: $sgpr10
	s_and_saveexec_b64 s[8:9], s[12:13]
; %bb.3774:
	s_mov_b32 s10, 0x7f800001
	s_xor_b64 s[4:5], exec, -1
; %bb.3775:
	s_or_b64 exec, exec, s[8:9]
	s_and_b64 s[4:5], s[4:5], exec
	s_or_saveexec_b64 s[6:7], s[6:7]
	v_mov_b32_e32 v6, s10
	s_xor_b64 exec, exec, s[6:7]
	s_cbranch_execz .LBB8_1726
.LBB8_3776:
	v_mov_b32_e32 v6, 0
	v_cmp_ne_u16_sdwa s[8:9], v3, v6 src0_sel:BYTE_3 src1_sel:DWORD
	s_andn2_b64 s[4:5], s[4:5], exec
	s_and_b64 s[8:9], s[8:9], exec
	s_or_b64 s[4:5], s[4:5], s[8:9]
	s_or_b64 exec, exec, s[6:7]
	s_and_saveexec_b64 s[6:7], s[4:5]
	s_cbranch_execnz .LBB8_1727
	s_branch .LBB8_1728
.LBB8_3777:
	s_movk_i32 s4, 0x80
	v_cmp_eq_u16_sdwa s[12:13], v8, s4 src0_sel:BYTE_0 src1_sel:DWORD
	s_mov_b64 s[4:5], -1
                                        ; implicit-def: $sgpr10
	s_and_saveexec_b64 s[8:9], s[12:13]
; %bb.3778:
	s_mov_b32 s10, 0x7f800001
	s_xor_b64 s[4:5], exec, -1
; %bb.3779:
	s_or_b64 exec, exec, s[8:9]
	s_and_b64 s[4:5], s[4:5], exec
	s_or_saveexec_b64 s[6:7], s[6:7]
	v_mov_b32_e32 v2, s10
	s_xor_b64 exec, exec, s[6:7]
	s_cbranch_execz .LBB8_1730
.LBB8_3780:
	v_mov_b32_e32 v2, 0
	v_cmp_ne_u16_sdwa s[8:9], v8, v2 src0_sel:BYTE_0 src1_sel:DWORD
	s_andn2_b64 s[4:5], s[4:5], exec
	s_and_b64 s[8:9], s[8:9], exec
	s_or_b64 s[4:5], s[4:5], s[8:9]
	s_or_b64 exec, exec, s[6:7]
	s_and_saveexec_b64 s[6:7], s[4:5]
	s_cbranch_execnz .LBB8_1731
	s_branch .LBB8_1732
.LBB8_3781:
	s_movk_i32 s4, 0x80
	v_cmp_eq_u16_sdwa s[12:13], v4, s4 src0_sel:BYTE_0 src1_sel:DWORD
	s_mov_b64 s[4:5], -1
                                        ; implicit-def: $sgpr10
	s_and_saveexec_b64 s[8:9], s[12:13]
; %bb.3782:
	s_mov_b32 s10, 0x7f800001
	s_xor_b64 s[4:5], exec, -1
; %bb.3783:
	s_or_b64 exec, exec, s[8:9]
	s_and_b64 s[4:5], s[4:5], exec
	s_or_saveexec_b64 s[6:7], s[6:7]
	v_mov_b32_e32 v3, s10
	s_xor_b64 exec, exec, s[6:7]
	s_cbranch_execz .LBB8_1734
.LBB8_3784:
	v_mov_b32_e32 v3, 0
	v_cmp_ne_u16_sdwa s[8:9], v4, v3 src0_sel:BYTE_0 src1_sel:DWORD
	s_andn2_b64 s[4:5], s[4:5], exec
	s_and_b64 s[8:9], s[8:9], exec
	s_or_b64 s[4:5], s[4:5], s[8:9]
	s_or_b64 exec, exec, s[6:7]
	s_and_saveexec_b64 s[6:7], s[4:5]
	s_cbranch_execnz .LBB8_1735
	s_branch .LBB8_1736
.LBB8_3785:
	s_movk_i32 s4, 0x80
	v_cmp_eq_u16_sdwa s[12:13], v3, s4 src0_sel:BYTE_0 src1_sel:DWORD
	s_mov_b64 s[4:5], -1
                                        ; implicit-def: $sgpr10
	s_and_saveexec_b64 s[8:9], s[12:13]
; %bb.3786:
	s_mov_b32 s10, 0x7f800001
	s_xor_b64 s[4:5], exec, -1
; %bb.3787:
	s_or_b64 exec, exec, s[8:9]
	s_and_b64 s[4:5], s[4:5], exec
	s_or_saveexec_b64 s[6:7], s[6:7]
	v_mov_b32_e32 v2, s10
	s_xor_b64 exec, exec, s[6:7]
	s_cbranch_execz .LBB8_1738
.LBB8_3788:
	v_mov_b32_e32 v2, 0
	v_cmp_ne_u16_sdwa s[8:9], v3, v2 src0_sel:BYTE_0 src1_sel:DWORD
	s_andn2_b64 s[4:5], s[4:5], exec
	s_and_b64 s[8:9], s[8:9], exec
	s_or_b64 s[4:5], s[4:5], s[8:9]
	s_or_b64 exec, exec, s[6:7]
	s_and_saveexec_b64 s[6:7], s[4:5]
	s_cbranch_execnz .LBB8_1739
	s_branch .LBB8_1740
.LBB8_3789:
	s_movk_i32 s4, 0x80
	v_cmp_eq_u16_sdwa s[12:13], v3, s4 src0_sel:BYTE_0 src1_sel:DWORD
	s_mov_b64 s[4:5], -1
                                        ; implicit-def: $sgpr10
	s_and_saveexec_b64 s[8:9], s[12:13]
; %bb.3790:
	s_mov_b32 s10, 0x7f800001
	s_xor_b64 s[4:5], exec, -1
; %bb.3791:
	s_or_b64 exec, exec, s[8:9]
	s_and_b64 s[4:5], s[4:5], exec
	s_or_saveexec_b64 s[6:7], s[6:7]
	v_mov_b32_e32 v6, s10
	s_xor_b64 exec, exec, s[6:7]
	s_cbranch_execz .LBB8_1742
.LBB8_3792:
	v_mov_b32_e32 v6, 0
	v_cmp_ne_u16_sdwa s[8:9], v3, v6 src0_sel:BYTE_0 src1_sel:DWORD
	s_andn2_b64 s[4:5], s[4:5], exec
	s_and_b64 s[8:9], s[8:9], exec
	s_or_b64 s[4:5], s[4:5], s[8:9]
	s_or_b64 exec, exec, s[6:7]
	s_and_saveexec_b64 s[6:7], s[4:5]
	s_cbranch_execnz .LBB8_1743
	s_branch .LBB8_1744
.LBB8_3793:
	s_movk_i32 s4, 0x80
	v_cmp_eq_u16_e32 vcc, s4, v3
	s_mov_b64 s[4:5], -1
                                        ; implicit-def: $sgpr10
	s_and_saveexec_b64 s[8:9], vcc
; %bb.3794:
	s_mov_b32 s10, 0x7f800001
	s_xor_b64 s[4:5], exec, -1
; %bb.3795:
	s_or_b64 exec, exec, s[8:9]
	s_and_b64 s[4:5], s[4:5], exec
                                        ; implicit-def: $vgpr3
	s_or_saveexec_b64 s[6:7], s[6:7]
	v_mov_b32_e32 v2, s10
	s_xor_b64 exec, exec, s[6:7]
	s_cbranch_execz .LBB8_1746
.LBB8_3796:
	v_cmp_ne_u16_e32 vcc, 0, v3
	s_andn2_b64 s[4:5], s[4:5], exec
	s_and_b64 s[8:9], vcc, exec
	v_mov_b32_e32 v2, 0
	s_or_b64 s[4:5], s[4:5], s[8:9]
	s_or_b64 exec, exec, s[6:7]
	s_and_saveexec_b64 s[6:7], s[4:5]
	s_cbranch_execnz .LBB8_1747
	s_branch .LBB8_1748
.LBB8_3797:
	s_movk_i32 s4, 0x80
	v_cmp_eq_u16_e32 vcc, s4, v3
	s_mov_b64 s[4:5], -1
                                        ; implicit-def: $sgpr10
	s_and_saveexec_b64 s[8:9], vcc
; %bb.3798:
	s_mov_b32 s10, 0x7f800001
	s_xor_b64 s[4:5], exec, -1
; %bb.3799:
	s_or_b64 exec, exec, s[8:9]
	s_and_b64 s[4:5], s[4:5], exec
                                        ; implicit-def: $vgpr3
	s_or_saveexec_b64 s[6:7], s[6:7]
	v_mov_b32_e32 v6, s10
	s_xor_b64 exec, exec, s[6:7]
	s_cbranch_execz .LBB8_1750
.LBB8_3800:
	v_cmp_ne_u16_e32 vcc, 0, v3
	s_andn2_b64 s[4:5], s[4:5], exec
	s_and_b64 s[8:9], vcc, exec
	v_mov_b32_e32 v6, 0
	s_or_b64 s[4:5], s[4:5], s[8:9]
	s_or_b64 exec, exec, s[6:7]
	s_and_saveexec_b64 s[6:7], s[4:5]
	s_cbranch_execnz .LBB8_1751
	s_branch .LBB8_1752
.LBB8_3801:
	s_movk_i32 s4, 0x80
	v_cmp_eq_u16_sdwa s[12:13], v8, s4 src0_sel:BYTE_3 src1_sel:DWORD
	s_mov_b64 s[4:5], -1
                                        ; implicit-def: $sgpr10
	s_and_saveexec_b64 s[8:9], s[12:13]
; %bb.3802:
	s_mov_b32 s10, 0x7f800001
	s_xor_b64 s[4:5], exec, -1
; %bb.3803:
	s_or_b64 exec, exec, s[8:9]
	s_and_b64 s[4:5], s[4:5], exec
	s_or_saveexec_b64 s[6:7], s[6:7]
	v_mov_b32_e32 v2, s10
	s_xor_b64 exec, exec, s[6:7]
	s_cbranch_execz .LBB8_1754
.LBB8_3804:
	v_mov_b32_e32 v2, 0
	v_cmp_ne_u16_sdwa s[8:9], v8, v2 src0_sel:BYTE_3 src1_sel:DWORD
	s_andn2_b64 s[4:5], s[4:5], exec
	s_and_b64 s[8:9], s[8:9], exec
	s_or_b64 s[4:5], s[4:5], s[8:9]
	s_or_b64 exec, exec, s[6:7]
	s_and_saveexec_b64 s[6:7], s[4:5]
	s_cbranch_execnz .LBB8_1755
	s_branch .LBB8_1756
.LBB8_3805:
	s_movk_i32 s4, 0x80
	v_cmp_eq_u16_sdwa s[12:13], v4, s4 src0_sel:BYTE_3 src1_sel:DWORD
	s_mov_b64 s[4:5], -1
                                        ; implicit-def: $sgpr10
	s_and_saveexec_b64 s[8:9], s[12:13]
; %bb.3806:
	s_mov_b32 s10, 0x7f800001
	s_xor_b64 s[4:5], exec, -1
; %bb.3807:
	s_or_b64 exec, exec, s[8:9]
	s_and_b64 s[4:5], s[4:5], exec
	s_or_saveexec_b64 s[6:7], s[6:7]
	v_mov_b32_e32 v3, s10
	s_xor_b64 exec, exec, s[6:7]
	s_cbranch_execz .LBB8_1758
.LBB8_3808:
	v_mov_b32_e32 v3, 0
	v_cmp_ne_u16_sdwa s[8:9], v4, v3 src0_sel:BYTE_3 src1_sel:DWORD
	s_andn2_b64 s[4:5], s[4:5], exec
	s_and_b64 s[8:9], s[8:9], exec
	s_or_b64 s[4:5], s[4:5], s[8:9]
	s_or_b64 exec, exec, s[6:7]
	s_and_saveexec_b64 s[6:7], s[4:5]
	s_cbranch_execnz .LBB8_1759
	s_branch .LBB8_1760
.LBB8_3809:
	s_movk_i32 s4, 0x80
	v_cmp_eq_u16_sdwa s[12:13], v9, s4 src0_sel:BYTE_0 src1_sel:DWORD
	s_mov_b64 s[4:5], -1
                                        ; implicit-def: $sgpr10
	s_and_saveexec_b64 s[8:9], s[12:13]
; %bb.3810:
	s_mov_b32 s10, 0x7f800001
	s_xor_b64 s[4:5], exec, -1
; %bb.3811:
	s_or_b64 exec, exec, s[8:9]
	s_and_b64 s[4:5], s[4:5], exec
	s_or_saveexec_b64 s[6:7], s[6:7]
	v_mov_b32_e32 v2, s10
	s_xor_b64 exec, exec, s[6:7]
	s_cbranch_execz .LBB8_1762
.LBB8_3812:
	v_mov_b32_e32 v2, 0
	v_cmp_ne_u16_sdwa s[8:9], v9, v2 src0_sel:BYTE_0 src1_sel:DWORD
	s_andn2_b64 s[4:5], s[4:5], exec
	s_and_b64 s[8:9], s[8:9], exec
	s_or_b64 s[4:5], s[4:5], s[8:9]
	s_or_b64 exec, exec, s[6:7]
	s_and_saveexec_b64 s[6:7], s[4:5]
	s_cbranch_execnz .LBB8_1763
	s_branch .LBB8_1764
.LBB8_3813:
	s_movk_i32 s4, 0x80
	v_cmp_eq_u16_sdwa s[12:13], v5, s4 src0_sel:BYTE_0 src1_sel:DWORD
	s_mov_b64 s[4:5], -1
                                        ; implicit-def: $sgpr10
	s_and_saveexec_b64 s[8:9], s[12:13]
; %bb.3814:
	s_mov_b32 s10, 0x7f800001
	s_xor_b64 s[4:5], exec, -1
; %bb.3815:
	s_or_b64 exec, exec, s[8:9]
	s_and_b64 s[4:5], s[4:5], exec
	s_or_saveexec_b64 s[6:7], s[6:7]
	v_mov_b32_e32 v3, s10
	s_xor_b64 exec, exec, s[6:7]
	s_cbranch_execz .LBB8_1766
.LBB8_3816:
	v_mov_b32_e32 v3, 0
	v_cmp_ne_u16_sdwa s[8:9], v5, v3 src0_sel:BYTE_0 src1_sel:DWORD
	s_andn2_b64 s[4:5], s[4:5], exec
	s_and_b64 s[8:9], s[8:9], exec
	s_or_b64 s[4:5], s[4:5], s[8:9]
	s_or_b64 exec, exec, s[6:7]
	s_and_saveexec_b64 s[6:7], s[4:5]
	s_cbranch_execnz .LBB8_1767
	s_branch .LBB8_1768
.LBB8_3817:
	s_movk_i32 s4, 0x80
	v_cmp_eq_u16_sdwa s[12:13], v3, s4 src0_sel:BYTE_0 src1_sel:DWORD
	s_mov_b64 s[4:5], -1
                                        ; implicit-def: $sgpr10
	s_and_saveexec_b64 s[8:9], s[12:13]
; %bb.3818:
	s_mov_b32 s10, 0x7f800001
	s_xor_b64 s[4:5], exec, -1
; %bb.3819:
	s_or_b64 exec, exec, s[8:9]
	s_and_b64 s[4:5], s[4:5], exec
	s_or_saveexec_b64 s[6:7], s[6:7]
	v_mov_b32_e32 v2, s10
	s_xor_b64 exec, exec, s[6:7]
	s_cbranch_execz .LBB8_1770
.LBB8_3820:
	v_mov_b32_e32 v2, 0
	v_cmp_ne_u16_sdwa s[8:9], v3, v2 src0_sel:BYTE_0 src1_sel:DWORD
	s_andn2_b64 s[4:5], s[4:5], exec
	s_and_b64 s[8:9], s[8:9], exec
	s_or_b64 s[4:5], s[4:5], s[8:9]
	s_or_b64 exec, exec, s[6:7]
	s_and_saveexec_b64 s[6:7], s[4:5]
	s_cbranch_execnz .LBB8_1771
	s_branch .LBB8_1772
.LBB8_3821:
	s_movk_i32 s4, 0x80
	v_cmp_eq_u16_sdwa s[12:13], v3, s4 src0_sel:BYTE_0 src1_sel:DWORD
	s_mov_b64 s[4:5], -1
                                        ; implicit-def: $sgpr10
	s_and_saveexec_b64 s[8:9], s[12:13]
; %bb.3822:
	s_mov_b32 s10, 0x7f800001
	s_xor_b64 s[4:5], exec, -1
; %bb.3823:
	s_or_b64 exec, exec, s[8:9]
	s_and_b64 s[4:5], s[4:5], exec
	s_or_saveexec_b64 s[6:7], s[6:7]
	v_mov_b32_e32 v4, s10
	s_xor_b64 exec, exec, s[6:7]
	s_cbranch_execz .LBB8_1774
.LBB8_3824:
	v_mov_b32_e32 v4, 0
	v_cmp_ne_u16_sdwa s[8:9], v3, v4 src0_sel:BYTE_0 src1_sel:DWORD
	s_andn2_b64 s[4:5], s[4:5], exec
	s_and_b64 s[8:9], s[8:9], exec
	s_or_b64 s[4:5], s[4:5], s[8:9]
	s_or_b64 exec, exec, s[6:7]
	s_and_saveexec_b64 s[6:7], s[4:5]
	s_cbranch_execnz .LBB8_1775
	s_branch .LBB8_1776
.LBB8_3825:
	s_movk_i32 s4, 0x80
	v_cmp_eq_u16_e32 vcc, s4, v3
	s_mov_b64 s[4:5], -1
                                        ; implicit-def: $sgpr10
	s_and_saveexec_b64 s[8:9], vcc
; %bb.3826:
	s_mov_b32 s10, 0x7f800001
	s_xor_b64 s[4:5], exec, -1
; %bb.3827:
	s_or_b64 exec, exec, s[8:9]
	s_and_b64 s[4:5], s[4:5], exec
                                        ; implicit-def: $vgpr3
	s_or_saveexec_b64 s[6:7], s[6:7]
	v_mov_b32_e32 v2, s10
	s_xor_b64 exec, exec, s[6:7]
	s_cbranch_execz .LBB8_1778
.LBB8_3828:
	v_cmp_ne_u16_e32 vcc, 0, v3
	s_andn2_b64 s[4:5], s[4:5], exec
	s_and_b64 s[8:9], vcc, exec
	v_mov_b32_e32 v2, 0
	s_or_b64 s[4:5], s[4:5], s[8:9]
	s_or_b64 exec, exec, s[6:7]
	s_and_saveexec_b64 s[6:7], s[4:5]
	s_cbranch_execnz .LBB8_1779
	s_branch .LBB8_1780
.LBB8_3829:
	s_movk_i32 s4, 0x80
	v_cmp_eq_u16_e32 vcc, s4, v3
	s_mov_b64 s[4:5], -1
                                        ; implicit-def: $sgpr10
	s_and_saveexec_b64 s[8:9], vcc
; %bb.3830:
	s_mov_b32 s10, 0x7f800001
	s_xor_b64 s[4:5], exec, -1
; %bb.3831:
	s_or_b64 exec, exec, s[8:9]
	s_and_b64 s[4:5], s[4:5], exec
                                        ; implicit-def: $vgpr3
	s_or_saveexec_b64 s[6:7], s[6:7]
	v_mov_b32_e32 v4, s10
	s_xor_b64 exec, exec, s[6:7]
	s_cbranch_execz .LBB8_1782
.LBB8_3832:
	v_cmp_ne_u16_e32 vcc, 0, v3
	s_andn2_b64 s[4:5], s[4:5], exec
	s_and_b64 s[8:9], vcc, exec
	v_mov_b32_e32 v4, 0
	s_or_b64 s[4:5], s[4:5], s[8:9]
	s_or_b64 exec, exec, s[6:7]
	s_and_saveexec_b64 s[6:7], s[4:5]
	s_cbranch_execnz .LBB8_1783
	s_branch .LBB8_1784
.LBB8_3833:
	s_movk_i32 s4, 0x80
	v_cmp_eq_u16_sdwa s[12:13], v9, s4 src0_sel:BYTE_3 src1_sel:DWORD
	s_mov_b64 s[4:5], -1
                                        ; implicit-def: $sgpr10
	s_and_saveexec_b64 s[8:9], s[12:13]
; %bb.3834:
	s_mov_b32 s10, 0x7f800001
	s_xor_b64 s[4:5], exec, -1
; %bb.3835:
	s_or_b64 exec, exec, s[8:9]
	s_and_b64 s[4:5], s[4:5], exec
	s_or_saveexec_b64 s[6:7], s[6:7]
	v_mov_b32_e32 v2, s10
	s_xor_b64 exec, exec, s[6:7]
	s_cbranch_execz .LBB8_1786
.LBB8_3836:
	v_mov_b32_e32 v2, 0
	v_cmp_ne_u16_sdwa s[8:9], v9, v2 src0_sel:BYTE_3 src1_sel:DWORD
	s_andn2_b64 s[4:5], s[4:5], exec
	s_and_b64 s[8:9], s[8:9], exec
	s_or_b64 s[4:5], s[4:5], s[8:9]
	s_or_b64 exec, exec, s[6:7]
	s_and_saveexec_b64 s[6:7], s[4:5]
	s_cbranch_execnz .LBB8_1787
	s_branch .LBB8_1788
.LBB8_3837:
	s_movk_i32 s4, 0x80
	v_cmp_eq_u16_sdwa s[12:13], v5, s4 src0_sel:BYTE_3 src1_sel:DWORD
	s_mov_b64 s[4:5], -1
                                        ; implicit-def: $sgpr10
	s_and_saveexec_b64 s[8:9], s[12:13]
; %bb.3838:
	s_mov_b32 s10, 0x7f800001
	s_xor_b64 s[4:5], exec, -1
; %bb.3839:
	s_or_b64 exec, exec, s[8:9]
	s_and_b64 s[4:5], s[4:5], exec
	s_or_saveexec_b64 s[6:7], s[6:7]
	v_mov_b32_e32 v3, s10
	s_xor_b64 exec, exec, s[6:7]
	s_cbranch_execz .LBB8_1790
.LBB8_3840:
	v_mov_b32_e32 v3, 0
	v_cmp_ne_u16_sdwa s[8:9], v5, v3 src0_sel:BYTE_3 src1_sel:DWORD
	s_andn2_b64 s[4:5], s[4:5], exec
	s_and_b64 s[8:9], s[8:9], exec
	s_or_b64 s[4:5], s[4:5], s[8:9]
	s_or_b64 exec, exec, s[6:7]
	s_and_saveexec_b64 s[6:7], s[4:5]
	s_cbranch_execnz .LBB8_1791
	s_branch .LBB8_1792
.LBB8_3841:
	s_movk_i32 s4, 0x80
	v_cmp_eq_u16_sdwa s[12:13], v6, s4 src0_sel:BYTE_0 src1_sel:DWORD
	s_mov_b64 s[4:5], -1
                                        ; implicit-def: $sgpr10
	s_and_saveexec_b64 s[8:9], s[12:13]
; %bb.3842:
	s_mov_b32 s10, 0x7f800001
	s_xor_b64 s[4:5], exec, -1
; %bb.3843:
	s_or_b64 exec, exec, s[8:9]
	s_and_b64 s[4:5], s[4:5], exec
	s_or_saveexec_b64 s[6:7], s[6:7]
	v_mov_b32_e32 v12, s10
	s_xor_b64 exec, exec, s[6:7]
	s_cbranch_execz .LBB8_1794
.LBB8_3844:
	v_mov_b32_e32 v12, 0
	v_cmp_ne_u16_sdwa s[8:9], v6, v12 src0_sel:BYTE_0 src1_sel:DWORD
	s_andn2_b64 s[4:5], s[4:5], exec
	s_and_b64 s[8:9], s[8:9], exec
	s_or_b64 s[4:5], s[4:5], s[8:9]
	s_or_b64 exec, exec, s[6:7]
	s_and_saveexec_b64 s[6:7], s[4:5]
	s_cbranch_execnz .LBB8_1795
	s_branch .LBB8_1796
.LBB8_3845:
	s_movk_i32 s4, 0x80
	v_cmp_eq_u16_sdwa s[12:13], v2, s4 src0_sel:BYTE_0 src1_sel:DWORD
	s_mov_b64 s[4:5], -1
                                        ; implicit-def: $sgpr10
	s_and_saveexec_b64 s[8:9], s[12:13]
; %bb.3846:
	s_mov_b32 s10, 0x7f800001
	s_xor_b64 s[4:5], exec, -1
; %bb.3847:
	s_or_b64 exec, exec, s[8:9]
	s_and_b64 s[4:5], s[4:5], exec
	s_or_saveexec_b64 s[6:7], s[6:7]
	v_mov_b32_e32 v13, s10
	s_xor_b64 exec, exec, s[6:7]
	s_cbranch_execz .LBB8_1798
.LBB8_3848:
	v_mov_b32_e32 v13, 0
	v_cmp_ne_u16_sdwa s[8:9], v2, v13 src0_sel:BYTE_0 src1_sel:DWORD
	s_andn2_b64 s[4:5], s[4:5], exec
	s_and_b64 s[8:9], s[8:9], exec
	s_or_b64 s[4:5], s[4:5], s[8:9]
	s_or_b64 exec, exec, s[6:7]
	s_and_saveexec_b64 s[6:7], s[4:5]
	s_cbranch_execnz .LBB8_1799
	s_branch .LBB8_1800
.LBB8_3849:
	s_movk_i32 s4, 0x80
	v_cmp_eq_u16_sdwa s[12:13], v13, s4 src0_sel:BYTE_0 src1_sel:DWORD
	s_mov_b64 s[4:5], -1
                                        ; implicit-def: $sgpr10
	s_and_saveexec_b64 s[8:9], s[12:13]
; %bb.3850:
	s_mov_b32 s10, 0x7f800001
	s_xor_b64 s[4:5], exec, -1
; %bb.3851:
	s_or_b64 exec, exec, s[8:9]
	s_and_b64 s[4:5], s[4:5], exec
	s_or_saveexec_b64 s[6:7], s[6:7]
	v_mov_b32_e32 v12, s10
	s_xor_b64 exec, exec, s[6:7]
	s_cbranch_execz .LBB8_1802
.LBB8_3852:
	v_mov_b32_e32 v12, 0
	v_cmp_ne_u16_sdwa s[8:9], v13, v12 src0_sel:BYTE_0 src1_sel:DWORD
	s_andn2_b64 s[4:5], s[4:5], exec
	s_and_b64 s[8:9], s[8:9], exec
	s_or_b64 s[4:5], s[4:5], s[8:9]
	s_or_b64 exec, exec, s[6:7]
	s_and_saveexec_b64 s[6:7], s[4:5]
	s_cbranch_execnz .LBB8_1803
	s_branch .LBB8_1804
.LBB8_3853:
	s_movk_i32 s4, 0x80
	v_cmp_eq_u16_sdwa s[12:13], v13, s4 src0_sel:BYTE_0 src1_sel:DWORD
	s_mov_b64 s[4:5], -1
                                        ; implicit-def: $sgpr10
	s_and_saveexec_b64 s[8:9], s[12:13]
; %bb.3854:
	s_mov_b32 s10, 0x7f800001
	s_xor_b64 s[4:5], exec, -1
; %bb.3855:
	s_or_b64 exec, exec, s[8:9]
	s_and_b64 s[4:5], s[4:5], exec
	s_or_saveexec_b64 s[6:7], s[6:7]
	v_mov_b32_e32 v14, s10
	s_xor_b64 exec, exec, s[6:7]
	s_cbranch_execz .LBB8_1806
.LBB8_3856:
	v_mov_b32_e32 v14, 0
	v_cmp_ne_u16_sdwa s[8:9], v13, v14 src0_sel:BYTE_0 src1_sel:DWORD
	s_andn2_b64 s[4:5], s[4:5], exec
	s_and_b64 s[8:9], s[8:9], exec
	s_or_b64 s[4:5], s[4:5], s[8:9]
	s_or_b64 exec, exec, s[6:7]
	s_and_saveexec_b64 s[6:7], s[4:5]
	s_cbranch_execnz .LBB8_1807
	s_branch .LBB8_1808
.LBB8_3857:
	s_movk_i32 s4, 0x80
	v_cmp_eq_u16_e32 vcc, s4, v13
	s_mov_b64 s[4:5], -1
                                        ; implicit-def: $sgpr10
	s_and_saveexec_b64 s[8:9], vcc
; %bb.3858:
	s_mov_b32 s10, 0x7f800001
	s_xor_b64 s[4:5], exec, -1
; %bb.3859:
	s_or_b64 exec, exec, s[8:9]
	s_and_b64 s[4:5], s[4:5], exec
                                        ; implicit-def: $vgpr13
	s_or_saveexec_b64 s[6:7], s[6:7]
	v_mov_b32_e32 v12, s10
	s_xor_b64 exec, exec, s[6:7]
	s_cbranch_execz .LBB8_1810
.LBB8_3860:
	v_cmp_ne_u16_e32 vcc, 0, v13
	s_andn2_b64 s[4:5], s[4:5], exec
	s_and_b64 s[8:9], vcc, exec
	v_mov_b32_e32 v12, 0
	s_or_b64 s[4:5], s[4:5], s[8:9]
	s_or_b64 exec, exec, s[6:7]
	s_and_saveexec_b64 s[6:7], s[4:5]
	s_cbranch_execnz .LBB8_1811
	s_branch .LBB8_1812
.LBB8_3861:
	s_movk_i32 s4, 0x80
	v_cmp_eq_u16_e32 vcc, s4, v13
	s_mov_b64 s[4:5], -1
                                        ; implicit-def: $sgpr10
	s_and_saveexec_b64 s[8:9], vcc
; %bb.3862:
	s_mov_b32 s10, 0x7f800001
	s_xor_b64 s[4:5], exec, -1
; %bb.3863:
	s_or_b64 exec, exec, s[8:9]
	s_and_b64 s[4:5], s[4:5], exec
                                        ; implicit-def: $vgpr13
	s_or_saveexec_b64 s[6:7], s[6:7]
	v_mov_b32_e32 v14, s10
	s_xor_b64 exec, exec, s[6:7]
	s_cbranch_execz .LBB8_1814
.LBB8_3864:
	v_cmp_ne_u16_e32 vcc, 0, v13
	s_andn2_b64 s[4:5], s[4:5], exec
	s_and_b64 s[8:9], vcc, exec
	v_mov_b32_e32 v14, 0
	s_or_b64 s[4:5], s[4:5], s[8:9]
	s_or_b64 exec, exec, s[6:7]
	s_and_saveexec_b64 s[6:7], s[4:5]
	s_cbranch_execnz .LBB8_1815
	s_branch .LBB8_1816
.LBB8_3865:
	s_movk_i32 s4, 0x80
	v_cmp_eq_u16_sdwa s[12:13], v6, s4 src0_sel:BYTE_3 src1_sel:DWORD
	s_mov_b64 s[4:5], -1
                                        ; implicit-def: $sgpr10
	s_and_saveexec_b64 s[8:9], s[12:13]
; %bb.3866:
	s_mov_b32 s10, 0x7f800001
	s_xor_b64 s[4:5], exec, -1
; %bb.3867:
	s_or_b64 exec, exec, s[8:9]
	s_and_b64 s[4:5], s[4:5], exec
	s_or_saveexec_b64 s[6:7], s[6:7]
	v_mov_b32_e32 v12, s10
	s_xor_b64 exec, exec, s[6:7]
	s_cbranch_execz .LBB8_1818
.LBB8_3868:
	v_mov_b32_e32 v12, 0
	v_cmp_ne_u16_sdwa s[8:9], v6, v12 src0_sel:BYTE_3 src1_sel:DWORD
	s_andn2_b64 s[4:5], s[4:5], exec
	s_and_b64 s[8:9], s[8:9], exec
	s_or_b64 s[4:5], s[4:5], s[8:9]
	s_or_b64 exec, exec, s[6:7]
	s_and_saveexec_b64 s[6:7], s[4:5]
	s_cbranch_execnz .LBB8_1819
	s_branch .LBB8_1820
.LBB8_3869:
	s_movk_i32 s4, 0x80
	v_cmp_eq_u16_sdwa s[12:13], v2, s4 src0_sel:BYTE_3 src1_sel:DWORD
	s_mov_b64 s[4:5], -1
                                        ; implicit-def: $sgpr10
	s_and_saveexec_b64 s[8:9], s[12:13]
; %bb.3870:
	s_mov_b32 s10, 0x7f800001
	s_xor_b64 s[4:5], exec, -1
; %bb.3871:
	s_or_b64 exec, exec, s[8:9]
	s_and_b64 s[4:5], s[4:5], exec
	s_or_saveexec_b64 s[6:7], s[6:7]
	v_mov_b32_e32 v6, s10
	s_xor_b64 exec, exec, s[6:7]
	s_cbranch_execz .LBB8_1822
.LBB8_3872:
	v_mov_b32_e32 v6, 0
	v_cmp_ne_u16_sdwa s[8:9], v2, v6 src0_sel:BYTE_3 src1_sel:DWORD
	s_andn2_b64 s[4:5], s[4:5], exec
	s_and_b64 s[8:9], s[8:9], exec
	s_or_b64 s[4:5], s[4:5], s[8:9]
	s_or_b64 exec, exec, s[6:7]
	s_and_saveexec_b64 s[6:7], s[4:5]
	s_cbranch_execnz .LBB8_1823
	s_branch .LBB8_1824
.LBB8_3873:
	s_movk_i32 s4, 0x80
	v_cmp_eq_u16_sdwa s[12:13], v7, s4 src0_sel:BYTE_0 src1_sel:DWORD
	s_mov_b64 s[4:5], -1
                                        ; implicit-def: $sgpr10
	s_and_saveexec_b64 s[8:9], s[12:13]
; %bb.3874:
	s_mov_b32 s10, 0x7f800001
	s_xor_b64 s[4:5], exec, -1
; %bb.3875:
	s_or_b64 exec, exec, s[8:9]
	s_and_b64 s[4:5], s[4:5], exec
	s_or_saveexec_b64 s[6:7], s[6:7]
	v_mov_b32_e32 v2, s10
	s_xor_b64 exec, exec, s[6:7]
	s_cbranch_execz .LBB8_1826
.LBB8_3876:
	v_mov_b32_e32 v2, 0
	v_cmp_ne_u16_sdwa s[8:9], v7, v2 src0_sel:BYTE_0 src1_sel:DWORD
	s_andn2_b64 s[4:5], s[4:5], exec
	s_and_b64 s[8:9], s[8:9], exec
	s_or_b64 s[4:5], s[4:5], s[8:9]
	s_or_b64 exec, exec, s[6:7]
	s_and_saveexec_b64 s[6:7], s[4:5]
	s_cbranch_execnz .LBB8_1827
	s_branch .LBB8_1828
.LBB8_3877:
	s_movk_i32 s4, 0x80
	v_cmp_eq_u16_sdwa s[12:13], v3, s4 src0_sel:BYTE_0 src1_sel:DWORD
	s_mov_b64 s[4:5], -1
                                        ; implicit-def: $sgpr10
	s_and_saveexec_b64 s[8:9], s[12:13]
; %bb.3878:
	s_mov_b32 s10, 0x7f800001
	s_xor_b64 s[4:5], exec, -1
; %bb.3879:
	s_or_b64 exec, exec, s[8:9]
	s_and_b64 s[4:5], s[4:5], exec
	s_or_saveexec_b64 s[6:7], s[6:7]
	v_mov_b32_e32 v6, s10
	s_xor_b64 exec, exec, s[6:7]
	s_cbranch_execz .LBB8_1830
.LBB8_3880:
	v_mov_b32_e32 v6, 0
	v_cmp_ne_u16_sdwa s[8:9], v3, v6 src0_sel:BYTE_0 src1_sel:DWORD
	s_andn2_b64 s[4:5], s[4:5], exec
	s_and_b64 s[8:9], s[8:9], exec
	s_or_b64 s[4:5], s[4:5], s[8:9]
	s_or_b64 exec, exec, s[6:7]
	s_and_saveexec_b64 s[6:7], s[4:5]
	s_cbranch_execnz .LBB8_1831
	s_branch .LBB8_1832
.LBB8_3881:
	s_movk_i32 s4, 0x80
	v_cmp_eq_u16_sdwa s[12:13], v6, s4 src0_sel:BYTE_0 src1_sel:DWORD
	s_mov_b64 s[4:5], -1
                                        ; implicit-def: $sgpr10
	s_and_saveexec_b64 s[8:9], s[12:13]
; %bb.3882:
	s_mov_b32 s10, 0x7f800001
	s_xor_b64 s[4:5], exec, -1
; %bb.3883:
	s_or_b64 exec, exec, s[8:9]
	s_and_b64 s[4:5], s[4:5], exec
	s_or_saveexec_b64 s[6:7], s[6:7]
	v_mov_b32_e32 v2, s10
	s_xor_b64 exec, exec, s[6:7]
	s_cbranch_execz .LBB8_1834
.LBB8_3884:
	v_mov_b32_e32 v2, 0
	v_cmp_ne_u16_sdwa s[8:9], v6, v2 src0_sel:BYTE_0 src1_sel:DWORD
	s_andn2_b64 s[4:5], s[4:5], exec
	s_and_b64 s[8:9], s[8:9], exec
	s_or_b64 s[4:5], s[4:5], s[8:9]
	s_or_b64 exec, exec, s[6:7]
	s_and_saveexec_b64 s[6:7], s[4:5]
	s_cbranch_execnz .LBB8_1835
	s_branch .LBB8_1836
.LBB8_3885:
	s_movk_i32 s4, 0x80
	v_cmp_eq_u16_sdwa s[12:13], v6, s4 src0_sel:BYTE_0 src1_sel:DWORD
	s_mov_b64 s[4:5], -1
                                        ; implicit-def: $sgpr10
	s_and_saveexec_b64 s[8:9], s[12:13]
; %bb.3886:
	s_mov_b32 s10, 0x7f800001
	s_xor_b64 s[4:5], exec, -1
; %bb.3887:
	s_or_b64 exec, exec, s[8:9]
	s_and_b64 s[4:5], s[4:5], exec
	s_or_saveexec_b64 s[6:7], s[6:7]
	v_mov_b32_e32 v12, s10
	s_xor_b64 exec, exec, s[6:7]
	s_cbranch_execz .LBB8_1838
.LBB8_3888:
	v_mov_b32_e32 v12, 0
	v_cmp_ne_u16_sdwa s[8:9], v6, v12 src0_sel:BYTE_0 src1_sel:DWORD
	s_andn2_b64 s[4:5], s[4:5], exec
	s_and_b64 s[8:9], s[8:9], exec
	s_or_b64 s[4:5], s[4:5], s[8:9]
	s_or_b64 exec, exec, s[6:7]
	s_and_saveexec_b64 s[6:7], s[4:5]
	s_cbranch_execnz .LBB8_1839
	s_branch .LBB8_1840
.LBB8_3889:
	s_movk_i32 s4, 0x80
	v_cmp_eq_u16_e32 vcc, s4, v6
	s_mov_b64 s[4:5], -1
                                        ; implicit-def: $sgpr10
	s_and_saveexec_b64 s[8:9], vcc
; %bb.3890:
	s_mov_b32 s10, 0x7f800001
	s_xor_b64 s[4:5], exec, -1
; %bb.3891:
	s_or_b64 exec, exec, s[8:9]
	s_and_b64 s[4:5], s[4:5], exec
                                        ; implicit-def: $vgpr6
	s_or_saveexec_b64 s[6:7], s[6:7]
	v_mov_b32_e32 v2, s10
	s_xor_b64 exec, exec, s[6:7]
	s_cbranch_execz .LBB8_1842
.LBB8_3892:
	v_cmp_ne_u16_e32 vcc, 0, v6
	s_andn2_b64 s[4:5], s[4:5], exec
	s_and_b64 s[8:9], vcc, exec
	v_mov_b32_e32 v2, 0
	s_or_b64 s[4:5], s[4:5], s[8:9]
	s_or_b64 exec, exec, s[6:7]
	s_and_saveexec_b64 s[6:7], s[4:5]
	s_cbranch_execnz .LBB8_1843
	s_branch .LBB8_1844
.LBB8_3893:
	s_movk_i32 s4, 0x80
	v_cmp_eq_u16_e32 vcc, s4, v6
	s_mov_b64 s[4:5], -1
                                        ; implicit-def: $sgpr10
	s_and_saveexec_b64 s[8:9], vcc
; %bb.3894:
	s_mov_b32 s10, 0x7f800001
	s_xor_b64 s[4:5], exec, -1
; %bb.3895:
	s_or_b64 exec, exec, s[8:9]
	s_and_b64 s[4:5], s[4:5], exec
                                        ; implicit-def: $vgpr6
	s_or_saveexec_b64 s[6:7], s[6:7]
	v_mov_b32_e32 v12, s10
	s_xor_b64 exec, exec, s[6:7]
	s_cbranch_execz .LBB8_1846
.LBB8_3896:
	v_cmp_ne_u16_e32 vcc, 0, v6
	s_andn2_b64 s[4:5], s[4:5], exec
	s_and_b64 s[8:9], vcc, exec
	v_mov_b32_e32 v12, 0
	s_or_b64 s[4:5], s[4:5], s[8:9]
	s_or_b64 exec, exec, s[6:7]
	s_and_saveexec_b64 s[6:7], s[4:5]
	s_cbranch_execnz .LBB8_1847
	s_branch .LBB8_1848
.LBB8_3897:
	s_movk_i32 s4, 0x80
	v_cmp_eq_u16_sdwa s[12:13], v7, s4 src0_sel:BYTE_3 src1_sel:DWORD
	s_mov_b64 s[4:5], -1
                                        ; implicit-def: $sgpr10
	s_and_saveexec_b64 s[8:9], s[12:13]
; %bb.3898:
	s_mov_b32 s10, 0x7f800001
	s_xor_b64 s[4:5], exec, -1
; %bb.3899:
	s_or_b64 exec, exec, s[8:9]
	s_and_b64 s[4:5], s[4:5], exec
	s_or_saveexec_b64 s[6:7], s[6:7]
	v_mov_b32_e32 v2, s10
	s_xor_b64 exec, exec, s[6:7]
	s_cbranch_execz .LBB8_1850
.LBB8_3900:
	v_mov_b32_e32 v2, 0
	v_cmp_ne_u16_sdwa s[8:9], v7, v2 src0_sel:BYTE_3 src1_sel:DWORD
	s_andn2_b64 s[4:5], s[4:5], exec
	s_and_b64 s[8:9], s[8:9], exec
	s_or_b64 s[4:5], s[4:5], s[8:9]
	s_or_b64 exec, exec, s[6:7]
	s_and_saveexec_b64 s[6:7], s[4:5]
	s_cbranch_execnz .LBB8_1851
	s_branch .LBB8_1852
.LBB8_3901:
	s_movk_i32 s4, 0x80
	v_cmp_eq_u16_sdwa s[12:13], v3, s4 src0_sel:BYTE_3 src1_sel:DWORD
	s_mov_b64 s[4:5], -1
                                        ; implicit-def: $sgpr10
	s_and_saveexec_b64 s[8:9], s[12:13]
; %bb.3902:
	s_mov_b32 s10, 0x7f800001
	s_xor_b64 s[4:5], exec, -1
; %bb.3903:
	s_or_b64 exec, exec, s[8:9]
	s_and_b64 s[4:5], s[4:5], exec
	s_or_saveexec_b64 s[6:7], s[6:7]
	v_mov_b32_e32 v6, s10
	s_xor_b64 exec, exec, s[6:7]
	s_cbranch_execz .LBB8_1854
.LBB8_3904:
	v_mov_b32_e32 v6, 0
	v_cmp_ne_u16_sdwa s[8:9], v3, v6 src0_sel:BYTE_3 src1_sel:DWORD
	s_andn2_b64 s[4:5], s[4:5], exec
	s_and_b64 s[8:9], s[8:9], exec
	s_or_b64 s[4:5], s[4:5], s[8:9]
	s_or_b64 exec, exec, s[6:7]
	s_and_saveexec_b64 s[6:7], s[4:5]
	s_cbranch_execnz .LBB8_1855
	s_branch .LBB8_1856
.LBB8_3905:
	s_movk_i32 s4, 0x80
	v_cmp_eq_u16_sdwa s[12:13], v8, s4 src0_sel:BYTE_0 src1_sel:DWORD
	s_mov_b64 s[4:5], -1
                                        ; implicit-def: $sgpr10
	s_and_saveexec_b64 s[8:9], s[12:13]
; %bb.3906:
	s_mov_b32 s10, 0x7f800001
	s_xor_b64 s[4:5], exec, -1
; %bb.3907:
	s_or_b64 exec, exec, s[8:9]
	s_and_b64 s[4:5], s[4:5], exec
	s_or_saveexec_b64 s[6:7], s[6:7]
	v_mov_b32_e32 v2, s10
	s_xor_b64 exec, exec, s[6:7]
	s_cbranch_execz .LBB8_1858
.LBB8_3908:
	v_mov_b32_e32 v2, 0
	v_cmp_ne_u16_sdwa s[8:9], v8, v2 src0_sel:BYTE_0 src1_sel:DWORD
	s_andn2_b64 s[4:5], s[4:5], exec
	s_and_b64 s[8:9], s[8:9], exec
	s_or_b64 s[4:5], s[4:5], s[8:9]
	s_or_b64 exec, exec, s[6:7]
	s_and_saveexec_b64 s[6:7], s[4:5]
	s_cbranch_execnz .LBB8_1859
	s_branch .LBB8_1860
.LBB8_3909:
	s_movk_i32 s4, 0x80
	v_cmp_eq_u16_sdwa s[12:13], v4, s4 src0_sel:BYTE_0 src1_sel:DWORD
	s_mov_b64 s[4:5], -1
                                        ; implicit-def: $sgpr10
	s_and_saveexec_b64 s[8:9], s[12:13]
; %bb.3910:
	s_mov_b32 s10, 0x7f800001
	s_xor_b64 s[4:5], exec, -1
; %bb.3911:
	s_or_b64 exec, exec, s[8:9]
	s_and_b64 s[4:5], s[4:5], exec
	s_or_saveexec_b64 s[6:7], s[6:7]
	v_mov_b32_e32 v3, s10
	s_xor_b64 exec, exec, s[6:7]
	s_cbranch_execz .LBB8_1862
.LBB8_3912:
	v_mov_b32_e32 v3, 0
	v_cmp_ne_u16_sdwa s[8:9], v4, v3 src0_sel:BYTE_0 src1_sel:DWORD
	s_andn2_b64 s[4:5], s[4:5], exec
	s_and_b64 s[8:9], s[8:9], exec
	s_or_b64 s[4:5], s[4:5], s[8:9]
	s_or_b64 exec, exec, s[6:7]
	s_and_saveexec_b64 s[6:7], s[4:5]
	s_cbranch_execnz .LBB8_1863
	s_branch .LBB8_1864
.LBB8_3913:
	s_movk_i32 s4, 0x80
	v_cmp_eq_u16_sdwa s[12:13], v3, s4 src0_sel:BYTE_0 src1_sel:DWORD
	s_mov_b64 s[4:5], -1
                                        ; implicit-def: $sgpr10
	s_and_saveexec_b64 s[8:9], s[12:13]
; %bb.3914:
	s_mov_b32 s10, 0x7f800001
	s_xor_b64 s[4:5], exec, -1
; %bb.3915:
	s_or_b64 exec, exec, s[8:9]
	s_and_b64 s[4:5], s[4:5], exec
	s_or_saveexec_b64 s[6:7], s[6:7]
	v_mov_b32_e32 v2, s10
	s_xor_b64 exec, exec, s[6:7]
	s_cbranch_execz .LBB8_1866
.LBB8_3916:
	v_mov_b32_e32 v2, 0
	v_cmp_ne_u16_sdwa s[8:9], v3, v2 src0_sel:BYTE_0 src1_sel:DWORD
	s_andn2_b64 s[4:5], s[4:5], exec
	s_and_b64 s[8:9], s[8:9], exec
	s_or_b64 s[4:5], s[4:5], s[8:9]
	s_or_b64 exec, exec, s[6:7]
	s_and_saveexec_b64 s[6:7], s[4:5]
	s_cbranch_execnz .LBB8_1867
	s_branch .LBB8_1868
.LBB8_3917:
	s_movk_i32 s4, 0x80
	v_cmp_eq_u16_sdwa s[12:13], v3, s4 src0_sel:BYTE_0 src1_sel:DWORD
	s_mov_b64 s[4:5], -1
                                        ; implicit-def: $sgpr10
	s_and_saveexec_b64 s[8:9], s[12:13]
; %bb.3918:
	s_mov_b32 s10, 0x7f800001
	s_xor_b64 s[4:5], exec, -1
; %bb.3919:
	s_or_b64 exec, exec, s[8:9]
	s_and_b64 s[4:5], s[4:5], exec
	s_or_saveexec_b64 s[6:7], s[6:7]
	v_mov_b32_e32 v6, s10
	s_xor_b64 exec, exec, s[6:7]
	s_cbranch_execz .LBB8_1870
.LBB8_3920:
	v_mov_b32_e32 v6, 0
	v_cmp_ne_u16_sdwa s[8:9], v3, v6 src0_sel:BYTE_0 src1_sel:DWORD
	s_andn2_b64 s[4:5], s[4:5], exec
	s_and_b64 s[8:9], s[8:9], exec
	s_or_b64 s[4:5], s[4:5], s[8:9]
	s_or_b64 exec, exec, s[6:7]
	s_and_saveexec_b64 s[6:7], s[4:5]
	s_cbranch_execnz .LBB8_1871
	s_branch .LBB8_1872
.LBB8_3921:
	s_movk_i32 s4, 0x80
	v_cmp_eq_u16_e32 vcc, s4, v3
	s_mov_b64 s[4:5], -1
                                        ; implicit-def: $sgpr10
	s_and_saveexec_b64 s[8:9], vcc
; %bb.3922:
	s_mov_b32 s10, 0x7f800001
	s_xor_b64 s[4:5], exec, -1
; %bb.3923:
	s_or_b64 exec, exec, s[8:9]
	s_and_b64 s[4:5], s[4:5], exec
                                        ; implicit-def: $vgpr3
	s_or_saveexec_b64 s[6:7], s[6:7]
	v_mov_b32_e32 v2, s10
	s_xor_b64 exec, exec, s[6:7]
	s_cbranch_execz .LBB8_1874
.LBB8_3924:
	v_cmp_ne_u16_e32 vcc, 0, v3
	s_andn2_b64 s[4:5], s[4:5], exec
	s_and_b64 s[8:9], vcc, exec
	v_mov_b32_e32 v2, 0
	s_or_b64 s[4:5], s[4:5], s[8:9]
	s_or_b64 exec, exec, s[6:7]
	s_and_saveexec_b64 s[6:7], s[4:5]
	s_cbranch_execnz .LBB8_1875
	s_branch .LBB8_1876
.LBB8_3925:
	s_movk_i32 s4, 0x80
	v_cmp_eq_u16_e32 vcc, s4, v3
	s_mov_b64 s[4:5], -1
                                        ; implicit-def: $sgpr10
	s_and_saveexec_b64 s[8:9], vcc
; %bb.3926:
	s_mov_b32 s10, 0x7f800001
	s_xor_b64 s[4:5], exec, -1
; %bb.3927:
	s_or_b64 exec, exec, s[8:9]
	s_and_b64 s[4:5], s[4:5], exec
                                        ; implicit-def: $vgpr3
	s_or_saveexec_b64 s[6:7], s[6:7]
	v_mov_b32_e32 v6, s10
	s_xor_b64 exec, exec, s[6:7]
	s_cbranch_execz .LBB8_1878
.LBB8_3928:
	v_cmp_ne_u16_e32 vcc, 0, v3
	s_andn2_b64 s[4:5], s[4:5], exec
	s_and_b64 s[8:9], vcc, exec
	v_mov_b32_e32 v6, 0
	s_or_b64 s[4:5], s[4:5], s[8:9]
	s_or_b64 exec, exec, s[6:7]
	s_and_saveexec_b64 s[6:7], s[4:5]
	s_cbranch_execnz .LBB8_1879
	s_branch .LBB8_1880
.LBB8_3929:
	s_movk_i32 s4, 0x80
	v_cmp_eq_u16_sdwa s[12:13], v8, s4 src0_sel:BYTE_3 src1_sel:DWORD
	s_mov_b64 s[4:5], -1
                                        ; implicit-def: $sgpr10
	s_and_saveexec_b64 s[8:9], s[12:13]
; %bb.3930:
	s_mov_b32 s10, 0x7f800001
	s_xor_b64 s[4:5], exec, -1
; %bb.3931:
	s_or_b64 exec, exec, s[8:9]
	s_and_b64 s[4:5], s[4:5], exec
	s_or_saveexec_b64 s[6:7], s[6:7]
	v_mov_b32_e32 v2, s10
	s_xor_b64 exec, exec, s[6:7]
	s_cbranch_execz .LBB8_1882
.LBB8_3932:
	v_mov_b32_e32 v2, 0
	v_cmp_ne_u16_sdwa s[8:9], v8, v2 src0_sel:BYTE_3 src1_sel:DWORD
	s_andn2_b64 s[4:5], s[4:5], exec
	s_and_b64 s[8:9], s[8:9], exec
	s_or_b64 s[4:5], s[4:5], s[8:9]
	s_or_b64 exec, exec, s[6:7]
	s_and_saveexec_b64 s[6:7], s[4:5]
	s_cbranch_execnz .LBB8_1883
	s_branch .LBB8_1884
.LBB8_3933:
	s_movk_i32 s4, 0x80
	v_cmp_eq_u16_sdwa s[12:13], v4, s4 src0_sel:BYTE_3 src1_sel:DWORD
	s_mov_b64 s[4:5], -1
                                        ; implicit-def: $sgpr10
	s_and_saveexec_b64 s[8:9], s[12:13]
; %bb.3934:
	s_mov_b32 s10, 0x7f800001
	s_xor_b64 s[4:5], exec, -1
; %bb.3935:
	s_or_b64 exec, exec, s[8:9]
	s_and_b64 s[4:5], s[4:5], exec
	s_or_saveexec_b64 s[6:7], s[6:7]
	v_mov_b32_e32 v3, s10
	s_xor_b64 exec, exec, s[6:7]
	s_cbranch_execz .LBB8_1886
.LBB8_3936:
	v_mov_b32_e32 v3, 0
	v_cmp_ne_u16_sdwa s[8:9], v4, v3 src0_sel:BYTE_3 src1_sel:DWORD
	s_andn2_b64 s[4:5], s[4:5], exec
	s_and_b64 s[8:9], s[8:9], exec
	s_or_b64 s[4:5], s[4:5], s[8:9]
	s_or_b64 exec, exec, s[6:7]
	s_and_saveexec_b64 s[6:7], s[4:5]
	s_cbranch_execnz .LBB8_1887
	s_branch .LBB8_1888
.LBB8_3937:
	s_movk_i32 s4, 0x80
	v_cmp_eq_u16_sdwa s[12:13], v9, s4 src0_sel:BYTE_0 src1_sel:DWORD
	s_mov_b64 s[4:5], -1
                                        ; implicit-def: $sgpr10
	s_and_saveexec_b64 s[8:9], s[12:13]
; %bb.3938:
	s_mov_b32 s10, 0x7f800001
	s_xor_b64 s[4:5], exec, -1
; %bb.3939:
	s_or_b64 exec, exec, s[8:9]
	s_and_b64 s[4:5], s[4:5], exec
	s_or_saveexec_b64 s[6:7], s[6:7]
	v_mov_b32_e32 v2, s10
	s_xor_b64 exec, exec, s[6:7]
	s_cbranch_execz .LBB8_1890
.LBB8_3940:
	v_mov_b32_e32 v2, 0
	v_cmp_ne_u16_sdwa s[8:9], v9, v2 src0_sel:BYTE_0 src1_sel:DWORD
	s_andn2_b64 s[4:5], s[4:5], exec
	s_and_b64 s[8:9], s[8:9], exec
	s_or_b64 s[4:5], s[4:5], s[8:9]
	s_or_b64 exec, exec, s[6:7]
	s_and_saveexec_b64 s[6:7], s[4:5]
	s_cbranch_execnz .LBB8_1891
	s_branch .LBB8_1892
.LBB8_3941:
	s_movk_i32 s4, 0x80
	v_cmp_eq_u16_sdwa s[12:13], v5, s4 src0_sel:BYTE_0 src1_sel:DWORD
	s_mov_b64 s[4:5], -1
                                        ; implicit-def: $sgpr10
	s_and_saveexec_b64 s[8:9], s[12:13]
; %bb.3942:
	s_mov_b32 s10, 0x7f800001
	s_xor_b64 s[4:5], exec, -1
; %bb.3943:
	s_or_b64 exec, exec, s[8:9]
	s_and_b64 s[4:5], s[4:5], exec
	s_or_saveexec_b64 s[6:7], s[6:7]
	v_mov_b32_e32 v3, s10
	s_xor_b64 exec, exec, s[6:7]
	s_cbranch_execz .LBB8_1894
.LBB8_3944:
	v_mov_b32_e32 v3, 0
	v_cmp_ne_u16_sdwa s[8:9], v5, v3 src0_sel:BYTE_0 src1_sel:DWORD
	s_andn2_b64 s[4:5], s[4:5], exec
	s_and_b64 s[8:9], s[8:9], exec
	s_or_b64 s[4:5], s[4:5], s[8:9]
	s_or_b64 exec, exec, s[6:7]
	s_and_saveexec_b64 s[6:7], s[4:5]
	s_cbranch_execnz .LBB8_1895
	s_branch .LBB8_1896
.LBB8_3945:
	s_movk_i32 s4, 0x80
	v_cmp_eq_u16_sdwa s[12:13], v3, s4 src0_sel:BYTE_0 src1_sel:DWORD
	s_mov_b64 s[4:5], -1
                                        ; implicit-def: $sgpr10
	s_and_saveexec_b64 s[8:9], s[12:13]
; %bb.3946:
	s_mov_b32 s10, 0x7f800001
	s_xor_b64 s[4:5], exec, -1
; %bb.3947:
	s_or_b64 exec, exec, s[8:9]
	s_and_b64 s[4:5], s[4:5], exec
	s_or_saveexec_b64 s[6:7], s[6:7]
	v_mov_b32_e32 v2, s10
	s_xor_b64 exec, exec, s[6:7]
	s_cbranch_execz .LBB8_1898
.LBB8_3948:
	v_mov_b32_e32 v2, 0
	v_cmp_ne_u16_sdwa s[8:9], v3, v2 src0_sel:BYTE_0 src1_sel:DWORD
	s_andn2_b64 s[4:5], s[4:5], exec
	s_and_b64 s[8:9], s[8:9], exec
	s_or_b64 s[4:5], s[4:5], s[8:9]
	s_or_b64 exec, exec, s[6:7]
	s_and_saveexec_b64 s[6:7], s[4:5]
	s_cbranch_execnz .LBB8_1899
	s_branch .LBB8_1900
.LBB8_3949:
	s_movk_i32 s4, 0x80
	v_cmp_eq_u16_sdwa s[12:13], v3, s4 src0_sel:BYTE_0 src1_sel:DWORD
	s_mov_b64 s[4:5], -1
                                        ; implicit-def: $sgpr10
	s_and_saveexec_b64 s[8:9], s[12:13]
; %bb.3950:
	s_mov_b32 s10, 0x7f800001
	s_xor_b64 s[4:5], exec, -1
; %bb.3951:
	s_or_b64 exec, exec, s[8:9]
	s_and_b64 s[4:5], s[4:5], exec
	s_or_saveexec_b64 s[6:7], s[6:7]
	v_mov_b32_e32 v4, s10
	s_xor_b64 exec, exec, s[6:7]
	s_cbranch_execz .LBB8_1902
.LBB8_3952:
	v_mov_b32_e32 v4, 0
	v_cmp_ne_u16_sdwa s[8:9], v3, v4 src0_sel:BYTE_0 src1_sel:DWORD
	s_andn2_b64 s[4:5], s[4:5], exec
	s_and_b64 s[8:9], s[8:9], exec
	s_or_b64 s[4:5], s[4:5], s[8:9]
	s_or_b64 exec, exec, s[6:7]
	s_and_saveexec_b64 s[6:7], s[4:5]
	s_cbranch_execnz .LBB8_1903
	s_branch .LBB8_1904
.LBB8_3953:
	s_movk_i32 s4, 0x80
	v_cmp_eq_u16_e32 vcc, s4, v3
	s_mov_b64 s[4:5], -1
                                        ; implicit-def: $sgpr10
	s_and_saveexec_b64 s[8:9], vcc
; %bb.3954:
	s_mov_b32 s10, 0x7f800001
	s_xor_b64 s[4:5], exec, -1
; %bb.3955:
	s_or_b64 exec, exec, s[8:9]
	s_and_b64 s[4:5], s[4:5], exec
                                        ; implicit-def: $vgpr3
	s_or_saveexec_b64 s[6:7], s[6:7]
	v_mov_b32_e32 v2, s10
	s_xor_b64 exec, exec, s[6:7]
	s_cbranch_execz .LBB8_1906
.LBB8_3956:
	v_cmp_ne_u16_e32 vcc, 0, v3
	s_andn2_b64 s[4:5], s[4:5], exec
	s_and_b64 s[8:9], vcc, exec
	v_mov_b32_e32 v2, 0
	s_or_b64 s[4:5], s[4:5], s[8:9]
	s_or_b64 exec, exec, s[6:7]
	s_and_saveexec_b64 s[6:7], s[4:5]
	s_cbranch_execnz .LBB8_1907
	s_branch .LBB8_1908
.LBB8_3957:
	s_movk_i32 s4, 0x80
	v_cmp_eq_u16_e32 vcc, s4, v3
	s_mov_b64 s[4:5], -1
                                        ; implicit-def: $sgpr10
	s_and_saveexec_b64 s[8:9], vcc
; %bb.3958:
	s_mov_b32 s10, 0x7f800001
	s_xor_b64 s[4:5], exec, -1
; %bb.3959:
	s_or_b64 exec, exec, s[8:9]
	s_and_b64 s[4:5], s[4:5], exec
                                        ; implicit-def: $vgpr3
	s_or_saveexec_b64 s[6:7], s[6:7]
	v_mov_b32_e32 v4, s10
	s_xor_b64 exec, exec, s[6:7]
	s_cbranch_execz .LBB8_1910
.LBB8_3960:
	v_cmp_ne_u16_e32 vcc, 0, v3
	s_andn2_b64 s[4:5], s[4:5], exec
	s_and_b64 s[8:9], vcc, exec
	v_mov_b32_e32 v4, 0
	s_or_b64 s[4:5], s[4:5], s[8:9]
	s_or_b64 exec, exec, s[6:7]
	s_and_saveexec_b64 s[6:7], s[4:5]
	s_cbranch_execnz .LBB8_1911
	s_branch .LBB8_1912
.LBB8_3961:
	s_movk_i32 s4, 0x80
	v_cmp_eq_u16_sdwa s[12:13], v9, s4 src0_sel:BYTE_3 src1_sel:DWORD
	s_mov_b64 s[4:5], -1
                                        ; implicit-def: $sgpr10
	s_and_saveexec_b64 s[8:9], s[12:13]
; %bb.3962:
	s_mov_b32 s10, 0x7f800001
	s_xor_b64 s[4:5], exec, -1
; %bb.3963:
	s_or_b64 exec, exec, s[8:9]
	s_and_b64 s[4:5], s[4:5], exec
	s_or_saveexec_b64 s[6:7], s[6:7]
	v_mov_b32_e32 v2, s10
	s_xor_b64 exec, exec, s[6:7]
	s_cbranch_execz .LBB8_1914
.LBB8_3964:
	v_mov_b32_e32 v2, 0
	v_cmp_ne_u16_sdwa s[8:9], v9, v2 src0_sel:BYTE_3 src1_sel:DWORD
	s_andn2_b64 s[4:5], s[4:5], exec
	s_and_b64 s[8:9], s[8:9], exec
	s_or_b64 s[4:5], s[4:5], s[8:9]
	s_or_b64 exec, exec, s[6:7]
	s_and_saveexec_b64 s[6:7], s[4:5]
	s_cbranch_execnz .LBB8_1915
	s_branch .LBB8_1916
.LBB8_3965:
	s_movk_i32 s4, 0x80
	v_cmp_eq_u16_sdwa s[12:13], v5, s4 src0_sel:BYTE_3 src1_sel:DWORD
	s_mov_b64 s[4:5], -1
                                        ; implicit-def: $sgpr10
	s_and_saveexec_b64 s[8:9], s[12:13]
; %bb.3966:
	s_mov_b32 s10, 0x7f800001
	s_xor_b64 s[4:5], exec, -1
; %bb.3967:
	s_or_b64 exec, exec, s[8:9]
	s_and_b64 s[4:5], s[4:5], exec
	s_or_saveexec_b64 s[6:7], s[6:7]
	v_mov_b32_e32 v3, s10
	s_xor_b64 exec, exec, s[6:7]
	s_cbranch_execz .LBB8_1918
.LBB8_3968:
	v_mov_b32_e32 v3, 0
	v_cmp_ne_u16_sdwa s[8:9], v5, v3 src0_sel:BYTE_3 src1_sel:DWORD
	s_andn2_b64 s[4:5], s[4:5], exec
	s_and_b64 s[8:9], s[8:9], exec
	s_or_b64 s[4:5], s[4:5], s[8:9]
	s_or_b64 exec, exec, s[6:7]
	s_and_saveexec_b64 s[6:7], s[4:5]
	s_cbranch_execnz .LBB8_1919
	s_branch .LBB8_1920
.LBB8_3969:
	s_movk_i32 s4, 0x80
	v_cmp_eq_u16_sdwa s[12:13], v4, s4 src0_sel:BYTE_0 src1_sel:DWORD
	s_mov_b64 s[4:5], -1
                                        ; implicit-def: $sgpr10
	s_and_saveexec_b64 s[8:9], s[12:13]
; %bb.3970:
	s_mov_b32 s10, 0x7f800001
	s_xor_b64 s[4:5], exec, -1
; %bb.3971:
	s_or_b64 exec, exec, s[8:9]
	s_and_b64 s[4:5], s[4:5], exec
	s_or_saveexec_b64 s[6:7], s[6:7]
	v_mov_b32_e32 v10, s10
	s_xor_b64 exec, exec, s[6:7]
	s_cbranch_execz .LBB8_1922
.LBB8_3972:
	v_mov_b32_e32 v10, 0
	v_cmp_ne_u16_sdwa s[8:9], v4, v10 src0_sel:BYTE_0 src1_sel:DWORD
	s_andn2_b64 s[4:5], s[4:5], exec
	s_and_b64 s[8:9], s[8:9], exec
	s_or_b64 s[4:5], s[4:5], s[8:9]
	s_or_b64 exec, exec, s[6:7]
	s_and_saveexec_b64 s[6:7], s[4:5]
	s_cbranch_execnz .LBB8_1923
	s_branch .LBB8_1924
.LBB8_3973:
	s_movk_i32 s4, 0x80
	v_cmp_eq_u16_sdwa s[12:13], v0, s4 src0_sel:BYTE_0 src1_sel:DWORD
	s_mov_b64 s[4:5], -1
                                        ; implicit-def: $sgpr10
	s_and_saveexec_b64 s[8:9], s[12:13]
; %bb.3974:
	s_mov_b32 s10, 0x7f800001
	s_xor_b64 s[4:5], exec, -1
; %bb.3975:
	s_or_b64 exec, exec, s[8:9]
	s_and_b64 s[4:5], s[4:5], exec
	s_or_saveexec_b64 s[6:7], s[6:7]
	v_mov_b32_e32 v11, s10
	s_xor_b64 exec, exec, s[6:7]
	s_cbranch_execz .LBB8_1926
.LBB8_3976:
	v_mov_b32_e32 v11, 0
	v_cmp_ne_u16_sdwa s[8:9], v0, v11 src0_sel:BYTE_0 src1_sel:DWORD
	s_andn2_b64 s[4:5], s[4:5], exec
	s_and_b64 s[8:9], s[8:9], exec
	s_or_b64 s[4:5], s[4:5], s[8:9]
	s_or_b64 exec, exec, s[6:7]
	s_and_saveexec_b64 s[6:7], s[4:5]
	s_cbranch_execnz .LBB8_1927
	s_branch .LBB8_1928
.LBB8_3977:
	s_movk_i32 s4, 0x80
	v_cmp_eq_u16_sdwa s[12:13], v11, s4 src0_sel:BYTE_0 src1_sel:DWORD
	s_mov_b64 s[4:5], -1
                                        ; implicit-def: $sgpr10
	s_and_saveexec_b64 s[8:9], s[12:13]
; %bb.3978:
	s_mov_b32 s10, 0x7f800001
	s_xor_b64 s[4:5], exec, -1
; %bb.3979:
	s_or_b64 exec, exec, s[8:9]
	s_and_b64 s[4:5], s[4:5], exec
	s_or_saveexec_b64 s[6:7], s[6:7]
	v_mov_b32_e32 v10, s10
	s_xor_b64 exec, exec, s[6:7]
	s_cbranch_execz .LBB8_1930
.LBB8_3980:
	v_mov_b32_e32 v10, 0
	v_cmp_ne_u16_sdwa s[8:9], v11, v10 src0_sel:BYTE_0 src1_sel:DWORD
	s_andn2_b64 s[4:5], s[4:5], exec
	s_and_b64 s[8:9], s[8:9], exec
	s_or_b64 s[4:5], s[4:5], s[8:9]
	s_or_b64 exec, exec, s[6:7]
	s_and_saveexec_b64 s[6:7], s[4:5]
	s_cbranch_execnz .LBB8_1931
	s_branch .LBB8_1932
.LBB8_3981:
	s_movk_i32 s4, 0x80
	v_cmp_eq_u16_sdwa s[12:13], v11, s4 src0_sel:BYTE_0 src1_sel:DWORD
	s_mov_b64 s[4:5], -1
                                        ; implicit-def: $sgpr10
	s_and_saveexec_b64 s[8:9], s[12:13]
; %bb.3982:
	s_mov_b32 s10, 0x7f800001
	s_xor_b64 s[4:5], exec, -1
; %bb.3983:
	s_or_b64 exec, exec, s[8:9]
	s_and_b64 s[4:5], s[4:5], exec
	s_or_saveexec_b64 s[6:7], s[6:7]
	v_mov_b32_e32 v12, s10
	s_xor_b64 exec, exec, s[6:7]
	s_cbranch_execz .LBB8_1934
.LBB8_3984:
	v_mov_b32_e32 v12, 0
	v_cmp_ne_u16_sdwa s[8:9], v11, v12 src0_sel:BYTE_0 src1_sel:DWORD
	s_andn2_b64 s[4:5], s[4:5], exec
	s_and_b64 s[8:9], s[8:9], exec
	s_or_b64 s[4:5], s[4:5], s[8:9]
	s_or_b64 exec, exec, s[6:7]
	s_and_saveexec_b64 s[6:7], s[4:5]
	s_cbranch_execnz .LBB8_1935
	s_branch .LBB8_1936
.LBB8_3985:
	s_movk_i32 s4, 0x80
	v_cmp_eq_u16_e32 vcc, s4, v11
	s_mov_b64 s[4:5], -1
                                        ; implicit-def: $sgpr10
	s_and_saveexec_b64 s[8:9], vcc
; %bb.3986:
	s_mov_b32 s10, 0x7f800001
	s_xor_b64 s[4:5], exec, -1
; %bb.3987:
	s_or_b64 exec, exec, s[8:9]
	s_and_b64 s[4:5], s[4:5], exec
                                        ; implicit-def: $vgpr11
	s_or_saveexec_b64 s[6:7], s[6:7]
	v_mov_b32_e32 v10, s10
	s_xor_b64 exec, exec, s[6:7]
	s_cbranch_execz .LBB8_1938
.LBB8_3988:
	v_cmp_ne_u16_e32 vcc, 0, v11
	s_andn2_b64 s[4:5], s[4:5], exec
	s_and_b64 s[8:9], vcc, exec
	v_mov_b32_e32 v10, 0
	s_or_b64 s[4:5], s[4:5], s[8:9]
	s_or_b64 exec, exec, s[6:7]
	s_and_saveexec_b64 s[6:7], s[4:5]
	s_cbranch_execnz .LBB8_1939
	s_branch .LBB8_1940
.LBB8_3989:
	s_movk_i32 s4, 0x80
	v_cmp_eq_u16_e32 vcc, s4, v11
	s_mov_b64 s[4:5], -1
                                        ; implicit-def: $sgpr10
	s_and_saveexec_b64 s[8:9], vcc
; %bb.3990:
	s_mov_b32 s10, 0x7f800001
	s_xor_b64 s[4:5], exec, -1
; %bb.3991:
	s_or_b64 exec, exec, s[8:9]
	s_and_b64 s[4:5], s[4:5], exec
                                        ; implicit-def: $vgpr11
	s_or_saveexec_b64 s[6:7], s[6:7]
	v_mov_b32_e32 v12, s10
	s_xor_b64 exec, exec, s[6:7]
	s_cbranch_execz .LBB8_1942
.LBB8_3992:
	v_cmp_ne_u16_e32 vcc, 0, v11
	s_andn2_b64 s[4:5], s[4:5], exec
	s_and_b64 s[8:9], vcc, exec
	v_mov_b32_e32 v12, 0
	s_or_b64 s[4:5], s[4:5], s[8:9]
	s_or_b64 exec, exec, s[6:7]
	s_and_saveexec_b64 s[6:7], s[4:5]
	s_cbranch_execnz .LBB8_1943
	s_branch .LBB8_1944
.LBB8_3993:
	s_movk_i32 s4, 0x80
	v_cmp_eq_u16_sdwa s[12:13], v4, s4 src0_sel:BYTE_3 src1_sel:DWORD
	s_mov_b64 s[4:5], -1
                                        ; implicit-def: $sgpr10
	s_and_saveexec_b64 s[8:9], s[12:13]
; %bb.3994:
	s_mov_b32 s10, 0x7f800001
	s_xor_b64 s[4:5], exec, -1
; %bb.3995:
	s_or_b64 exec, exec, s[8:9]
	s_and_b64 s[4:5], s[4:5], exec
	s_or_saveexec_b64 s[6:7], s[6:7]
	v_mov_b32_e32 v10, s10
	s_xor_b64 exec, exec, s[6:7]
	s_cbranch_execz .LBB8_1946
.LBB8_3996:
	v_mov_b32_e32 v10, 0
	v_cmp_ne_u16_sdwa s[8:9], v4, v10 src0_sel:BYTE_3 src1_sel:DWORD
	s_andn2_b64 s[4:5], s[4:5], exec
	s_and_b64 s[8:9], s[8:9], exec
	s_or_b64 s[4:5], s[4:5], s[8:9]
	s_or_b64 exec, exec, s[6:7]
	s_and_saveexec_b64 s[6:7], s[4:5]
	s_cbranch_execnz .LBB8_1947
	s_branch .LBB8_1948
.LBB8_3997:
	s_movk_i32 s4, 0x80
	v_cmp_eq_u16_sdwa s[12:13], v0, s4 src0_sel:BYTE_3 src1_sel:DWORD
	s_mov_b64 s[4:5], -1
                                        ; implicit-def: $sgpr10
	s_and_saveexec_b64 s[8:9], s[12:13]
; %bb.3998:
	s_mov_b32 s10, 0x7f800001
	s_xor_b64 s[4:5], exec, -1
; %bb.3999:
	s_or_b64 exec, exec, s[8:9]
	s_and_b64 s[4:5], s[4:5], exec
	s_or_saveexec_b64 s[6:7], s[6:7]
	v_mov_b32_e32 v4, s10
	s_xor_b64 exec, exec, s[6:7]
	s_cbranch_execz .LBB8_1950
.LBB8_4000:
	v_mov_b32_e32 v4, 0
	v_cmp_ne_u16_sdwa s[8:9], v0, v4 src0_sel:BYTE_3 src1_sel:DWORD
	s_andn2_b64 s[4:5], s[4:5], exec
	s_and_b64 s[8:9], s[8:9], exec
	s_or_b64 s[4:5], s[4:5], s[8:9]
	s_or_b64 exec, exec, s[6:7]
	s_and_saveexec_b64 s[6:7], s[4:5]
	s_cbranch_execnz .LBB8_1951
	s_branch .LBB8_1952
.LBB8_4001:
	s_movk_i32 s4, 0x80
	v_cmp_eq_u16_sdwa s[12:13], v5, s4 src0_sel:BYTE_0 src1_sel:DWORD
	s_mov_b64 s[4:5], -1
                                        ; implicit-def: $sgpr10
	s_and_saveexec_b64 s[8:9], s[12:13]
; %bb.4002:
	s_mov_b32 s10, 0x7f800001
	s_xor_b64 s[4:5], exec, -1
; %bb.4003:
	s_or_b64 exec, exec, s[8:9]
	s_and_b64 s[4:5], s[4:5], exec
	s_or_saveexec_b64 s[6:7], s[6:7]
	v_mov_b32_e32 v0, s10
	s_xor_b64 exec, exec, s[6:7]
	s_cbranch_execz .LBB8_1954
.LBB8_4004:
	v_mov_b32_e32 v0, 0
	v_cmp_ne_u16_sdwa s[8:9], v5, v0 src0_sel:BYTE_0 src1_sel:DWORD
	s_andn2_b64 s[4:5], s[4:5], exec
	s_and_b64 s[8:9], s[8:9], exec
	s_or_b64 s[4:5], s[4:5], s[8:9]
	s_or_b64 exec, exec, s[6:7]
	s_and_saveexec_b64 s[6:7], s[4:5]
	s_cbranch_execnz .LBB8_1955
	s_branch .LBB8_1956
.LBB8_4005:
	s_movk_i32 s4, 0x80
	v_cmp_eq_u16_sdwa s[12:13], v1, s4 src0_sel:BYTE_0 src1_sel:DWORD
	s_mov_b64 s[4:5], -1
                                        ; implicit-def: $sgpr10
	s_and_saveexec_b64 s[8:9], s[12:13]
; %bb.4006:
	s_mov_b32 s10, 0x7f800001
	s_xor_b64 s[4:5], exec, -1
; %bb.4007:
	s_or_b64 exec, exec, s[8:9]
	s_and_b64 s[4:5], s[4:5], exec
	s_or_saveexec_b64 s[6:7], s[6:7]
	v_mov_b32_e32 v4, s10
	s_xor_b64 exec, exec, s[6:7]
	s_cbranch_execz .LBB8_1958
.LBB8_4008:
	v_mov_b32_e32 v4, 0
	v_cmp_ne_u16_sdwa s[8:9], v1, v4 src0_sel:BYTE_0 src1_sel:DWORD
	s_andn2_b64 s[4:5], s[4:5], exec
	s_and_b64 s[8:9], s[8:9], exec
	s_or_b64 s[4:5], s[4:5], s[8:9]
	s_or_b64 exec, exec, s[6:7]
	s_and_saveexec_b64 s[6:7], s[4:5]
	s_cbranch_execnz .LBB8_1959
	s_branch .LBB8_1960
.LBB8_4009:
	s_movk_i32 s4, 0x80
	v_cmp_eq_u16_sdwa s[12:13], v4, s4 src0_sel:BYTE_0 src1_sel:DWORD
	s_mov_b64 s[4:5], -1
                                        ; implicit-def: $sgpr10
	s_and_saveexec_b64 s[8:9], s[12:13]
; %bb.4010:
	s_mov_b32 s10, 0x7f800001
	s_xor_b64 s[4:5], exec, -1
; %bb.4011:
	s_or_b64 exec, exec, s[8:9]
	s_and_b64 s[4:5], s[4:5], exec
	s_or_saveexec_b64 s[6:7], s[6:7]
	v_mov_b32_e32 v0, s10
	s_xor_b64 exec, exec, s[6:7]
	s_cbranch_execz .LBB8_1962
.LBB8_4012:
	v_mov_b32_e32 v0, 0
	v_cmp_ne_u16_sdwa s[8:9], v4, v0 src0_sel:BYTE_0 src1_sel:DWORD
	s_andn2_b64 s[4:5], s[4:5], exec
	s_and_b64 s[8:9], s[8:9], exec
	s_or_b64 s[4:5], s[4:5], s[8:9]
	s_or_b64 exec, exec, s[6:7]
	s_and_saveexec_b64 s[6:7], s[4:5]
	s_cbranch_execnz .LBB8_1963
	s_branch .LBB8_1964
.LBB8_4013:
	s_movk_i32 s4, 0x80
	v_cmp_eq_u16_sdwa s[12:13], v4, s4 src0_sel:BYTE_0 src1_sel:DWORD
	s_mov_b64 s[4:5], -1
                                        ; implicit-def: $sgpr10
	s_and_saveexec_b64 s[8:9], s[12:13]
; %bb.4014:
	s_mov_b32 s10, 0x7f800001
	s_xor_b64 s[4:5], exec, -1
; %bb.4015:
	s_or_b64 exec, exec, s[8:9]
	s_and_b64 s[4:5], s[4:5], exec
	s_or_saveexec_b64 s[6:7], s[6:7]
	v_mov_b32_e32 v10, s10
	s_xor_b64 exec, exec, s[6:7]
	s_cbranch_execz .LBB8_1966
.LBB8_4016:
	v_mov_b32_e32 v10, 0
	v_cmp_ne_u16_sdwa s[8:9], v4, v10 src0_sel:BYTE_0 src1_sel:DWORD
	s_andn2_b64 s[4:5], s[4:5], exec
	s_and_b64 s[8:9], s[8:9], exec
	s_or_b64 s[4:5], s[4:5], s[8:9]
	s_or_b64 exec, exec, s[6:7]
	s_and_saveexec_b64 s[6:7], s[4:5]
	s_cbranch_execnz .LBB8_1967
	s_branch .LBB8_1968
.LBB8_4017:
	s_movk_i32 s4, 0x80
	v_cmp_eq_u16_e32 vcc, s4, v4
	s_mov_b64 s[4:5], -1
                                        ; implicit-def: $sgpr10
	s_and_saveexec_b64 s[8:9], vcc
; %bb.4018:
	s_mov_b32 s10, 0x7f800001
	s_xor_b64 s[4:5], exec, -1
; %bb.4019:
	s_or_b64 exec, exec, s[8:9]
	s_and_b64 s[4:5], s[4:5], exec
                                        ; implicit-def: $vgpr4
	s_or_saveexec_b64 s[6:7], s[6:7]
	v_mov_b32_e32 v0, s10
	s_xor_b64 exec, exec, s[6:7]
	s_cbranch_execz .LBB8_1970
.LBB8_4020:
	v_cmp_ne_u16_e32 vcc, 0, v4
	s_andn2_b64 s[4:5], s[4:5], exec
	s_and_b64 s[8:9], vcc, exec
	v_mov_b32_e32 v0, 0
	s_or_b64 s[4:5], s[4:5], s[8:9]
	s_or_b64 exec, exec, s[6:7]
	s_and_saveexec_b64 s[6:7], s[4:5]
	s_cbranch_execnz .LBB8_1971
	s_branch .LBB8_1972
.LBB8_4021:
	s_movk_i32 s4, 0x80
	v_cmp_eq_u16_e32 vcc, s4, v4
	s_mov_b64 s[4:5], -1
                                        ; implicit-def: $sgpr10
	s_and_saveexec_b64 s[8:9], vcc
; %bb.4022:
	s_mov_b32 s10, 0x7f800001
	s_xor_b64 s[4:5], exec, -1
; %bb.4023:
	s_or_b64 exec, exec, s[8:9]
	s_and_b64 s[4:5], s[4:5], exec
                                        ; implicit-def: $vgpr4
	s_or_saveexec_b64 s[6:7], s[6:7]
	v_mov_b32_e32 v10, s10
	s_xor_b64 exec, exec, s[6:7]
	s_cbranch_execz .LBB8_1974
.LBB8_4024:
	v_cmp_ne_u16_e32 vcc, 0, v4
	s_andn2_b64 s[4:5], s[4:5], exec
	s_and_b64 s[8:9], vcc, exec
	v_mov_b32_e32 v10, 0
	s_or_b64 s[4:5], s[4:5], s[8:9]
	s_or_b64 exec, exec, s[6:7]
	s_and_saveexec_b64 s[6:7], s[4:5]
	s_cbranch_execnz .LBB8_1975
	s_branch .LBB8_1976
.LBB8_4025:
	s_movk_i32 s4, 0x80
	v_cmp_eq_u16_sdwa s[12:13], v5, s4 src0_sel:BYTE_3 src1_sel:DWORD
	s_mov_b64 s[4:5], -1
                                        ; implicit-def: $sgpr10
	s_and_saveexec_b64 s[8:9], s[12:13]
; %bb.4026:
	s_mov_b32 s10, 0x7f800001
	s_xor_b64 s[4:5], exec, -1
; %bb.4027:
	s_or_b64 exec, exec, s[8:9]
	s_and_b64 s[4:5], s[4:5], exec
	s_or_saveexec_b64 s[6:7], s[6:7]
	v_mov_b32_e32 v0, s10
	s_xor_b64 exec, exec, s[6:7]
	s_cbranch_execz .LBB8_1978
.LBB8_4028:
	v_mov_b32_e32 v0, 0
	v_cmp_ne_u16_sdwa s[8:9], v5, v0 src0_sel:BYTE_3 src1_sel:DWORD
	s_andn2_b64 s[4:5], s[4:5], exec
	s_and_b64 s[8:9], s[8:9], exec
	s_or_b64 s[4:5], s[4:5], s[8:9]
	s_or_b64 exec, exec, s[6:7]
	s_and_saveexec_b64 s[6:7], s[4:5]
	s_cbranch_execnz .LBB8_1979
	s_branch .LBB8_1980
.LBB8_4029:
	s_movk_i32 s4, 0x80
	v_cmp_eq_u16_sdwa s[12:13], v1, s4 src0_sel:BYTE_3 src1_sel:DWORD
	s_mov_b64 s[4:5], -1
                                        ; implicit-def: $sgpr10
	s_and_saveexec_b64 s[8:9], s[12:13]
; %bb.4030:
	s_mov_b32 s10, 0x7f800001
	s_xor_b64 s[4:5], exec, -1
; %bb.4031:
	s_or_b64 exec, exec, s[8:9]
	s_and_b64 s[4:5], s[4:5], exec
	s_or_saveexec_b64 s[6:7], s[6:7]
	v_mov_b32_e32 v4, s10
	s_xor_b64 exec, exec, s[6:7]
	s_cbranch_execz .LBB8_1982
.LBB8_4032:
	v_mov_b32_e32 v4, 0
	v_cmp_ne_u16_sdwa s[8:9], v1, v4 src0_sel:BYTE_3 src1_sel:DWORD
	s_andn2_b64 s[4:5], s[4:5], exec
	s_and_b64 s[8:9], s[8:9], exec
	s_or_b64 s[4:5], s[4:5], s[8:9]
	s_or_b64 exec, exec, s[6:7]
	s_and_saveexec_b64 s[6:7], s[4:5]
	s_cbranch_execnz .LBB8_1983
	s_branch .LBB8_1984
.LBB8_4033:
	s_movk_i32 s4, 0x80
	v_cmp_eq_u16_sdwa s[12:13], v6, s4 src0_sel:BYTE_0 src1_sel:DWORD
	s_mov_b64 s[4:5], -1
                                        ; implicit-def: $sgpr10
	s_and_saveexec_b64 s[8:9], s[12:13]
; %bb.4034:
	s_mov_b32 s10, 0x7f800001
	s_xor_b64 s[4:5], exec, -1
; %bb.4035:
	s_or_b64 exec, exec, s[8:9]
	s_and_b64 s[4:5], s[4:5], exec
	s_or_saveexec_b64 s[6:7], s[6:7]
	v_mov_b32_e32 v0, s10
	s_xor_b64 exec, exec, s[6:7]
	s_cbranch_execz .LBB8_1986
.LBB8_4036:
	v_mov_b32_e32 v0, 0
	v_cmp_ne_u16_sdwa s[8:9], v6, v0 src0_sel:BYTE_0 src1_sel:DWORD
	s_andn2_b64 s[4:5], s[4:5], exec
	s_and_b64 s[8:9], s[8:9], exec
	s_or_b64 s[4:5], s[4:5], s[8:9]
	s_or_b64 exec, exec, s[6:7]
	s_and_saveexec_b64 s[6:7], s[4:5]
	s_cbranch_execnz .LBB8_1987
	s_branch .LBB8_1988
.LBB8_4037:
	s_movk_i32 s4, 0x80
	v_cmp_eq_u16_sdwa s[12:13], v2, s4 src0_sel:BYTE_0 src1_sel:DWORD
	s_mov_b64 s[4:5], -1
                                        ; implicit-def: $sgpr10
	s_and_saveexec_b64 s[8:9], s[12:13]
; %bb.4038:
	s_mov_b32 s10, 0x7f800001
	s_xor_b64 s[4:5], exec, -1
; %bb.4039:
	s_or_b64 exec, exec, s[8:9]
	s_and_b64 s[4:5], s[4:5], exec
	s_or_saveexec_b64 s[6:7], s[6:7]
	v_mov_b32_e32 v1, s10
	s_xor_b64 exec, exec, s[6:7]
	s_cbranch_execz .LBB8_1990
.LBB8_4040:
	v_mov_b32_e32 v1, 0
	v_cmp_ne_u16_sdwa s[8:9], v2, v1 src0_sel:BYTE_0 src1_sel:DWORD
	s_andn2_b64 s[4:5], s[4:5], exec
	s_and_b64 s[8:9], s[8:9], exec
	s_or_b64 s[4:5], s[4:5], s[8:9]
	s_or_b64 exec, exec, s[6:7]
	s_and_saveexec_b64 s[6:7], s[4:5]
	s_cbranch_execnz .LBB8_1991
	s_branch .LBB8_1992
.LBB8_4041:
	s_movk_i32 s4, 0x80
	v_cmp_eq_u16_sdwa s[12:13], v1, s4 src0_sel:BYTE_0 src1_sel:DWORD
	s_mov_b64 s[4:5], -1
                                        ; implicit-def: $sgpr10
	s_and_saveexec_b64 s[8:9], s[12:13]
; %bb.4042:
	s_mov_b32 s10, 0x7f800001
	s_xor_b64 s[4:5], exec, -1
; %bb.4043:
	s_or_b64 exec, exec, s[8:9]
	s_and_b64 s[4:5], s[4:5], exec
	s_or_saveexec_b64 s[6:7], s[6:7]
	v_mov_b32_e32 v0, s10
	s_xor_b64 exec, exec, s[6:7]
	s_cbranch_execz .LBB8_1994
.LBB8_4044:
	v_mov_b32_e32 v0, 0
	v_cmp_ne_u16_sdwa s[8:9], v1, v0 src0_sel:BYTE_0 src1_sel:DWORD
	s_andn2_b64 s[4:5], s[4:5], exec
	s_and_b64 s[8:9], s[8:9], exec
	s_or_b64 s[4:5], s[4:5], s[8:9]
	s_or_b64 exec, exec, s[6:7]
	s_and_saveexec_b64 s[6:7], s[4:5]
	s_cbranch_execnz .LBB8_1995
	s_branch .LBB8_1996
.LBB8_4045:
	s_movk_i32 s4, 0x80
	v_cmp_eq_u16_sdwa s[12:13], v1, s4 src0_sel:BYTE_0 src1_sel:DWORD
	s_mov_b64 s[4:5], -1
                                        ; implicit-def: $sgpr10
	s_and_saveexec_b64 s[8:9], s[12:13]
; %bb.4046:
	s_mov_b32 s10, 0x7f800001
	s_xor_b64 s[4:5], exec, -1
; %bb.4047:
	s_or_b64 exec, exec, s[8:9]
	s_and_b64 s[4:5], s[4:5], exec
	s_or_saveexec_b64 s[6:7], s[6:7]
	v_mov_b32_e32 v4, s10
	s_xor_b64 exec, exec, s[6:7]
	s_cbranch_execz .LBB8_1998
.LBB8_4048:
	v_mov_b32_e32 v4, 0
	v_cmp_ne_u16_sdwa s[8:9], v1, v4 src0_sel:BYTE_0 src1_sel:DWORD
	s_andn2_b64 s[4:5], s[4:5], exec
	s_and_b64 s[8:9], s[8:9], exec
	s_or_b64 s[4:5], s[4:5], s[8:9]
	s_or_b64 exec, exec, s[6:7]
	s_and_saveexec_b64 s[6:7], s[4:5]
	s_cbranch_execnz .LBB8_1999
	s_branch .LBB8_2000
.LBB8_4049:
	s_movk_i32 s4, 0x80
	v_cmp_eq_u16_e32 vcc, s4, v1
	s_mov_b64 s[4:5], -1
                                        ; implicit-def: $sgpr10
	s_and_saveexec_b64 s[8:9], vcc
; %bb.4050:
	s_mov_b32 s10, 0x7f800001
	s_xor_b64 s[4:5], exec, -1
; %bb.4051:
	s_or_b64 exec, exec, s[8:9]
	s_and_b64 s[4:5], s[4:5], exec
                                        ; implicit-def: $vgpr1
	s_or_saveexec_b64 s[6:7], s[6:7]
	v_mov_b32_e32 v0, s10
	s_xor_b64 exec, exec, s[6:7]
	s_cbranch_execz .LBB8_2002
.LBB8_4052:
	v_cmp_ne_u16_e32 vcc, 0, v1
	s_andn2_b64 s[4:5], s[4:5], exec
	s_and_b64 s[8:9], vcc, exec
	v_mov_b32_e32 v0, 0
	s_or_b64 s[4:5], s[4:5], s[8:9]
	s_or_b64 exec, exec, s[6:7]
	s_and_saveexec_b64 s[6:7], s[4:5]
	s_cbranch_execnz .LBB8_2003
	s_branch .LBB8_2004
.LBB8_4053:
	s_movk_i32 s4, 0x80
	v_cmp_eq_u16_e32 vcc, s4, v1
	s_mov_b64 s[4:5], -1
                                        ; implicit-def: $sgpr10
	s_and_saveexec_b64 s[8:9], vcc
; %bb.4054:
	s_mov_b32 s10, 0x7f800001
	s_xor_b64 s[4:5], exec, -1
; %bb.4055:
	s_or_b64 exec, exec, s[8:9]
	s_and_b64 s[4:5], s[4:5], exec
                                        ; implicit-def: $vgpr1
	s_or_saveexec_b64 s[6:7], s[6:7]
	v_mov_b32_e32 v4, s10
	s_xor_b64 exec, exec, s[6:7]
	s_cbranch_execz .LBB8_2006
.LBB8_4056:
	v_cmp_ne_u16_e32 vcc, 0, v1
	s_andn2_b64 s[4:5], s[4:5], exec
	s_and_b64 s[8:9], vcc, exec
	v_mov_b32_e32 v4, 0
	s_or_b64 s[4:5], s[4:5], s[8:9]
	s_or_b64 exec, exec, s[6:7]
	s_and_saveexec_b64 s[6:7], s[4:5]
	s_cbranch_execnz .LBB8_2007
	s_branch .LBB8_2008
.LBB8_4057:
	s_movk_i32 s4, 0x80
	v_cmp_eq_u16_sdwa s[12:13], v6, s4 src0_sel:BYTE_3 src1_sel:DWORD
	s_mov_b64 s[4:5], -1
                                        ; implicit-def: $sgpr10
	s_and_saveexec_b64 s[8:9], s[12:13]
; %bb.4058:
	s_mov_b32 s10, 0x7f800001
	s_xor_b64 s[4:5], exec, -1
; %bb.4059:
	s_or_b64 exec, exec, s[8:9]
	s_and_b64 s[4:5], s[4:5], exec
	s_or_saveexec_b64 s[6:7], s[6:7]
	v_mov_b32_e32 v0, s10
	s_xor_b64 exec, exec, s[6:7]
	s_cbranch_execz .LBB8_2010
.LBB8_4060:
	v_mov_b32_e32 v0, 0
	v_cmp_ne_u16_sdwa s[8:9], v6, v0 src0_sel:BYTE_3 src1_sel:DWORD
	s_andn2_b64 s[4:5], s[4:5], exec
	s_and_b64 s[8:9], s[8:9], exec
	s_or_b64 s[4:5], s[4:5], s[8:9]
	s_or_b64 exec, exec, s[6:7]
	s_and_saveexec_b64 s[6:7], s[4:5]
	s_cbranch_execnz .LBB8_2011
	s_branch .LBB8_2012
.LBB8_4061:
	s_movk_i32 s4, 0x80
	v_cmp_eq_u16_sdwa s[12:13], v2, s4 src0_sel:BYTE_3 src1_sel:DWORD
	s_mov_b64 s[4:5], -1
                                        ; implicit-def: $sgpr10
	s_and_saveexec_b64 s[8:9], s[12:13]
; %bb.4062:
	s_mov_b32 s10, 0x7f800001
	s_xor_b64 s[4:5], exec, -1
; %bb.4063:
	s_or_b64 exec, exec, s[8:9]
	s_and_b64 s[4:5], s[4:5], exec
	s_or_saveexec_b64 s[6:7], s[6:7]
	v_mov_b32_e32 v1, s10
	s_xor_b64 exec, exec, s[6:7]
	s_cbranch_execz .LBB8_2014
.LBB8_4064:
	v_mov_b32_e32 v1, 0
	v_cmp_ne_u16_sdwa s[8:9], v2, v1 src0_sel:BYTE_3 src1_sel:DWORD
	s_andn2_b64 s[4:5], s[4:5], exec
	s_and_b64 s[8:9], s[8:9], exec
	s_or_b64 s[4:5], s[4:5], s[8:9]
	s_or_b64 exec, exec, s[6:7]
	s_and_saveexec_b64 s[6:7], s[4:5]
	s_cbranch_execnz .LBB8_2015
	s_branch .LBB8_2016
.LBB8_4065:
	s_movk_i32 s4, 0x80
	v_cmp_eq_u16_sdwa s[12:13], v7, s4 src0_sel:BYTE_0 src1_sel:DWORD
	s_mov_b64 s[4:5], -1
                                        ; implicit-def: $sgpr10
	s_and_saveexec_b64 s[8:9], s[12:13]
; %bb.4066:
	s_mov_b32 s10, 0x7f800001
	s_xor_b64 s[4:5], exec, -1
; %bb.4067:
	s_or_b64 exec, exec, s[8:9]
	s_and_b64 s[4:5], s[4:5], exec
	s_or_saveexec_b64 s[6:7], s[6:7]
	v_mov_b32_e32 v0, s10
	s_xor_b64 exec, exec, s[6:7]
	s_cbranch_execz .LBB8_2018
.LBB8_4068:
	v_mov_b32_e32 v0, 0
	v_cmp_ne_u16_sdwa s[8:9], v7, v0 src0_sel:BYTE_0 src1_sel:DWORD
	s_andn2_b64 s[4:5], s[4:5], exec
	s_and_b64 s[8:9], s[8:9], exec
	s_or_b64 s[4:5], s[4:5], s[8:9]
	s_or_b64 exec, exec, s[6:7]
	s_and_saveexec_b64 s[6:7], s[4:5]
	s_cbranch_execnz .LBB8_2019
	s_branch .LBB8_2020
.LBB8_4069:
	s_movk_i32 s4, 0x80
	v_cmp_eq_u16_sdwa s[12:13], v3, s4 src0_sel:BYTE_0 src1_sel:DWORD
	s_mov_b64 s[4:5], -1
                                        ; implicit-def: $sgpr10
	s_and_saveexec_b64 s[8:9], s[12:13]
; %bb.4070:
	s_mov_b32 s10, 0x7f800001
	s_xor_b64 s[4:5], exec, -1
; %bb.4071:
	s_or_b64 exec, exec, s[8:9]
	s_and_b64 s[4:5], s[4:5], exec
	s_or_saveexec_b64 s[6:7], s[6:7]
	v_mov_b32_e32 v1, s10
	s_xor_b64 exec, exec, s[6:7]
	s_cbranch_execz .LBB8_2022
.LBB8_4072:
	v_mov_b32_e32 v1, 0
	v_cmp_ne_u16_sdwa s[8:9], v3, v1 src0_sel:BYTE_0 src1_sel:DWORD
	s_andn2_b64 s[4:5], s[4:5], exec
	s_and_b64 s[8:9], s[8:9], exec
	s_or_b64 s[4:5], s[4:5], s[8:9]
	s_or_b64 exec, exec, s[6:7]
	s_and_saveexec_b64 s[6:7], s[4:5]
	s_cbranch_execnz .LBB8_2023
	s_branch .LBB8_2024
.LBB8_4073:
	s_movk_i32 s4, 0x80
	v_cmp_eq_u16_sdwa s[12:13], v1, s4 src0_sel:BYTE_0 src1_sel:DWORD
	s_mov_b64 s[4:5], -1
                                        ; implicit-def: $sgpr10
	s_and_saveexec_b64 s[8:9], s[12:13]
; %bb.4074:
	s_mov_b32 s10, 0x7f800001
	s_xor_b64 s[4:5], exec, -1
; %bb.4075:
	s_or_b64 exec, exec, s[8:9]
	s_and_b64 s[4:5], s[4:5], exec
	s_or_saveexec_b64 s[6:7], s[6:7]
	v_mov_b32_e32 v0, s10
	s_xor_b64 exec, exec, s[6:7]
	s_cbranch_execz .LBB8_2026
.LBB8_4076:
	v_mov_b32_e32 v0, 0
	v_cmp_ne_u16_sdwa s[8:9], v1, v0 src0_sel:BYTE_0 src1_sel:DWORD
	s_andn2_b64 s[4:5], s[4:5], exec
	s_and_b64 s[8:9], s[8:9], exec
	s_or_b64 s[4:5], s[4:5], s[8:9]
	s_or_b64 exec, exec, s[6:7]
	s_and_saveexec_b64 s[6:7], s[4:5]
	s_cbranch_execnz .LBB8_2027
	s_branch .LBB8_2028
.LBB8_4077:
	s_movk_i32 s4, 0x80
	v_cmp_eq_u16_sdwa s[12:13], v1, s4 src0_sel:BYTE_0 src1_sel:DWORD
	s_mov_b64 s[4:5], -1
                                        ; implicit-def: $sgpr10
	s_and_saveexec_b64 s[8:9], s[12:13]
; %bb.4078:
	s_mov_b32 s10, 0x7f800001
	s_xor_b64 s[4:5], exec, -1
; %bb.4079:
	s_or_b64 exec, exec, s[8:9]
	s_and_b64 s[4:5], s[4:5], exec
	s_or_saveexec_b64 s[6:7], s[6:7]
	v_mov_b32_e32 v2, s10
	s_xor_b64 exec, exec, s[6:7]
	s_cbranch_execz .LBB8_2030
.LBB8_4080:
	v_mov_b32_e32 v2, 0
	v_cmp_ne_u16_sdwa s[8:9], v1, v2 src0_sel:BYTE_0 src1_sel:DWORD
	s_andn2_b64 s[4:5], s[4:5], exec
	s_and_b64 s[8:9], s[8:9], exec
	s_or_b64 s[4:5], s[4:5], s[8:9]
	s_or_b64 exec, exec, s[6:7]
	s_and_saveexec_b64 s[6:7], s[4:5]
	s_cbranch_execnz .LBB8_2031
	s_branch .LBB8_2032
.LBB8_4081:
	s_movk_i32 s4, 0x80
	v_cmp_eq_u16_e32 vcc, s4, v1
	s_mov_b64 s[4:5], -1
                                        ; implicit-def: $sgpr10
	s_and_saveexec_b64 s[8:9], vcc
; %bb.4082:
	s_mov_b32 s10, 0x7f800001
	s_xor_b64 s[4:5], exec, -1
; %bb.4083:
	s_or_b64 exec, exec, s[8:9]
	s_and_b64 s[4:5], s[4:5], exec
                                        ; implicit-def: $vgpr1
	s_or_saveexec_b64 s[6:7], s[6:7]
	v_mov_b32_e32 v0, s10
	s_xor_b64 exec, exec, s[6:7]
	s_cbranch_execz .LBB8_2034
.LBB8_4084:
	v_cmp_ne_u16_e32 vcc, 0, v1
	s_andn2_b64 s[4:5], s[4:5], exec
	s_and_b64 s[8:9], vcc, exec
	v_mov_b32_e32 v0, 0
	s_or_b64 s[4:5], s[4:5], s[8:9]
	s_or_b64 exec, exec, s[6:7]
	s_and_saveexec_b64 s[6:7], s[4:5]
	s_cbranch_execnz .LBB8_2035
	s_branch .LBB8_2036
.LBB8_4085:
	s_movk_i32 s4, 0x80
	v_cmp_eq_u16_e32 vcc, s4, v1
	s_mov_b64 s[4:5], -1
                                        ; implicit-def: $sgpr10
	s_and_saveexec_b64 s[8:9], vcc
; %bb.4086:
	s_mov_b32 s10, 0x7f800001
	s_xor_b64 s[4:5], exec, -1
; %bb.4087:
	s_or_b64 exec, exec, s[8:9]
	s_and_b64 s[4:5], s[4:5], exec
                                        ; implicit-def: $vgpr1
	s_or_saveexec_b64 s[6:7], s[6:7]
	v_mov_b32_e32 v2, s10
	s_xor_b64 exec, exec, s[6:7]
	s_cbranch_execz .LBB8_2038
.LBB8_4088:
	v_cmp_ne_u16_e32 vcc, 0, v1
	s_andn2_b64 s[4:5], s[4:5], exec
	s_and_b64 s[8:9], vcc, exec
	v_mov_b32_e32 v2, 0
	s_or_b64 s[4:5], s[4:5], s[8:9]
	s_or_b64 exec, exec, s[6:7]
	s_and_saveexec_b64 s[6:7], s[4:5]
	s_cbranch_execnz .LBB8_2039
	s_branch .LBB8_2040
.LBB8_4089:
	s_movk_i32 s4, 0x80
	v_cmp_eq_u16_sdwa s[12:13], v7, s4 src0_sel:BYTE_3 src1_sel:DWORD
	s_mov_b64 s[4:5], -1
                                        ; implicit-def: $sgpr10
	s_and_saveexec_b64 s[8:9], s[12:13]
; %bb.4090:
	s_mov_b32 s10, 0x7f800001
	s_xor_b64 s[4:5], exec, -1
; %bb.4091:
	s_or_b64 exec, exec, s[8:9]
	s_and_b64 s[4:5], s[4:5], exec
	s_or_saveexec_b64 s[6:7], s[6:7]
	v_mov_b32_e32 v0, s10
	s_xor_b64 exec, exec, s[6:7]
	s_cbranch_execz .LBB8_2042
.LBB8_4092:
	v_mov_b32_e32 v0, 0
	v_cmp_ne_u16_sdwa s[8:9], v7, v0 src0_sel:BYTE_3 src1_sel:DWORD
	s_andn2_b64 s[4:5], s[4:5], exec
	s_and_b64 s[8:9], s[8:9], exec
	s_or_b64 s[4:5], s[4:5], s[8:9]
	s_or_b64 exec, exec, s[6:7]
	s_and_saveexec_b64 s[6:7], s[4:5]
	s_cbranch_execnz .LBB8_2043
	s_branch .LBB8_2044
.LBB8_4093:
	s_movk_i32 s4, 0x80
	v_cmp_eq_u16_sdwa s[12:13], v3, s4 src0_sel:BYTE_3 src1_sel:DWORD
	s_mov_b64 s[4:5], -1
                                        ; implicit-def: $sgpr10
	s_and_saveexec_b64 s[8:9], s[12:13]
; %bb.4094:
	s_mov_b32 s10, 0x7f800001
	s_xor_b64 s[4:5], exec, -1
; %bb.4095:
	s_or_b64 exec, exec, s[8:9]
	s_and_b64 s[4:5], s[4:5], exec
	s_or_saveexec_b64 s[6:7], s[6:7]
	v_mov_b32_e32 v1, s10
	s_xor_b64 exec, exec, s[6:7]
	s_cbranch_execz .LBB8_2046
.LBB8_4096:
	v_mov_b32_e32 v1, 0
	v_cmp_ne_u16_sdwa s[8:9], v3, v1 src0_sel:BYTE_3 src1_sel:DWORD
	s_andn2_b64 s[4:5], s[4:5], exec
	s_and_b64 s[8:9], s[8:9], exec
	s_or_b64 s[4:5], s[4:5], s[8:9]
	s_or_b64 exec, exec, s[6:7]
	s_and_saveexec_b64 s[6:7], s[4:5]
	s_cbranch_execnz .LBB8_2047
	s_branch .LBB8_2048
.Lfunc_end8:
	.size	_ZNK2ck6detail7applierIiJLi0ELi1ELi2ELi3ELi4ELi5ELi6ELi7ELi8ELi9ELi10ELi11ELi12ELi13ELi14ELi15EEEclIZNKS_11static_fordINS_8SequenceIJLi4ELi4EEEENS5_IJLi0ELi1EEEEEclIZZZZNKS_31BlockwiseGemmXdlops_pipeline_v2ILNS_26BlockGemmPipelineSchedulerE1ELi256ENS_9f8_fnuz_tENS_7pk_i4_tESC_fNS_16TensorDescriptorINS_5TupleIJNS_5EmbedINSF_IJNS_17integral_constantIiLi8EEENSH_IiLi128EEENSH_IiLi16EEEEEENSF_IJSK_SJ_NSH_IiLi1EEEEEELb0EEENS_3XorINSF_IJSJ_SI_EEELb1EEENS_11PassThroughISK_EENS_7UnMergeINSF_IJSI_SM_EEELb0EEENSS_ISJ_EEST_NSS_ISI_EENS_21Merge_v3_division_modINSF_IJSJ_SM_EEEEEST_EEENSF_IJNS5_IJLi0EEEENS5_IJLi2ELi1EEEENS5_IJLi3EEEENS5_IJLi5EEEENS5_IJLi4EEEENS5_IJLi6EEEENS5_IJLi7EEEENS5_IJLi9ELi8EEEENS5_IJLi10EEEEEEENSF_IJNS5_IJLi1ELi2ELi3EEEENS5_IJLi4ELi5EEEES18_NS5_IJLi7ELi8EEEENS5_IJLi9EEEES1B_NS5_IJLi11EEEENS5_IJLi12EEEENS5_IJLi13EEEEEEENS5_IJLi11ELi12ELi13EEEENSH_IlLl16384EEEEENSE_INSF_IJNSG_INSF_IJSK_NSH_IiLi64EEESK_EEENSF_IJSK_NSH_IiLi256EEESM_EEELb0EEENSP_INSF_IJS1O_SK_EEELb1EEEST_NSU_INSF_IJSI_NSH_IiLi2EEEEEELb0EEENSS_IS1O_EEST_SY_NSZ_INSF_IJS1O_S1V_EEEEEST_EEES1C_S1K_S1L_S1M_EENSE_INSF_IJSO_SR_ST_SW_SX_ST_SY_S11_ST_NSZ_INSF_IJSI_SK_EEEEENSU_INSF_IJNSH_IiLi4EEES1V_SK_EEELb0EEEEEENSF_IJS13_S14_S15_S16_S17_S18_S19_S1A_S1B_NS5_IJLi11ELi13EEEES1I_EEENSF_IJS1D_S1E_S18_S1F_S1G_S1B_S1H_S1I_S1J_NS5_IJLi14EEEENS5_IJLi15ELi16ELi17EEEEEEENS5_IJLi15ELi16ELi17ELi14EEEES1M_EENSE_INSF_IJS1S_S1U_ST_S1X_S1Y_ST_SY_S20_ST_S24_S27_EEES2A_S2D_S2E_S1M_EELi16ELi16ELi128ELi128ELi128ELi16ELi16ELi4ELi4ELi16ELb0EE3RunILb1ELNS_10TailNumberE10ENSE_INSF_IJNSG_INSF_IJiiEEENSF_IJiSM_EEELb0EEENSU_IS2L_Lb0EEENSS_IiEEEEENSF_IJS13_NS5_IJLi2EEEENS5_IJLi1EEEEEEENSF_IJNS5_IJLi1ELi2EEEENS5_IJLi3ELi4EEEES16_EEENS5_IJLi3ELi5ELi4EEEElEES1N_NS_35ThreadGroupTensorSliceTransfer_v4r1INS_15ThisThreadBlockILi256EEENS_16tensor_operation12element_wise11PassThroughES34_LNS_25InMemoryDataOperationEnumE0ENS5_IJLi8ELi128ELi16EEEENS5_IJLi8ELi32ELi1EEEENS5_IJLi1ELi0ELi2EEEESC_SC_RKS2Y_KS1N_S38_NS5_IJLi0ELi1ELi2EEEELi2ELi2ELi16ELi16ELi1ELi1ELb0ELb1ELi2EiEENS_13DynamicBufferILNS_16AddressSpaceEnumE1EKSC_lLb1ELNS_22AmdBufferCoherenceEnumE0EiEENS3E_ILS3F_2ESC_S1M_Lb1ELS3H_0EiEENSF_IJiiiEEENSE_INSF_IJNSU_INSF_IJiiiiEEELb0EEENS_23Merge_v2_magic_divisionIS2L_EENSS_INSF_IJiEEEEES2P_EEENSF_IJS13_NS5_IJLi1ELi3EEEES2R_S17_EEENSF_IJNS5_IJLi1ELi2ELi3ELi4EEEES16_S18_S19_EEENS5_IJLi5ELi6ELi7EEEElEES22_NS2Z_IS31_S34_S34_LS35_0ES36_NS5_IJLi4ELi64ELi1EEEES38_SD_SD_RKS3X_KS22_S38_S3C_Li2ELi2ELi16ELi16ELi1ELi1ELb0ELb1ELi2EiEENS3E_ILS3F_1EKSD_lLb1ELS3H_0EiEENS3E_ILS3F_2ESD_S1M_Lb1ELS3H_0EiEES3K_NS_25StaticBufferTupleOfVectorILS3F_4EfLi16ELi4ELb1ELb0EEEEEvRKT1_RKT2_RT3_RKT4_RT5_RKT6_RKT7_RKT8_RT9_RKT10_RT11_RKT12_RT13_iENKUlT_E0_clINSH_IiLi0EEEEEDaS56_ENKUlS56_E_clIS59_EEDaS56_ENKUlS56_E1_clIS59_EEDaS56_EUlS56_E_EEvS56_EUlS56_E_EEvS56_, .Lfunc_end8-_ZNK2ck6detail7applierIiJLi0ELi1ELi2ELi3ELi4ELi5ELi6ELi7ELi8ELi9ELi10ELi11ELi12ELi13ELi14ELi15EEEclIZNKS_11static_fordINS_8SequenceIJLi4ELi4EEEENS5_IJLi0ELi1EEEEEclIZZZZNKS_31BlockwiseGemmXdlops_pipeline_v2ILNS_26BlockGemmPipelineSchedulerE1ELi256ENS_9f8_fnuz_tENS_7pk_i4_tESC_fNS_16TensorDescriptorINS_5TupleIJNS_5EmbedINSF_IJNS_17integral_constantIiLi8EEENSH_IiLi128EEENSH_IiLi16EEEEEENSF_IJSK_SJ_NSH_IiLi1EEEEEELb0EEENS_3XorINSF_IJSJ_SI_EEELb1EEENS_11PassThroughISK_EENS_7UnMergeINSF_IJSI_SM_EEELb0EEENSS_ISJ_EEST_NSS_ISI_EENS_21Merge_v3_division_modINSF_IJSJ_SM_EEEEEST_EEENSF_IJNS5_IJLi0EEEENS5_IJLi2ELi1EEEENS5_IJLi3EEEENS5_IJLi5EEEENS5_IJLi4EEEENS5_IJLi6EEEENS5_IJLi7EEEENS5_IJLi9ELi8EEEENS5_IJLi10EEEEEEENSF_IJNS5_IJLi1ELi2ELi3EEEENS5_IJLi4ELi5EEEES18_NS5_IJLi7ELi8EEEENS5_IJLi9EEEES1B_NS5_IJLi11EEEENS5_IJLi12EEEENS5_IJLi13EEEEEEENS5_IJLi11ELi12ELi13EEEENSH_IlLl16384EEEEENSE_INSF_IJNSG_INSF_IJSK_NSH_IiLi64EEESK_EEENSF_IJSK_NSH_IiLi256EEESM_EEELb0EEENSP_INSF_IJS1O_SK_EEELb1EEEST_NSU_INSF_IJSI_NSH_IiLi2EEEEEELb0EEENSS_IS1O_EEST_SY_NSZ_INSF_IJS1O_S1V_EEEEEST_EEES1C_S1K_S1L_S1M_EENSE_INSF_IJSO_SR_ST_SW_SX_ST_SY_S11_ST_NSZ_INSF_IJSI_SK_EEEEENSU_INSF_IJNSH_IiLi4EEES1V_SK_EEELb0EEEEEENSF_IJS13_S14_S15_S16_S17_S18_S19_S1A_S1B_NS5_IJLi11ELi13EEEES1I_EEENSF_IJS1D_S1E_S18_S1F_S1G_S1B_S1H_S1I_S1J_NS5_IJLi14EEEENS5_IJLi15ELi16ELi17EEEEEEENS5_IJLi15ELi16ELi17ELi14EEEES1M_EENSE_INSF_IJS1S_S1U_ST_S1X_S1Y_ST_SY_S20_ST_S24_S27_EEES2A_S2D_S2E_S1M_EELi16ELi16ELi128ELi128ELi128ELi16ELi16ELi4ELi4ELi16ELb0EE3RunILb1ELNS_10TailNumberE10ENSE_INSF_IJNSG_INSF_IJiiEEENSF_IJiSM_EEELb0EEENSU_IS2L_Lb0EEENSS_IiEEEEENSF_IJS13_NS5_IJLi2EEEENS5_IJLi1EEEEEEENSF_IJNS5_IJLi1ELi2EEEENS5_IJLi3ELi4EEEES16_EEENS5_IJLi3ELi5ELi4EEEElEES1N_NS_35ThreadGroupTensorSliceTransfer_v4r1INS_15ThisThreadBlockILi256EEENS_16tensor_operation12element_wise11PassThroughES34_LNS_25InMemoryDataOperationEnumE0ENS5_IJLi8ELi128ELi16EEEENS5_IJLi8ELi32ELi1EEEENS5_IJLi1ELi0ELi2EEEESC_SC_RKS2Y_KS1N_S38_NS5_IJLi0ELi1ELi2EEEELi2ELi2ELi16ELi16ELi1ELi1ELb0ELb1ELi2EiEENS_13DynamicBufferILNS_16AddressSpaceEnumE1EKSC_lLb1ELNS_22AmdBufferCoherenceEnumE0EiEENS3E_ILS3F_2ESC_S1M_Lb1ELS3H_0EiEENSF_IJiiiEEENSE_INSF_IJNSU_INSF_IJiiiiEEELb0EEENS_23Merge_v2_magic_divisionIS2L_EENSS_INSF_IJiEEEEES2P_EEENSF_IJS13_NS5_IJLi1ELi3EEEES2R_S17_EEENSF_IJNS5_IJLi1ELi2ELi3ELi4EEEES16_S18_S19_EEENS5_IJLi5ELi6ELi7EEEElEES22_NS2Z_IS31_S34_S34_LS35_0ES36_NS5_IJLi4ELi64ELi1EEEES38_SD_SD_RKS3X_KS22_S38_S3C_Li2ELi2ELi16ELi16ELi1ELi1ELb0ELb1ELi2EiEENS3E_ILS3F_1EKSD_lLb1ELS3H_0EiEENS3E_ILS3F_2ESD_S1M_Lb1ELS3H_0EiEES3K_NS_25StaticBufferTupleOfVectorILS3F_4EfLi16ELi4ELb1ELb0EEEEEvRKT1_RKT2_RT3_RKT4_RT5_RKT6_RKT7_RKT8_RT9_RKT10_RT11_RKT12_RT13_iENKUlT_E0_clINSH_IiLi0EEEEEDaS56_ENKUlS56_E_clIS59_EEDaS56_ENKUlS56_E1_clIS59_EEDaS56_EUlS56_E_EEvS56_EUlS56_E_EEvS56_
                                        ; -- End function
	.section	.AMDGPU.csdata,"",@progbits
; Function info:
; codeLenInByte = 134344
; NumSgprs: 36
; NumVgprs: 18
; NumAgprs: 4
; TotalNumVgprs: 24
; ScratchSize: 0
; MemoryBound: 1
	.text
	.p2align	2                               ; -- Begin function _ZNK2ck6detail7applierIiJLi0ELi1ELi2ELi3ELi4ELi5ELi6ELi7ELi8ELi9ELi10ELi11ELi12ELi13ELi14ELi15EEEclIZNKS_11static_fordINS_8SequenceIJLi4ELi4EEEENS5_IJLi0ELi1EEEEEclIZZZZNKS_31BlockwiseGemmXdlops_pipeline_v2ILNS_26BlockGemmPipelineSchedulerE1ELi256ENS_9f8_fnuz_tENS_7pk_i4_tESC_fNS_16TensorDescriptorINS_5TupleIJNS_5EmbedINSF_IJNS_17integral_constantIiLi8EEENSH_IiLi128EEENSH_IiLi16EEEEEENSF_IJSK_SJ_NSH_IiLi1EEEEEELb0EEENS_3XorINSF_IJSJ_SI_EEELb1EEENS_11PassThroughISK_EENS_7UnMergeINSF_IJSI_SM_EEELb0EEENSS_ISJ_EEST_NSS_ISI_EENS_21Merge_v3_division_modINSF_IJSJ_SM_EEEEEST_EEENSF_IJNS5_IJLi0EEEENS5_IJLi2ELi1EEEENS5_IJLi3EEEENS5_IJLi5EEEENS5_IJLi4EEEENS5_IJLi6EEEENS5_IJLi7EEEENS5_IJLi9ELi8EEEENS5_IJLi10EEEEEEENSF_IJNS5_IJLi1ELi2ELi3EEEENS5_IJLi4ELi5EEEES18_NS5_IJLi7ELi8EEEENS5_IJLi9EEEES1B_NS5_IJLi11EEEENS5_IJLi12EEEENS5_IJLi13EEEEEEENS5_IJLi11ELi12ELi13EEEENSH_IlLl16384EEEEENSE_INSF_IJNSG_INSF_IJSK_NSH_IiLi64EEESK_EEENSF_IJSK_NSH_IiLi256EEESM_EEELb0EEENSP_INSF_IJS1O_SK_EEELb1EEEST_NSU_INSF_IJSI_NSH_IiLi2EEEEEELb0EEENSS_IS1O_EEST_SY_NSZ_INSF_IJS1O_S1V_EEEEEST_EEES1C_S1K_S1L_S1M_EENSE_INSF_IJSO_SR_ST_SW_SX_ST_SY_S11_ST_NSZ_INSF_IJSI_SK_EEEEENSU_INSF_IJNSH_IiLi4EEES1V_SK_EEELb0EEEEEENSF_IJS13_S14_S15_S16_S17_S18_S19_S1A_S1B_NS5_IJLi11ELi13EEEES1I_EEENSF_IJS1D_S1E_S18_S1F_S1G_S1B_S1H_S1I_S1J_NS5_IJLi14EEEENS5_IJLi15ELi16ELi17EEEEEEENS5_IJLi15ELi16ELi17ELi14EEEES1M_EENSE_INSF_IJS1S_S1U_ST_S1X_S1Y_ST_SY_S20_ST_S24_S27_EEES2A_S2D_S2E_S1M_EELi16ELi16ELi128ELi128ELi128ELi16ELi16ELi4ELi4ELi16ELb0EE3RunILb1ELNS_10TailNumberE10ENSE_INSF_IJNSG_INSF_IJiiEEENSF_IJiSM_EEELb0EEENSU_IS2L_Lb0EEENSS_IiEEEEENSF_IJS13_NS5_IJLi2EEEENS5_IJLi1EEEEEEENSF_IJNS5_IJLi1ELi2EEEENS5_IJLi3ELi4EEEES16_EEENS5_IJLi3ELi5ELi4EEEElEES1N_NS_35ThreadGroupTensorSliceTransfer_v4r1INS_15ThisThreadBlockILi256EEENS_16tensor_operation12element_wise11PassThroughES34_LNS_25InMemoryDataOperationEnumE0ENS5_IJLi8ELi128ELi16EEEENS5_IJLi8ELi32ELi1EEEENS5_IJLi1ELi0ELi2EEEESC_SC_RKS2Y_KS1N_S38_NS5_IJLi0ELi1ELi2EEEELi2ELi2ELi16ELi16ELi1ELi1ELb0ELb1ELi2EiEENS_13DynamicBufferILNS_16AddressSpaceEnumE1EKSC_lLb1ELNS_22AmdBufferCoherenceEnumE0EiEENS3E_ILS3F_2ESC_S1M_Lb1ELS3H_0EiEENSF_IJiiiEEENSE_INSF_IJNSU_INSF_IJiiiiEEELb0EEENS_23Merge_v2_magic_divisionIS2L_EENSS_INSF_IJiEEEEES2P_EEENSF_IJS13_NS5_IJLi1ELi3EEEES2R_S17_EEENSF_IJNS5_IJLi1ELi2ELi3ELi4EEEES16_S18_S19_EEENS5_IJLi5ELi6ELi7EEEElEES22_NS2Z_IS31_S34_S34_LS35_0ES36_NS5_IJLi4ELi64ELi1EEEES38_SD_SD_RKS3X_KS22_S38_S3C_Li2ELi2ELi16ELi16ELi1ELi1ELb0ELb1ELi2EiEENS3E_ILS3F_1EKSD_lLb1ELS3H_0EiEENS3E_ILS3F_2ESD_S1M_Lb1ELS3H_0EiEES3K_NS_25StaticBufferTupleOfVectorILS3F_4EfLi16ELi4ELb1ELb0EEEEEvRKT1_RKT2_RT3_RKT4_RT5_RKT6_RKT7_RKT8_RT9_RKT10_RT11_RKT12_RT13_iENKUlT_E0_clINSH_IiLi0EEEEEDaS56_ENKUlS56_E_clIS59_EEDaS56_ENKUlS56_E1_clISK_EEDaS56_EUlS56_E_EEvS56_EUlS56_E_EEvS56_
	.type	_ZNK2ck6detail7applierIiJLi0ELi1ELi2ELi3ELi4ELi5ELi6ELi7ELi8ELi9ELi10ELi11ELi12ELi13ELi14ELi15EEEclIZNKS_11static_fordINS_8SequenceIJLi4ELi4EEEENS5_IJLi0ELi1EEEEEclIZZZZNKS_31BlockwiseGemmXdlops_pipeline_v2ILNS_26BlockGemmPipelineSchedulerE1ELi256ENS_9f8_fnuz_tENS_7pk_i4_tESC_fNS_16TensorDescriptorINS_5TupleIJNS_5EmbedINSF_IJNS_17integral_constantIiLi8EEENSH_IiLi128EEENSH_IiLi16EEEEEENSF_IJSK_SJ_NSH_IiLi1EEEEEELb0EEENS_3XorINSF_IJSJ_SI_EEELb1EEENS_11PassThroughISK_EENS_7UnMergeINSF_IJSI_SM_EEELb0EEENSS_ISJ_EEST_NSS_ISI_EENS_21Merge_v3_division_modINSF_IJSJ_SM_EEEEEST_EEENSF_IJNS5_IJLi0EEEENS5_IJLi2ELi1EEEENS5_IJLi3EEEENS5_IJLi5EEEENS5_IJLi4EEEENS5_IJLi6EEEENS5_IJLi7EEEENS5_IJLi9ELi8EEEENS5_IJLi10EEEEEEENSF_IJNS5_IJLi1ELi2ELi3EEEENS5_IJLi4ELi5EEEES18_NS5_IJLi7ELi8EEEENS5_IJLi9EEEES1B_NS5_IJLi11EEEENS5_IJLi12EEEENS5_IJLi13EEEEEEENS5_IJLi11ELi12ELi13EEEENSH_IlLl16384EEEEENSE_INSF_IJNSG_INSF_IJSK_NSH_IiLi64EEESK_EEENSF_IJSK_NSH_IiLi256EEESM_EEELb0EEENSP_INSF_IJS1O_SK_EEELb1EEEST_NSU_INSF_IJSI_NSH_IiLi2EEEEEELb0EEENSS_IS1O_EEST_SY_NSZ_INSF_IJS1O_S1V_EEEEEST_EEES1C_S1K_S1L_S1M_EENSE_INSF_IJSO_SR_ST_SW_SX_ST_SY_S11_ST_NSZ_INSF_IJSI_SK_EEEEENSU_INSF_IJNSH_IiLi4EEES1V_SK_EEELb0EEEEEENSF_IJS13_S14_S15_S16_S17_S18_S19_S1A_S1B_NS5_IJLi11ELi13EEEES1I_EEENSF_IJS1D_S1E_S18_S1F_S1G_S1B_S1H_S1I_S1J_NS5_IJLi14EEEENS5_IJLi15ELi16ELi17EEEEEEENS5_IJLi15ELi16ELi17ELi14EEEES1M_EENSE_INSF_IJS1S_S1U_ST_S1X_S1Y_ST_SY_S20_ST_S24_S27_EEES2A_S2D_S2E_S1M_EELi16ELi16ELi128ELi128ELi128ELi16ELi16ELi4ELi4ELi16ELb0EE3RunILb1ELNS_10TailNumberE10ENSE_INSF_IJNSG_INSF_IJiiEEENSF_IJiSM_EEELb0EEENSU_IS2L_Lb0EEENSS_IiEEEEENSF_IJS13_NS5_IJLi2EEEENS5_IJLi1EEEEEEENSF_IJNS5_IJLi1ELi2EEEENS5_IJLi3ELi4EEEES16_EEENS5_IJLi3ELi5ELi4EEEElEES1N_NS_35ThreadGroupTensorSliceTransfer_v4r1INS_15ThisThreadBlockILi256EEENS_16tensor_operation12element_wise11PassThroughES34_LNS_25InMemoryDataOperationEnumE0ENS5_IJLi8ELi128ELi16EEEENS5_IJLi8ELi32ELi1EEEENS5_IJLi1ELi0ELi2EEEESC_SC_RKS2Y_KS1N_S38_NS5_IJLi0ELi1ELi2EEEELi2ELi2ELi16ELi16ELi1ELi1ELb0ELb1ELi2EiEENS_13DynamicBufferILNS_16AddressSpaceEnumE1EKSC_lLb1ELNS_22AmdBufferCoherenceEnumE0EiEENS3E_ILS3F_2ESC_S1M_Lb1ELS3H_0EiEENSF_IJiiiEEENSE_INSF_IJNSU_INSF_IJiiiiEEELb0EEENS_23Merge_v2_magic_divisionIS2L_EENSS_INSF_IJiEEEEES2P_EEENSF_IJS13_NS5_IJLi1ELi3EEEES2R_S17_EEENSF_IJNS5_IJLi1ELi2ELi3ELi4EEEES16_S18_S19_EEENS5_IJLi5ELi6ELi7EEEElEES22_NS2Z_IS31_S34_S34_LS35_0ES36_NS5_IJLi4ELi64ELi1EEEES38_SD_SD_RKS3X_KS22_S38_S3C_Li2ELi2ELi16ELi16ELi1ELi1ELb0ELb1ELi2EiEENS3E_ILS3F_1EKSD_lLb1ELS3H_0EiEENS3E_ILS3F_2ESD_S1M_Lb1ELS3H_0EiEES3K_NS_25StaticBufferTupleOfVectorILS3F_4EfLi16ELi4ELb1ELb0EEEEEvRKT1_RKT2_RT3_RKT4_RT5_RKT6_RKT7_RKT8_RT9_RKT10_RT11_RKT12_RT13_iENKUlT_E0_clINSH_IiLi0EEEEEDaS56_ENKUlS56_E_clIS59_EEDaS56_ENKUlS56_E1_clISK_EEDaS56_EUlS56_E_EEvS56_EUlS56_E_EEvS56_,@function
_ZNK2ck6detail7applierIiJLi0ELi1ELi2ELi3ELi4ELi5ELi6ELi7ELi8ELi9ELi10ELi11ELi12ELi13ELi14ELi15EEEclIZNKS_11static_fordINS_8SequenceIJLi4ELi4EEEENS5_IJLi0ELi1EEEEEclIZZZZNKS_31BlockwiseGemmXdlops_pipeline_v2ILNS_26BlockGemmPipelineSchedulerE1ELi256ENS_9f8_fnuz_tENS_7pk_i4_tESC_fNS_16TensorDescriptorINS_5TupleIJNS_5EmbedINSF_IJNS_17integral_constantIiLi8EEENSH_IiLi128EEENSH_IiLi16EEEEEENSF_IJSK_SJ_NSH_IiLi1EEEEEELb0EEENS_3XorINSF_IJSJ_SI_EEELb1EEENS_11PassThroughISK_EENS_7UnMergeINSF_IJSI_SM_EEELb0EEENSS_ISJ_EEST_NSS_ISI_EENS_21Merge_v3_division_modINSF_IJSJ_SM_EEEEEST_EEENSF_IJNS5_IJLi0EEEENS5_IJLi2ELi1EEEENS5_IJLi3EEEENS5_IJLi5EEEENS5_IJLi4EEEENS5_IJLi6EEEENS5_IJLi7EEEENS5_IJLi9ELi8EEEENS5_IJLi10EEEEEEENSF_IJNS5_IJLi1ELi2ELi3EEEENS5_IJLi4ELi5EEEES18_NS5_IJLi7ELi8EEEENS5_IJLi9EEEES1B_NS5_IJLi11EEEENS5_IJLi12EEEENS5_IJLi13EEEEEEENS5_IJLi11ELi12ELi13EEEENSH_IlLl16384EEEEENSE_INSF_IJNSG_INSF_IJSK_NSH_IiLi64EEESK_EEENSF_IJSK_NSH_IiLi256EEESM_EEELb0EEENSP_INSF_IJS1O_SK_EEELb1EEEST_NSU_INSF_IJSI_NSH_IiLi2EEEEEELb0EEENSS_IS1O_EEST_SY_NSZ_INSF_IJS1O_S1V_EEEEEST_EEES1C_S1K_S1L_S1M_EENSE_INSF_IJSO_SR_ST_SW_SX_ST_SY_S11_ST_NSZ_INSF_IJSI_SK_EEEEENSU_INSF_IJNSH_IiLi4EEES1V_SK_EEELb0EEEEEENSF_IJS13_S14_S15_S16_S17_S18_S19_S1A_S1B_NS5_IJLi11ELi13EEEES1I_EEENSF_IJS1D_S1E_S18_S1F_S1G_S1B_S1H_S1I_S1J_NS5_IJLi14EEEENS5_IJLi15ELi16ELi17EEEEEEENS5_IJLi15ELi16ELi17ELi14EEEES1M_EENSE_INSF_IJS1S_S1U_ST_S1X_S1Y_ST_SY_S20_ST_S24_S27_EEES2A_S2D_S2E_S1M_EELi16ELi16ELi128ELi128ELi128ELi16ELi16ELi4ELi4ELi16ELb0EE3RunILb1ELNS_10TailNumberE10ENSE_INSF_IJNSG_INSF_IJiiEEENSF_IJiSM_EEELb0EEENSU_IS2L_Lb0EEENSS_IiEEEEENSF_IJS13_NS5_IJLi2EEEENS5_IJLi1EEEEEEENSF_IJNS5_IJLi1ELi2EEEENS5_IJLi3ELi4EEEES16_EEENS5_IJLi3ELi5ELi4EEEElEES1N_NS_35ThreadGroupTensorSliceTransfer_v4r1INS_15ThisThreadBlockILi256EEENS_16tensor_operation12element_wise11PassThroughES34_LNS_25InMemoryDataOperationEnumE0ENS5_IJLi8ELi128ELi16EEEENS5_IJLi8ELi32ELi1EEEENS5_IJLi1ELi0ELi2EEEESC_SC_RKS2Y_KS1N_S38_NS5_IJLi0ELi1ELi2EEEELi2ELi2ELi16ELi16ELi1ELi1ELb0ELb1ELi2EiEENS_13DynamicBufferILNS_16AddressSpaceEnumE1EKSC_lLb1ELNS_22AmdBufferCoherenceEnumE0EiEENS3E_ILS3F_2ESC_S1M_Lb1ELS3H_0EiEENSF_IJiiiEEENSE_INSF_IJNSU_INSF_IJiiiiEEELb0EEENS_23Merge_v2_magic_divisionIS2L_EENSS_INSF_IJiEEEEES2P_EEENSF_IJS13_NS5_IJLi1ELi3EEEES2R_S17_EEENSF_IJNS5_IJLi1ELi2ELi3ELi4EEEES16_S18_S19_EEENS5_IJLi5ELi6ELi7EEEElEES22_NS2Z_IS31_S34_S34_LS35_0ES36_NS5_IJLi4ELi64ELi1EEEES38_SD_SD_RKS3X_KS22_S38_S3C_Li2ELi2ELi16ELi16ELi1ELi1ELb0ELb1ELi2EiEENS3E_ILS3F_1EKSD_lLb1ELS3H_0EiEENS3E_ILS3F_2ESD_S1M_Lb1ELS3H_0EiEES3K_NS_25StaticBufferTupleOfVectorILS3F_4EfLi16ELi4ELb1ELb0EEEEEvRKT1_RKT2_RT3_RKT4_RT5_RKT6_RKT7_RKT8_RT9_RKT10_RT11_RKT12_RT13_iENKUlT_E0_clINSH_IiLi0EEEEEDaS56_ENKUlS56_E_clIS59_EEDaS56_ENKUlS56_E1_clISK_EEDaS56_EUlS56_E_EEvS56_EUlS56_E_EEvS56_: ; @_ZNK2ck6detail7applierIiJLi0ELi1ELi2ELi3ELi4ELi5ELi6ELi7ELi8ELi9ELi10ELi11ELi12ELi13ELi14ELi15EEEclIZNKS_11static_fordINS_8SequenceIJLi4ELi4EEEENS5_IJLi0ELi1EEEEEclIZZZZNKS_31BlockwiseGemmXdlops_pipeline_v2ILNS_26BlockGemmPipelineSchedulerE1ELi256ENS_9f8_fnuz_tENS_7pk_i4_tESC_fNS_16TensorDescriptorINS_5TupleIJNS_5EmbedINSF_IJNS_17integral_constantIiLi8EEENSH_IiLi128EEENSH_IiLi16EEEEEENSF_IJSK_SJ_NSH_IiLi1EEEEEELb0EEENS_3XorINSF_IJSJ_SI_EEELb1EEENS_11PassThroughISK_EENS_7UnMergeINSF_IJSI_SM_EEELb0EEENSS_ISJ_EEST_NSS_ISI_EENS_21Merge_v3_division_modINSF_IJSJ_SM_EEEEEST_EEENSF_IJNS5_IJLi0EEEENS5_IJLi2ELi1EEEENS5_IJLi3EEEENS5_IJLi5EEEENS5_IJLi4EEEENS5_IJLi6EEEENS5_IJLi7EEEENS5_IJLi9ELi8EEEENS5_IJLi10EEEEEEENSF_IJNS5_IJLi1ELi2ELi3EEEENS5_IJLi4ELi5EEEES18_NS5_IJLi7ELi8EEEENS5_IJLi9EEEES1B_NS5_IJLi11EEEENS5_IJLi12EEEENS5_IJLi13EEEEEEENS5_IJLi11ELi12ELi13EEEENSH_IlLl16384EEEEENSE_INSF_IJNSG_INSF_IJSK_NSH_IiLi64EEESK_EEENSF_IJSK_NSH_IiLi256EEESM_EEELb0EEENSP_INSF_IJS1O_SK_EEELb1EEEST_NSU_INSF_IJSI_NSH_IiLi2EEEEEELb0EEENSS_IS1O_EEST_SY_NSZ_INSF_IJS1O_S1V_EEEEEST_EEES1C_S1K_S1L_S1M_EENSE_INSF_IJSO_SR_ST_SW_SX_ST_SY_S11_ST_NSZ_INSF_IJSI_SK_EEEEENSU_INSF_IJNSH_IiLi4EEES1V_SK_EEELb0EEEEEENSF_IJS13_S14_S15_S16_S17_S18_S19_S1A_S1B_NS5_IJLi11ELi13EEEES1I_EEENSF_IJS1D_S1E_S18_S1F_S1G_S1B_S1H_S1I_S1J_NS5_IJLi14EEEENS5_IJLi15ELi16ELi17EEEEEEENS5_IJLi15ELi16ELi17ELi14EEEES1M_EENSE_INSF_IJS1S_S1U_ST_S1X_S1Y_ST_SY_S20_ST_S24_S27_EEES2A_S2D_S2E_S1M_EELi16ELi16ELi128ELi128ELi128ELi16ELi16ELi4ELi4ELi16ELb0EE3RunILb1ELNS_10TailNumberE10ENSE_INSF_IJNSG_INSF_IJiiEEENSF_IJiSM_EEELb0EEENSU_IS2L_Lb0EEENSS_IiEEEEENSF_IJS13_NS5_IJLi2EEEENS5_IJLi1EEEEEEENSF_IJNS5_IJLi1ELi2EEEENS5_IJLi3ELi4EEEES16_EEENS5_IJLi3ELi5ELi4EEEElEES1N_NS_35ThreadGroupTensorSliceTransfer_v4r1INS_15ThisThreadBlockILi256EEENS_16tensor_operation12element_wise11PassThroughES34_LNS_25InMemoryDataOperationEnumE0ENS5_IJLi8ELi128ELi16EEEENS5_IJLi8ELi32ELi1EEEENS5_IJLi1ELi0ELi2EEEESC_SC_RKS2Y_KS1N_S38_NS5_IJLi0ELi1ELi2EEEELi2ELi2ELi16ELi16ELi1ELi1ELb0ELb1ELi2EiEENS_13DynamicBufferILNS_16AddressSpaceEnumE1EKSC_lLb1ELNS_22AmdBufferCoherenceEnumE0EiEENS3E_ILS3F_2ESC_S1M_Lb1ELS3H_0EiEENSF_IJiiiEEENSE_INSF_IJNSU_INSF_IJiiiiEEELb0EEENS_23Merge_v2_magic_divisionIS2L_EENSS_INSF_IJiEEEEES2P_EEENSF_IJS13_NS5_IJLi1ELi3EEEES2R_S17_EEENSF_IJNS5_IJLi1ELi2ELi3ELi4EEEES16_S18_S19_EEENS5_IJLi5ELi6ELi7EEEElEES22_NS2Z_IS31_S34_S34_LS35_0ES36_NS5_IJLi4ELi64ELi1EEEES38_SD_SD_RKS3X_KS22_S38_S3C_Li2ELi2ELi16ELi16ELi1ELi1ELb0ELb1ELi2EiEENS3E_ILS3F_1EKSD_lLb1ELS3H_0EiEENS3E_ILS3F_2ESD_S1M_Lb1ELS3H_0EiEES3K_NS_25StaticBufferTupleOfVectorILS3F_4EfLi16ELi4ELb1ELb0EEEEEvRKT1_RKT2_RT3_RKT4_RT5_RKT6_RKT7_RKT8_RT9_RKT10_RT11_RKT12_RT13_iENKUlT_E0_clINSH_IiLi0EEEEEDaS56_ENKUlS56_E_clIS59_EEDaS56_ENKUlS56_E1_clISK_EEDaS56_EUlS56_E_EEvS56_EUlS56_E_EEvS56_
; %bb.0:
	s_waitcnt vmcnt(0) expcnt(0) lgkmcnt(0)
	flat_load_dwordx4 v[12:15], v[0:1] offset:8
	flat_load_dwordx2 v[10:11], v[0:1] offset:32
	s_movk_i32 s4, 0x7f
                                        ; implicit-def: $sgpr10
	s_waitcnt vmcnt(0) lgkmcnt(0)
	flat_load_dwordx4 v[6:9], v[12:13] offset:16
	flat_load_dwordx4 v[2:5], v[14:15] offset:16
	s_waitcnt vmcnt(0) lgkmcnt(0)
	v_cmp_gt_i16_sdwa s[6:7], v6, s4 src0_sel:BYTE_0 src1_sel:DWORD
	s_mov_b64 s[4:5], 0
	s_and_saveexec_b64 s[8:9], s[6:7]
	s_xor_b64 s[6:7], exec, s[8:9]
	s_cbranch_execnz .LBB9_2049
; %bb.1:
	s_or_saveexec_b64 s[6:7], s[6:7]
	v_mov_b32_e32 v12, s10
	s_xor_b64 exec, exec, s[6:7]
	s_cbranch_execnz .LBB9_2052
.LBB9_2:
	s_or_b64 exec, exec, s[6:7]
	s_and_saveexec_b64 s[6:7], s[4:5]
	s_cbranch_execz .LBB9_4
.LBB9_3:
	v_and_b32_e32 v12, 7, v6
	v_ffbh_u32_e32 v14, v12
	v_min_u32_e32 v14, 32, v14
	v_lshrrev_b16_e32 v13, 3, v6
	v_subrev_u32_e32 v15, 28, v14
	v_and_b32_e32 v13, 15, v13
	v_lshlrev_b32_e32 v15, v15, v6
	v_sub_u32_e32 v14, 29, v14
	v_and_b32_e32 v15, 7, v15
	v_cmp_eq_u16_e32 vcc, 0, v13
	v_cndmask_b32_e32 v12, v12, v15, vcc
	v_cndmask_b32_e32 v13, v13, v14, vcc
	v_lshlrev_b32_e32 v14, 24, v6
	v_mov_b32_e32 v15, 0x3b800000
	v_lshlrev_b32_e32 v12, 20, v12
	v_and_b32_e32 v14, 0x80000000, v14
	v_lshl_add_u32 v13, v13, 23, v15
	v_or3_b32 v12, v14, v13, v12
.LBB9_4:
	s_or_b64 exec, exec, s[6:7]
	s_movk_i32 s4, 0x7f
	v_cmp_gt_i16_sdwa s[6:7], v2, s4 src0_sel:BYTE_0 src1_sel:DWORD
	s_mov_b64 s[4:5], 0
                                        ; implicit-def: $sgpr10
	s_and_saveexec_b64 s[8:9], s[6:7]
	s_xor_b64 s[6:7], exec, s[8:9]
	s_cbranch_execnz .LBB9_2053
; %bb.5:
	s_or_saveexec_b64 s[6:7], s[6:7]
	v_mov_b32_e32 v13, s10
	s_xor_b64 exec, exec, s[6:7]
	s_cbranch_execnz .LBB9_2056
.LBB9_6:
	s_or_b64 exec, exec, s[6:7]
	s_and_saveexec_b64 s[6:7], s[4:5]
	s_cbranch_execz .LBB9_8
.LBB9_7:
	v_and_b32_e32 v13, 7, v2
	v_ffbh_u32_e32 v15, v13
	v_min_u32_e32 v15, 32, v15
	v_lshrrev_b16_e32 v14, 3, v2
	v_subrev_u32_e32 v16, 28, v15
	v_and_b32_e32 v14, 15, v14
	v_lshlrev_b32_e32 v16, v16, v2
	v_sub_u32_e32 v15, 29, v15
	v_and_b32_e32 v16, 7, v16
	v_cmp_eq_u16_e32 vcc, 0, v14
	v_cndmask_b32_e32 v13, v13, v16, vcc
	v_cndmask_b32_e32 v14, v14, v15, vcc
	v_lshlrev_b32_e32 v15, 24, v2
	v_mov_b32_e32 v16, 0x3b800000
	v_lshlrev_b32_e32 v13, 20, v13
	v_and_b32_e32 v15, 0x80000000, v15
	v_lshl_add_u32 v14, v14, 23, v16
	v_or3_b32 v13, v15, v14, v13
.LBB9_8:
	s_or_b64 exec, exec, s[6:7]
	flat_load_dwordx4 a[0:3], v[10:11]
	s_movk_i32 s4, 0x7f
                                        ; implicit-def: $sgpr10
	s_waitcnt vmcnt(0) lgkmcnt(0)
	v_mfma_f32_16x16x4f32 a[0:3], v12, v13, a[0:3]
	v_lshrrev_b32_e32 v13, 8, v6
	v_cmp_gt_i16_sdwa s[6:7], v13, s4 src0_sel:BYTE_0 src1_sel:DWORD
	s_mov_b64 s[4:5], 0
	s_and_saveexec_b64 s[8:9], s[6:7]
	s_xor_b64 s[6:7], exec, s[8:9]
	s_cbranch_execnz .LBB9_2057
; %bb.9:
	s_or_saveexec_b64 s[6:7], s[6:7]
	v_mov_b32_e32 v12, s10
	s_xor_b64 exec, exec, s[6:7]
	s_cbranch_execnz .LBB9_2060
.LBB9_10:
	s_or_b64 exec, exec, s[6:7]
	s_and_saveexec_b64 s[6:7], s[4:5]
	s_cbranch_execz .LBB9_12
.LBB9_11:
	v_bfe_u32 v12, v6, 8, 3
	v_ffbh_u32_e32 v15, v12
	v_min_u32_e32 v15, 32, v15
	v_lshrrev_b16_e32 v14, 3, v13
	v_subrev_u32_e32 v16, 28, v15
	v_and_b32_e32 v14, 15, v14
	v_lshlrev_b32_e32 v13, v16, v13
	v_sub_u32_e32 v15, 29, v15
	v_and_b32_e32 v13, 7, v13
	v_cmp_eq_u16_e32 vcc, 0, v14
	v_cndmask_b32_e32 v12, v12, v13, vcc
	v_cndmask_b32_e32 v13, v14, v15, vcc
	v_lshlrev_b32_e32 v14, 16, v6
	v_mov_b32_e32 v15, 0x3b800000
	v_lshlrev_b32_e32 v12, 20, v12
	v_and_b32_e32 v14, 0x80000000, v14
	v_lshl_add_u32 v13, v13, 23, v15
	v_or3_b32 v12, v14, v13, v12
.LBB9_12:
	s_or_b64 exec, exec, s[6:7]
	v_lshrrev_b32_e32 v13, 8, v2
	s_movk_i32 s4, 0x7f
	v_cmp_gt_i16_sdwa s[6:7], v13, s4 src0_sel:BYTE_0 src1_sel:DWORD
	s_mov_b64 s[4:5], 0
                                        ; implicit-def: $sgpr10
	s_and_saveexec_b64 s[8:9], s[6:7]
	s_xor_b64 s[6:7], exec, s[8:9]
	s_cbranch_execnz .LBB9_2061
; %bb.13:
	s_or_saveexec_b64 s[6:7], s[6:7]
	v_mov_b32_e32 v14, s10
	s_xor_b64 exec, exec, s[6:7]
	s_cbranch_execnz .LBB9_2064
.LBB9_14:
	s_or_b64 exec, exec, s[6:7]
	s_and_saveexec_b64 s[6:7], s[4:5]
	s_cbranch_execz .LBB9_16
.LBB9_15:
	v_bfe_u32 v14, v2, 8, 3
	v_ffbh_u32_e32 v16, v14
	v_min_u32_e32 v16, 32, v16
	v_lshrrev_b16_e32 v15, 3, v13
	v_subrev_u32_e32 v17, 28, v16
	v_and_b32_e32 v15, 15, v15
	v_lshlrev_b32_e32 v13, v17, v13
	v_sub_u32_e32 v16, 29, v16
	v_and_b32_e32 v13, 7, v13
	v_cmp_eq_u16_e32 vcc, 0, v15
	v_cndmask_b32_e32 v13, v14, v13, vcc
	v_cndmask_b32_e32 v14, v15, v16, vcc
	v_lshlrev_b32_e32 v15, 16, v2
	v_mov_b32_e32 v16, 0x3b800000
	v_lshlrev_b32_e32 v13, 20, v13
	v_and_b32_e32 v15, 0x80000000, v15
	v_lshl_add_u32 v14, v14, 23, v16
	v_or3_b32 v14, v15, v14, v13
.LBB9_16:
	s_or_b64 exec, exec, s[6:7]
	s_nop 0
	v_mfma_f32_16x16x4f32 a[0:3], v12, v14, a[0:3]
	s_movk_i32 s4, 0xff
	v_and_b32_sdwa v13, v6, s4 dst_sel:DWORD dst_unused:UNUSED_PAD src0_sel:WORD_1 src1_sel:DWORD
	s_movk_i32 s4, 0x7f
	v_cmp_lt_i16_e32 vcc, s4, v13
	s_mov_b64 s[4:5], 0
                                        ; implicit-def: $sgpr10
	s_and_saveexec_b64 s[6:7], vcc
	s_xor_b64 s[6:7], exec, s[6:7]
	s_cbranch_execnz .LBB9_2065
; %bb.17:
	s_or_saveexec_b64 s[6:7], s[6:7]
	v_mov_b32_e32 v12, s10
	s_xor_b64 exec, exec, s[6:7]
	s_cbranch_execnz .LBB9_2068
.LBB9_18:
	s_or_b64 exec, exec, s[6:7]
	s_and_saveexec_b64 s[6:7], s[4:5]
	s_cbranch_execz .LBB9_20
.LBB9_19:
	v_bfe_u32 v12, v6, 16, 3
	v_ffbh_u32_e32 v15, v12
	v_min_u32_e32 v15, 32, v15
	v_lshrrev_b32_e32 v13, 19, v6
	v_subrev_u32_e32 v16, 28, v15
	v_and_b32_e32 v13, 15, v13
	v_lshlrev_b32_sdwa v16, v16, v6 dst_sel:DWORD dst_unused:UNUSED_PAD src0_sel:DWORD src1_sel:WORD_1
	v_bfe_u32 v14, v6, 19, 4
	v_sub_u32_e32 v15, 29, v15
	v_and_b32_e32 v16, 7, v16
	v_cmp_eq_u16_e32 vcc, 0, v13
	v_cndmask_b32_e32 v12, v12, v16, vcc
	v_cndmask_b32_e32 v13, v14, v15, vcc
	v_lshlrev_b32_e32 v14, 8, v6
	v_mov_b32_e32 v15, 0x3b800000
	v_lshlrev_b32_e32 v12, 20, v12
	v_and_b32_e32 v14, 0x80000000, v14
	v_lshl_add_u32 v13, v13, 23, v15
	v_or3_b32 v12, v14, v13, v12
.LBB9_20:
	s_or_b64 exec, exec, s[6:7]
	s_movk_i32 s4, 0xff
	v_and_b32_sdwa v13, v2, s4 dst_sel:DWORD dst_unused:UNUSED_PAD src0_sel:WORD_1 src1_sel:DWORD
	s_movk_i32 s4, 0x7f
	v_cmp_lt_i16_e32 vcc, s4, v13
	s_mov_b64 s[4:5], 0
                                        ; implicit-def: $sgpr10
	s_and_saveexec_b64 s[6:7], vcc
	s_xor_b64 s[6:7], exec, s[6:7]
	s_cbranch_execnz .LBB9_2069
; %bb.21:
	s_or_saveexec_b64 s[6:7], s[6:7]
	v_mov_b32_e32 v14, s10
	s_xor_b64 exec, exec, s[6:7]
	s_cbranch_execnz .LBB9_2072
.LBB9_22:
	s_or_b64 exec, exec, s[6:7]
	s_and_saveexec_b64 s[6:7], s[4:5]
	s_cbranch_execz .LBB9_24
.LBB9_23:
	v_bfe_u32 v13, v2, 16, 3
	v_ffbh_u32_e32 v16, v13
	v_min_u32_e32 v16, 32, v16
	v_lshrrev_b32_e32 v14, 19, v2
	v_subrev_u32_e32 v17, 28, v16
	v_and_b32_e32 v14, 15, v14
	v_lshlrev_b32_sdwa v17, v17, v2 dst_sel:DWORD dst_unused:UNUSED_PAD src0_sel:DWORD src1_sel:WORD_1
	v_bfe_u32 v15, v2, 19, 4
	v_sub_u32_e32 v16, 29, v16
	v_and_b32_e32 v17, 7, v17
	v_cmp_eq_u16_e32 vcc, 0, v14
	v_cndmask_b32_e32 v13, v13, v17, vcc
	v_cndmask_b32_e32 v14, v15, v16, vcc
	v_lshlrev_b32_e32 v15, 8, v2
	v_mov_b32_e32 v16, 0x3b800000
	v_lshlrev_b32_e32 v13, 20, v13
	v_and_b32_e32 v15, 0x80000000, v15
	v_lshl_add_u32 v14, v14, 23, v16
	v_or3_b32 v14, v15, v14, v13
.LBB9_24:
	s_or_b64 exec, exec, s[6:7]
	s_nop 0
	v_mfma_f32_16x16x4f32 a[0:3], v12, v14, a[0:3]
	s_movk_i32 s4, 0x7f
	v_cmp_gt_i16_sdwa s[6:7], v6, s4 src0_sel:BYTE_3 src1_sel:DWORD
	s_mov_b64 s[4:5], 0
                                        ; implicit-def: $sgpr10
	s_and_saveexec_b64 s[8:9], s[6:7]
	s_xor_b64 s[6:7], exec, s[8:9]
	s_cbranch_execnz .LBB9_2073
; %bb.25:
	s_or_saveexec_b64 s[6:7], s[6:7]
	v_mov_b32_e32 v12, s10
	s_xor_b64 exec, exec, s[6:7]
	s_cbranch_execnz .LBB9_2076
.LBB9_26:
	s_or_b64 exec, exec, s[6:7]
	s_and_saveexec_b64 s[6:7], s[4:5]
	s_cbranch_execz .LBB9_28
.LBB9_27:
	v_bfe_u32 v12, v6, 24, 3
	v_ffbh_u32_e32 v16, v12
	v_min_u32_e32 v16, 32, v16
	v_lshrrev_b32_e32 v14, 27, v6
	v_subrev_u32_e32 v17, 28, v16
	v_and_b32_e32 v13, 0x80000000, v6
	v_and_b32_e32 v14, 15, v14
	v_bfe_u32 v15, v6, 27, 4
	v_lshlrev_b32_sdwa v6, v17, v6 dst_sel:DWORD dst_unused:UNUSED_PAD src0_sel:DWORD src1_sel:BYTE_3
	v_sub_u32_e32 v16, 29, v16
	v_and_b32_e32 v6, 7, v6
	v_cmp_eq_u16_e32 vcc, 0, v14
	v_cndmask_b32_e32 v6, v12, v6, vcc
	v_cndmask_b32_e32 v12, v15, v16, vcc
	v_mov_b32_e32 v14, 0x3b800000
	v_lshlrev_b32_e32 v6, 20, v6
	v_lshl_add_u32 v12, v12, 23, v14
	v_or3_b32 v12, v13, v12, v6
.LBB9_28:
	s_or_b64 exec, exec, s[6:7]
	s_movk_i32 s4, 0x7f
	v_cmp_gt_i16_sdwa s[6:7], v2, s4 src0_sel:BYTE_3 src1_sel:DWORD
	s_mov_b64 s[4:5], 0
                                        ; implicit-def: $sgpr10
	s_and_saveexec_b64 s[8:9], s[6:7]
	s_xor_b64 s[6:7], exec, s[8:9]
	s_cbranch_execnz .LBB9_2077
; %bb.29:
	s_or_saveexec_b64 s[6:7], s[6:7]
	v_mov_b32_e32 v6, s10
	s_xor_b64 exec, exec, s[6:7]
	s_cbranch_execnz .LBB9_2080
.LBB9_30:
	s_or_b64 exec, exec, s[6:7]
	s_and_saveexec_b64 s[6:7], s[4:5]
	s_cbranch_execz .LBB9_32
.LBB9_31:
	v_bfe_u32 v6, v2, 24, 3
	v_ffbh_u32_e32 v16, v6
	v_min_u32_e32 v16, 32, v16
	v_lshrrev_b32_e32 v14, 27, v2
	v_subrev_u32_e32 v17, 28, v16
	v_and_b32_e32 v13, 0x80000000, v2
	v_and_b32_e32 v14, 15, v14
	v_bfe_u32 v15, v2, 27, 4
	v_lshlrev_b32_sdwa v2, v17, v2 dst_sel:DWORD dst_unused:UNUSED_PAD src0_sel:DWORD src1_sel:BYTE_3
	v_sub_u32_e32 v16, 29, v16
	v_and_b32_e32 v2, 7, v2
	v_cmp_eq_u16_e32 vcc, 0, v14
	v_cndmask_b32_e32 v2, v6, v2, vcc
	v_cndmask_b32_e32 v6, v15, v16, vcc
	v_mov_b32_e32 v14, 0x3b800000
	v_lshlrev_b32_e32 v2, 20, v2
	v_lshl_add_u32 v6, v6, 23, v14
	v_or3_b32 v6, v13, v6, v2
.LBB9_32:
	s_or_b64 exec, exec, s[6:7]
	s_nop 0
	v_mfma_f32_16x16x4f32 a[0:3], v12, v6, a[0:3]
	s_movk_i32 s4, 0x7f
	v_cmp_gt_i16_sdwa s[6:7], v7, s4 src0_sel:BYTE_0 src1_sel:DWORD
	s_mov_b64 s[4:5], 0
                                        ; implicit-def: $sgpr10
	s_and_saveexec_b64 s[8:9], s[6:7]
	s_xor_b64 s[6:7], exec, s[8:9]
	s_cbranch_execnz .LBB9_2081
; %bb.33:
	s_or_saveexec_b64 s[6:7], s[6:7]
	v_mov_b32_e32 v2, s10
	s_xor_b64 exec, exec, s[6:7]
	s_cbranch_execnz .LBB9_2084
.LBB9_34:
	s_or_b64 exec, exec, s[6:7]
	s_and_saveexec_b64 s[6:7], s[4:5]
	s_cbranch_execz .LBB9_36
.LBB9_35:
	v_and_b32_e32 v2, 7, v7
	v_ffbh_u32_e32 v12, v2
	v_min_u32_e32 v12, 32, v12
	v_lshrrev_b16_e32 v6, 3, v7
	v_subrev_u32_e32 v13, 28, v12
	v_and_b32_e32 v6, 15, v6
	v_lshlrev_b32_e32 v13, v13, v7
	v_sub_u32_e32 v12, 29, v12
	v_and_b32_e32 v13, 7, v13
	v_cmp_eq_u16_e32 vcc, 0, v6
	v_cndmask_b32_e32 v2, v2, v13, vcc
	v_cndmask_b32_e32 v6, v6, v12, vcc
	v_lshlrev_b32_e32 v12, 24, v7
	v_mov_b32_e32 v13, 0x3b800000
	v_lshlrev_b32_e32 v2, 20, v2
	v_and_b32_e32 v12, 0x80000000, v12
	v_lshl_add_u32 v6, v6, 23, v13
	v_or3_b32 v2, v12, v6, v2
.LBB9_36:
	s_or_b64 exec, exec, s[6:7]
	s_movk_i32 s4, 0x7f
	v_cmp_gt_i16_sdwa s[6:7], v3, s4 src0_sel:BYTE_0 src1_sel:DWORD
	s_mov_b64 s[4:5], 0
                                        ; implicit-def: $sgpr10
	s_and_saveexec_b64 s[8:9], s[6:7]
	s_xor_b64 s[6:7], exec, s[8:9]
	s_cbranch_execnz .LBB9_2085
; %bb.37:
	s_or_saveexec_b64 s[6:7], s[6:7]
	v_mov_b32_e32 v6, s10
	s_xor_b64 exec, exec, s[6:7]
	s_cbranch_execnz .LBB9_2088
.LBB9_38:
	s_or_b64 exec, exec, s[6:7]
	s_and_saveexec_b64 s[6:7], s[4:5]
	s_cbranch_execz .LBB9_40
.LBB9_39:
	v_and_b32_e32 v6, 7, v3
	v_ffbh_u32_e32 v13, v6
	v_min_u32_e32 v13, 32, v13
	v_lshrrev_b16_e32 v12, 3, v3
	v_subrev_u32_e32 v14, 28, v13
	v_and_b32_e32 v12, 15, v12
	v_lshlrev_b32_e32 v14, v14, v3
	v_sub_u32_e32 v13, 29, v13
	v_and_b32_e32 v14, 7, v14
	v_cmp_eq_u16_e32 vcc, 0, v12
	v_cndmask_b32_e32 v6, v6, v14, vcc
	v_cndmask_b32_e32 v12, v12, v13, vcc
	v_lshlrev_b32_e32 v13, 24, v3
	v_mov_b32_e32 v14, 0x3b800000
	v_lshlrev_b32_e32 v6, 20, v6
	v_and_b32_e32 v13, 0x80000000, v13
	v_lshl_add_u32 v12, v12, 23, v14
	v_or3_b32 v6, v13, v12, v6
.LBB9_40:
	s_or_b64 exec, exec, s[6:7]
	s_nop 0
	v_mfma_f32_16x16x4f32 a[0:3], v2, v6, a[0:3]
	v_lshrrev_b32_e32 v6, 8, v7
	s_movk_i32 s4, 0x7f
	v_cmp_gt_i16_sdwa s[6:7], v6, s4 src0_sel:BYTE_0 src1_sel:DWORD
	s_mov_b64 s[4:5], 0
                                        ; implicit-def: $sgpr10
	s_and_saveexec_b64 s[8:9], s[6:7]
	s_xor_b64 s[6:7], exec, s[8:9]
	s_cbranch_execnz .LBB9_2089
; %bb.41:
	s_or_saveexec_b64 s[6:7], s[6:7]
	v_mov_b32_e32 v2, s10
	s_xor_b64 exec, exec, s[6:7]
	s_cbranch_execnz .LBB9_2092
.LBB9_42:
	s_or_b64 exec, exec, s[6:7]
	s_and_saveexec_b64 s[6:7], s[4:5]
	s_cbranch_execz .LBB9_44
.LBB9_43:
	v_bfe_u32 v2, v7, 8, 3
	v_ffbh_u32_e32 v13, v2
	v_min_u32_e32 v13, 32, v13
	v_lshrrev_b16_e32 v12, 3, v6
	v_subrev_u32_e32 v14, 28, v13
	v_and_b32_e32 v12, 15, v12
	v_lshlrev_b32_e32 v6, v14, v6
	v_sub_u32_e32 v13, 29, v13
	v_and_b32_e32 v6, 7, v6
	v_cmp_eq_u16_e32 vcc, 0, v12
	v_cndmask_b32_e32 v2, v2, v6, vcc
	v_cndmask_b32_e32 v6, v12, v13, vcc
	v_lshlrev_b32_e32 v12, 16, v7
	v_mov_b32_e32 v13, 0x3b800000
	v_lshlrev_b32_e32 v2, 20, v2
	v_and_b32_e32 v12, 0x80000000, v12
	v_lshl_add_u32 v6, v6, 23, v13
	v_or3_b32 v2, v12, v6, v2
.LBB9_44:
	s_or_b64 exec, exec, s[6:7]
	v_lshrrev_b32_e32 v6, 8, v3
	s_movk_i32 s4, 0x7f
	v_cmp_gt_i16_sdwa s[6:7], v6, s4 src0_sel:BYTE_0 src1_sel:DWORD
	s_mov_b64 s[4:5], 0
                                        ; implicit-def: $sgpr10
	s_and_saveexec_b64 s[8:9], s[6:7]
	s_xor_b64 s[6:7], exec, s[8:9]
	s_cbranch_execnz .LBB9_2093
; %bb.45:
	s_or_saveexec_b64 s[6:7], s[6:7]
	v_mov_b32_e32 v12, s10
	s_xor_b64 exec, exec, s[6:7]
	s_cbranch_execnz .LBB9_2096
.LBB9_46:
	s_or_b64 exec, exec, s[6:7]
	s_and_saveexec_b64 s[6:7], s[4:5]
	s_cbranch_execz .LBB9_48
.LBB9_47:
	v_bfe_u32 v12, v3, 8, 3
	v_ffbh_u32_e32 v14, v12
	v_min_u32_e32 v14, 32, v14
	v_lshrrev_b16_e32 v13, 3, v6
	v_subrev_u32_e32 v15, 28, v14
	v_and_b32_e32 v13, 15, v13
	v_lshlrev_b32_e32 v6, v15, v6
	v_sub_u32_e32 v14, 29, v14
	v_and_b32_e32 v6, 7, v6
	v_cmp_eq_u16_e32 vcc, 0, v13
	v_cndmask_b32_e32 v6, v12, v6, vcc
	v_cndmask_b32_e32 v12, v13, v14, vcc
	v_lshlrev_b32_e32 v13, 16, v3
	v_mov_b32_e32 v14, 0x3b800000
	v_lshlrev_b32_e32 v6, 20, v6
	v_and_b32_e32 v13, 0x80000000, v13
	v_lshl_add_u32 v12, v12, 23, v14
	v_or3_b32 v12, v13, v12, v6
.LBB9_48:
	s_or_b64 exec, exec, s[6:7]
	s_nop 0
	v_mfma_f32_16x16x4f32 a[0:3], v2, v12, a[0:3]
	s_movk_i32 s4, 0xff
	v_and_b32_sdwa v6, v7, s4 dst_sel:DWORD dst_unused:UNUSED_PAD src0_sel:WORD_1 src1_sel:DWORD
	s_movk_i32 s4, 0x7f
	v_cmp_lt_i16_e32 vcc, s4, v6
	s_mov_b64 s[4:5], 0
                                        ; implicit-def: $sgpr10
	s_and_saveexec_b64 s[6:7], vcc
	s_xor_b64 s[6:7], exec, s[6:7]
	s_cbranch_execnz .LBB9_2097
; %bb.49:
	s_or_saveexec_b64 s[6:7], s[6:7]
	v_mov_b32_e32 v2, s10
	s_xor_b64 exec, exec, s[6:7]
	s_cbranch_execnz .LBB9_2100
.LBB9_50:
	s_or_b64 exec, exec, s[6:7]
	s_and_saveexec_b64 s[6:7], s[4:5]
	s_cbranch_execz .LBB9_52
.LBB9_51:
	v_bfe_u32 v2, v7, 16, 3
	v_ffbh_u32_e32 v13, v2
	v_min_u32_e32 v13, 32, v13
	v_lshrrev_b32_e32 v6, 19, v7
	v_subrev_u32_e32 v14, 28, v13
	v_and_b32_e32 v6, 15, v6
	v_lshlrev_b32_sdwa v14, v14, v7 dst_sel:DWORD dst_unused:UNUSED_PAD src0_sel:DWORD src1_sel:WORD_1
	v_bfe_u32 v12, v7, 19, 4
	v_sub_u32_e32 v13, 29, v13
	v_and_b32_e32 v14, 7, v14
	v_cmp_eq_u16_e32 vcc, 0, v6
	v_cndmask_b32_e32 v2, v2, v14, vcc
	v_cndmask_b32_e32 v6, v12, v13, vcc
	v_lshlrev_b32_e32 v12, 8, v7
	v_mov_b32_e32 v13, 0x3b800000
	v_lshlrev_b32_e32 v2, 20, v2
	v_and_b32_e32 v12, 0x80000000, v12
	v_lshl_add_u32 v6, v6, 23, v13
	v_or3_b32 v2, v12, v6, v2
.LBB9_52:
	s_or_b64 exec, exec, s[6:7]
	s_movk_i32 s4, 0xff
	v_and_b32_sdwa v6, v3, s4 dst_sel:DWORD dst_unused:UNUSED_PAD src0_sel:WORD_1 src1_sel:DWORD
	s_movk_i32 s4, 0x7f
	v_cmp_lt_i16_e32 vcc, s4, v6
	s_mov_b64 s[4:5], 0
                                        ; implicit-def: $sgpr10
	s_and_saveexec_b64 s[6:7], vcc
	s_xor_b64 s[6:7], exec, s[6:7]
	s_cbranch_execnz .LBB9_2101
; %bb.53:
	s_or_saveexec_b64 s[6:7], s[6:7]
	v_mov_b32_e32 v12, s10
	s_xor_b64 exec, exec, s[6:7]
	s_cbranch_execnz .LBB9_2104
.LBB9_54:
	s_or_b64 exec, exec, s[6:7]
	s_and_saveexec_b64 s[6:7], s[4:5]
	s_cbranch_execz .LBB9_56
.LBB9_55:
	v_bfe_u32 v6, v3, 16, 3
	v_ffbh_u32_e32 v14, v6
	v_min_u32_e32 v14, 32, v14
	v_lshrrev_b32_e32 v12, 19, v3
	v_subrev_u32_e32 v15, 28, v14
	v_and_b32_e32 v12, 15, v12
	v_lshlrev_b32_sdwa v15, v15, v3 dst_sel:DWORD dst_unused:UNUSED_PAD src0_sel:DWORD src1_sel:WORD_1
	v_bfe_u32 v13, v3, 19, 4
	v_sub_u32_e32 v14, 29, v14
	v_and_b32_e32 v15, 7, v15
	v_cmp_eq_u16_e32 vcc, 0, v12
	v_cndmask_b32_e32 v6, v6, v15, vcc
	v_cndmask_b32_e32 v12, v13, v14, vcc
	v_lshlrev_b32_e32 v13, 8, v3
	v_mov_b32_e32 v14, 0x3b800000
	v_lshlrev_b32_e32 v6, 20, v6
	v_and_b32_e32 v13, 0x80000000, v13
	v_lshl_add_u32 v12, v12, 23, v14
	v_or3_b32 v12, v13, v12, v6
.LBB9_56:
	s_or_b64 exec, exec, s[6:7]
	s_nop 0
	v_mfma_f32_16x16x4f32 a[0:3], v2, v12, a[0:3]
	s_movk_i32 s4, 0x7f
	v_cmp_gt_i16_sdwa s[6:7], v7, s4 src0_sel:BYTE_3 src1_sel:DWORD
	s_mov_b64 s[4:5], 0
                                        ; implicit-def: $sgpr10
	s_and_saveexec_b64 s[8:9], s[6:7]
	s_xor_b64 s[6:7], exec, s[8:9]
	s_cbranch_execnz .LBB9_2105
; %bb.57:
	s_or_saveexec_b64 s[6:7], s[6:7]
	v_mov_b32_e32 v2, s10
	s_xor_b64 exec, exec, s[6:7]
	s_cbranch_execnz .LBB9_2108
.LBB9_58:
	s_or_b64 exec, exec, s[6:7]
	s_and_saveexec_b64 s[6:7], s[4:5]
	s_cbranch_execz .LBB9_60
.LBB9_59:
	v_bfe_u32 v2, v7, 24, 3
	v_ffbh_u32_e32 v14, v2
	v_min_u32_e32 v14, 32, v14
	v_lshrrev_b32_e32 v12, 27, v7
	v_subrev_u32_e32 v15, 28, v14
	v_and_b32_e32 v6, 0x80000000, v7
	v_and_b32_e32 v12, 15, v12
	v_bfe_u32 v13, v7, 27, 4
	v_lshlrev_b32_sdwa v7, v15, v7 dst_sel:DWORD dst_unused:UNUSED_PAD src0_sel:DWORD src1_sel:BYTE_3
	v_sub_u32_e32 v14, 29, v14
	v_and_b32_e32 v7, 7, v7
	v_cmp_eq_u16_e32 vcc, 0, v12
	v_cndmask_b32_e32 v2, v2, v7, vcc
	v_cndmask_b32_e32 v7, v13, v14, vcc
	v_mov_b32_e32 v12, 0x3b800000
	v_lshlrev_b32_e32 v2, 20, v2
	v_lshl_add_u32 v7, v7, 23, v12
	v_or3_b32 v2, v6, v7, v2
.LBB9_60:
	s_or_b64 exec, exec, s[6:7]
	s_movk_i32 s4, 0x7f
	v_cmp_gt_i16_sdwa s[6:7], v3, s4 src0_sel:BYTE_3 src1_sel:DWORD
	s_mov_b64 s[4:5], 0
                                        ; implicit-def: $sgpr10
	s_and_saveexec_b64 s[8:9], s[6:7]
	s_xor_b64 s[6:7], exec, s[8:9]
	s_cbranch_execnz .LBB9_2109
; %bb.61:
	s_or_saveexec_b64 s[6:7], s[6:7]
	v_mov_b32_e32 v6, s10
	s_xor_b64 exec, exec, s[6:7]
	s_cbranch_execnz .LBB9_2112
.LBB9_62:
	s_or_b64 exec, exec, s[6:7]
	s_and_saveexec_b64 s[6:7], s[4:5]
	s_cbranch_execz .LBB9_64
.LBB9_63:
	v_bfe_u32 v6, v3, 24, 3
	v_ffbh_u32_e32 v14, v6
	v_min_u32_e32 v14, 32, v14
	v_lshrrev_b32_e32 v12, 27, v3
	v_subrev_u32_e32 v15, 28, v14
	v_and_b32_e32 v7, 0x80000000, v3
	v_and_b32_e32 v12, 15, v12
	v_bfe_u32 v13, v3, 27, 4
	v_lshlrev_b32_sdwa v3, v15, v3 dst_sel:DWORD dst_unused:UNUSED_PAD src0_sel:DWORD src1_sel:BYTE_3
	v_sub_u32_e32 v14, 29, v14
	v_and_b32_e32 v3, 7, v3
	v_cmp_eq_u16_e32 vcc, 0, v12
	v_cndmask_b32_e32 v3, v6, v3, vcc
	v_cndmask_b32_e32 v6, v13, v14, vcc
	v_mov_b32_e32 v12, 0x3b800000
	v_lshlrev_b32_e32 v3, 20, v3
	v_lshl_add_u32 v6, v6, 23, v12
	v_or3_b32 v6, v7, v6, v3
.LBB9_64:
	s_or_b64 exec, exec, s[6:7]
	s_nop 0
	v_mfma_f32_16x16x4f32 a[0:3], v2, v6, a[0:3]
	s_movk_i32 s4, 0x7f
	v_cmp_gt_i16_sdwa s[6:7], v8, s4 src0_sel:BYTE_0 src1_sel:DWORD
	s_mov_b64 s[4:5], 0
                                        ; implicit-def: $sgpr10
	s_and_saveexec_b64 s[8:9], s[6:7]
	s_xor_b64 s[6:7], exec, s[8:9]
	s_cbranch_execnz .LBB9_2113
; %bb.65:
	s_or_saveexec_b64 s[6:7], s[6:7]
	v_mov_b32_e32 v2, s10
	s_xor_b64 exec, exec, s[6:7]
	s_cbranch_execnz .LBB9_2116
.LBB9_66:
	s_or_b64 exec, exec, s[6:7]
	s_and_saveexec_b64 s[6:7], s[4:5]
	s_cbranch_execz .LBB9_68
.LBB9_67:
	v_and_b32_e32 v2, 7, v8
	v_ffbh_u32_e32 v6, v2
	v_min_u32_e32 v6, 32, v6
	v_lshrrev_b16_e32 v3, 3, v8
	v_subrev_u32_e32 v7, 28, v6
	v_and_b32_e32 v3, 15, v3
	v_lshlrev_b32_e32 v7, v7, v8
	v_sub_u32_e32 v6, 29, v6
	v_and_b32_e32 v7, 7, v7
	v_cmp_eq_u16_e32 vcc, 0, v3
	v_cndmask_b32_e32 v2, v2, v7, vcc
	v_cndmask_b32_e32 v3, v3, v6, vcc
	v_lshlrev_b32_e32 v6, 24, v8
	v_mov_b32_e32 v7, 0x3b800000
	v_lshlrev_b32_e32 v2, 20, v2
	v_and_b32_e32 v6, 0x80000000, v6
	v_lshl_add_u32 v3, v3, 23, v7
	v_or3_b32 v2, v6, v3, v2
.LBB9_68:
	s_or_b64 exec, exec, s[6:7]
	s_movk_i32 s4, 0x7f
	v_cmp_gt_i16_sdwa s[6:7], v4, s4 src0_sel:BYTE_0 src1_sel:DWORD
	s_mov_b64 s[4:5], 0
                                        ; implicit-def: $sgpr10
	s_and_saveexec_b64 s[8:9], s[6:7]
	s_xor_b64 s[6:7], exec, s[8:9]
	s_cbranch_execnz .LBB9_2117
; %bb.69:
	s_or_saveexec_b64 s[6:7], s[6:7]
	v_mov_b32_e32 v3, s10
	s_xor_b64 exec, exec, s[6:7]
	s_cbranch_execnz .LBB9_2120
.LBB9_70:
	s_or_b64 exec, exec, s[6:7]
	s_and_saveexec_b64 s[6:7], s[4:5]
	s_cbranch_execz .LBB9_72
.LBB9_71:
	v_and_b32_e32 v3, 7, v4
	v_ffbh_u32_e32 v7, v3
	v_min_u32_e32 v7, 32, v7
	v_lshrrev_b16_e32 v6, 3, v4
	v_subrev_u32_e32 v12, 28, v7
	v_and_b32_e32 v6, 15, v6
	v_lshlrev_b32_e32 v12, v12, v4
	v_sub_u32_e32 v7, 29, v7
	v_and_b32_e32 v12, 7, v12
	v_cmp_eq_u16_e32 vcc, 0, v6
	v_cndmask_b32_e32 v3, v3, v12, vcc
	v_cndmask_b32_e32 v6, v6, v7, vcc
	v_lshlrev_b32_e32 v7, 24, v4
	v_mov_b32_e32 v12, 0x3b800000
	v_lshlrev_b32_e32 v3, 20, v3
	v_and_b32_e32 v7, 0x80000000, v7
	v_lshl_add_u32 v6, v6, 23, v12
	v_or3_b32 v3, v7, v6, v3
.LBB9_72:
	s_or_b64 exec, exec, s[6:7]
	s_nop 0
	v_mfma_f32_16x16x4f32 a[0:3], v2, v3, a[0:3]
	v_lshrrev_b32_e32 v3, 8, v8
	s_movk_i32 s4, 0x7f
	v_cmp_gt_i16_sdwa s[6:7], v3, s4 src0_sel:BYTE_0 src1_sel:DWORD
	s_mov_b64 s[4:5], 0
                                        ; implicit-def: $sgpr10
	s_and_saveexec_b64 s[8:9], s[6:7]
	s_xor_b64 s[6:7], exec, s[8:9]
	s_cbranch_execnz .LBB9_2121
; %bb.73:
	s_or_saveexec_b64 s[6:7], s[6:7]
	v_mov_b32_e32 v2, s10
	s_xor_b64 exec, exec, s[6:7]
	s_cbranch_execnz .LBB9_2124
.LBB9_74:
	s_or_b64 exec, exec, s[6:7]
	s_and_saveexec_b64 s[6:7], s[4:5]
	s_cbranch_execz .LBB9_76
.LBB9_75:
	v_bfe_u32 v2, v8, 8, 3
	v_ffbh_u32_e32 v7, v2
	v_min_u32_e32 v7, 32, v7
	v_lshrrev_b16_e32 v6, 3, v3
	v_subrev_u32_e32 v12, 28, v7
	v_and_b32_e32 v6, 15, v6
	v_lshlrev_b32_e32 v3, v12, v3
	v_sub_u32_e32 v7, 29, v7
	v_and_b32_e32 v3, 7, v3
	v_cmp_eq_u16_e32 vcc, 0, v6
	v_cndmask_b32_e32 v2, v2, v3, vcc
	v_cndmask_b32_e32 v3, v6, v7, vcc
	v_lshlrev_b32_e32 v6, 16, v8
	v_mov_b32_e32 v7, 0x3b800000
	v_lshlrev_b32_e32 v2, 20, v2
	v_and_b32_e32 v6, 0x80000000, v6
	v_lshl_add_u32 v3, v3, 23, v7
	v_or3_b32 v2, v6, v3, v2
.LBB9_76:
	s_or_b64 exec, exec, s[6:7]
	v_lshrrev_b32_e32 v3, 8, v4
	s_movk_i32 s4, 0x7f
	v_cmp_gt_i16_sdwa s[6:7], v3, s4 src0_sel:BYTE_0 src1_sel:DWORD
	s_mov_b64 s[4:5], 0
                                        ; implicit-def: $sgpr10
	s_and_saveexec_b64 s[8:9], s[6:7]
	s_xor_b64 s[6:7], exec, s[8:9]
	s_cbranch_execnz .LBB9_2125
; %bb.77:
	s_or_saveexec_b64 s[6:7], s[6:7]
	v_mov_b32_e32 v6, s10
	s_xor_b64 exec, exec, s[6:7]
	s_cbranch_execnz .LBB9_2128
.LBB9_78:
	s_or_b64 exec, exec, s[6:7]
	s_and_saveexec_b64 s[6:7], s[4:5]
	s_cbranch_execz .LBB9_80
.LBB9_79:
	v_bfe_u32 v6, v4, 8, 3
	v_ffbh_u32_e32 v12, v6
	v_min_u32_e32 v12, 32, v12
	v_lshrrev_b16_e32 v7, 3, v3
	v_subrev_u32_e32 v13, 28, v12
	v_and_b32_e32 v7, 15, v7
	v_lshlrev_b32_e32 v3, v13, v3
	v_sub_u32_e32 v12, 29, v12
	v_and_b32_e32 v3, 7, v3
	v_cmp_eq_u16_e32 vcc, 0, v7
	v_cndmask_b32_e32 v3, v6, v3, vcc
	v_cndmask_b32_e32 v6, v7, v12, vcc
	v_lshlrev_b32_e32 v7, 16, v4
	v_mov_b32_e32 v12, 0x3b800000
	v_lshlrev_b32_e32 v3, 20, v3
	v_and_b32_e32 v7, 0x80000000, v7
	v_lshl_add_u32 v6, v6, 23, v12
	v_or3_b32 v6, v7, v6, v3
.LBB9_80:
	s_or_b64 exec, exec, s[6:7]
	s_nop 0
	v_mfma_f32_16x16x4f32 a[0:3], v2, v6, a[0:3]
	s_movk_i32 s4, 0xff
	v_and_b32_sdwa v3, v8, s4 dst_sel:DWORD dst_unused:UNUSED_PAD src0_sel:WORD_1 src1_sel:DWORD
	s_movk_i32 s4, 0x7f
	v_cmp_lt_i16_e32 vcc, s4, v3
	s_mov_b64 s[4:5], 0
                                        ; implicit-def: $sgpr10
	s_and_saveexec_b64 s[6:7], vcc
	s_xor_b64 s[6:7], exec, s[6:7]
	s_cbranch_execnz .LBB9_2129
; %bb.81:
	s_or_saveexec_b64 s[6:7], s[6:7]
	v_mov_b32_e32 v2, s10
	s_xor_b64 exec, exec, s[6:7]
	s_cbranch_execnz .LBB9_2132
.LBB9_82:
	s_or_b64 exec, exec, s[6:7]
	s_and_saveexec_b64 s[6:7], s[4:5]
	s_cbranch_execz .LBB9_84
.LBB9_83:
	v_bfe_u32 v2, v8, 16, 3
	v_ffbh_u32_e32 v7, v2
	v_min_u32_e32 v7, 32, v7
	v_lshrrev_b32_e32 v3, 19, v8
	v_subrev_u32_e32 v12, 28, v7
	v_and_b32_e32 v3, 15, v3
	v_lshlrev_b32_sdwa v12, v12, v8 dst_sel:DWORD dst_unused:UNUSED_PAD src0_sel:DWORD src1_sel:WORD_1
	v_bfe_u32 v6, v8, 19, 4
	v_sub_u32_e32 v7, 29, v7
	v_and_b32_e32 v12, 7, v12
	v_cmp_eq_u16_e32 vcc, 0, v3
	v_cndmask_b32_e32 v2, v2, v12, vcc
	v_cndmask_b32_e32 v3, v6, v7, vcc
	v_lshlrev_b32_e32 v6, 8, v8
	v_mov_b32_e32 v7, 0x3b800000
	v_lshlrev_b32_e32 v2, 20, v2
	v_and_b32_e32 v6, 0x80000000, v6
	v_lshl_add_u32 v3, v3, 23, v7
	v_or3_b32 v2, v6, v3, v2
.LBB9_84:
	s_or_b64 exec, exec, s[6:7]
	s_movk_i32 s4, 0xff
	v_and_b32_sdwa v3, v4, s4 dst_sel:DWORD dst_unused:UNUSED_PAD src0_sel:WORD_1 src1_sel:DWORD
	s_movk_i32 s4, 0x7f
	v_cmp_lt_i16_e32 vcc, s4, v3
	s_mov_b64 s[4:5], 0
                                        ; implicit-def: $sgpr10
	s_and_saveexec_b64 s[6:7], vcc
	s_xor_b64 s[6:7], exec, s[6:7]
	s_cbranch_execnz .LBB9_2133
; %bb.85:
	s_or_saveexec_b64 s[6:7], s[6:7]
	v_mov_b32_e32 v6, s10
	s_xor_b64 exec, exec, s[6:7]
	s_cbranch_execnz .LBB9_2136
.LBB9_86:
	s_or_b64 exec, exec, s[6:7]
	s_and_saveexec_b64 s[6:7], s[4:5]
	s_cbranch_execz .LBB9_88
.LBB9_87:
	v_bfe_u32 v3, v4, 16, 3
	v_ffbh_u32_e32 v12, v3
	v_min_u32_e32 v12, 32, v12
	v_lshrrev_b32_e32 v6, 19, v4
	v_subrev_u32_e32 v13, 28, v12
	v_and_b32_e32 v6, 15, v6
	v_lshlrev_b32_sdwa v13, v13, v4 dst_sel:DWORD dst_unused:UNUSED_PAD src0_sel:DWORD src1_sel:WORD_1
	v_bfe_u32 v7, v4, 19, 4
	v_sub_u32_e32 v12, 29, v12
	v_and_b32_e32 v13, 7, v13
	v_cmp_eq_u16_e32 vcc, 0, v6
	v_cndmask_b32_e32 v3, v3, v13, vcc
	v_cndmask_b32_e32 v6, v7, v12, vcc
	v_lshlrev_b32_e32 v7, 8, v4
	v_mov_b32_e32 v12, 0x3b800000
	v_lshlrev_b32_e32 v3, 20, v3
	v_and_b32_e32 v7, 0x80000000, v7
	v_lshl_add_u32 v6, v6, 23, v12
	v_or3_b32 v6, v7, v6, v3
.LBB9_88:
	s_or_b64 exec, exec, s[6:7]
	s_nop 0
	v_mfma_f32_16x16x4f32 a[0:3], v2, v6, a[0:3]
	s_movk_i32 s4, 0x7f
	v_cmp_gt_i16_sdwa s[6:7], v8, s4 src0_sel:BYTE_3 src1_sel:DWORD
	s_mov_b64 s[4:5], 0
                                        ; implicit-def: $sgpr10
	s_and_saveexec_b64 s[8:9], s[6:7]
	s_xor_b64 s[6:7], exec, s[8:9]
	s_cbranch_execnz .LBB9_2137
; %bb.89:
	s_or_saveexec_b64 s[6:7], s[6:7]
	v_mov_b32_e32 v2, s10
	s_xor_b64 exec, exec, s[6:7]
	s_cbranch_execnz .LBB9_2140
.LBB9_90:
	s_or_b64 exec, exec, s[6:7]
	s_and_saveexec_b64 s[6:7], s[4:5]
	s_cbranch_execz .LBB9_92
.LBB9_91:
	v_bfe_u32 v2, v8, 24, 3
	v_ffbh_u32_e32 v12, v2
	v_min_u32_e32 v12, 32, v12
	v_lshrrev_b32_e32 v6, 27, v8
	v_subrev_u32_e32 v13, 28, v12
	v_and_b32_e32 v3, 0x80000000, v8
	v_and_b32_e32 v6, 15, v6
	v_bfe_u32 v7, v8, 27, 4
	v_lshlrev_b32_sdwa v8, v13, v8 dst_sel:DWORD dst_unused:UNUSED_PAD src0_sel:DWORD src1_sel:BYTE_3
	v_sub_u32_e32 v12, 29, v12
	v_and_b32_e32 v8, 7, v8
	v_cmp_eq_u16_e32 vcc, 0, v6
	v_cndmask_b32_e32 v2, v2, v8, vcc
	v_cndmask_b32_e32 v6, v7, v12, vcc
	v_mov_b32_e32 v7, 0x3b800000
	v_lshlrev_b32_e32 v2, 20, v2
	v_lshl_add_u32 v6, v6, 23, v7
	v_or3_b32 v2, v3, v6, v2
.LBB9_92:
	s_or_b64 exec, exec, s[6:7]
	s_movk_i32 s4, 0x7f
	v_cmp_gt_i16_sdwa s[6:7], v4, s4 src0_sel:BYTE_3 src1_sel:DWORD
	s_mov_b64 s[4:5], 0
                                        ; implicit-def: $sgpr10
	s_and_saveexec_b64 s[8:9], s[6:7]
	s_xor_b64 s[6:7], exec, s[8:9]
	s_cbranch_execnz .LBB9_2141
; %bb.93:
	s_or_saveexec_b64 s[6:7], s[6:7]
	v_mov_b32_e32 v3, s10
	s_xor_b64 exec, exec, s[6:7]
	s_cbranch_execnz .LBB9_2144
.LBB9_94:
	s_or_b64 exec, exec, s[6:7]
	s_and_saveexec_b64 s[6:7], s[4:5]
	s_cbranch_execz .LBB9_96
.LBB9_95:
	v_bfe_u32 v3, v4, 24, 3
	v_ffbh_u32_e32 v12, v3
	v_min_u32_e32 v12, 32, v12
	v_lshrrev_b32_e32 v7, 27, v4
	v_subrev_u32_e32 v13, 28, v12
	v_and_b32_e32 v6, 0x80000000, v4
	v_and_b32_e32 v7, 15, v7
	v_bfe_u32 v8, v4, 27, 4
	v_lshlrev_b32_sdwa v4, v13, v4 dst_sel:DWORD dst_unused:UNUSED_PAD src0_sel:DWORD src1_sel:BYTE_3
	v_sub_u32_e32 v12, 29, v12
	v_and_b32_e32 v4, 7, v4
	v_cmp_eq_u16_e32 vcc, 0, v7
	v_cndmask_b32_e32 v3, v3, v4, vcc
	v_cndmask_b32_e32 v4, v8, v12, vcc
	v_mov_b32_e32 v7, 0x3b800000
	v_lshlrev_b32_e32 v3, 20, v3
	v_lshl_add_u32 v4, v4, 23, v7
	v_or3_b32 v3, v6, v4, v3
.LBB9_96:
	s_or_b64 exec, exec, s[6:7]
	s_nop 0
	v_mfma_f32_16x16x4f32 a[0:3], v2, v3, a[0:3]
	s_movk_i32 s4, 0x7f
	v_cmp_gt_i16_sdwa s[6:7], v9, s4 src0_sel:BYTE_0 src1_sel:DWORD
	s_mov_b64 s[4:5], 0
                                        ; implicit-def: $sgpr10
	s_and_saveexec_b64 s[8:9], s[6:7]
	s_xor_b64 s[6:7], exec, s[8:9]
	s_cbranch_execnz .LBB9_2145
; %bb.97:
	s_or_saveexec_b64 s[6:7], s[6:7]
	v_mov_b32_e32 v2, s10
	s_xor_b64 exec, exec, s[6:7]
	s_cbranch_execnz .LBB9_2148
.LBB9_98:
	s_or_b64 exec, exec, s[6:7]
	s_and_saveexec_b64 s[6:7], s[4:5]
	s_cbranch_execz .LBB9_100
.LBB9_99:
	v_mov_b32_e32 v2, 8
	v_and_b32_e32 v3, 7, v9
	v_lshrrev_b32_sdwa v2, v2, v9 dst_sel:BYTE_1 dst_unused:UNUSED_PAD src0_sel:DWORD src1_sel:DWORD
	v_ffbh_u32_e32 v4, v3
	v_or_b32_sdwa v2, v9, v2 dst_sel:DWORD dst_unused:UNUSED_PAD src0_sel:BYTE_0 src1_sel:DWORD
	v_min_u32_e32 v4, 32, v4
	v_lshrrev_b16_e32 v2, 3, v2
	v_subrev_u32_e32 v6, 28, v4
	v_and_b32_e32 v2, 15, v2
	v_lshlrev_b32_e32 v6, v6, v9
	v_sub_u32_e32 v4, 29, v4
	v_and_b32_e32 v6, 7, v6
	v_cmp_eq_u16_e32 vcc, 0, v2
	v_cndmask_b32_e32 v3, v3, v6, vcc
	v_cndmask_b32_e32 v2, v2, v4, vcc
	v_lshlrev_b32_e32 v4, 24, v9
	v_mov_b32_e32 v6, 0x3b800000
	v_lshlrev_b32_e32 v3, 20, v3
	v_and_b32_e32 v4, 0x80000000, v4
	v_lshl_add_u32 v2, v2, 23, v6
	v_or3_b32 v2, v4, v2, v3
.LBB9_100:
	s_or_b64 exec, exec, s[6:7]
	s_movk_i32 s4, 0x7f
	v_cmp_gt_i16_sdwa s[6:7], v5, s4 src0_sel:BYTE_0 src1_sel:DWORD
	s_mov_b64 s[4:5], 0
                                        ; implicit-def: $sgpr10
	s_and_saveexec_b64 s[8:9], s[6:7]
	s_xor_b64 s[6:7], exec, s[8:9]
	s_cbranch_execnz .LBB9_2149
; %bb.101:
	s_or_saveexec_b64 s[6:7], s[6:7]
	v_mov_b32_e32 v3, s10
	s_xor_b64 exec, exec, s[6:7]
	s_cbranch_execnz .LBB9_2152
.LBB9_102:
	s_or_b64 exec, exec, s[6:7]
	s_and_saveexec_b64 s[6:7], s[4:5]
	s_cbranch_execz .LBB9_104
.LBB9_103:
	v_mov_b32_e32 v3, 8
	v_and_b32_e32 v4, 7, v5
	v_lshrrev_b32_sdwa v3, v3, v5 dst_sel:BYTE_1 dst_unused:UNUSED_PAD src0_sel:DWORD src1_sel:DWORD
	v_ffbh_u32_e32 v6, v4
	v_or_b32_sdwa v3, v5, v3 dst_sel:DWORD dst_unused:UNUSED_PAD src0_sel:BYTE_0 src1_sel:DWORD
	v_min_u32_e32 v6, 32, v6
	v_lshrrev_b16_e32 v3, 3, v3
	v_subrev_u32_e32 v7, 28, v6
	v_and_b32_e32 v3, 15, v3
	v_lshlrev_b32_e32 v7, v7, v5
	v_sub_u32_e32 v6, 29, v6
	v_and_b32_e32 v7, 7, v7
	v_cmp_eq_u16_e32 vcc, 0, v3
	v_cndmask_b32_e32 v4, v4, v7, vcc
	v_cndmask_b32_e32 v3, v3, v6, vcc
	v_lshlrev_b32_e32 v6, 24, v5
	v_mov_b32_e32 v7, 0x3b800000
	v_lshlrev_b32_e32 v4, 20, v4
	v_and_b32_e32 v6, 0x80000000, v6
	v_lshl_add_u32 v3, v3, 23, v7
	v_or3_b32 v3, v6, v3, v4
.LBB9_104:
	s_or_b64 exec, exec, s[6:7]
	s_nop 0
	v_mfma_f32_16x16x4f32 a[0:3], v2, v3, a[0:3]
	v_lshrrev_b32_e32 v3, 8, v9
	s_movk_i32 s4, 0x7f
	v_cmp_gt_i16_sdwa s[6:7], v3, s4 src0_sel:BYTE_0 src1_sel:DWORD
	s_mov_b64 s[4:5], 0
                                        ; implicit-def: $sgpr10
	s_and_saveexec_b64 s[8:9], s[6:7]
	s_xor_b64 s[6:7], exec, s[8:9]
	s_cbranch_execnz .LBB9_2153
; %bb.105:
	s_or_saveexec_b64 s[6:7], s[6:7]
	v_mov_b32_e32 v2, s10
	s_xor_b64 exec, exec, s[6:7]
	s_cbranch_execnz .LBB9_2156
.LBB9_106:
	s_or_b64 exec, exec, s[6:7]
	s_and_saveexec_b64 s[6:7], s[4:5]
	s_cbranch_execz .LBB9_108
.LBB9_107:
	v_bfe_u32 v2, v9, 8, 3
	v_ffbh_u32_e32 v6, v2
	v_min_u32_e32 v6, 32, v6
	v_lshrrev_b16_e32 v4, 3, v3
	v_subrev_u32_e32 v7, 28, v6
	v_and_b32_e32 v4, 15, v4
	v_lshlrev_b32_e32 v3, v7, v3
	v_sub_u32_e32 v6, 29, v6
	v_and_b32_e32 v3, 7, v3
	v_cmp_eq_u16_e32 vcc, 0, v4
	v_cndmask_b32_e32 v2, v2, v3, vcc
	v_cndmask_b32_e32 v3, v4, v6, vcc
	v_lshlrev_b32_e32 v4, 16, v9
	v_mov_b32_e32 v6, 0x3b800000
	v_lshlrev_b32_e32 v2, 20, v2
	v_and_b32_e32 v4, 0x80000000, v4
	v_lshl_add_u32 v3, v3, 23, v6
	v_or3_b32 v2, v4, v3, v2
.LBB9_108:
	s_or_b64 exec, exec, s[6:7]
	v_lshrrev_b32_e32 v3, 8, v5
	s_movk_i32 s4, 0x7f
	v_cmp_gt_i16_sdwa s[6:7], v3, s4 src0_sel:BYTE_0 src1_sel:DWORD
	s_mov_b64 s[4:5], 0
                                        ; implicit-def: $sgpr10
	s_and_saveexec_b64 s[8:9], s[6:7]
	s_xor_b64 s[6:7], exec, s[8:9]
	s_cbranch_execnz .LBB9_2157
; %bb.109:
	s_or_saveexec_b64 s[6:7], s[6:7]
	v_mov_b32_e32 v4, s10
	s_xor_b64 exec, exec, s[6:7]
	s_cbranch_execnz .LBB9_2160
.LBB9_110:
	s_or_b64 exec, exec, s[6:7]
	s_and_saveexec_b64 s[6:7], s[4:5]
	s_cbranch_execz .LBB9_112
.LBB9_111:
	v_bfe_u32 v4, v5, 8, 3
	v_ffbh_u32_e32 v7, v4
	v_min_u32_e32 v7, 32, v7
	v_lshrrev_b16_e32 v6, 3, v3
	v_subrev_u32_e32 v8, 28, v7
	v_and_b32_e32 v6, 15, v6
	v_lshlrev_b32_e32 v3, v8, v3
	v_sub_u32_e32 v7, 29, v7
	v_and_b32_e32 v3, 7, v3
	v_cmp_eq_u16_e32 vcc, 0, v6
	v_cndmask_b32_e32 v3, v4, v3, vcc
	v_cndmask_b32_e32 v4, v6, v7, vcc
	v_lshlrev_b32_e32 v6, 16, v5
	v_mov_b32_e32 v7, 0x3b800000
	v_lshlrev_b32_e32 v3, 20, v3
	v_and_b32_e32 v6, 0x80000000, v6
	v_lshl_add_u32 v4, v4, 23, v7
	v_or3_b32 v4, v6, v4, v3
.LBB9_112:
	s_or_b64 exec, exec, s[6:7]
	s_nop 0
	v_mfma_f32_16x16x4f32 a[0:3], v2, v4, a[0:3]
	s_movk_i32 s4, 0xff
	v_and_b32_sdwa v3, v9, s4 dst_sel:DWORD dst_unused:UNUSED_PAD src0_sel:WORD_1 src1_sel:DWORD
	s_movk_i32 s4, 0x7f
	v_cmp_lt_i16_e32 vcc, s4, v3
	s_mov_b64 s[4:5], 0
                                        ; implicit-def: $sgpr10
	s_and_saveexec_b64 s[6:7], vcc
	s_xor_b64 s[6:7], exec, s[6:7]
	s_cbranch_execnz .LBB9_2161
; %bb.113:
	s_or_saveexec_b64 s[6:7], s[6:7]
	v_mov_b32_e32 v2, s10
	s_xor_b64 exec, exec, s[6:7]
	s_cbranch_execnz .LBB9_2164
.LBB9_114:
	s_or_b64 exec, exec, s[6:7]
	s_and_saveexec_b64 s[6:7], s[4:5]
	s_cbranch_execz .LBB9_116
.LBB9_115:
	v_bfe_u32 v2, v9, 16, 3
	v_ffbh_u32_e32 v6, v2
	v_min_u32_e32 v6, 32, v6
	v_lshrrev_b32_e32 v3, 19, v9
	v_subrev_u32_e32 v7, 28, v6
	v_and_b32_e32 v3, 15, v3
	v_lshlrev_b32_sdwa v7, v7, v9 dst_sel:DWORD dst_unused:UNUSED_PAD src0_sel:DWORD src1_sel:WORD_1
	v_bfe_u32 v4, v9, 19, 4
	v_sub_u32_e32 v6, 29, v6
	v_and_b32_e32 v7, 7, v7
	v_cmp_eq_u16_e32 vcc, 0, v3
	v_cndmask_b32_e32 v2, v2, v7, vcc
	v_cndmask_b32_e32 v3, v4, v6, vcc
	v_lshlrev_b32_e32 v4, 8, v9
	v_mov_b32_e32 v6, 0x3b800000
	v_lshlrev_b32_e32 v2, 20, v2
	v_and_b32_e32 v4, 0x80000000, v4
	v_lshl_add_u32 v3, v3, 23, v6
	v_or3_b32 v2, v4, v3, v2
.LBB9_116:
	s_or_b64 exec, exec, s[6:7]
	s_movk_i32 s4, 0xff
	v_and_b32_sdwa v3, v5, s4 dst_sel:DWORD dst_unused:UNUSED_PAD src0_sel:WORD_1 src1_sel:DWORD
	s_movk_i32 s4, 0x7f
	v_cmp_lt_i16_e32 vcc, s4, v3
	s_mov_b64 s[4:5], 0
                                        ; implicit-def: $sgpr10
	s_and_saveexec_b64 s[6:7], vcc
	s_xor_b64 s[6:7], exec, s[6:7]
	s_cbranch_execnz .LBB9_2165
; %bb.117:
	s_or_saveexec_b64 s[6:7], s[6:7]
	v_mov_b32_e32 v4, s10
	s_xor_b64 exec, exec, s[6:7]
	s_cbranch_execnz .LBB9_2168
.LBB9_118:
	s_or_b64 exec, exec, s[6:7]
	s_and_saveexec_b64 s[6:7], s[4:5]
	s_cbranch_execz .LBB9_120
.LBB9_119:
	v_bfe_u32 v3, v5, 16, 3
	v_ffbh_u32_e32 v7, v3
	v_min_u32_e32 v7, 32, v7
	v_lshrrev_b32_e32 v4, 19, v5
	v_subrev_u32_e32 v8, 28, v7
	v_and_b32_e32 v4, 15, v4
	v_lshlrev_b32_sdwa v8, v8, v5 dst_sel:DWORD dst_unused:UNUSED_PAD src0_sel:DWORD src1_sel:WORD_1
	v_bfe_u32 v6, v5, 19, 4
	v_sub_u32_e32 v7, 29, v7
	v_and_b32_e32 v8, 7, v8
	v_cmp_eq_u16_e32 vcc, 0, v4
	v_cndmask_b32_e32 v3, v3, v8, vcc
	v_cndmask_b32_e32 v4, v6, v7, vcc
	v_lshlrev_b32_e32 v6, 8, v5
	v_mov_b32_e32 v7, 0x3b800000
	v_lshlrev_b32_e32 v3, 20, v3
	v_and_b32_e32 v6, 0x80000000, v6
	v_lshl_add_u32 v4, v4, 23, v7
	v_or3_b32 v4, v6, v4, v3
.LBB9_120:
	s_or_b64 exec, exec, s[6:7]
	s_nop 0
	v_mfma_f32_16x16x4f32 a[0:3], v2, v4, a[0:3]
	s_movk_i32 s4, 0x7f
	v_cmp_gt_i16_sdwa s[6:7], v9, s4 src0_sel:BYTE_3 src1_sel:DWORD
	s_mov_b64 s[4:5], 0
                                        ; implicit-def: $sgpr10
	s_and_saveexec_b64 s[8:9], s[6:7]
	s_xor_b64 s[6:7], exec, s[8:9]
	s_cbranch_execnz .LBB9_2169
; %bb.121:
	s_or_saveexec_b64 s[6:7], s[6:7]
	v_mov_b32_e32 v2, s10
	s_xor_b64 exec, exec, s[6:7]
	s_cbranch_execnz .LBB9_2172
.LBB9_122:
	s_or_b64 exec, exec, s[6:7]
	s_and_saveexec_b64 s[6:7], s[4:5]
	s_cbranch_execz .LBB9_124
.LBB9_123:
	v_bfe_u32 v2, v9, 24, 3
	v_ffbh_u32_e32 v7, v2
	v_min_u32_e32 v7, 32, v7
	v_lshrrev_b32_e32 v4, 27, v9
	v_subrev_u32_e32 v8, 28, v7
	v_and_b32_e32 v4, 15, v4
	v_lshlrev_b32_sdwa v8, v8, v9 dst_sel:DWORD dst_unused:UNUSED_PAD src0_sel:DWORD src1_sel:BYTE_3
	v_bfe_u32 v6, v9, 27, 4
	v_sub_u32_e32 v7, 29, v7
	v_and_b32_e32 v8, 7, v8
	v_cmp_eq_u16_e32 vcc, 0, v4
	v_cndmask_b32_e32 v2, v2, v8, vcc
	v_cndmask_b32_e32 v4, v6, v7, vcc
	v_mov_b32_e32 v6, 0x3b800000
	v_and_b32_e32 v3, 0x80000000, v9
	v_lshlrev_b32_e32 v2, 20, v2
	v_lshl_add_u32 v4, v4, 23, v6
	v_or3_b32 v2, v3, v4, v2
.LBB9_124:
	s_or_b64 exec, exec, s[6:7]
	s_movk_i32 s4, 0x7f
	v_cmp_gt_i16_sdwa s[6:7], v5, s4 src0_sel:BYTE_3 src1_sel:DWORD
	s_mov_b64 s[4:5], 0
                                        ; implicit-def: $sgpr10
	s_and_saveexec_b64 s[8:9], s[6:7]
	s_xor_b64 s[6:7], exec, s[8:9]
	s_cbranch_execnz .LBB9_2173
; %bb.125:
	s_or_saveexec_b64 s[6:7], s[6:7]
	v_mov_b32_e32 v3, s10
	s_xor_b64 exec, exec, s[6:7]
	s_cbranch_execnz .LBB9_2176
.LBB9_126:
	s_or_b64 exec, exec, s[6:7]
	s_and_saveexec_b64 s[6:7], s[4:5]
	s_cbranch_execz .LBB9_128
.LBB9_127:
	v_bfe_u32 v3, v5, 24, 3
	v_ffbh_u32_e32 v8, v3
	v_min_u32_e32 v8, 32, v8
	v_lshrrev_b32_e32 v6, 27, v5
	v_subrev_u32_e32 v9, 28, v8
	v_and_b32_e32 v4, 0x80000000, v5
	v_and_b32_e32 v6, 15, v6
	v_bfe_u32 v7, v5, 27, 4
	v_lshlrev_b32_sdwa v5, v9, v5 dst_sel:DWORD dst_unused:UNUSED_PAD src0_sel:DWORD src1_sel:BYTE_3
	v_sub_u32_e32 v8, 29, v8
	v_and_b32_e32 v5, 7, v5
	v_cmp_eq_u16_e32 vcc, 0, v6
	v_cndmask_b32_e32 v3, v3, v5, vcc
	v_cndmask_b32_e32 v5, v7, v8, vcc
	v_mov_b32_e32 v6, 0x3b800000
	v_lshlrev_b32_e32 v3, 20, v3
	v_lshl_add_u32 v5, v5, 23, v6
	v_or3_b32 v3, v4, v5, v3
.LBB9_128:
	s_or_b64 exec, exec, s[6:7]
	s_nop 0
	v_mfma_f32_16x16x4f32 a[0:3], v2, v3, a[0:3]
	s_movk_i32 s4, 0x7f
                                        ; implicit-def: $sgpr10
	s_nop 7
	s_nop 1
	flat_store_dwordx4 v[10:11], a[0:3]
	flat_load_dwordx4 v[12:15], v[0:1] offset:8
	s_nop 0
	flat_load_dwordx2 v[10:11], v[0:1] offset:32
	s_waitcnt vmcnt(0) lgkmcnt(0)
	flat_load_dwordx4 v[6:9], v[12:13] offset:16
	flat_load_dwordx4 v[2:5], v[14:15] offset:48
	s_waitcnt vmcnt(0) lgkmcnt(0)
	v_cmp_gt_i16_sdwa s[6:7], v6, s4 src0_sel:BYTE_0 src1_sel:DWORD
	s_mov_b64 s[4:5], 0
	s_and_saveexec_b64 s[8:9], s[6:7]
	s_xor_b64 s[6:7], exec, s[8:9]
	s_cbranch_execnz .LBB9_2177
; %bb.129:
	s_or_saveexec_b64 s[6:7], s[6:7]
	v_mov_b32_e32 v12, s10
	s_xor_b64 exec, exec, s[6:7]
	s_cbranch_execnz .LBB9_2180
.LBB9_130:
	s_or_b64 exec, exec, s[6:7]
	s_and_saveexec_b64 s[6:7], s[4:5]
	s_cbranch_execz .LBB9_132
.LBB9_131:
	v_and_b32_e32 v12, 7, v6
	v_ffbh_u32_e32 v14, v12
	v_min_u32_e32 v14, 32, v14
	v_lshrrev_b16_e32 v13, 3, v6
	v_subrev_u32_e32 v15, 28, v14
	v_and_b32_e32 v13, 15, v13
	v_lshlrev_b32_e32 v15, v15, v6
	v_sub_u32_e32 v14, 29, v14
	v_and_b32_e32 v15, 7, v15
	v_cmp_eq_u16_e32 vcc, 0, v13
	v_cndmask_b32_e32 v12, v12, v15, vcc
	v_cndmask_b32_e32 v13, v13, v14, vcc
	v_lshlrev_b32_e32 v14, 24, v6
	v_mov_b32_e32 v15, 0x3b800000
	v_lshlrev_b32_e32 v12, 20, v12
	v_and_b32_e32 v14, 0x80000000, v14
	v_lshl_add_u32 v13, v13, 23, v15
	v_or3_b32 v12, v14, v13, v12
.LBB9_132:
	s_or_b64 exec, exec, s[6:7]
	s_movk_i32 s4, 0x7f
	v_cmp_gt_i16_sdwa s[6:7], v2, s4 src0_sel:BYTE_0 src1_sel:DWORD
	s_mov_b64 s[4:5], 0
                                        ; implicit-def: $sgpr10
	s_and_saveexec_b64 s[8:9], s[6:7]
	s_xor_b64 s[6:7], exec, s[8:9]
	s_cbranch_execnz .LBB9_2181
; %bb.133:
	s_or_saveexec_b64 s[6:7], s[6:7]
	v_mov_b32_e32 v13, s10
	s_xor_b64 exec, exec, s[6:7]
	s_cbranch_execnz .LBB9_2184
.LBB9_134:
	s_or_b64 exec, exec, s[6:7]
	s_and_saveexec_b64 s[6:7], s[4:5]
	s_cbranch_execz .LBB9_136
.LBB9_135:
	v_and_b32_e32 v13, 7, v2
	v_ffbh_u32_e32 v15, v13
	v_min_u32_e32 v15, 32, v15
	v_lshrrev_b16_e32 v14, 3, v2
	v_subrev_u32_e32 v16, 28, v15
	v_and_b32_e32 v14, 15, v14
	v_lshlrev_b32_e32 v16, v16, v2
	v_sub_u32_e32 v15, 29, v15
	v_and_b32_e32 v16, 7, v16
	v_cmp_eq_u16_e32 vcc, 0, v14
	v_cndmask_b32_e32 v13, v13, v16, vcc
	v_cndmask_b32_e32 v14, v14, v15, vcc
	v_lshlrev_b32_e32 v15, 24, v2
	v_mov_b32_e32 v16, 0x3b800000
	v_lshlrev_b32_e32 v13, 20, v13
	v_and_b32_e32 v15, 0x80000000, v15
	v_lshl_add_u32 v14, v14, 23, v16
	v_or3_b32 v13, v15, v14, v13
.LBB9_136:
	s_or_b64 exec, exec, s[6:7]
	flat_load_dwordx4 a[0:3], v[10:11] offset:16
	s_movk_i32 s4, 0x7f
                                        ; implicit-def: $sgpr10
	s_waitcnt vmcnt(0) lgkmcnt(0)
	v_mfma_f32_16x16x4f32 a[0:3], v12, v13, a[0:3]
	v_lshrrev_b32_e32 v13, 8, v6
	v_cmp_gt_i16_sdwa s[6:7], v13, s4 src0_sel:BYTE_0 src1_sel:DWORD
	s_mov_b64 s[4:5], 0
	s_and_saveexec_b64 s[8:9], s[6:7]
	s_xor_b64 s[6:7], exec, s[8:9]
	s_cbranch_execnz .LBB9_2185
; %bb.137:
	s_or_saveexec_b64 s[6:7], s[6:7]
	v_mov_b32_e32 v12, s10
	s_xor_b64 exec, exec, s[6:7]
	s_cbranch_execnz .LBB9_2188
.LBB9_138:
	s_or_b64 exec, exec, s[6:7]
	s_and_saveexec_b64 s[6:7], s[4:5]
	s_cbranch_execz .LBB9_140
.LBB9_139:
	v_bfe_u32 v12, v6, 8, 3
	v_ffbh_u32_e32 v15, v12
	v_min_u32_e32 v15, 32, v15
	v_lshrrev_b16_e32 v14, 3, v13
	v_subrev_u32_e32 v16, 28, v15
	v_and_b32_e32 v14, 15, v14
	v_lshlrev_b32_e32 v13, v16, v13
	v_sub_u32_e32 v15, 29, v15
	v_and_b32_e32 v13, 7, v13
	v_cmp_eq_u16_e32 vcc, 0, v14
	v_cndmask_b32_e32 v12, v12, v13, vcc
	v_cndmask_b32_e32 v13, v14, v15, vcc
	v_lshlrev_b32_e32 v14, 16, v6
	v_mov_b32_e32 v15, 0x3b800000
	v_lshlrev_b32_e32 v12, 20, v12
	v_and_b32_e32 v14, 0x80000000, v14
	v_lshl_add_u32 v13, v13, 23, v15
	v_or3_b32 v12, v14, v13, v12
.LBB9_140:
	s_or_b64 exec, exec, s[6:7]
	v_lshrrev_b32_e32 v13, 8, v2
	s_movk_i32 s4, 0x7f
	v_cmp_gt_i16_sdwa s[6:7], v13, s4 src0_sel:BYTE_0 src1_sel:DWORD
	s_mov_b64 s[4:5], 0
                                        ; implicit-def: $sgpr10
	s_and_saveexec_b64 s[8:9], s[6:7]
	s_xor_b64 s[6:7], exec, s[8:9]
	s_cbranch_execnz .LBB9_2189
; %bb.141:
	s_or_saveexec_b64 s[6:7], s[6:7]
	v_mov_b32_e32 v14, s10
	s_xor_b64 exec, exec, s[6:7]
	s_cbranch_execnz .LBB9_2192
.LBB9_142:
	s_or_b64 exec, exec, s[6:7]
	s_and_saveexec_b64 s[6:7], s[4:5]
	s_cbranch_execz .LBB9_144
.LBB9_143:
	v_bfe_u32 v14, v2, 8, 3
	v_ffbh_u32_e32 v16, v14
	v_min_u32_e32 v16, 32, v16
	v_lshrrev_b16_e32 v15, 3, v13
	v_subrev_u32_e32 v17, 28, v16
	v_and_b32_e32 v15, 15, v15
	v_lshlrev_b32_e32 v13, v17, v13
	v_sub_u32_e32 v16, 29, v16
	v_and_b32_e32 v13, 7, v13
	v_cmp_eq_u16_e32 vcc, 0, v15
	v_cndmask_b32_e32 v13, v14, v13, vcc
	v_cndmask_b32_e32 v14, v15, v16, vcc
	v_lshlrev_b32_e32 v15, 16, v2
	v_mov_b32_e32 v16, 0x3b800000
	v_lshlrev_b32_e32 v13, 20, v13
	v_and_b32_e32 v15, 0x80000000, v15
	v_lshl_add_u32 v14, v14, 23, v16
	v_or3_b32 v14, v15, v14, v13
.LBB9_144:
	s_or_b64 exec, exec, s[6:7]
	s_nop 0
	v_mfma_f32_16x16x4f32 a[0:3], v12, v14, a[0:3]
	s_movk_i32 s4, 0xff
	v_and_b32_sdwa v13, v6, s4 dst_sel:DWORD dst_unused:UNUSED_PAD src0_sel:WORD_1 src1_sel:DWORD
	s_movk_i32 s4, 0x7f
	v_cmp_lt_i16_e32 vcc, s4, v13
	s_mov_b64 s[4:5], 0
                                        ; implicit-def: $sgpr10
	s_and_saveexec_b64 s[6:7], vcc
	s_xor_b64 s[6:7], exec, s[6:7]
	s_cbranch_execnz .LBB9_2193
; %bb.145:
	s_or_saveexec_b64 s[6:7], s[6:7]
	v_mov_b32_e32 v12, s10
	s_xor_b64 exec, exec, s[6:7]
	s_cbranch_execnz .LBB9_2196
.LBB9_146:
	s_or_b64 exec, exec, s[6:7]
	s_and_saveexec_b64 s[6:7], s[4:5]
	s_cbranch_execz .LBB9_148
.LBB9_147:
	v_bfe_u32 v12, v6, 16, 3
	v_ffbh_u32_e32 v15, v12
	v_min_u32_e32 v15, 32, v15
	v_lshrrev_b32_e32 v13, 19, v6
	v_subrev_u32_e32 v16, 28, v15
	v_and_b32_e32 v13, 15, v13
	v_lshlrev_b32_sdwa v16, v16, v6 dst_sel:DWORD dst_unused:UNUSED_PAD src0_sel:DWORD src1_sel:WORD_1
	v_bfe_u32 v14, v6, 19, 4
	v_sub_u32_e32 v15, 29, v15
	v_and_b32_e32 v16, 7, v16
	v_cmp_eq_u16_e32 vcc, 0, v13
	v_cndmask_b32_e32 v12, v12, v16, vcc
	v_cndmask_b32_e32 v13, v14, v15, vcc
	v_lshlrev_b32_e32 v14, 8, v6
	v_mov_b32_e32 v15, 0x3b800000
	v_lshlrev_b32_e32 v12, 20, v12
	v_and_b32_e32 v14, 0x80000000, v14
	v_lshl_add_u32 v13, v13, 23, v15
	v_or3_b32 v12, v14, v13, v12
.LBB9_148:
	s_or_b64 exec, exec, s[6:7]
	s_movk_i32 s4, 0xff
	v_and_b32_sdwa v13, v2, s4 dst_sel:DWORD dst_unused:UNUSED_PAD src0_sel:WORD_1 src1_sel:DWORD
	s_movk_i32 s4, 0x7f
	v_cmp_lt_i16_e32 vcc, s4, v13
	s_mov_b64 s[4:5], 0
                                        ; implicit-def: $sgpr10
	s_and_saveexec_b64 s[6:7], vcc
	s_xor_b64 s[6:7], exec, s[6:7]
	s_cbranch_execnz .LBB9_2197
; %bb.149:
	s_or_saveexec_b64 s[6:7], s[6:7]
	v_mov_b32_e32 v14, s10
	s_xor_b64 exec, exec, s[6:7]
	s_cbranch_execnz .LBB9_2200
.LBB9_150:
	s_or_b64 exec, exec, s[6:7]
	s_and_saveexec_b64 s[6:7], s[4:5]
	s_cbranch_execz .LBB9_152
.LBB9_151:
	v_bfe_u32 v13, v2, 16, 3
	v_ffbh_u32_e32 v16, v13
	v_min_u32_e32 v16, 32, v16
	v_lshrrev_b32_e32 v14, 19, v2
	v_subrev_u32_e32 v17, 28, v16
	v_and_b32_e32 v14, 15, v14
	v_lshlrev_b32_sdwa v17, v17, v2 dst_sel:DWORD dst_unused:UNUSED_PAD src0_sel:DWORD src1_sel:WORD_1
	v_bfe_u32 v15, v2, 19, 4
	v_sub_u32_e32 v16, 29, v16
	v_and_b32_e32 v17, 7, v17
	v_cmp_eq_u16_e32 vcc, 0, v14
	v_cndmask_b32_e32 v13, v13, v17, vcc
	v_cndmask_b32_e32 v14, v15, v16, vcc
	v_lshlrev_b32_e32 v15, 8, v2
	v_mov_b32_e32 v16, 0x3b800000
	v_lshlrev_b32_e32 v13, 20, v13
	v_and_b32_e32 v15, 0x80000000, v15
	v_lshl_add_u32 v14, v14, 23, v16
	v_or3_b32 v14, v15, v14, v13
.LBB9_152:
	s_or_b64 exec, exec, s[6:7]
	s_nop 0
	v_mfma_f32_16x16x4f32 a[0:3], v12, v14, a[0:3]
	s_movk_i32 s4, 0x7f
	v_cmp_gt_i16_sdwa s[6:7], v6, s4 src0_sel:BYTE_3 src1_sel:DWORD
	s_mov_b64 s[4:5], 0
                                        ; implicit-def: $sgpr10
	s_and_saveexec_b64 s[8:9], s[6:7]
	s_xor_b64 s[6:7], exec, s[8:9]
	s_cbranch_execnz .LBB9_2201
; %bb.153:
	s_or_saveexec_b64 s[6:7], s[6:7]
	v_mov_b32_e32 v12, s10
	s_xor_b64 exec, exec, s[6:7]
	s_cbranch_execnz .LBB9_2204
.LBB9_154:
	s_or_b64 exec, exec, s[6:7]
	s_and_saveexec_b64 s[6:7], s[4:5]
	s_cbranch_execz .LBB9_156
.LBB9_155:
	v_bfe_u32 v12, v6, 24, 3
	v_ffbh_u32_e32 v16, v12
	v_min_u32_e32 v16, 32, v16
	v_lshrrev_b32_e32 v14, 27, v6
	v_subrev_u32_e32 v17, 28, v16
	v_and_b32_e32 v13, 0x80000000, v6
	v_and_b32_e32 v14, 15, v14
	v_bfe_u32 v15, v6, 27, 4
	v_lshlrev_b32_sdwa v6, v17, v6 dst_sel:DWORD dst_unused:UNUSED_PAD src0_sel:DWORD src1_sel:BYTE_3
	v_sub_u32_e32 v16, 29, v16
	v_and_b32_e32 v6, 7, v6
	v_cmp_eq_u16_e32 vcc, 0, v14
	v_cndmask_b32_e32 v6, v12, v6, vcc
	v_cndmask_b32_e32 v12, v15, v16, vcc
	v_mov_b32_e32 v14, 0x3b800000
	v_lshlrev_b32_e32 v6, 20, v6
	v_lshl_add_u32 v12, v12, 23, v14
	v_or3_b32 v12, v13, v12, v6
.LBB9_156:
	s_or_b64 exec, exec, s[6:7]
	s_movk_i32 s4, 0x7f
	v_cmp_gt_i16_sdwa s[6:7], v2, s4 src0_sel:BYTE_3 src1_sel:DWORD
	s_mov_b64 s[4:5], 0
                                        ; implicit-def: $sgpr10
	s_and_saveexec_b64 s[8:9], s[6:7]
	s_xor_b64 s[6:7], exec, s[8:9]
	s_cbranch_execnz .LBB9_2205
; %bb.157:
	s_or_saveexec_b64 s[6:7], s[6:7]
	v_mov_b32_e32 v6, s10
	s_xor_b64 exec, exec, s[6:7]
	s_cbranch_execnz .LBB9_2208
.LBB9_158:
	s_or_b64 exec, exec, s[6:7]
	s_and_saveexec_b64 s[6:7], s[4:5]
	s_cbranch_execz .LBB9_160
.LBB9_159:
	v_bfe_u32 v6, v2, 24, 3
	v_ffbh_u32_e32 v16, v6
	v_min_u32_e32 v16, 32, v16
	v_lshrrev_b32_e32 v14, 27, v2
	v_subrev_u32_e32 v17, 28, v16
	v_and_b32_e32 v13, 0x80000000, v2
	v_and_b32_e32 v14, 15, v14
	v_bfe_u32 v15, v2, 27, 4
	v_lshlrev_b32_sdwa v2, v17, v2 dst_sel:DWORD dst_unused:UNUSED_PAD src0_sel:DWORD src1_sel:BYTE_3
	v_sub_u32_e32 v16, 29, v16
	v_and_b32_e32 v2, 7, v2
	v_cmp_eq_u16_e32 vcc, 0, v14
	v_cndmask_b32_e32 v2, v6, v2, vcc
	v_cndmask_b32_e32 v6, v15, v16, vcc
	v_mov_b32_e32 v14, 0x3b800000
	v_lshlrev_b32_e32 v2, 20, v2
	v_lshl_add_u32 v6, v6, 23, v14
	v_or3_b32 v6, v13, v6, v2
.LBB9_160:
	s_or_b64 exec, exec, s[6:7]
	s_nop 0
	v_mfma_f32_16x16x4f32 a[0:3], v12, v6, a[0:3]
	s_movk_i32 s4, 0x7f
	v_cmp_gt_i16_sdwa s[6:7], v7, s4 src0_sel:BYTE_0 src1_sel:DWORD
	s_mov_b64 s[4:5], 0
                                        ; implicit-def: $sgpr10
	s_and_saveexec_b64 s[8:9], s[6:7]
	s_xor_b64 s[6:7], exec, s[8:9]
	s_cbranch_execnz .LBB9_2209
; %bb.161:
	s_or_saveexec_b64 s[6:7], s[6:7]
	v_mov_b32_e32 v2, s10
	s_xor_b64 exec, exec, s[6:7]
	s_cbranch_execnz .LBB9_2212
.LBB9_162:
	s_or_b64 exec, exec, s[6:7]
	s_and_saveexec_b64 s[6:7], s[4:5]
	s_cbranch_execz .LBB9_164
.LBB9_163:
	v_and_b32_e32 v2, 7, v7
	v_ffbh_u32_e32 v12, v2
	v_min_u32_e32 v12, 32, v12
	v_lshrrev_b16_e32 v6, 3, v7
	v_subrev_u32_e32 v13, 28, v12
	v_and_b32_e32 v6, 15, v6
	v_lshlrev_b32_e32 v13, v13, v7
	v_sub_u32_e32 v12, 29, v12
	v_and_b32_e32 v13, 7, v13
	v_cmp_eq_u16_e32 vcc, 0, v6
	v_cndmask_b32_e32 v2, v2, v13, vcc
	v_cndmask_b32_e32 v6, v6, v12, vcc
	v_lshlrev_b32_e32 v12, 24, v7
	v_mov_b32_e32 v13, 0x3b800000
	v_lshlrev_b32_e32 v2, 20, v2
	v_and_b32_e32 v12, 0x80000000, v12
	v_lshl_add_u32 v6, v6, 23, v13
	v_or3_b32 v2, v12, v6, v2
.LBB9_164:
	s_or_b64 exec, exec, s[6:7]
	s_movk_i32 s4, 0x7f
	v_cmp_gt_i16_sdwa s[6:7], v3, s4 src0_sel:BYTE_0 src1_sel:DWORD
	s_mov_b64 s[4:5], 0
                                        ; implicit-def: $sgpr10
	s_and_saveexec_b64 s[8:9], s[6:7]
	s_xor_b64 s[6:7], exec, s[8:9]
	s_cbranch_execnz .LBB9_2213
; %bb.165:
	s_or_saveexec_b64 s[6:7], s[6:7]
	v_mov_b32_e32 v6, s10
	s_xor_b64 exec, exec, s[6:7]
	s_cbranch_execnz .LBB9_2216
.LBB9_166:
	s_or_b64 exec, exec, s[6:7]
	s_and_saveexec_b64 s[6:7], s[4:5]
	s_cbranch_execz .LBB9_168
.LBB9_167:
	v_and_b32_e32 v6, 7, v3
	v_ffbh_u32_e32 v13, v6
	v_min_u32_e32 v13, 32, v13
	v_lshrrev_b16_e32 v12, 3, v3
	v_subrev_u32_e32 v14, 28, v13
	v_and_b32_e32 v12, 15, v12
	v_lshlrev_b32_e32 v14, v14, v3
	v_sub_u32_e32 v13, 29, v13
	v_and_b32_e32 v14, 7, v14
	v_cmp_eq_u16_e32 vcc, 0, v12
	v_cndmask_b32_e32 v6, v6, v14, vcc
	v_cndmask_b32_e32 v12, v12, v13, vcc
	v_lshlrev_b32_e32 v13, 24, v3
	v_mov_b32_e32 v14, 0x3b800000
	v_lshlrev_b32_e32 v6, 20, v6
	v_and_b32_e32 v13, 0x80000000, v13
	v_lshl_add_u32 v12, v12, 23, v14
	v_or3_b32 v6, v13, v12, v6
.LBB9_168:
	s_or_b64 exec, exec, s[6:7]
	s_nop 0
	v_mfma_f32_16x16x4f32 a[0:3], v2, v6, a[0:3]
	v_lshrrev_b32_e32 v6, 8, v7
	s_movk_i32 s4, 0x7f
	v_cmp_gt_i16_sdwa s[6:7], v6, s4 src0_sel:BYTE_0 src1_sel:DWORD
	s_mov_b64 s[4:5], 0
                                        ; implicit-def: $sgpr10
	s_and_saveexec_b64 s[8:9], s[6:7]
	s_xor_b64 s[6:7], exec, s[8:9]
	s_cbranch_execnz .LBB9_2217
; %bb.169:
	s_or_saveexec_b64 s[6:7], s[6:7]
	v_mov_b32_e32 v2, s10
	s_xor_b64 exec, exec, s[6:7]
	s_cbranch_execnz .LBB9_2220
.LBB9_170:
	s_or_b64 exec, exec, s[6:7]
	s_and_saveexec_b64 s[6:7], s[4:5]
	s_cbranch_execz .LBB9_172
.LBB9_171:
	v_bfe_u32 v2, v7, 8, 3
	v_ffbh_u32_e32 v13, v2
	v_min_u32_e32 v13, 32, v13
	v_lshrrev_b16_e32 v12, 3, v6
	v_subrev_u32_e32 v14, 28, v13
	v_and_b32_e32 v12, 15, v12
	v_lshlrev_b32_e32 v6, v14, v6
	v_sub_u32_e32 v13, 29, v13
	v_and_b32_e32 v6, 7, v6
	v_cmp_eq_u16_e32 vcc, 0, v12
	v_cndmask_b32_e32 v2, v2, v6, vcc
	v_cndmask_b32_e32 v6, v12, v13, vcc
	v_lshlrev_b32_e32 v12, 16, v7
	v_mov_b32_e32 v13, 0x3b800000
	v_lshlrev_b32_e32 v2, 20, v2
	v_and_b32_e32 v12, 0x80000000, v12
	v_lshl_add_u32 v6, v6, 23, v13
	v_or3_b32 v2, v12, v6, v2
.LBB9_172:
	s_or_b64 exec, exec, s[6:7]
	v_lshrrev_b32_e32 v6, 8, v3
	s_movk_i32 s4, 0x7f
	v_cmp_gt_i16_sdwa s[6:7], v6, s4 src0_sel:BYTE_0 src1_sel:DWORD
	s_mov_b64 s[4:5], 0
                                        ; implicit-def: $sgpr10
	s_and_saveexec_b64 s[8:9], s[6:7]
	s_xor_b64 s[6:7], exec, s[8:9]
	s_cbranch_execnz .LBB9_2221
; %bb.173:
	s_or_saveexec_b64 s[6:7], s[6:7]
	v_mov_b32_e32 v12, s10
	s_xor_b64 exec, exec, s[6:7]
	s_cbranch_execnz .LBB9_2224
.LBB9_174:
	s_or_b64 exec, exec, s[6:7]
	s_and_saveexec_b64 s[6:7], s[4:5]
	s_cbranch_execz .LBB9_176
.LBB9_175:
	v_bfe_u32 v12, v3, 8, 3
	v_ffbh_u32_e32 v14, v12
	v_min_u32_e32 v14, 32, v14
	v_lshrrev_b16_e32 v13, 3, v6
	v_subrev_u32_e32 v15, 28, v14
	v_and_b32_e32 v13, 15, v13
	v_lshlrev_b32_e32 v6, v15, v6
	v_sub_u32_e32 v14, 29, v14
	v_and_b32_e32 v6, 7, v6
	v_cmp_eq_u16_e32 vcc, 0, v13
	v_cndmask_b32_e32 v6, v12, v6, vcc
	v_cndmask_b32_e32 v12, v13, v14, vcc
	v_lshlrev_b32_e32 v13, 16, v3
	v_mov_b32_e32 v14, 0x3b800000
	v_lshlrev_b32_e32 v6, 20, v6
	v_and_b32_e32 v13, 0x80000000, v13
	v_lshl_add_u32 v12, v12, 23, v14
	v_or3_b32 v12, v13, v12, v6
.LBB9_176:
	s_or_b64 exec, exec, s[6:7]
	s_nop 0
	v_mfma_f32_16x16x4f32 a[0:3], v2, v12, a[0:3]
	s_movk_i32 s4, 0xff
	v_and_b32_sdwa v6, v7, s4 dst_sel:DWORD dst_unused:UNUSED_PAD src0_sel:WORD_1 src1_sel:DWORD
	s_movk_i32 s4, 0x7f
	v_cmp_lt_i16_e32 vcc, s4, v6
	s_mov_b64 s[4:5], 0
                                        ; implicit-def: $sgpr10
	s_and_saveexec_b64 s[6:7], vcc
	s_xor_b64 s[6:7], exec, s[6:7]
	s_cbranch_execnz .LBB9_2225
; %bb.177:
	s_or_saveexec_b64 s[6:7], s[6:7]
	v_mov_b32_e32 v2, s10
	s_xor_b64 exec, exec, s[6:7]
	s_cbranch_execnz .LBB9_2228
.LBB9_178:
	s_or_b64 exec, exec, s[6:7]
	s_and_saveexec_b64 s[6:7], s[4:5]
	s_cbranch_execz .LBB9_180
.LBB9_179:
	v_bfe_u32 v2, v7, 16, 3
	v_ffbh_u32_e32 v13, v2
	v_min_u32_e32 v13, 32, v13
	v_lshrrev_b32_e32 v6, 19, v7
	v_subrev_u32_e32 v14, 28, v13
	v_and_b32_e32 v6, 15, v6
	v_lshlrev_b32_sdwa v14, v14, v7 dst_sel:DWORD dst_unused:UNUSED_PAD src0_sel:DWORD src1_sel:WORD_1
	v_bfe_u32 v12, v7, 19, 4
	v_sub_u32_e32 v13, 29, v13
	v_and_b32_e32 v14, 7, v14
	v_cmp_eq_u16_e32 vcc, 0, v6
	v_cndmask_b32_e32 v2, v2, v14, vcc
	v_cndmask_b32_e32 v6, v12, v13, vcc
	v_lshlrev_b32_e32 v12, 8, v7
	v_mov_b32_e32 v13, 0x3b800000
	v_lshlrev_b32_e32 v2, 20, v2
	v_and_b32_e32 v12, 0x80000000, v12
	v_lshl_add_u32 v6, v6, 23, v13
	v_or3_b32 v2, v12, v6, v2
.LBB9_180:
	s_or_b64 exec, exec, s[6:7]
	s_movk_i32 s4, 0xff
	v_and_b32_sdwa v6, v3, s4 dst_sel:DWORD dst_unused:UNUSED_PAD src0_sel:WORD_1 src1_sel:DWORD
	s_movk_i32 s4, 0x7f
	v_cmp_lt_i16_e32 vcc, s4, v6
	s_mov_b64 s[4:5], 0
                                        ; implicit-def: $sgpr10
	s_and_saveexec_b64 s[6:7], vcc
	s_xor_b64 s[6:7], exec, s[6:7]
	s_cbranch_execnz .LBB9_2229
; %bb.181:
	s_or_saveexec_b64 s[6:7], s[6:7]
	v_mov_b32_e32 v12, s10
	s_xor_b64 exec, exec, s[6:7]
	s_cbranch_execnz .LBB9_2232
.LBB9_182:
	s_or_b64 exec, exec, s[6:7]
	s_and_saveexec_b64 s[6:7], s[4:5]
	s_cbranch_execz .LBB9_184
.LBB9_183:
	v_bfe_u32 v6, v3, 16, 3
	v_ffbh_u32_e32 v14, v6
	v_min_u32_e32 v14, 32, v14
	v_lshrrev_b32_e32 v12, 19, v3
	v_subrev_u32_e32 v15, 28, v14
	v_and_b32_e32 v12, 15, v12
	v_lshlrev_b32_sdwa v15, v15, v3 dst_sel:DWORD dst_unused:UNUSED_PAD src0_sel:DWORD src1_sel:WORD_1
	v_bfe_u32 v13, v3, 19, 4
	v_sub_u32_e32 v14, 29, v14
	v_and_b32_e32 v15, 7, v15
	v_cmp_eq_u16_e32 vcc, 0, v12
	v_cndmask_b32_e32 v6, v6, v15, vcc
	v_cndmask_b32_e32 v12, v13, v14, vcc
	v_lshlrev_b32_e32 v13, 8, v3
	v_mov_b32_e32 v14, 0x3b800000
	v_lshlrev_b32_e32 v6, 20, v6
	v_and_b32_e32 v13, 0x80000000, v13
	v_lshl_add_u32 v12, v12, 23, v14
	v_or3_b32 v12, v13, v12, v6
.LBB9_184:
	s_or_b64 exec, exec, s[6:7]
	s_nop 0
	v_mfma_f32_16x16x4f32 a[0:3], v2, v12, a[0:3]
	s_movk_i32 s4, 0x7f
	v_cmp_gt_i16_sdwa s[6:7], v7, s4 src0_sel:BYTE_3 src1_sel:DWORD
	s_mov_b64 s[4:5], 0
                                        ; implicit-def: $sgpr10
	s_and_saveexec_b64 s[8:9], s[6:7]
	s_xor_b64 s[6:7], exec, s[8:9]
	s_cbranch_execnz .LBB9_2233
; %bb.185:
	s_or_saveexec_b64 s[6:7], s[6:7]
	v_mov_b32_e32 v2, s10
	s_xor_b64 exec, exec, s[6:7]
	s_cbranch_execnz .LBB9_2236
.LBB9_186:
	s_or_b64 exec, exec, s[6:7]
	s_and_saveexec_b64 s[6:7], s[4:5]
	s_cbranch_execz .LBB9_188
.LBB9_187:
	v_bfe_u32 v2, v7, 24, 3
	v_ffbh_u32_e32 v14, v2
	v_min_u32_e32 v14, 32, v14
	v_lshrrev_b32_e32 v12, 27, v7
	v_subrev_u32_e32 v15, 28, v14
	v_and_b32_e32 v6, 0x80000000, v7
	v_and_b32_e32 v12, 15, v12
	v_bfe_u32 v13, v7, 27, 4
	v_lshlrev_b32_sdwa v7, v15, v7 dst_sel:DWORD dst_unused:UNUSED_PAD src0_sel:DWORD src1_sel:BYTE_3
	v_sub_u32_e32 v14, 29, v14
	v_and_b32_e32 v7, 7, v7
	v_cmp_eq_u16_e32 vcc, 0, v12
	v_cndmask_b32_e32 v2, v2, v7, vcc
	v_cndmask_b32_e32 v7, v13, v14, vcc
	v_mov_b32_e32 v12, 0x3b800000
	v_lshlrev_b32_e32 v2, 20, v2
	v_lshl_add_u32 v7, v7, 23, v12
	v_or3_b32 v2, v6, v7, v2
.LBB9_188:
	s_or_b64 exec, exec, s[6:7]
	s_movk_i32 s4, 0x7f
	v_cmp_gt_i16_sdwa s[6:7], v3, s4 src0_sel:BYTE_3 src1_sel:DWORD
	s_mov_b64 s[4:5], 0
                                        ; implicit-def: $sgpr10
	s_and_saveexec_b64 s[8:9], s[6:7]
	s_xor_b64 s[6:7], exec, s[8:9]
	s_cbranch_execnz .LBB9_2237
; %bb.189:
	s_or_saveexec_b64 s[6:7], s[6:7]
	v_mov_b32_e32 v6, s10
	s_xor_b64 exec, exec, s[6:7]
	s_cbranch_execnz .LBB9_2240
.LBB9_190:
	s_or_b64 exec, exec, s[6:7]
	s_and_saveexec_b64 s[6:7], s[4:5]
	s_cbranch_execz .LBB9_192
.LBB9_191:
	v_bfe_u32 v6, v3, 24, 3
	v_ffbh_u32_e32 v14, v6
	v_min_u32_e32 v14, 32, v14
	v_lshrrev_b32_e32 v12, 27, v3
	v_subrev_u32_e32 v15, 28, v14
	v_and_b32_e32 v7, 0x80000000, v3
	v_and_b32_e32 v12, 15, v12
	v_bfe_u32 v13, v3, 27, 4
	v_lshlrev_b32_sdwa v3, v15, v3 dst_sel:DWORD dst_unused:UNUSED_PAD src0_sel:DWORD src1_sel:BYTE_3
	v_sub_u32_e32 v14, 29, v14
	v_and_b32_e32 v3, 7, v3
	v_cmp_eq_u16_e32 vcc, 0, v12
	v_cndmask_b32_e32 v3, v6, v3, vcc
	v_cndmask_b32_e32 v6, v13, v14, vcc
	v_mov_b32_e32 v12, 0x3b800000
	v_lshlrev_b32_e32 v3, 20, v3
	v_lshl_add_u32 v6, v6, 23, v12
	v_or3_b32 v6, v7, v6, v3
.LBB9_192:
	s_or_b64 exec, exec, s[6:7]
	s_nop 0
	v_mfma_f32_16x16x4f32 a[0:3], v2, v6, a[0:3]
	s_movk_i32 s4, 0x7f
	v_cmp_gt_i16_sdwa s[6:7], v8, s4 src0_sel:BYTE_0 src1_sel:DWORD
	s_mov_b64 s[4:5], 0
                                        ; implicit-def: $sgpr10
	s_and_saveexec_b64 s[8:9], s[6:7]
	s_xor_b64 s[6:7], exec, s[8:9]
	s_cbranch_execnz .LBB9_2241
; %bb.193:
	s_or_saveexec_b64 s[6:7], s[6:7]
	v_mov_b32_e32 v2, s10
	s_xor_b64 exec, exec, s[6:7]
	s_cbranch_execnz .LBB9_2244
.LBB9_194:
	s_or_b64 exec, exec, s[6:7]
	s_and_saveexec_b64 s[6:7], s[4:5]
	s_cbranch_execz .LBB9_196
.LBB9_195:
	v_and_b32_e32 v2, 7, v8
	v_ffbh_u32_e32 v6, v2
	v_min_u32_e32 v6, 32, v6
	v_lshrrev_b16_e32 v3, 3, v8
	v_subrev_u32_e32 v7, 28, v6
	v_and_b32_e32 v3, 15, v3
	v_lshlrev_b32_e32 v7, v7, v8
	v_sub_u32_e32 v6, 29, v6
	v_and_b32_e32 v7, 7, v7
	v_cmp_eq_u16_e32 vcc, 0, v3
	v_cndmask_b32_e32 v2, v2, v7, vcc
	v_cndmask_b32_e32 v3, v3, v6, vcc
	v_lshlrev_b32_e32 v6, 24, v8
	v_mov_b32_e32 v7, 0x3b800000
	v_lshlrev_b32_e32 v2, 20, v2
	v_and_b32_e32 v6, 0x80000000, v6
	v_lshl_add_u32 v3, v3, 23, v7
	v_or3_b32 v2, v6, v3, v2
.LBB9_196:
	s_or_b64 exec, exec, s[6:7]
	s_movk_i32 s4, 0x7f
	v_cmp_gt_i16_sdwa s[6:7], v4, s4 src0_sel:BYTE_0 src1_sel:DWORD
	s_mov_b64 s[4:5], 0
                                        ; implicit-def: $sgpr10
	s_and_saveexec_b64 s[8:9], s[6:7]
	s_xor_b64 s[6:7], exec, s[8:9]
	s_cbranch_execnz .LBB9_2245
; %bb.197:
	s_or_saveexec_b64 s[6:7], s[6:7]
	v_mov_b32_e32 v3, s10
	s_xor_b64 exec, exec, s[6:7]
	s_cbranch_execnz .LBB9_2248
.LBB9_198:
	s_or_b64 exec, exec, s[6:7]
	s_and_saveexec_b64 s[6:7], s[4:5]
	s_cbranch_execz .LBB9_200
.LBB9_199:
	v_and_b32_e32 v3, 7, v4
	v_ffbh_u32_e32 v7, v3
	v_min_u32_e32 v7, 32, v7
	v_lshrrev_b16_e32 v6, 3, v4
	v_subrev_u32_e32 v12, 28, v7
	v_and_b32_e32 v6, 15, v6
	v_lshlrev_b32_e32 v12, v12, v4
	v_sub_u32_e32 v7, 29, v7
	v_and_b32_e32 v12, 7, v12
	v_cmp_eq_u16_e32 vcc, 0, v6
	v_cndmask_b32_e32 v3, v3, v12, vcc
	v_cndmask_b32_e32 v6, v6, v7, vcc
	v_lshlrev_b32_e32 v7, 24, v4
	v_mov_b32_e32 v12, 0x3b800000
	v_lshlrev_b32_e32 v3, 20, v3
	v_and_b32_e32 v7, 0x80000000, v7
	v_lshl_add_u32 v6, v6, 23, v12
	v_or3_b32 v3, v7, v6, v3
.LBB9_200:
	s_or_b64 exec, exec, s[6:7]
	s_nop 0
	v_mfma_f32_16x16x4f32 a[0:3], v2, v3, a[0:3]
	v_lshrrev_b32_e32 v3, 8, v8
	s_movk_i32 s4, 0x7f
	v_cmp_gt_i16_sdwa s[6:7], v3, s4 src0_sel:BYTE_0 src1_sel:DWORD
	s_mov_b64 s[4:5], 0
                                        ; implicit-def: $sgpr10
	s_and_saveexec_b64 s[8:9], s[6:7]
	s_xor_b64 s[6:7], exec, s[8:9]
	s_cbranch_execnz .LBB9_2249
; %bb.201:
	s_or_saveexec_b64 s[6:7], s[6:7]
	v_mov_b32_e32 v2, s10
	s_xor_b64 exec, exec, s[6:7]
	s_cbranch_execnz .LBB9_2252
.LBB9_202:
	s_or_b64 exec, exec, s[6:7]
	s_and_saveexec_b64 s[6:7], s[4:5]
	s_cbranch_execz .LBB9_204
.LBB9_203:
	v_bfe_u32 v2, v8, 8, 3
	v_ffbh_u32_e32 v7, v2
	v_min_u32_e32 v7, 32, v7
	v_lshrrev_b16_e32 v6, 3, v3
	v_subrev_u32_e32 v12, 28, v7
	v_and_b32_e32 v6, 15, v6
	v_lshlrev_b32_e32 v3, v12, v3
	v_sub_u32_e32 v7, 29, v7
	v_and_b32_e32 v3, 7, v3
	v_cmp_eq_u16_e32 vcc, 0, v6
	v_cndmask_b32_e32 v2, v2, v3, vcc
	v_cndmask_b32_e32 v3, v6, v7, vcc
	v_lshlrev_b32_e32 v6, 16, v8
	v_mov_b32_e32 v7, 0x3b800000
	v_lshlrev_b32_e32 v2, 20, v2
	v_and_b32_e32 v6, 0x80000000, v6
	v_lshl_add_u32 v3, v3, 23, v7
	v_or3_b32 v2, v6, v3, v2
.LBB9_204:
	s_or_b64 exec, exec, s[6:7]
	v_lshrrev_b32_e32 v3, 8, v4
	s_movk_i32 s4, 0x7f
	v_cmp_gt_i16_sdwa s[6:7], v3, s4 src0_sel:BYTE_0 src1_sel:DWORD
	s_mov_b64 s[4:5], 0
                                        ; implicit-def: $sgpr10
	s_and_saveexec_b64 s[8:9], s[6:7]
	s_xor_b64 s[6:7], exec, s[8:9]
	s_cbranch_execnz .LBB9_2253
; %bb.205:
	s_or_saveexec_b64 s[6:7], s[6:7]
	v_mov_b32_e32 v6, s10
	s_xor_b64 exec, exec, s[6:7]
	s_cbranch_execnz .LBB9_2256
.LBB9_206:
	s_or_b64 exec, exec, s[6:7]
	s_and_saveexec_b64 s[6:7], s[4:5]
	s_cbranch_execz .LBB9_208
.LBB9_207:
	v_bfe_u32 v6, v4, 8, 3
	v_ffbh_u32_e32 v12, v6
	v_min_u32_e32 v12, 32, v12
	v_lshrrev_b16_e32 v7, 3, v3
	v_subrev_u32_e32 v13, 28, v12
	v_and_b32_e32 v7, 15, v7
	v_lshlrev_b32_e32 v3, v13, v3
	v_sub_u32_e32 v12, 29, v12
	v_and_b32_e32 v3, 7, v3
	v_cmp_eq_u16_e32 vcc, 0, v7
	v_cndmask_b32_e32 v3, v6, v3, vcc
	v_cndmask_b32_e32 v6, v7, v12, vcc
	v_lshlrev_b32_e32 v7, 16, v4
	v_mov_b32_e32 v12, 0x3b800000
	v_lshlrev_b32_e32 v3, 20, v3
	v_and_b32_e32 v7, 0x80000000, v7
	v_lshl_add_u32 v6, v6, 23, v12
	v_or3_b32 v6, v7, v6, v3
.LBB9_208:
	s_or_b64 exec, exec, s[6:7]
	s_nop 0
	v_mfma_f32_16x16x4f32 a[0:3], v2, v6, a[0:3]
	s_movk_i32 s4, 0xff
	v_and_b32_sdwa v3, v8, s4 dst_sel:DWORD dst_unused:UNUSED_PAD src0_sel:WORD_1 src1_sel:DWORD
	s_movk_i32 s4, 0x7f
	v_cmp_lt_i16_e32 vcc, s4, v3
	s_mov_b64 s[4:5], 0
                                        ; implicit-def: $sgpr10
	s_and_saveexec_b64 s[6:7], vcc
	s_xor_b64 s[6:7], exec, s[6:7]
	s_cbranch_execnz .LBB9_2257
; %bb.209:
	s_or_saveexec_b64 s[6:7], s[6:7]
	v_mov_b32_e32 v2, s10
	s_xor_b64 exec, exec, s[6:7]
	s_cbranch_execnz .LBB9_2260
.LBB9_210:
	s_or_b64 exec, exec, s[6:7]
	s_and_saveexec_b64 s[6:7], s[4:5]
	s_cbranch_execz .LBB9_212
.LBB9_211:
	v_bfe_u32 v2, v8, 16, 3
	v_ffbh_u32_e32 v7, v2
	v_min_u32_e32 v7, 32, v7
	v_lshrrev_b32_e32 v3, 19, v8
	v_subrev_u32_e32 v12, 28, v7
	v_and_b32_e32 v3, 15, v3
	v_lshlrev_b32_sdwa v12, v12, v8 dst_sel:DWORD dst_unused:UNUSED_PAD src0_sel:DWORD src1_sel:WORD_1
	v_bfe_u32 v6, v8, 19, 4
	v_sub_u32_e32 v7, 29, v7
	v_and_b32_e32 v12, 7, v12
	v_cmp_eq_u16_e32 vcc, 0, v3
	v_cndmask_b32_e32 v2, v2, v12, vcc
	v_cndmask_b32_e32 v3, v6, v7, vcc
	v_lshlrev_b32_e32 v6, 8, v8
	v_mov_b32_e32 v7, 0x3b800000
	v_lshlrev_b32_e32 v2, 20, v2
	v_and_b32_e32 v6, 0x80000000, v6
	v_lshl_add_u32 v3, v3, 23, v7
	v_or3_b32 v2, v6, v3, v2
.LBB9_212:
	s_or_b64 exec, exec, s[6:7]
	s_movk_i32 s4, 0xff
	v_and_b32_sdwa v3, v4, s4 dst_sel:DWORD dst_unused:UNUSED_PAD src0_sel:WORD_1 src1_sel:DWORD
	s_movk_i32 s4, 0x7f
	v_cmp_lt_i16_e32 vcc, s4, v3
	s_mov_b64 s[4:5], 0
                                        ; implicit-def: $sgpr10
	s_and_saveexec_b64 s[6:7], vcc
	s_xor_b64 s[6:7], exec, s[6:7]
	s_cbranch_execnz .LBB9_2261
; %bb.213:
	s_or_saveexec_b64 s[6:7], s[6:7]
	v_mov_b32_e32 v6, s10
	s_xor_b64 exec, exec, s[6:7]
	s_cbranch_execnz .LBB9_2264
.LBB9_214:
	s_or_b64 exec, exec, s[6:7]
	s_and_saveexec_b64 s[6:7], s[4:5]
	s_cbranch_execz .LBB9_216
.LBB9_215:
	v_bfe_u32 v3, v4, 16, 3
	v_ffbh_u32_e32 v12, v3
	v_min_u32_e32 v12, 32, v12
	v_lshrrev_b32_e32 v6, 19, v4
	v_subrev_u32_e32 v13, 28, v12
	v_and_b32_e32 v6, 15, v6
	v_lshlrev_b32_sdwa v13, v13, v4 dst_sel:DWORD dst_unused:UNUSED_PAD src0_sel:DWORD src1_sel:WORD_1
	v_bfe_u32 v7, v4, 19, 4
	v_sub_u32_e32 v12, 29, v12
	v_and_b32_e32 v13, 7, v13
	v_cmp_eq_u16_e32 vcc, 0, v6
	v_cndmask_b32_e32 v3, v3, v13, vcc
	v_cndmask_b32_e32 v6, v7, v12, vcc
	v_lshlrev_b32_e32 v7, 8, v4
	v_mov_b32_e32 v12, 0x3b800000
	v_lshlrev_b32_e32 v3, 20, v3
	v_and_b32_e32 v7, 0x80000000, v7
	v_lshl_add_u32 v6, v6, 23, v12
	v_or3_b32 v6, v7, v6, v3
.LBB9_216:
	s_or_b64 exec, exec, s[6:7]
	s_nop 0
	v_mfma_f32_16x16x4f32 a[0:3], v2, v6, a[0:3]
	s_movk_i32 s4, 0x7f
	v_cmp_gt_i16_sdwa s[6:7], v8, s4 src0_sel:BYTE_3 src1_sel:DWORD
	s_mov_b64 s[4:5], 0
                                        ; implicit-def: $sgpr10
	s_and_saveexec_b64 s[8:9], s[6:7]
	s_xor_b64 s[6:7], exec, s[8:9]
	s_cbranch_execnz .LBB9_2265
; %bb.217:
	s_or_saveexec_b64 s[6:7], s[6:7]
	v_mov_b32_e32 v2, s10
	s_xor_b64 exec, exec, s[6:7]
	s_cbranch_execnz .LBB9_2268
.LBB9_218:
	s_or_b64 exec, exec, s[6:7]
	s_and_saveexec_b64 s[6:7], s[4:5]
	s_cbranch_execz .LBB9_220
.LBB9_219:
	v_bfe_u32 v2, v8, 24, 3
	v_ffbh_u32_e32 v12, v2
	v_min_u32_e32 v12, 32, v12
	v_lshrrev_b32_e32 v6, 27, v8
	v_subrev_u32_e32 v13, 28, v12
	v_and_b32_e32 v3, 0x80000000, v8
	v_and_b32_e32 v6, 15, v6
	v_bfe_u32 v7, v8, 27, 4
	v_lshlrev_b32_sdwa v8, v13, v8 dst_sel:DWORD dst_unused:UNUSED_PAD src0_sel:DWORD src1_sel:BYTE_3
	v_sub_u32_e32 v12, 29, v12
	v_and_b32_e32 v8, 7, v8
	v_cmp_eq_u16_e32 vcc, 0, v6
	v_cndmask_b32_e32 v2, v2, v8, vcc
	v_cndmask_b32_e32 v6, v7, v12, vcc
	v_mov_b32_e32 v7, 0x3b800000
	v_lshlrev_b32_e32 v2, 20, v2
	v_lshl_add_u32 v6, v6, 23, v7
	v_or3_b32 v2, v3, v6, v2
.LBB9_220:
	s_or_b64 exec, exec, s[6:7]
	s_movk_i32 s4, 0x7f
	v_cmp_gt_i16_sdwa s[6:7], v4, s4 src0_sel:BYTE_3 src1_sel:DWORD
	s_mov_b64 s[4:5], 0
                                        ; implicit-def: $sgpr10
	s_and_saveexec_b64 s[8:9], s[6:7]
	s_xor_b64 s[6:7], exec, s[8:9]
	s_cbranch_execnz .LBB9_2269
; %bb.221:
	s_or_saveexec_b64 s[6:7], s[6:7]
	v_mov_b32_e32 v3, s10
	s_xor_b64 exec, exec, s[6:7]
	s_cbranch_execnz .LBB9_2272
.LBB9_222:
	s_or_b64 exec, exec, s[6:7]
	s_and_saveexec_b64 s[6:7], s[4:5]
	s_cbranch_execz .LBB9_224
.LBB9_223:
	v_bfe_u32 v3, v4, 24, 3
	v_ffbh_u32_e32 v12, v3
	v_min_u32_e32 v12, 32, v12
	v_lshrrev_b32_e32 v7, 27, v4
	v_subrev_u32_e32 v13, 28, v12
	v_and_b32_e32 v6, 0x80000000, v4
	v_and_b32_e32 v7, 15, v7
	v_bfe_u32 v8, v4, 27, 4
	v_lshlrev_b32_sdwa v4, v13, v4 dst_sel:DWORD dst_unused:UNUSED_PAD src0_sel:DWORD src1_sel:BYTE_3
	v_sub_u32_e32 v12, 29, v12
	v_and_b32_e32 v4, 7, v4
	v_cmp_eq_u16_e32 vcc, 0, v7
	v_cndmask_b32_e32 v3, v3, v4, vcc
	v_cndmask_b32_e32 v4, v8, v12, vcc
	v_mov_b32_e32 v7, 0x3b800000
	v_lshlrev_b32_e32 v3, 20, v3
	v_lshl_add_u32 v4, v4, 23, v7
	v_or3_b32 v3, v6, v4, v3
.LBB9_224:
	s_or_b64 exec, exec, s[6:7]
	s_nop 0
	v_mfma_f32_16x16x4f32 a[0:3], v2, v3, a[0:3]
	s_movk_i32 s4, 0x7f
	v_cmp_gt_i16_sdwa s[6:7], v9, s4 src0_sel:BYTE_0 src1_sel:DWORD
	s_mov_b64 s[4:5], 0
                                        ; implicit-def: $sgpr10
	s_and_saveexec_b64 s[8:9], s[6:7]
	s_xor_b64 s[6:7], exec, s[8:9]
	s_cbranch_execnz .LBB9_2273
; %bb.225:
	s_or_saveexec_b64 s[6:7], s[6:7]
	v_mov_b32_e32 v2, s10
	s_xor_b64 exec, exec, s[6:7]
	s_cbranch_execnz .LBB9_2276
.LBB9_226:
	s_or_b64 exec, exec, s[6:7]
	s_and_saveexec_b64 s[6:7], s[4:5]
	s_cbranch_execz .LBB9_228
.LBB9_227:
	v_mov_b32_e32 v2, 8
	v_and_b32_e32 v3, 7, v9
	v_lshrrev_b32_sdwa v2, v2, v9 dst_sel:BYTE_1 dst_unused:UNUSED_PAD src0_sel:DWORD src1_sel:DWORD
	v_ffbh_u32_e32 v4, v3
	v_or_b32_sdwa v2, v9, v2 dst_sel:DWORD dst_unused:UNUSED_PAD src0_sel:BYTE_0 src1_sel:DWORD
	v_min_u32_e32 v4, 32, v4
	v_lshrrev_b16_e32 v2, 3, v2
	v_subrev_u32_e32 v6, 28, v4
	v_and_b32_e32 v2, 15, v2
	v_lshlrev_b32_e32 v6, v6, v9
	v_sub_u32_e32 v4, 29, v4
	v_and_b32_e32 v6, 7, v6
	v_cmp_eq_u16_e32 vcc, 0, v2
	v_cndmask_b32_e32 v3, v3, v6, vcc
	v_cndmask_b32_e32 v2, v2, v4, vcc
	v_lshlrev_b32_e32 v4, 24, v9
	v_mov_b32_e32 v6, 0x3b800000
	v_lshlrev_b32_e32 v3, 20, v3
	v_and_b32_e32 v4, 0x80000000, v4
	v_lshl_add_u32 v2, v2, 23, v6
	v_or3_b32 v2, v4, v2, v3
.LBB9_228:
	s_or_b64 exec, exec, s[6:7]
	s_movk_i32 s4, 0x7f
	v_cmp_gt_i16_sdwa s[6:7], v5, s4 src0_sel:BYTE_0 src1_sel:DWORD
	s_mov_b64 s[4:5], 0
                                        ; implicit-def: $sgpr10
	s_and_saveexec_b64 s[8:9], s[6:7]
	s_xor_b64 s[6:7], exec, s[8:9]
	s_cbranch_execnz .LBB9_2277
; %bb.229:
	s_or_saveexec_b64 s[6:7], s[6:7]
	v_mov_b32_e32 v3, s10
	s_xor_b64 exec, exec, s[6:7]
	s_cbranch_execnz .LBB9_2280
.LBB9_230:
	s_or_b64 exec, exec, s[6:7]
	s_and_saveexec_b64 s[6:7], s[4:5]
	s_cbranch_execz .LBB9_232
.LBB9_231:
	v_mov_b32_e32 v3, 8
	v_and_b32_e32 v4, 7, v5
	v_lshrrev_b32_sdwa v3, v3, v5 dst_sel:BYTE_1 dst_unused:UNUSED_PAD src0_sel:DWORD src1_sel:DWORD
	v_ffbh_u32_e32 v6, v4
	v_or_b32_sdwa v3, v5, v3 dst_sel:DWORD dst_unused:UNUSED_PAD src0_sel:BYTE_0 src1_sel:DWORD
	v_min_u32_e32 v6, 32, v6
	v_lshrrev_b16_e32 v3, 3, v3
	v_subrev_u32_e32 v7, 28, v6
	v_and_b32_e32 v3, 15, v3
	v_lshlrev_b32_e32 v7, v7, v5
	v_sub_u32_e32 v6, 29, v6
	v_and_b32_e32 v7, 7, v7
	v_cmp_eq_u16_e32 vcc, 0, v3
	v_cndmask_b32_e32 v4, v4, v7, vcc
	v_cndmask_b32_e32 v3, v3, v6, vcc
	v_lshlrev_b32_e32 v6, 24, v5
	v_mov_b32_e32 v7, 0x3b800000
	v_lshlrev_b32_e32 v4, 20, v4
	v_and_b32_e32 v6, 0x80000000, v6
	v_lshl_add_u32 v3, v3, 23, v7
	v_or3_b32 v3, v6, v3, v4
.LBB9_232:
	s_or_b64 exec, exec, s[6:7]
	s_nop 0
	v_mfma_f32_16x16x4f32 a[0:3], v2, v3, a[0:3]
	v_lshrrev_b32_e32 v3, 8, v9
	s_movk_i32 s4, 0x7f
	v_cmp_gt_i16_sdwa s[6:7], v3, s4 src0_sel:BYTE_0 src1_sel:DWORD
	s_mov_b64 s[4:5], 0
                                        ; implicit-def: $sgpr10
	s_and_saveexec_b64 s[8:9], s[6:7]
	s_xor_b64 s[6:7], exec, s[8:9]
	s_cbranch_execnz .LBB9_2281
; %bb.233:
	s_or_saveexec_b64 s[6:7], s[6:7]
	v_mov_b32_e32 v2, s10
	s_xor_b64 exec, exec, s[6:7]
	s_cbranch_execnz .LBB9_2284
.LBB9_234:
	s_or_b64 exec, exec, s[6:7]
	s_and_saveexec_b64 s[6:7], s[4:5]
	s_cbranch_execz .LBB9_236
.LBB9_235:
	v_bfe_u32 v2, v9, 8, 3
	v_ffbh_u32_e32 v6, v2
	v_min_u32_e32 v6, 32, v6
	v_lshrrev_b16_e32 v4, 3, v3
	v_subrev_u32_e32 v7, 28, v6
	v_and_b32_e32 v4, 15, v4
	v_lshlrev_b32_e32 v3, v7, v3
	v_sub_u32_e32 v6, 29, v6
	v_and_b32_e32 v3, 7, v3
	v_cmp_eq_u16_e32 vcc, 0, v4
	v_cndmask_b32_e32 v2, v2, v3, vcc
	v_cndmask_b32_e32 v3, v4, v6, vcc
	v_lshlrev_b32_e32 v4, 16, v9
	v_mov_b32_e32 v6, 0x3b800000
	v_lshlrev_b32_e32 v2, 20, v2
	v_and_b32_e32 v4, 0x80000000, v4
	v_lshl_add_u32 v3, v3, 23, v6
	v_or3_b32 v2, v4, v3, v2
.LBB9_236:
	s_or_b64 exec, exec, s[6:7]
	v_lshrrev_b32_e32 v3, 8, v5
	s_movk_i32 s4, 0x7f
	v_cmp_gt_i16_sdwa s[6:7], v3, s4 src0_sel:BYTE_0 src1_sel:DWORD
	s_mov_b64 s[4:5], 0
                                        ; implicit-def: $sgpr10
	s_and_saveexec_b64 s[8:9], s[6:7]
	s_xor_b64 s[6:7], exec, s[8:9]
	s_cbranch_execnz .LBB9_2285
; %bb.237:
	s_or_saveexec_b64 s[6:7], s[6:7]
	v_mov_b32_e32 v4, s10
	s_xor_b64 exec, exec, s[6:7]
	s_cbranch_execnz .LBB9_2288
.LBB9_238:
	s_or_b64 exec, exec, s[6:7]
	s_and_saveexec_b64 s[6:7], s[4:5]
	s_cbranch_execz .LBB9_240
.LBB9_239:
	v_bfe_u32 v4, v5, 8, 3
	v_ffbh_u32_e32 v7, v4
	v_min_u32_e32 v7, 32, v7
	v_lshrrev_b16_e32 v6, 3, v3
	v_subrev_u32_e32 v8, 28, v7
	v_and_b32_e32 v6, 15, v6
	v_lshlrev_b32_e32 v3, v8, v3
	v_sub_u32_e32 v7, 29, v7
	v_and_b32_e32 v3, 7, v3
	v_cmp_eq_u16_e32 vcc, 0, v6
	v_cndmask_b32_e32 v3, v4, v3, vcc
	v_cndmask_b32_e32 v4, v6, v7, vcc
	v_lshlrev_b32_e32 v6, 16, v5
	v_mov_b32_e32 v7, 0x3b800000
	v_lshlrev_b32_e32 v3, 20, v3
	v_and_b32_e32 v6, 0x80000000, v6
	v_lshl_add_u32 v4, v4, 23, v7
	v_or3_b32 v4, v6, v4, v3
.LBB9_240:
	s_or_b64 exec, exec, s[6:7]
	s_nop 0
	v_mfma_f32_16x16x4f32 a[0:3], v2, v4, a[0:3]
	s_movk_i32 s4, 0xff
	v_and_b32_sdwa v3, v9, s4 dst_sel:DWORD dst_unused:UNUSED_PAD src0_sel:WORD_1 src1_sel:DWORD
	s_movk_i32 s4, 0x7f
	v_cmp_lt_i16_e32 vcc, s4, v3
	s_mov_b64 s[4:5], 0
                                        ; implicit-def: $sgpr10
	s_and_saveexec_b64 s[6:7], vcc
	s_xor_b64 s[6:7], exec, s[6:7]
	s_cbranch_execnz .LBB9_2289
; %bb.241:
	s_or_saveexec_b64 s[6:7], s[6:7]
	v_mov_b32_e32 v2, s10
	s_xor_b64 exec, exec, s[6:7]
	s_cbranch_execnz .LBB9_2292
.LBB9_242:
	s_or_b64 exec, exec, s[6:7]
	s_and_saveexec_b64 s[6:7], s[4:5]
	s_cbranch_execz .LBB9_244
.LBB9_243:
	v_bfe_u32 v2, v9, 16, 3
	v_ffbh_u32_e32 v6, v2
	v_min_u32_e32 v6, 32, v6
	v_lshrrev_b32_e32 v3, 19, v9
	v_subrev_u32_e32 v7, 28, v6
	v_and_b32_e32 v3, 15, v3
	v_lshlrev_b32_sdwa v7, v7, v9 dst_sel:DWORD dst_unused:UNUSED_PAD src0_sel:DWORD src1_sel:WORD_1
	v_bfe_u32 v4, v9, 19, 4
	v_sub_u32_e32 v6, 29, v6
	v_and_b32_e32 v7, 7, v7
	v_cmp_eq_u16_e32 vcc, 0, v3
	v_cndmask_b32_e32 v2, v2, v7, vcc
	v_cndmask_b32_e32 v3, v4, v6, vcc
	v_lshlrev_b32_e32 v4, 8, v9
	v_mov_b32_e32 v6, 0x3b800000
	v_lshlrev_b32_e32 v2, 20, v2
	v_and_b32_e32 v4, 0x80000000, v4
	v_lshl_add_u32 v3, v3, 23, v6
	v_or3_b32 v2, v4, v3, v2
.LBB9_244:
	s_or_b64 exec, exec, s[6:7]
	s_movk_i32 s4, 0xff
	v_and_b32_sdwa v3, v5, s4 dst_sel:DWORD dst_unused:UNUSED_PAD src0_sel:WORD_1 src1_sel:DWORD
	s_movk_i32 s4, 0x7f
	v_cmp_lt_i16_e32 vcc, s4, v3
	s_mov_b64 s[4:5], 0
                                        ; implicit-def: $sgpr10
	s_and_saveexec_b64 s[6:7], vcc
	s_xor_b64 s[6:7], exec, s[6:7]
	s_cbranch_execnz .LBB9_2293
; %bb.245:
	s_or_saveexec_b64 s[6:7], s[6:7]
	v_mov_b32_e32 v4, s10
	s_xor_b64 exec, exec, s[6:7]
	s_cbranch_execnz .LBB9_2296
.LBB9_246:
	s_or_b64 exec, exec, s[6:7]
	s_and_saveexec_b64 s[6:7], s[4:5]
	s_cbranch_execz .LBB9_248
.LBB9_247:
	v_bfe_u32 v3, v5, 16, 3
	v_ffbh_u32_e32 v7, v3
	v_min_u32_e32 v7, 32, v7
	v_lshrrev_b32_e32 v4, 19, v5
	v_subrev_u32_e32 v8, 28, v7
	v_and_b32_e32 v4, 15, v4
	v_lshlrev_b32_sdwa v8, v8, v5 dst_sel:DWORD dst_unused:UNUSED_PAD src0_sel:DWORD src1_sel:WORD_1
	v_bfe_u32 v6, v5, 19, 4
	v_sub_u32_e32 v7, 29, v7
	v_and_b32_e32 v8, 7, v8
	v_cmp_eq_u16_e32 vcc, 0, v4
	v_cndmask_b32_e32 v3, v3, v8, vcc
	v_cndmask_b32_e32 v4, v6, v7, vcc
	v_lshlrev_b32_e32 v6, 8, v5
	v_mov_b32_e32 v7, 0x3b800000
	v_lshlrev_b32_e32 v3, 20, v3
	v_and_b32_e32 v6, 0x80000000, v6
	v_lshl_add_u32 v4, v4, 23, v7
	v_or3_b32 v4, v6, v4, v3
.LBB9_248:
	s_or_b64 exec, exec, s[6:7]
	s_nop 0
	v_mfma_f32_16x16x4f32 a[0:3], v2, v4, a[0:3]
	s_movk_i32 s4, 0x7f
	v_cmp_gt_i16_sdwa s[6:7], v9, s4 src0_sel:BYTE_3 src1_sel:DWORD
	s_mov_b64 s[4:5], 0
                                        ; implicit-def: $sgpr10
	s_and_saveexec_b64 s[8:9], s[6:7]
	s_xor_b64 s[6:7], exec, s[8:9]
	s_cbranch_execnz .LBB9_2297
; %bb.249:
	s_or_saveexec_b64 s[6:7], s[6:7]
	v_mov_b32_e32 v2, s10
	s_xor_b64 exec, exec, s[6:7]
	s_cbranch_execnz .LBB9_2300
.LBB9_250:
	s_or_b64 exec, exec, s[6:7]
	s_and_saveexec_b64 s[6:7], s[4:5]
	s_cbranch_execz .LBB9_252
.LBB9_251:
	v_bfe_u32 v2, v9, 24, 3
	v_ffbh_u32_e32 v7, v2
	v_min_u32_e32 v7, 32, v7
	v_lshrrev_b32_e32 v4, 27, v9
	v_subrev_u32_e32 v8, 28, v7
	v_and_b32_e32 v4, 15, v4
	v_lshlrev_b32_sdwa v8, v8, v9 dst_sel:DWORD dst_unused:UNUSED_PAD src0_sel:DWORD src1_sel:BYTE_3
	v_bfe_u32 v6, v9, 27, 4
	v_sub_u32_e32 v7, 29, v7
	v_and_b32_e32 v8, 7, v8
	v_cmp_eq_u16_e32 vcc, 0, v4
	v_cndmask_b32_e32 v2, v2, v8, vcc
	v_cndmask_b32_e32 v4, v6, v7, vcc
	v_mov_b32_e32 v6, 0x3b800000
	v_and_b32_e32 v3, 0x80000000, v9
	v_lshlrev_b32_e32 v2, 20, v2
	v_lshl_add_u32 v4, v4, 23, v6
	v_or3_b32 v2, v3, v4, v2
.LBB9_252:
	s_or_b64 exec, exec, s[6:7]
	s_movk_i32 s4, 0x7f
	v_cmp_gt_i16_sdwa s[6:7], v5, s4 src0_sel:BYTE_3 src1_sel:DWORD
	s_mov_b64 s[4:5], 0
                                        ; implicit-def: $sgpr10
	s_and_saveexec_b64 s[8:9], s[6:7]
	s_xor_b64 s[6:7], exec, s[8:9]
	s_cbranch_execnz .LBB9_2301
; %bb.253:
	s_or_saveexec_b64 s[6:7], s[6:7]
	v_mov_b32_e32 v3, s10
	s_xor_b64 exec, exec, s[6:7]
	s_cbranch_execnz .LBB9_2304
.LBB9_254:
	s_or_b64 exec, exec, s[6:7]
	s_and_saveexec_b64 s[6:7], s[4:5]
	s_cbranch_execz .LBB9_256
.LBB9_255:
	v_bfe_u32 v3, v5, 24, 3
	v_ffbh_u32_e32 v8, v3
	v_min_u32_e32 v8, 32, v8
	v_lshrrev_b32_e32 v6, 27, v5
	v_subrev_u32_e32 v9, 28, v8
	v_and_b32_e32 v4, 0x80000000, v5
	v_and_b32_e32 v6, 15, v6
	v_bfe_u32 v7, v5, 27, 4
	v_lshlrev_b32_sdwa v5, v9, v5 dst_sel:DWORD dst_unused:UNUSED_PAD src0_sel:DWORD src1_sel:BYTE_3
	v_sub_u32_e32 v8, 29, v8
	v_and_b32_e32 v5, 7, v5
	v_cmp_eq_u16_e32 vcc, 0, v6
	v_cndmask_b32_e32 v3, v3, v5, vcc
	v_cndmask_b32_e32 v5, v7, v8, vcc
	v_mov_b32_e32 v6, 0x3b800000
	v_lshlrev_b32_e32 v3, 20, v3
	v_lshl_add_u32 v5, v5, 23, v6
	v_or3_b32 v3, v4, v5, v3
.LBB9_256:
	s_or_b64 exec, exec, s[6:7]
	s_nop 0
	v_mfma_f32_16x16x4f32 a[0:3], v2, v3, a[0:3]
	s_movk_i32 s4, 0x7f
                                        ; implicit-def: $sgpr10
	s_nop 7
	s_nop 1
	flat_store_dwordx4 v[10:11], a[0:3] offset:16
	flat_load_dwordx4 v[12:15], v[0:1] offset:8
	s_nop 0
	flat_load_dwordx2 v[10:11], v[0:1] offset:32
	s_waitcnt vmcnt(0) lgkmcnt(0)
	flat_load_dwordx4 v[6:9], v[12:13] offset:16
	flat_load_dwordx4 v[2:5], v[14:15] offset:80
	s_waitcnt vmcnt(0) lgkmcnt(0)
	v_cmp_gt_i16_sdwa s[6:7], v6, s4 src0_sel:BYTE_0 src1_sel:DWORD
	s_mov_b64 s[4:5], 0
	s_and_saveexec_b64 s[8:9], s[6:7]
	s_xor_b64 s[6:7], exec, s[8:9]
	s_cbranch_execnz .LBB9_2305
; %bb.257:
	s_or_saveexec_b64 s[6:7], s[6:7]
	v_mov_b32_e32 v12, s10
	s_xor_b64 exec, exec, s[6:7]
	s_cbranch_execnz .LBB9_2308
.LBB9_258:
	s_or_b64 exec, exec, s[6:7]
	s_and_saveexec_b64 s[6:7], s[4:5]
	s_cbranch_execz .LBB9_260
.LBB9_259:
	v_and_b32_e32 v12, 7, v6
	v_ffbh_u32_e32 v14, v12
	v_min_u32_e32 v14, 32, v14
	v_lshrrev_b16_e32 v13, 3, v6
	v_subrev_u32_e32 v15, 28, v14
	v_and_b32_e32 v13, 15, v13
	v_lshlrev_b32_e32 v15, v15, v6
	v_sub_u32_e32 v14, 29, v14
	v_and_b32_e32 v15, 7, v15
	v_cmp_eq_u16_e32 vcc, 0, v13
	v_cndmask_b32_e32 v12, v12, v15, vcc
	v_cndmask_b32_e32 v13, v13, v14, vcc
	v_lshlrev_b32_e32 v14, 24, v6
	v_mov_b32_e32 v15, 0x3b800000
	v_lshlrev_b32_e32 v12, 20, v12
	v_and_b32_e32 v14, 0x80000000, v14
	v_lshl_add_u32 v13, v13, 23, v15
	v_or3_b32 v12, v14, v13, v12
.LBB9_260:
	s_or_b64 exec, exec, s[6:7]
	s_movk_i32 s4, 0x7f
	v_cmp_gt_i16_sdwa s[6:7], v2, s4 src0_sel:BYTE_0 src1_sel:DWORD
	s_mov_b64 s[4:5], 0
                                        ; implicit-def: $sgpr10
	s_and_saveexec_b64 s[8:9], s[6:7]
	s_xor_b64 s[6:7], exec, s[8:9]
	s_cbranch_execnz .LBB9_2309
; %bb.261:
	s_or_saveexec_b64 s[6:7], s[6:7]
	v_mov_b32_e32 v13, s10
	s_xor_b64 exec, exec, s[6:7]
	s_cbranch_execnz .LBB9_2312
.LBB9_262:
	s_or_b64 exec, exec, s[6:7]
	s_and_saveexec_b64 s[6:7], s[4:5]
	s_cbranch_execz .LBB9_264
.LBB9_263:
	v_and_b32_e32 v13, 7, v2
	v_ffbh_u32_e32 v15, v13
	v_min_u32_e32 v15, 32, v15
	v_lshrrev_b16_e32 v14, 3, v2
	v_subrev_u32_e32 v16, 28, v15
	v_and_b32_e32 v14, 15, v14
	v_lshlrev_b32_e32 v16, v16, v2
	v_sub_u32_e32 v15, 29, v15
	v_and_b32_e32 v16, 7, v16
	v_cmp_eq_u16_e32 vcc, 0, v14
	v_cndmask_b32_e32 v13, v13, v16, vcc
	v_cndmask_b32_e32 v14, v14, v15, vcc
	v_lshlrev_b32_e32 v15, 24, v2
	v_mov_b32_e32 v16, 0x3b800000
	v_lshlrev_b32_e32 v13, 20, v13
	v_and_b32_e32 v15, 0x80000000, v15
	v_lshl_add_u32 v14, v14, 23, v16
	v_or3_b32 v13, v15, v14, v13
.LBB9_264:
	s_or_b64 exec, exec, s[6:7]
	flat_load_dwordx4 a[0:3], v[10:11] offset:32
	s_movk_i32 s4, 0x7f
                                        ; implicit-def: $sgpr10
	s_waitcnt vmcnt(0) lgkmcnt(0)
	v_mfma_f32_16x16x4f32 a[0:3], v12, v13, a[0:3]
	v_lshrrev_b32_e32 v13, 8, v6
	v_cmp_gt_i16_sdwa s[6:7], v13, s4 src0_sel:BYTE_0 src1_sel:DWORD
	s_mov_b64 s[4:5], 0
	s_and_saveexec_b64 s[8:9], s[6:7]
	s_xor_b64 s[6:7], exec, s[8:9]
	s_cbranch_execnz .LBB9_2313
; %bb.265:
	s_or_saveexec_b64 s[6:7], s[6:7]
	v_mov_b32_e32 v12, s10
	s_xor_b64 exec, exec, s[6:7]
	s_cbranch_execnz .LBB9_2316
.LBB9_266:
	s_or_b64 exec, exec, s[6:7]
	s_and_saveexec_b64 s[6:7], s[4:5]
	s_cbranch_execz .LBB9_268
.LBB9_267:
	v_bfe_u32 v12, v6, 8, 3
	v_ffbh_u32_e32 v15, v12
	v_min_u32_e32 v15, 32, v15
	v_lshrrev_b16_e32 v14, 3, v13
	v_subrev_u32_e32 v16, 28, v15
	v_and_b32_e32 v14, 15, v14
	v_lshlrev_b32_e32 v13, v16, v13
	v_sub_u32_e32 v15, 29, v15
	v_and_b32_e32 v13, 7, v13
	v_cmp_eq_u16_e32 vcc, 0, v14
	v_cndmask_b32_e32 v12, v12, v13, vcc
	v_cndmask_b32_e32 v13, v14, v15, vcc
	v_lshlrev_b32_e32 v14, 16, v6
	v_mov_b32_e32 v15, 0x3b800000
	v_lshlrev_b32_e32 v12, 20, v12
	v_and_b32_e32 v14, 0x80000000, v14
	v_lshl_add_u32 v13, v13, 23, v15
	v_or3_b32 v12, v14, v13, v12
.LBB9_268:
	s_or_b64 exec, exec, s[6:7]
	v_lshrrev_b32_e32 v13, 8, v2
	s_movk_i32 s4, 0x7f
	v_cmp_gt_i16_sdwa s[6:7], v13, s4 src0_sel:BYTE_0 src1_sel:DWORD
	s_mov_b64 s[4:5], 0
                                        ; implicit-def: $sgpr10
	s_and_saveexec_b64 s[8:9], s[6:7]
	s_xor_b64 s[6:7], exec, s[8:9]
	s_cbranch_execnz .LBB9_2317
; %bb.269:
	s_or_saveexec_b64 s[6:7], s[6:7]
	v_mov_b32_e32 v14, s10
	s_xor_b64 exec, exec, s[6:7]
	s_cbranch_execnz .LBB9_2320
.LBB9_270:
	s_or_b64 exec, exec, s[6:7]
	s_and_saveexec_b64 s[6:7], s[4:5]
	s_cbranch_execz .LBB9_272
.LBB9_271:
	v_bfe_u32 v14, v2, 8, 3
	v_ffbh_u32_e32 v16, v14
	v_min_u32_e32 v16, 32, v16
	v_lshrrev_b16_e32 v15, 3, v13
	v_subrev_u32_e32 v17, 28, v16
	v_and_b32_e32 v15, 15, v15
	v_lshlrev_b32_e32 v13, v17, v13
	v_sub_u32_e32 v16, 29, v16
	v_and_b32_e32 v13, 7, v13
	v_cmp_eq_u16_e32 vcc, 0, v15
	v_cndmask_b32_e32 v13, v14, v13, vcc
	v_cndmask_b32_e32 v14, v15, v16, vcc
	v_lshlrev_b32_e32 v15, 16, v2
	v_mov_b32_e32 v16, 0x3b800000
	v_lshlrev_b32_e32 v13, 20, v13
	v_and_b32_e32 v15, 0x80000000, v15
	v_lshl_add_u32 v14, v14, 23, v16
	v_or3_b32 v14, v15, v14, v13
.LBB9_272:
	s_or_b64 exec, exec, s[6:7]
	s_nop 0
	v_mfma_f32_16x16x4f32 a[0:3], v12, v14, a[0:3]
	s_movk_i32 s4, 0xff
	v_and_b32_sdwa v13, v6, s4 dst_sel:DWORD dst_unused:UNUSED_PAD src0_sel:WORD_1 src1_sel:DWORD
	s_movk_i32 s4, 0x7f
	v_cmp_lt_i16_e32 vcc, s4, v13
	s_mov_b64 s[4:5], 0
                                        ; implicit-def: $sgpr10
	s_and_saveexec_b64 s[6:7], vcc
	s_xor_b64 s[6:7], exec, s[6:7]
	s_cbranch_execnz .LBB9_2321
; %bb.273:
	s_or_saveexec_b64 s[6:7], s[6:7]
	v_mov_b32_e32 v12, s10
	s_xor_b64 exec, exec, s[6:7]
	s_cbranch_execnz .LBB9_2324
.LBB9_274:
	s_or_b64 exec, exec, s[6:7]
	s_and_saveexec_b64 s[6:7], s[4:5]
	s_cbranch_execz .LBB9_276
.LBB9_275:
	v_bfe_u32 v12, v6, 16, 3
	v_ffbh_u32_e32 v15, v12
	v_min_u32_e32 v15, 32, v15
	v_lshrrev_b32_e32 v13, 19, v6
	v_subrev_u32_e32 v16, 28, v15
	v_and_b32_e32 v13, 15, v13
	v_lshlrev_b32_sdwa v16, v16, v6 dst_sel:DWORD dst_unused:UNUSED_PAD src0_sel:DWORD src1_sel:WORD_1
	v_bfe_u32 v14, v6, 19, 4
	v_sub_u32_e32 v15, 29, v15
	v_and_b32_e32 v16, 7, v16
	v_cmp_eq_u16_e32 vcc, 0, v13
	v_cndmask_b32_e32 v12, v12, v16, vcc
	v_cndmask_b32_e32 v13, v14, v15, vcc
	v_lshlrev_b32_e32 v14, 8, v6
	v_mov_b32_e32 v15, 0x3b800000
	v_lshlrev_b32_e32 v12, 20, v12
	v_and_b32_e32 v14, 0x80000000, v14
	v_lshl_add_u32 v13, v13, 23, v15
	v_or3_b32 v12, v14, v13, v12
.LBB9_276:
	s_or_b64 exec, exec, s[6:7]
	s_movk_i32 s4, 0xff
	v_and_b32_sdwa v13, v2, s4 dst_sel:DWORD dst_unused:UNUSED_PAD src0_sel:WORD_1 src1_sel:DWORD
	s_movk_i32 s4, 0x7f
	v_cmp_lt_i16_e32 vcc, s4, v13
	s_mov_b64 s[4:5], 0
                                        ; implicit-def: $sgpr10
	s_and_saveexec_b64 s[6:7], vcc
	s_xor_b64 s[6:7], exec, s[6:7]
	s_cbranch_execnz .LBB9_2325
; %bb.277:
	s_or_saveexec_b64 s[6:7], s[6:7]
	v_mov_b32_e32 v14, s10
	s_xor_b64 exec, exec, s[6:7]
	s_cbranch_execnz .LBB9_2328
.LBB9_278:
	s_or_b64 exec, exec, s[6:7]
	s_and_saveexec_b64 s[6:7], s[4:5]
	s_cbranch_execz .LBB9_280
.LBB9_279:
	v_bfe_u32 v13, v2, 16, 3
	v_ffbh_u32_e32 v16, v13
	v_min_u32_e32 v16, 32, v16
	v_lshrrev_b32_e32 v14, 19, v2
	v_subrev_u32_e32 v17, 28, v16
	v_and_b32_e32 v14, 15, v14
	v_lshlrev_b32_sdwa v17, v17, v2 dst_sel:DWORD dst_unused:UNUSED_PAD src0_sel:DWORD src1_sel:WORD_1
	v_bfe_u32 v15, v2, 19, 4
	v_sub_u32_e32 v16, 29, v16
	v_and_b32_e32 v17, 7, v17
	v_cmp_eq_u16_e32 vcc, 0, v14
	v_cndmask_b32_e32 v13, v13, v17, vcc
	v_cndmask_b32_e32 v14, v15, v16, vcc
	v_lshlrev_b32_e32 v15, 8, v2
	v_mov_b32_e32 v16, 0x3b800000
	v_lshlrev_b32_e32 v13, 20, v13
	v_and_b32_e32 v15, 0x80000000, v15
	v_lshl_add_u32 v14, v14, 23, v16
	v_or3_b32 v14, v15, v14, v13
.LBB9_280:
	s_or_b64 exec, exec, s[6:7]
	s_nop 0
	v_mfma_f32_16x16x4f32 a[0:3], v12, v14, a[0:3]
	s_movk_i32 s4, 0x7f
	v_cmp_gt_i16_sdwa s[6:7], v6, s4 src0_sel:BYTE_3 src1_sel:DWORD
	s_mov_b64 s[4:5], 0
                                        ; implicit-def: $sgpr10
	s_and_saveexec_b64 s[8:9], s[6:7]
	s_xor_b64 s[6:7], exec, s[8:9]
	s_cbranch_execnz .LBB9_2329
; %bb.281:
	s_or_saveexec_b64 s[6:7], s[6:7]
	v_mov_b32_e32 v12, s10
	s_xor_b64 exec, exec, s[6:7]
	s_cbranch_execnz .LBB9_2332
.LBB9_282:
	s_or_b64 exec, exec, s[6:7]
	s_and_saveexec_b64 s[6:7], s[4:5]
	s_cbranch_execz .LBB9_284
.LBB9_283:
	v_bfe_u32 v12, v6, 24, 3
	v_ffbh_u32_e32 v16, v12
	v_min_u32_e32 v16, 32, v16
	v_lshrrev_b32_e32 v14, 27, v6
	v_subrev_u32_e32 v17, 28, v16
	v_and_b32_e32 v13, 0x80000000, v6
	v_and_b32_e32 v14, 15, v14
	v_bfe_u32 v15, v6, 27, 4
	v_lshlrev_b32_sdwa v6, v17, v6 dst_sel:DWORD dst_unused:UNUSED_PAD src0_sel:DWORD src1_sel:BYTE_3
	v_sub_u32_e32 v16, 29, v16
	v_and_b32_e32 v6, 7, v6
	v_cmp_eq_u16_e32 vcc, 0, v14
	v_cndmask_b32_e32 v6, v12, v6, vcc
	v_cndmask_b32_e32 v12, v15, v16, vcc
	v_mov_b32_e32 v14, 0x3b800000
	v_lshlrev_b32_e32 v6, 20, v6
	v_lshl_add_u32 v12, v12, 23, v14
	v_or3_b32 v12, v13, v12, v6
.LBB9_284:
	s_or_b64 exec, exec, s[6:7]
	s_movk_i32 s4, 0x7f
	v_cmp_gt_i16_sdwa s[6:7], v2, s4 src0_sel:BYTE_3 src1_sel:DWORD
	s_mov_b64 s[4:5], 0
                                        ; implicit-def: $sgpr10
	s_and_saveexec_b64 s[8:9], s[6:7]
	s_xor_b64 s[6:7], exec, s[8:9]
	s_cbranch_execnz .LBB9_2333
; %bb.285:
	s_or_saveexec_b64 s[6:7], s[6:7]
	v_mov_b32_e32 v6, s10
	s_xor_b64 exec, exec, s[6:7]
	s_cbranch_execnz .LBB9_2336
.LBB9_286:
	s_or_b64 exec, exec, s[6:7]
	s_and_saveexec_b64 s[6:7], s[4:5]
	s_cbranch_execz .LBB9_288
.LBB9_287:
	v_bfe_u32 v6, v2, 24, 3
	v_ffbh_u32_e32 v16, v6
	v_min_u32_e32 v16, 32, v16
	v_lshrrev_b32_e32 v14, 27, v2
	v_subrev_u32_e32 v17, 28, v16
	v_and_b32_e32 v13, 0x80000000, v2
	v_and_b32_e32 v14, 15, v14
	v_bfe_u32 v15, v2, 27, 4
	v_lshlrev_b32_sdwa v2, v17, v2 dst_sel:DWORD dst_unused:UNUSED_PAD src0_sel:DWORD src1_sel:BYTE_3
	v_sub_u32_e32 v16, 29, v16
	v_and_b32_e32 v2, 7, v2
	v_cmp_eq_u16_e32 vcc, 0, v14
	v_cndmask_b32_e32 v2, v6, v2, vcc
	v_cndmask_b32_e32 v6, v15, v16, vcc
	v_mov_b32_e32 v14, 0x3b800000
	v_lshlrev_b32_e32 v2, 20, v2
	v_lshl_add_u32 v6, v6, 23, v14
	v_or3_b32 v6, v13, v6, v2
.LBB9_288:
	s_or_b64 exec, exec, s[6:7]
	s_nop 0
	v_mfma_f32_16x16x4f32 a[0:3], v12, v6, a[0:3]
	s_movk_i32 s4, 0x7f
	v_cmp_gt_i16_sdwa s[6:7], v7, s4 src0_sel:BYTE_0 src1_sel:DWORD
	s_mov_b64 s[4:5], 0
                                        ; implicit-def: $sgpr10
	s_and_saveexec_b64 s[8:9], s[6:7]
	s_xor_b64 s[6:7], exec, s[8:9]
	s_cbranch_execnz .LBB9_2337
; %bb.289:
	s_or_saveexec_b64 s[6:7], s[6:7]
	v_mov_b32_e32 v2, s10
	s_xor_b64 exec, exec, s[6:7]
	s_cbranch_execnz .LBB9_2340
.LBB9_290:
	s_or_b64 exec, exec, s[6:7]
	s_and_saveexec_b64 s[6:7], s[4:5]
	s_cbranch_execz .LBB9_292
.LBB9_291:
	v_and_b32_e32 v2, 7, v7
	v_ffbh_u32_e32 v12, v2
	v_min_u32_e32 v12, 32, v12
	v_lshrrev_b16_e32 v6, 3, v7
	v_subrev_u32_e32 v13, 28, v12
	v_and_b32_e32 v6, 15, v6
	v_lshlrev_b32_e32 v13, v13, v7
	v_sub_u32_e32 v12, 29, v12
	v_and_b32_e32 v13, 7, v13
	v_cmp_eq_u16_e32 vcc, 0, v6
	v_cndmask_b32_e32 v2, v2, v13, vcc
	v_cndmask_b32_e32 v6, v6, v12, vcc
	v_lshlrev_b32_e32 v12, 24, v7
	v_mov_b32_e32 v13, 0x3b800000
	v_lshlrev_b32_e32 v2, 20, v2
	v_and_b32_e32 v12, 0x80000000, v12
	v_lshl_add_u32 v6, v6, 23, v13
	v_or3_b32 v2, v12, v6, v2
.LBB9_292:
	s_or_b64 exec, exec, s[6:7]
	s_movk_i32 s4, 0x7f
	v_cmp_gt_i16_sdwa s[6:7], v3, s4 src0_sel:BYTE_0 src1_sel:DWORD
	s_mov_b64 s[4:5], 0
                                        ; implicit-def: $sgpr10
	s_and_saveexec_b64 s[8:9], s[6:7]
	s_xor_b64 s[6:7], exec, s[8:9]
	s_cbranch_execnz .LBB9_2341
; %bb.293:
	s_or_saveexec_b64 s[6:7], s[6:7]
	v_mov_b32_e32 v6, s10
	s_xor_b64 exec, exec, s[6:7]
	s_cbranch_execnz .LBB9_2344
.LBB9_294:
	s_or_b64 exec, exec, s[6:7]
	s_and_saveexec_b64 s[6:7], s[4:5]
	s_cbranch_execz .LBB9_296
.LBB9_295:
	v_and_b32_e32 v6, 7, v3
	v_ffbh_u32_e32 v13, v6
	v_min_u32_e32 v13, 32, v13
	v_lshrrev_b16_e32 v12, 3, v3
	v_subrev_u32_e32 v14, 28, v13
	v_and_b32_e32 v12, 15, v12
	v_lshlrev_b32_e32 v14, v14, v3
	v_sub_u32_e32 v13, 29, v13
	v_and_b32_e32 v14, 7, v14
	v_cmp_eq_u16_e32 vcc, 0, v12
	v_cndmask_b32_e32 v6, v6, v14, vcc
	v_cndmask_b32_e32 v12, v12, v13, vcc
	v_lshlrev_b32_e32 v13, 24, v3
	v_mov_b32_e32 v14, 0x3b800000
	v_lshlrev_b32_e32 v6, 20, v6
	v_and_b32_e32 v13, 0x80000000, v13
	v_lshl_add_u32 v12, v12, 23, v14
	v_or3_b32 v6, v13, v12, v6
.LBB9_296:
	s_or_b64 exec, exec, s[6:7]
	s_nop 0
	v_mfma_f32_16x16x4f32 a[0:3], v2, v6, a[0:3]
	v_lshrrev_b32_e32 v6, 8, v7
	s_movk_i32 s4, 0x7f
	v_cmp_gt_i16_sdwa s[6:7], v6, s4 src0_sel:BYTE_0 src1_sel:DWORD
	s_mov_b64 s[4:5], 0
                                        ; implicit-def: $sgpr10
	s_and_saveexec_b64 s[8:9], s[6:7]
	s_xor_b64 s[6:7], exec, s[8:9]
	s_cbranch_execnz .LBB9_2345
; %bb.297:
	s_or_saveexec_b64 s[6:7], s[6:7]
	v_mov_b32_e32 v2, s10
	s_xor_b64 exec, exec, s[6:7]
	s_cbranch_execnz .LBB9_2348
.LBB9_298:
	s_or_b64 exec, exec, s[6:7]
	s_and_saveexec_b64 s[6:7], s[4:5]
	s_cbranch_execz .LBB9_300
.LBB9_299:
	v_bfe_u32 v2, v7, 8, 3
	v_ffbh_u32_e32 v13, v2
	v_min_u32_e32 v13, 32, v13
	v_lshrrev_b16_e32 v12, 3, v6
	v_subrev_u32_e32 v14, 28, v13
	v_and_b32_e32 v12, 15, v12
	v_lshlrev_b32_e32 v6, v14, v6
	v_sub_u32_e32 v13, 29, v13
	v_and_b32_e32 v6, 7, v6
	v_cmp_eq_u16_e32 vcc, 0, v12
	v_cndmask_b32_e32 v2, v2, v6, vcc
	v_cndmask_b32_e32 v6, v12, v13, vcc
	v_lshlrev_b32_e32 v12, 16, v7
	v_mov_b32_e32 v13, 0x3b800000
	v_lshlrev_b32_e32 v2, 20, v2
	v_and_b32_e32 v12, 0x80000000, v12
	v_lshl_add_u32 v6, v6, 23, v13
	v_or3_b32 v2, v12, v6, v2
.LBB9_300:
	s_or_b64 exec, exec, s[6:7]
	v_lshrrev_b32_e32 v6, 8, v3
	s_movk_i32 s4, 0x7f
	v_cmp_gt_i16_sdwa s[6:7], v6, s4 src0_sel:BYTE_0 src1_sel:DWORD
	s_mov_b64 s[4:5], 0
                                        ; implicit-def: $sgpr10
	s_and_saveexec_b64 s[8:9], s[6:7]
	s_xor_b64 s[6:7], exec, s[8:9]
	s_cbranch_execnz .LBB9_2349
; %bb.301:
	s_or_saveexec_b64 s[6:7], s[6:7]
	v_mov_b32_e32 v12, s10
	s_xor_b64 exec, exec, s[6:7]
	s_cbranch_execnz .LBB9_2352
.LBB9_302:
	s_or_b64 exec, exec, s[6:7]
	s_and_saveexec_b64 s[6:7], s[4:5]
	s_cbranch_execz .LBB9_304
.LBB9_303:
	v_bfe_u32 v12, v3, 8, 3
	v_ffbh_u32_e32 v14, v12
	v_min_u32_e32 v14, 32, v14
	v_lshrrev_b16_e32 v13, 3, v6
	v_subrev_u32_e32 v15, 28, v14
	v_and_b32_e32 v13, 15, v13
	v_lshlrev_b32_e32 v6, v15, v6
	v_sub_u32_e32 v14, 29, v14
	v_and_b32_e32 v6, 7, v6
	v_cmp_eq_u16_e32 vcc, 0, v13
	v_cndmask_b32_e32 v6, v12, v6, vcc
	v_cndmask_b32_e32 v12, v13, v14, vcc
	v_lshlrev_b32_e32 v13, 16, v3
	v_mov_b32_e32 v14, 0x3b800000
	v_lshlrev_b32_e32 v6, 20, v6
	v_and_b32_e32 v13, 0x80000000, v13
	v_lshl_add_u32 v12, v12, 23, v14
	v_or3_b32 v12, v13, v12, v6
.LBB9_304:
	s_or_b64 exec, exec, s[6:7]
	s_nop 0
	v_mfma_f32_16x16x4f32 a[0:3], v2, v12, a[0:3]
	s_movk_i32 s4, 0xff
	v_and_b32_sdwa v6, v7, s4 dst_sel:DWORD dst_unused:UNUSED_PAD src0_sel:WORD_1 src1_sel:DWORD
	s_movk_i32 s4, 0x7f
	v_cmp_lt_i16_e32 vcc, s4, v6
	s_mov_b64 s[4:5], 0
                                        ; implicit-def: $sgpr10
	s_and_saveexec_b64 s[6:7], vcc
	s_xor_b64 s[6:7], exec, s[6:7]
	s_cbranch_execnz .LBB9_2353
; %bb.305:
	s_or_saveexec_b64 s[6:7], s[6:7]
	v_mov_b32_e32 v2, s10
	s_xor_b64 exec, exec, s[6:7]
	s_cbranch_execnz .LBB9_2356
.LBB9_306:
	s_or_b64 exec, exec, s[6:7]
	s_and_saveexec_b64 s[6:7], s[4:5]
	s_cbranch_execz .LBB9_308
.LBB9_307:
	v_bfe_u32 v2, v7, 16, 3
	v_ffbh_u32_e32 v13, v2
	v_min_u32_e32 v13, 32, v13
	v_lshrrev_b32_e32 v6, 19, v7
	v_subrev_u32_e32 v14, 28, v13
	v_and_b32_e32 v6, 15, v6
	v_lshlrev_b32_sdwa v14, v14, v7 dst_sel:DWORD dst_unused:UNUSED_PAD src0_sel:DWORD src1_sel:WORD_1
	v_bfe_u32 v12, v7, 19, 4
	v_sub_u32_e32 v13, 29, v13
	v_and_b32_e32 v14, 7, v14
	v_cmp_eq_u16_e32 vcc, 0, v6
	v_cndmask_b32_e32 v2, v2, v14, vcc
	v_cndmask_b32_e32 v6, v12, v13, vcc
	v_lshlrev_b32_e32 v12, 8, v7
	v_mov_b32_e32 v13, 0x3b800000
	v_lshlrev_b32_e32 v2, 20, v2
	v_and_b32_e32 v12, 0x80000000, v12
	v_lshl_add_u32 v6, v6, 23, v13
	v_or3_b32 v2, v12, v6, v2
.LBB9_308:
	s_or_b64 exec, exec, s[6:7]
	s_movk_i32 s4, 0xff
	v_and_b32_sdwa v6, v3, s4 dst_sel:DWORD dst_unused:UNUSED_PAD src0_sel:WORD_1 src1_sel:DWORD
	s_movk_i32 s4, 0x7f
	v_cmp_lt_i16_e32 vcc, s4, v6
	s_mov_b64 s[4:5], 0
                                        ; implicit-def: $sgpr10
	s_and_saveexec_b64 s[6:7], vcc
	s_xor_b64 s[6:7], exec, s[6:7]
	s_cbranch_execnz .LBB9_2357
; %bb.309:
	s_or_saveexec_b64 s[6:7], s[6:7]
	v_mov_b32_e32 v12, s10
	s_xor_b64 exec, exec, s[6:7]
	s_cbranch_execnz .LBB9_2360
.LBB9_310:
	s_or_b64 exec, exec, s[6:7]
	s_and_saveexec_b64 s[6:7], s[4:5]
	s_cbranch_execz .LBB9_312
.LBB9_311:
	v_bfe_u32 v6, v3, 16, 3
	v_ffbh_u32_e32 v14, v6
	v_min_u32_e32 v14, 32, v14
	v_lshrrev_b32_e32 v12, 19, v3
	v_subrev_u32_e32 v15, 28, v14
	v_and_b32_e32 v12, 15, v12
	v_lshlrev_b32_sdwa v15, v15, v3 dst_sel:DWORD dst_unused:UNUSED_PAD src0_sel:DWORD src1_sel:WORD_1
	v_bfe_u32 v13, v3, 19, 4
	v_sub_u32_e32 v14, 29, v14
	v_and_b32_e32 v15, 7, v15
	v_cmp_eq_u16_e32 vcc, 0, v12
	v_cndmask_b32_e32 v6, v6, v15, vcc
	v_cndmask_b32_e32 v12, v13, v14, vcc
	v_lshlrev_b32_e32 v13, 8, v3
	v_mov_b32_e32 v14, 0x3b800000
	v_lshlrev_b32_e32 v6, 20, v6
	v_and_b32_e32 v13, 0x80000000, v13
	v_lshl_add_u32 v12, v12, 23, v14
	v_or3_b32 v12, v13, v12, v6
.LBB9_312:
	s_or_b64 exec, exec, s[6:7]
	s_nop 0
	v_mfma_f32_16x16x4f32 a[0:3], v2, v12, a[0:3]
	s_movk_i32 s4, 0x7f
	v_cmp_gt_i16_sdwa s[6:7], v7, s4 src0_sel:BYTE_3 src1_sel:DWORD
	s_mov_b64 s[4:5], 0
                                        ; implicit-def: $sgpr10
	s_and_saveexec_b64 s[8:9], s[6:7]
	s_xor_b64 s[6:7], exec, s[8:9]
	s_cbranch_execnz .LBB9_2361
; %bb.313:
	s_or_saveexec_b64 s[6:7], s[6:7]
	v_mov_b32_e32 v2, s10
	s_xor_b64 exec, exec, s[6:7]
	s_cbranch_execnz .LBB9_2364
.LBB9_314:
	s_or_b64 exec, exec, s[6:7]
	s_and_saveexec_b64 s[6:7], s[4:5]
	s_cbranch_execz .LBB9_316
.LBB9_315:
	v_bfe_u32 v2, v7, 24, 3
	v_ffbh_u32_e32 v14, v2
	v_min_u32_e32 v14, 32, v14
	v_lshrrev_b32_e32 v12, 27, v7
	v_subrev_u32_e32 v15, 28, v14
	v_and_b32_e32 v6, 0x80000000, v7
	v_and_b32_e32 v12, 15, v12
	v_bfe_u32 v13, v7, 27, 4
	v_lshlrev_b32_sdwa v7, v15, v7 dst_sel:DWORD dst_unused:UNUSED_PAD src0_sel:DWORD src1_sel:BYTE_3
	v_sub_u32_e32 v14, 29, v14
	v_and_b32_e32 v7, 7, v7
	v_cmp_eq_u16_e32 vcc, 0, v12
	v_cndmask_b32_e32 v2, v2, v7, vcc
	v_cndmask_b32_e32 v7, v13, v14, vcc
	v_mov_b32_e32 v12, 0x3b800000
	v_lshlrev_b32_e32 v2, 20, v2
	v_lshl_add_u32 v7, v7, 23, v12
	v_or3_b32 v2, v6, v7, v2
.LBB9_316:
	s_or_b64 exec, exec, s[6:7]
	s_movk_i32 s4, 0x7f
	v_cmp_gt_i16_sdwa s[6:7], v3, s4 src0_sel:BYTE_3 src1_sel:DWORD
	s_mov_b64 s[4:5], 0
                                        ; implicit-def: $sgpr10
	s_and_saveexec_b64 s[8:9], s[6:7]
	s_xor_b64 s[6:7], exec, s[8:9]
	s_cbranch_execnz .LBB9_2365
; %bb.317:
	s_or_saveexec_b64 s[6:7], s[6:7]
	v_mov_b32_e32 v6, s10
	s_xor_b64 exec, exec, s[6:7]
	s_cbranch_execnz .LBB9_2368
.LBB9_318:
	s_or_b64 exec, exec, s[6:7]
	s_and_saveexec_b64 s[6:7], s[4:5]
	s_cbranch_execz .LBB9_320
.LBB9_319:
	v_bfe_u32 v6, v3, 24, 3
	v_ffbh_u32_e32 v14, v6
	v_min_u32_e32 v14, 32, v14
	v_lshrrev_b32_e32 v12, 27, v3
	v_subrev_u32_e32 v15, 28, v14
	v_and_b32_e32 v7, 0x80000000, v3
	v_and_b32_e32 v12, 15, v12
	v_bfe_u32 v13, v3, 27, 4
	v_lshlrev_b32_sdwa v3, v15, v3 dst_sel:DWORD dst_unused:UNUSED_PAD src0_sel:DWORD src1_sel:BYTE_3
	v_sub_u32_e32 v14, 29, v14
	v_and_b32_e32 v3, 7, v3
	v_cmp_eq_u16_e32 vcc, 0, v12
	v_cndmask_b32_e32 v3, v6, v3, vcc
	v_cndmask_b32_e32 v6, v13, v14, vcc
	v_mov_b32_e32 v12, 0x3b800000
	v_lshlrev_b32_e32 v3, 20, v3
	v_lshl_add_u32 v6, v6, 23, v12
	v_or3_b32 v6, v7, v6, v3
.LBB9_320:
	s_or_b64 exec, exec, s[6:7]
	s_nop 0
	v_mfma_f32_16x16x4f32 a[0:3], v2, v6, a[0:3]
	s_movk_i32 s4, 0x7f
	v_cmp_gt_i16_sdwa s[6:7], v8, s4 src0_sel:BYTE_0 src1_sel:DWORD
	s_mov_b64 s[4:5], 0
                                        ; implicit-def: $sgpr10
	s_and_saveexec_b64 s[8:9], s[6:7]
	s_xor_b64 s[6:7], exec, s[8:9]
	s_cbranch_execnz .LBB9_2369
; %bb.321:
	s_or_saveexec_b64 s[6:7], s[6:7]
	v_mov_b32_e32 v2, s10
	s_xor_b64 exec, exec, s[6:7]
	s_cbranch_execnz .LBB9_2372
.LBB9_322:
	s_or_b64 exec, exec, s[6:7]
	s_and_saveexec_b64 s[6:7], s[4:5]
	s_cbranch_execz .LBB9_324
.LBB9_323:
	v_and_b32_e32 v2, 7, v8
	v_ffbh_u32_e32 v6, v2
	v_min_u32_e32 v6, 32, v6
	v_lshrrev_b16_e32 v3, 3, v8
	v_subrev_u32_e32 v7, 28, v6
	v_and_b32_e32 v3, 15, v3
	v_lshlrev_b32_e32 v7, v7, v8
	v_sub_u32_e32 v6, 29, v6
	v_and_b32_e32 v7, 7, v7
	v_cmp_eq_u16_e32 vcc, 0, v3
	v_cndmask_b32_e32 v2, v2, v7, vcc
	v_cndmask_b32_e32 v3, v3, v6, vcc
	v_lshlrev_b32_e32 v6, 24, v8
	v_mov_b32_e32 v7, 0x3b800000
	v_lshlrev_b32_e32 v2, 20, v2
	v_and_b32_e32 v6, 0x80000000, v6
	v_lshl_add_u32 v3, v3, 23, v7
	v_or3_b32 v2, v6, v3, v2
.LBB9_324:
	s_or_b64 exec, exec, s[6:7]
	s_movk_i32 s4, 0x7f
	v_cmp_gt_i16_sdwa s[6:7], v4, s4 src0_sel:BYTE_0 src1_sel:DWORD
	s_mov_b64 s[4:5], 0
                                        ; implicit-def: $sgpr10
	s_and_saveexec_b64 s[8:9], s[6:7]
	s_xor_b64 s[6:7], exec, s[8:9]
	s_cbranch_execnz .LBB9_2373
; %bb.325:
	s_or_saveexec_b64 s[6:7], s[6:7]
	v_mov_b32_e32 v3, s10
	s_xor_b64 exec, exec, s[6:7]
	s_cbranch_execnz .LBB9_2376
.LBB9_326:
	s_or_b64 exec, exec, s[6:7]
	s_and_saveexec_b64 s[6:7], s[4:5]
	s_cbranch_execz .LBB9_328
.LBB9_327:
	v_and_b32_e32 v3, 7, v4
	v_ffbh_u32_e32 v7, v3
	v_min_u32_e32 v7, 32, v7
	v_lshrrev_b16_e32 v6, 3, v4
	v_subrev_u32_e32 v12, 28, v7
	v_and_b32_e32 v6, 15, v6
	v_lshlrev_b32_e32 v12, v12, v4
	v_sub_u32_e32 v7, 29, v7
	v_and_b32_e32 v12, 7, v12
	v_cmp_eq_u16_e32 vcc, 0, v6
	v_cndmask_b32_e32 v3, v3, v12, vcc
	v_cndmask_b32_e32 v6, v6, v7, vcc
	v_lshlrev_b32_e32 v7, 24, v4
	v_mov_b32_e32 v12, 0x3b800000
	v_lshlrev_b32_e32 v3, 20, v3
	v_and_b32_e32 v7, 0x80000000, v7
	v_lshl_add_u32 v6, v6, 23, v12
	v_or3_b32 v3, v7, v6, v3
.LBB9_328:
	s_or_b64 exec, exec, s[6:7]
	s_nop 0
	v_mfma_f32_16x16x4f32 a[0:3], v2, v3, a[0:3]
	v_lshrrev_b32_e32 v3, 8, v8
	s_movk_i32 s4, 0x7f
	v_cmp_gt_i16_sdwa s[6:7], v3, s4 src0_sel:BYTE_0 src1_sel:DWORD
	s_mov_b64 s[4:5], 0
                                        ; implicit-def: $sgpr10
	s_and_saveexec_b64 s[8:9], s[6:7]
	s_xor_b64 s[6:7], exec, s[8:9]
	s_cbranch_execnz .LBB9_2377
; %bb.329:
	s_or_saveexec_b64 s[6:7], s[6:7]
	v_mov_b32_e32 v2, s10
	s_xor_b64 exec, exec, s[6:7]
	s_cbranch_execnz .LBB9_2380
.LBB9_330:
	s_or_b64 exec, exec, s[6:7]
	s_and_saveexec_b64 s[6:7], s[4:5]
	s_cbranch_execz .LBB9_332
.LBB9_331:
	v_bfe_u32 v2, v8, 8, 3
	v_ffbh_u32_e32 v7, v2
	v_min_u32_e32 v7, 32, v7
	v_lshrrev_b16_e32 v6, 3, v3
	v_subrev_u32_e32 v12, 28, v7
	v_and_b32_e32 v6, 15, v6
	v_lshlrev_b32_e32 v3, v12, v3
	v_sub_u32_e32 v7, 29, v7
	v_and_b32_e32 v3, 7, v3
	v_cmp_eq_u16_e32 vcc, 0, v6
	v_cndmask_b32_e32 v2, v2, v3, vcc
	v_cndmask_b32_e32 v3, v6, v7, vcc
	v_lshlrev_b32_e32 v6, 16, v8
	v_mov_b32_e32 v7, 0x3b800000
	v_lshlrev_b32_e32 v2, 20, v2
	v_and_b32_e32 v6, 0x80000000, v6
	v_lshl_add_u32 v3, v3, 23, v7
	v_or3_b32 v2, v6, v3, v2
.LBB9_332:
	s_or_b64 exec, exec, s[6:7]
	v_lshrrev_b32_e32 v3, 8, v4
	s_movk_i32 s4, 0x7f
	v_cmp_gt_i16_sdwa s[6:7], v3, s4 src0_sel:BYTE_0 src1_sel:DWORD
	s_mov_b64 s[4:5], 0
                                        ; implicit-def: $sgpr10
	s_and_saveexec_b64 s[8:9], s[6:7]
	s_xor_b64 s[6:7], exec, s[8:9]
	s_cbranch_execnz .LBB9_2381
; %bb.333:
	s_or_saveexec_b64 s[6:7], s[6:7]
	v_mov_b32_e32 v6, s10
	s_xor_b64 exec, exec, s[6:7]
	s_cbranch_execnz .LBB9_2384
.LBB9_334:
	s_or_b64 exec, exec, s[6:7]
	s_and_saveexec_b64 s[6:7], s[4:5]
	s_cbranch_execz .LBB9_336
.LBB9_335:
	v_bfe_u32 v6, v4, 8, 3
	v_ffbh_u32_e32 v12, v6
	v_min_u32_e32 v12, 32, v12
	v_lshrrev_b16_e32 v7, 3, v3
	v_subrev_u32_e32 v13, 28, v12
	v_and_b32_e32 v7, 15, v7
	v_lshlrev_b32_e32 v3, v13, v3
	v_sub_u32_e32 v12, 29, v12
	v_and_b32_e32 v3, 7, v3
	v_cmp_eq_u16_e32 vcc, 0, v7
	v_cndmask_b32_e32 v3, v6, v3, vcc
	v_cndmask_b32_e32 v6, v7, v12, vcc
	v_lshlrev_b32_e32 v7, 16, v4
	v_mov_b32_e32 v12, 0x3b800000
	v_lshlrev_b32_e32 v3, 20, v3
	v_and_b32_e32 v7, 0x80000000, v7
	v_lshl_add_u32 v6, v6, 23, v12
	v_or3_b32 v6, v7, v6, v3
.LBB9_336:
	s_or_b64 exec, exec, s[6:7]
	s_nop 0
	v_mfma_f32_16x16x4f32 a[0:3], v2, v6, a[0:3]
	s_movk_i32 s4, 0xff
	v_and_b32_sdwa v3, v8, s4 dst_sel:DWORD dst_unused:UNUSED_PAD src0_sel:WORD_1 src1_sel:DWORD
	s_movk_i32 s4, 0x7f
	v_cmp_lt_i16_e32 vcc, s4, v3
	s_mov_b64 s[4:5], 0
                                        ; implicit-def: $sgpr10
	s_and_saveexec_b64 s[6:7], vcc
	s_xor_b64 s[6:7], exec, s[6:7]
	s_cbranch_execnz .LBB9_2385
; %bb.337:
	s_or_saveexec_b64 s[6:7], s[6:7]
	v_mov_b32_e32 v2, s10
	s_xor_b64 exec, exec, s[6:7]
	s_cbranch_execnz .LBB9_2388
.LBB9_338:
	s_or_b64 exec, exec, s[6:7]
	s_and_saveexec_b64 s[6:7], s[4:5]
	s_cbranch_execz .LBB9_340
.LBB9_339:
	v_bfe_u32 v2, v8, 16, 3
	v_ffbh_u32_e32 v7, v2
	v_min_u32_e32 v7, 32, v7
	v_lshrrev_b32_e32 v3, 19, v8
	v_subrev_u32_e32 v12, 28, v7
	v_and_b32_e32 v3, 15, v3
	v_lshlrev_b32_sdwa v12, v12, v8 dst_sel:DWORD dst_unused:UNUSED_PAD src0_sel:DWORD src1_sel:WORD_1
	v_bfe_u32 v6, v8, 19, 4
	v_sub_u32_e32 v7, 29, v7
	v_and_b32_e32 v12, 7, v12
	v_cmp_eq_u16_e32 vcc, 0, v3
	v_cndmask_b32_e32 v2, v2, v12, vcc
	v_cndmask_b32_e32 v3, v6, v7, vcc
	v_lshlrev_b32_e32 v6, 8, v8
	v_mov_b32_e32 v7, 0x3b800000
	v_lshlrev_b32_e32 v2, 20, v2
	v_and_b32_e32 v6, 0x80000000, v6
	v_lshl_add_u32 v3, v3, 23, v7
	v_or3_b32 v2, v6, v3, v2
.LBB9_340:
	s_or_b64 exec, exec, s[6:7]
	s_movk_i32 s4, 0xff
	v_and_b32_sdwa v3, v4, s4 dst_sel:DWORD dst_unused:UNUSED_PAD src0_sel:WORD_1 src1_sel:DWORD
	s_movk_i32 s4, 0x7f
	v_cmp_lt_i16_e32 vcc, s4, v3
	s_mov_b64 s[4:5], 0
                                        ; implicit-def: $sgpr10
	s_and_saveexec_b64 s[6:7], vcc
	s_xor_b64 s[6:7], exec, s[6:7]
	s_cbranch_execnz .LBB9_2389
; %bb.341:
	s_or_saveexec_b64 s[6:7], s[6:7]
	v_mov_b32_e32 v6, s10
	s_xor_b64 exec, exec, s[6:7]
	s_cbranch_execnz .LBB9_2392
.LBB9_342:
	s_or_b64 exec, exec, s[6:7]
	s_and_saveexec_b64 s[6:7], s[4:5]
	s_cbranch_execz .LBB9_344
.LBB9_343:
	v_bfe_u32 v3, v4, 16, 3
	v_ffbh_u32_e32 v12, v3
	v_min_u32_e32 v12, 32, v12
	v_lshrrev_b32_e32 v6, 19, v4
	v_subrev_u32_e32 v13, 28, v12
	v_and_b32_e32 v6, 15, v6
	v_lshlrev_b32_sdwa v13, v13, v4 dst_sel:DWORD dst_unused:UNUSED_PAD src0_sel:DWORD src1_sel:WORD_1
	v_bfe_u32 v7, v4, 19, 4
	v_sub_u32_e32 v12, 29, v12
	v_and_b32_e32 v13, 7, v13
	v_cmp_eq_u16_e32 vcc, 0, v6
	v_cndmask_b32_e32 v3, v3, v13, vcc
	v_cndmask_b32_e32 v6, v7, v12, vcc
	v_lshlrev_b32_e32 v7, 8, v4
	v_mov_b32_e32 v12, 0x3b800000
	v_lshlrev_b32_e32 v3, 20, v3
	v_and_b32_e32 v7, 0x80000000, v7
	v_lshl_add_u32 v6, v6, 23, v12
	v_or3_b32 v6, v7, v6, v3
.LBB9_344:
	s_or_b64 exec, exec, s[6:7]
	s_nop 0
	v_mfma_f32_16x16x4f32 a[0:3], v2, v6, a[0:3]
	s_movk_i32 s4, 0x7f
	v_cmp_gt_i16_sdwa s[6:7], v8, s4 src0_sel:BYTE_3 src1_sel:DWORD
	s_mov_b64 s[4:5], 0
                                        ; implicit-def: $sgpr10
	s_and_saveexec_b64 s[8:9], s[6:7]
	s_xor_b64 s[6:7], exec, s[8:9]
	s_cbranch_execnz .LBB9_2393
; %bb.345:
	s_or_saveexec_b64 s[6:7], s[6:7]
	v_mov_b32_e32 v2, s10
	s_xor_b64 exec, exec, s[6:7]
	s_cbranch_execnz .LBB9_2396
.LBB9_346:
	s_or_b64 exec, exec, s[6:7]
	s_and_saveexec_b64 s[6:7], s[4:5]
	s_cbranch_execz .LBB9_348
.LBB9_347:
	v_bfe_u32 v2, v8, 24, 3
	v_ffbh_u32_e32 v12, v2
	v_min_u32_e32 v12, 32, v12
	v_lshrrev_b32_e32 v6, 27, v8
	v_subrev_u32_e32 v13, 28, v12
	v_and_b32_e32 v3, 0x80000000, v8
	v_and_b32_e32 v6, 15, v6
	v_bfe_u32 v7, v8, 27, 4
	v_lshlrev_b32_sdwa v8, v13, v8 dst_sel:DWORD dst_unused:UNUSED_PAD src0_sel:DWORD src1_sel:BYTE_3
	v_sub_u32_e32 v12, 29, v12
	v_and_b32_e32 v8, 7, v8
	v_cmp_eq_u16_e32 vcc, 0, v6
	v_cndmask_b32_e32 v2, v2, v8, vcc
	v_cndmask_b32_e32 v6, v7, v12, vcc
	v_mov_b32_e32 v7, 0x3b800000
	v_lshlrev_b32_e32 v2, 20, v2
	v_lshl_add_u32 v6, v6, 23, v7
	v_or3_b32 v2, v3, v6, v2
.LBB9_348:
	s_or_b64 exec, exec, s[6:7]
	s_movk_i32 s4, 0x7f
	v_cmp_gt_i16_sdwa s[6:7], v4, s4 src0_sel:BYTE_3 src1_sel:DWORD
	s_mov_b64 s[4:5], 0
                                        ; implicit-def: $sgpr10
	s_and_saveexec_b64 s[8:9], s[6:7]
	s_xor_b64 s[6:7], exec, s[8:9]
	s_cbranch_execnz .LBB9_2397
; %bb.349:
	s_or_saveexec_b64 s[6:7], s[6:7]
	v_mov_b32_e32 v3, s10
	s_xor_b64 exec, exec, s[6:7]
	s_cbranch_execnz .LBB9_2400
.LBB9_350:
	s_or_b64 exec, exec, s[6:7]
	s_and_saveexec_b64 s[6:7], s[4:5]
	s_cbranch_execz .LBB9_352
.LBB9_351:
	v_bfe_u32 v3, v4, 24, 3
	v_ffbh_u32_e32 v12, v3
	v_min_u32_e32 v12, 32, v12
	v_lshrrev_b32_e32 v7, 27, v4
	v_subrev_u32_e32 v13, 28, v12
	v_and_b32_e32 v6, 0x80000000, v4
	v_and_b32_e32 v7, 15, v7
	v_bfe_u32 v8, v4, 27, 4
	v_lshlrev_b32_sdwa v4, v13, v4 dst_sel:DWORD dst_unused:UNUSED_PAD src0_sel:DWORD src1_sel:BYTE_3
	v_sub_u32_e32 v12, 29, v12
	v_and_b32_e32 v4, 7, v4
	v_cmp_eq_u16_e32 vcc, 0, v7
	v_cndmask_b32_e32 v3, v3, v4, vcc
	v_cndmask_b32_e32 v4, v8, v12, vcc
	v_mov_b32_e32 v7, 0x3b800000
	v_lshlrev_b32_e32 v3, 20, v3
	v_lshl_add_u32 v4, v4, 23, v7
	v_or3_b32 v3, v6, v4, v3
.LBB9_352:
	s_or_b64 exec, exec, s[6:7]
	s_nop 0
	v_mfma_f32_16x16x4f32 a[0:3], v2, v3, a[0:3]
	s_movk_i32 s4, 0x7f
	v_cmp_gt_i16_sdwa s[6:7], v9, s4 src0_sel:BYTE_0 src1_sel:DWORD
	s_mov_b64 s[4:5], 0
                                        ; implicit-def: $sgpr10
	s_and_saveexec_b64 s[8:9], s[6:7]
	s_xor_b64 s[6:7], exec, s[8:9]
	s_cbranch_execnz .LBB9_2401
; %bb.353:
	s_or_saveexec_b64 s[6:7], s[6:7]
	v_mov_b32_e32 v2, s10
	s_xor_b64 exec, exec, s[6:7]
	s_cbranch_execnz .LBB9_2404
.LBB9_354:
	s_or_b64 exec, exec, s[6:7]
	s_and_saveexec_b64 s[6:7], s[4:5]
	s_cbranch_execz .LBB9_356
.LBB9_355:
	v_mov_b32_e32 v2, 8
	v_and_b32_e32 v3, 7, v9
	v_lshrrev_b32_sdwa v2, v2, v9 dst_sel:BYTE_1 dst_unused:UNUSED_PAD src0_sel:DWORD src1_sel:DWORD
	v_ffbh_u32_e32 v4, v3
	v_or_b32_sdwa v2, v9, v2 dst_sel:DWORD dst_unused:UNUSED_PAD src0_sel:BYTE_0 src1_sel:DWORD
	v_min_u32_e32 v4, 32, v4
	v_lshrrev_b16_e32 v2, 3, v2
	v_subrev_u32_e32 v6, 28, v4
	v_and_b32_e32 v2, 15, v2
	v_lshlrev_b32_e32 v6, v6, v9
	v_sub_u32_e32 v4, 29, v4
	v_and_b32_e32 v6, 7, v6
	v_cmp_eq_u16_e32 vcc, 0, v2
	v_cndmask_b32_e32 v3, v3, v6, vcc
	v_cndmask_b32_e32 v2, v2, v4, vcc
	v_lshlrev_b32_e32 v4, 24, v9
	v_mov_b32_e32 v6, 0x3b800000
	v_lshlrev_b32_e32 v3, 20, v3
	v_and_b32_e32 v4, 0x80000000, v4
	v_lshl_add_u32 v2, v2, 23, v6
	v_or3_b32 v2, v4, v2, v3
.LBB9_356:
	s_or_b64 exec, exec, s[6:7]
	s_movk_i32 s4, 0x7f
	v_cmp_gt_i16_sdwa s[6:7], v5, s4 src0_sel:BYTE_0 src1_sel:DWORD
	s_mov_b64 s[4:5], 0
                                        ; implicit-def: $sgpr10
	s_and_saveexec_b64 s[8:9], s[6:7]
	s_xor_b64 s[6:7], exec, s[8:9]
	s_cbranch_execnz .LBB9_2405
; %bb.357:
	s_or_saveexec_b64 s[6:7], s[6:7]
	v_mov_b32_e32 v3, s10
	s_xor_b64 exec, exec, s[6:7]
	s_cbranch_execnz .LBB9_2408
.LBB9_358:
	s_or_b64 exec, exec, s[6:7]
	s_and_saveexec_b64 s[6:7], s[4:5]
	s_cbranch_execz .LBB9_360
.LBB9_359:
	v_mov_b32_e32 v3, 8
	v_and_b32_e32 v4, 7, v5
	v_lshrrev_b32_sdwa v3, v3, v5 dst_sel:BYTE_1 dst_unused:UNUSED_PAD src0_sel:DWORD src1_sel:DWORD
	v_ffbh_u32_e32 v6, v4
	v_or_b32_sdwa v3, v5, v3 dst_sel:DWORD dst_unused:UNUSED_PAD src0_sel:BYTE_0 src1_sel:DWORD
	v_min_u32_e32 v6, 32, v6
	v_lshrrev_b16_e32 v3, 3, v3
	v_subrev_u32_e32 v7, 28, v6
	v_and_b32_e32 v3, 15, v3
	v_lshlrev_b32_e32 v7, v7, v5
	v_sub_u32_e32 v6, 29, v6
	v_and_b32_e32 v7, 7, v7
	v_cmp_eq_u16_e32 vcc, 0, v3
	v_cndmask_b32_e32 v4, v4, v7, vcc
	v_cndmask_b32_e32 v3, v3, v6, vcc
	v_lshlrev_b32_e32 v6, 24, v5
	v_mov_b32_e32 v7, 0x3b800000
	v_lshlrev_b32_e32 v4, 20, v4
	v_and_b32_e32 v6, 0x80000000, v6
	v_lshl_add_u32 v3, v3, 23, v7
	v_or3_b32 v3, v6, v3, v4
.LBB9_360:
	s_or_b64 exec, exec, s[6:7]
	s_nop 0
	v_mfma_f32_16x16x4f32 a[0:3], v2, v3, a[0:3]
	v_lshrrev_b32_e32 v3, 8, v9
	s_movk_i32 s4, 0x7f
	v_cmp_gt_i16_sdwa s[6:7], v3, s4 src0_sel:BYTE_0 src1_sel:DWORD
	s_mov_b64 s[4:5], 0
                                        ; implicit-def: $sgpr10
	s_and_saveexec_b64 s[8:9], s[6:7]
	s_xor_b64 s[6:7], exec, s[8:9]
	s_cbranch_execnz .LBB9_2409
; %bb.361:
	s_or_saveexec_b64 s[6:7], s[6:7]
	v_mov_b32_e32 v2, s10
	s_xor_b64 exec, exec, s[6:7]
	s_cbranch_execnz .LBB9_2412
.LBB9_362:
	s_or_b64 exec, exec, s[6:7]
	s_and_saveexec_b64 s[6:7], s[4:5]
	s_cbranch_execz .LBB9_364
.LBB9_363:
	v_bfe_u32 v2, v9, 8, 3
	v_ffbh_u32_e32 v6, v2
	v_min_u32_e32 v6, 32, v6
	v_lshrrev_b16_e32 v4, 3, v3
	v_subrev_u32_e32 v7, 28, v6
	v_and_b32_e32 v4, 15, v4
	v_lshlrev_b32_e32 v3, v7, v3
	v_sub_u32_e32 v6, 29, v6
	v_and_b32_e32 v3, 7, v3
	v_cmp_eq_u16_e32 vcc, 0, v4
	v_cndmask_b32_e32 v2, v2, v3, vcc
	v_cndmask_b32_e32 v3, v4, v6, vcc
	v_lshlrev_b32_e32 v4, 16, v9
	v_mov_b32_e32 v6, 0x3b800000
	v_lshlrev_b32_e32 v2, 20, v2
	v_and_b32_e32 v4, 0x80000000, v4
	v_lshl_add_u32 v3, v3, 23, v6
	v_or3_b32 v2, v4, v3, v2
.LBB9_364:
	s_or_b64 exec, exec, s[6:7]
	v_lshrrev_b32_e32 v3, 8, v5
	s_movk_i32 s4, 0x7f
	v_cmp_gt_i16_sdwa s[6:7], v3, s4 src0_sel:BYTE_0 src1_sel:DWORD
	s_mov_b64 s[4:5], 0
                                        ; implicit-def: $sgpr10
	s_and_saveexec_b64 s[8:9], s[6:7]
	s_xor_b64 s[6:7], exec, s[8:9]
	s_cbranch_execnz .LBB9_2413
; %bb.365:
	s_or_saveexec_b64 s[6:7], s[6:7]
	v_mov_b32_e32 v4, s10
	s_xor_b64 exec, exec, s[6:7]
	s_cbranch_execnz .LBB9_2416
.LBB9_366:
	s_or_b64 exec, exec, s[6:7]
	s_and_saveexec_b64 s[6:7], s[4:5]
	s_cbranch_execz .LBB9_368
.LBB9_367:
	v_bfe_u32 v4, v5, 8, 3
	v_ffbh_u32_e32 v7, v4
	v_min_u32_e32 v7, 32, v7
	v_lshrrev_b16_e32 v6, 3, v3
	v_subrev_u32_e32 v8, 28, v7
	v_and_b32_e32 v6, 15, v6
	v_lshlrev_b32_e32 v3, v8, v3
	v_sub_u32_e32 v7, 29, v7
	v_and_b32_e32 v3, 7, v3
	v_cmp_eq_u16_e32 vcc, 0, v6
	v_cndmask_b32_e32 v3, v4, v3, vcc
	v_cndmask_b32_e32 v4, v6, v7, vcc
	v_lshlrev_b32_e32 v6, 16, v5
	v_mov_b32_e32 v7, 0x3b800000
	v_lshlrev_b32_e32 v3, 20, v3
	v_and_b32_e32 v6, 0x80000000, v6
	v_lshl_add_u32 v4, v4, 23, v7
	v_or3_b32 v4, v6, v4, v3
.LBB9_368:
	s_or_b64 exec, exec, s[6:7]
	s_nop 0
	v_mfma_f32_16x16x4f32 a[0:3], v2, v4, a[0:3]
	s_movk_i32 s4, 0xff
	v_and_b32_sdwa v3, v9, s4 dst_sel:DWORD dst_unused:UNUSED_PAD src0_sel:WORD_1 src1_sel:DWORD
	s_movk_i32 s4, 0x7f
	v_cmp_lt_i16_e32 vcc, s4, v3
	s_mov_b64 s[4:5], 0
                                        ; implicit-def: $sgpr10
	s_and_saveexec_b64 s[6:7], vcc
	s_xor_b64 s[6:7], exec, s[6:7]
	s_cbranch_execnz .LBB9_2417
; %bb.369:
	s_or_saveexec_b64 s[6:7], s[6:7]
	v_mov_b32_e32 v2, s10
	s_xor_b64 exec, exec, s[6:7]
	s_cbranch_execnz .LBB9_2420
.LBB9_370:
	s_or_b64 exec, exec, s[6:7]
	s_and_saveexec_b64 s[6:7], s[4:5]
	s_cbranch_execz .LBB9_372
.LBB9_371:
	v_bfe_u32 v2, v9, 16, 3
	v_ffbh_u32_e32 v6, v2
	v_min_u32_e32 v6, 32, v6
	v_lshrrev_b32_e32 v3, 19, v9
	v_subrev_u32_e32 v7, 28, v6
	v_and_b32_e32 v3, 15, v3
	v_lshlrev_b32_sdwa v7, v7, v9 dst_sel:DWORD dst_unused:UNUSED_PAD src0_sel:DWORD src1_sel:WORD_1
	v_bfe_u32 v4, v9, 19, 4
	v_sub_u32_e32 v6, 29, v6
	v_and_b32_e32 v7, 7, v7
	v_cmp_eq_u16_e32 vcc, 0, v3
	v_cndmask_b32_e32 v2, v2, v7, vcc
	v_cndmask_b32_e32 v3, v4, v6, vcc
	v_lshlrev_b32_e32 v4, 8, v9
	v_mov_b32_e32 v6, 0x3b800000
	v_lshlrev_b32_e32 v2, 20, v2
	v_and_b32_e32 v4, 0x80000000, v4
	v_lshl_add_u32 v3, v3, 23, v6
	v_or3_b32 v2, v4, v3, v2
.LBB9_372:
	s_or_b64 exec, exec, s[6:7]
	s_movk_i32 s4, 0xff
	v_and_b32_sdwa v3, v5, s4 dst_sel:DWORD dst_unused:UNUSED_PAD src0_sel:WORD_1 src1_sel:DWORD
	s_movk_i32 s4, 0x7f
	v_cmp_lt_i16_e32 vcc, s4, v3
	s_mov_b64 s[4:5], 0
                                        ; implicit-def: $sgpr10
	s_and_saveexec_b64 s[6:7], vcc
	s_xor_b64 s[6:7], exec, s[6:7]
	s_cbranch_execnz .LBB9_2421
; %bb.373:
	s_or_saveexec_b64 s[6:7], s[6:7]
	v_mov_b32_e32 v4, s10
	s_xor_b64 exec, exec, s[6:7]
	s_cbranch_execnz .LBB9_2424
.LBB9_374:
	s_or_b64 exec, exec, s[6:7]
	s_and_saveexec_b64 s[6:7], s[4:5]
	s_cbranch_execz .LBB9_376
.LBB9_375:
	v_bfe_u32 v3, v5, 16, 3
	v_ffbh_u32_e32 v7, v3
	v_min_u32_e32 v7, 32, v7
	v_lshrrev_b32_e32 v4, 19, v5
	v_subrev_u32_e32 v8, 28, v7
	v_and_b32_e32 v4, 15, v4
	v_lshlrev_b32_sdwa v8, v8, v5 dst_sel:DWORD dst_unused:UNUSED_PAD src0_sel:DWORD src1_sel:WORD_1
	v_bfe_u32 v6, v5, 19, 4
	v_sub_u32_e32 v7, 29, v7
	v_and_b32_e32 v8, 7, v8
	v_cmp_eq_u16_e32 vcc, 0, v4
	v_cndmask_b32_e32 v3, v3, v8, vcc
	v_cndmask_b32_e32 v4, v6, v7, vcc
	v_lshlrev_b32_e32 v6, 8, v5
	v_mov_b32_e32 v7, 0x3b800000
	v_lshlrev_b32_e32 v3, 20, v3
	v_and_b32_e32 v6, 0x80000000, v6
	v_lshl_add_u32 v4, v4, 23, v7
	v_or3_b32 v4, v6, v4, v3
.LBB9_376:
	s_or_b64 exec, exec, s[6:7]
	s_nop 0
	v_mfma_f32_16x16x4f32 a[0:3], v2, v4, a[0:3]
	s_movk_i32 s4, 0x7f
	v_cmp_gt_i16_sdwa s[6:7], v9, s4 src0_sel:BYTE_3 src1_sel:DWORD
	s_mov_b64 s[4:5], 0
                                        ; implicit-def: $sgpr10
	s_and_saveexec_b64 s[8:9], s[6:7]
	s_xor_b64 s[6:7], exec, s[8:9]
	s_cbranch_execnz .LBB9_2425
; %bb.377:
	s_or_saveexec_b64 s[6:7], s[6:7]
	v_mov_b32_e32 v2, s10
	s_xor_b64 exec, exec, s[6:7]
	s_cbranch_execnz .LBB9_2428
.LBB9_378:
	s_or_b64 exec, exec, s[6:7]
	s_and_saveexec_b64 s[6:7], s[4:5]
	s_cbranch_execz .LBB9_380
.LBB9_379:
	v_bfe_u32 v2, v9, 24, 3
	v_ffbh_u32_e32 v7, v2
	v_min_u32_e32 v7, 32, v7
	v_lshrrev_b32_e32 v4, 27, v9
	v_subrev_u32_e32 v8, 28, v7
	v_and_b32_e32 v4, 15, v4
	v_lshlrev_b32_sdwa v8, v8, v9 dst_sel:DWORD dst_unused:UNUSED_PAD src0_sel:DWORD src1_sel:BYTE_3
	v_bfe_u32 v6, v9, 27, 4
	v_sub_u32_e32 v7, 29, v7
	v_and_b32_e32 v8, 7, v8
	v_cmp_eq_u16_e32 vcc, 0, v4
	v_cndmask_b32_e32 v2, v2, v8, vcc
	v_cndmask_b32_e32 v4, v6, v7, vcc
	v_mov_b32_e32 v6, 0x3b800000
	v_and_b32_e32 v3, 0x80000000, v9
	v_lshlrev_b32_e32 v2, 20, v2
	v_lshl_add_u32 v4, v4, 23, v6
	v_or3_b32 v2, v3, v4, v2
.LBB9_380:
	s_or_b64 exec, exec, s[6:7]
	s_movk_i32 s4, 0x7f
	v_cmp_gt_i16_sdwa s[6:7], v5, s4 src0_sel:BYTE_3 src1_sel:DWORD
	s_mov_b64 s[4:5], 0
                                        ; implicit-def: $sgpr10
	s_and_saveexec_b64 s[8:9], s[6:7]
	s_xor_b64 s[6:7], exec, s[8:9]
	s_cbranch_execnz .LBB9_2429
; %bb.381:
	s_or_saveexec_b64 s[6:7], s[6:7]
	v_mov_b32_e32 v3, s10
	s_xor_b64 exec, exec, s[6:7]
	s_cbranch_execnz .LBB9_2432
.LBB9_382:
	s_or_b64 exec, exec, s[6:7]
	s_and_saveexec_b64 s[6:7], s[4:5]
	s_cbranch_execz .LBB9_384
.LBB9_383:
	v_bfe_u32 v3, v5, 24, 3
	v_ffbh_u32_e32 v8, v3
	v_min_u32_e32 v8, 32, v8
	v_lshrrev_b32_e32 v6, 27, v5
	v_subrev_u32_e32 v9, 28, v8
	v_and_b32_e32 v4, 0x80000000, v5
	v_and_b32_e32 v6, 15, v6
	v_bfe_u32 v7, v5, 27, 4
	v_lshlrev_b32_sdwa v5, v9, v5 dst_sel:DWORD dst_unused:UNUSED_PAD src0_sel:DWORD src1_sel:BYTE_3
	v_sub_u32_e32 v8, 29, v8
	v_and_b32_e32 v5, 7, v5
	v_cmp_eq_u16_e32 vcc, 0, v6
	v_cndmask_b32_e32 v3, v3, v5, vcc
	v_cndmask_b32_e32 v5, v7, v8, vcc
	v_mov_b32_e32 v6, 0x3b800000
	v_lshlrev_b32_e32 v3, 20, v3
	v_lshl_add_u32 v5, v5, 23, v6
	v_or3_b32 v3, v4, v5, v3
.LBB9_384:
	s_or_b64 exec, exec, s[6:7]
	s_nop 0
	v_mfma_f32_16x16x4f32 a[0:3], v2, v3, a[0:3]
	s_movk_i32 s4, 0x7f
                                        ; implicit-def: $sgpr10
	s_nop 7
	s_nop 1
	flat_store_dwordx4 v[10:11], a[0:3] offset:32
	flat_load_dwordx4 v[12:15], v[0:1] offset:8
	s_nop 0
	flat_load_dwordx2 v[10:11], v[0:1] offset:32
	s_waitcnt vmcnt(0) lgkmcnt(0)
	flat_load_dwordx4 v[6:9], v[12:13] offset:16
	flat_load_dwordx4 v[2:5], v[14:15] offset:112
	s_waitcnt vmcnt(0) lgkmcnt(0)
	v_cmp_gt_i16_sdwa s[6:7], v6, s4 src0_sel:BYTE_0 src1_sel:DWORD
	s_mov_b64 s[4:5], 0
	s_and_saveexec_b64 s[8:9], s[6:7]
	s_xor_b64 s[6:7], exec, s[8:9]
	s_cbranch_execnz .LBB9_2433
; %bb.385:
	s_or_saveexec_b64 s[6:7], s[6:7]
	v_mov_b32_e32 v12, s10
	s_xor_b64 exec, exec, s[6:7]
	s_cbranch_execnz .LBB9_2436
.LBB9_386:
	s_or_b64 exec, exec, s[6:7]
	s_and_saveexec_b64 s[6:7], s[4:5]
	s_cbranch_execz .LBB9_388
.LBB9_387:
	v_and_b32_e32 v12, 7, v6
	v_ffbh_u32_e32 v14, v12
	v_min_u32_e32 v14, 32, v14
	v_lshrrev_b16_e32 v13, 3, v6
	v_subrev_u32_e32 v15, 28, v14
	v_and_b32_e32 v13, 15, v13
	v_lshlrev_b32_e32 v15, v15, v6
	v_sub_u32_e32 v14, 29, v14
	v_and_b32_e32 v15, 7, v15
	v_cmp_eq_u16_e32 vcc, 0, v13
	v_cndmask_b32_e32 v12, v12, v15, vcc
	v_cndmask_b32_e32 v13, v13, v14, vcc
	v_lshlrev_b32_e32 v14, 24, v6
	v_mov_b32_e32 v15, 0x3b800000
	v_lshlrev_b32_e32 v12, 20, v12
	v_and_b32_e32 v14, 0x80000000, v14
	v_lshl_add_u32 v13, v13, 23, v15
	v_or3_b32 v12, v14, v13, v12
.LBB9_388:
	s_or_b64 exec, exec, s[6:7]
	s_movk_i32 s4, 0x7f
	v_cmp_gt_i16_sdwa s[6:7], v2, s4 src0_sel:BYTE_0 src1_sel:DWORD
	s_mov_b64 s[4:5], 0
                                        ; implicit-def: $sgpr10
	s_and_saveexec_b64 s[8:9], s[6:7]
	s_xor_b64 s[6:7], exec, s[8:9]
	s_cbranch_execnz .LBB9_2437
; %bb.389:
	s_or_saveexec_b64 s[6:7], s[6:7]
	v_mov_b32_e32 v13, s10
	s_xor_b64 exec, exec, s[6:7]
	s_cbranch_execnz .LBB9_2440
.LBB9_390:
	s_or_b64 exec, exec, s[6:7]
	s_and_saveexec_b64 s[6:7], s[4:5]
	s_cbranch_execz .LBB9_392
.LBB9_391:
	v_and_b32_e32 v13, 7, v2
	v_ffbh_u32_e32 v15, v13
	v_min_u32_e32 v15, 32, v15
	v_lshrrev_b16_e32 v14, 3, v2
	v_subrev_u32_e32 v16, 28, v15
	v_and_b32_e32 v14, 15, v14
	v_lshlrev_b32_e32 v16, v16, v2
	v_sub_u32_e32 v15, 29, v15
	v_and_b32_e32 v16, 7, v16
	v_cmp_eq_u16_e32 vcc, 0, v14
	v_cndmask_b32_e32 v13, v13, v16, vcc
	v_cndmask_b32_e32 v14, v14, v15, vcc
	v_lshlrev_b32_e32 v15, 24, v2
	v_mov_b32_e32 v16, 0x3b800000
	v_lshlrev_b32_e32 v13, 20, v13
	v_and_b32_e32 v15, 0x80000000, v15
	v_lshl_add_u32 v14, v14, 23, v16
	v_or3_b32 v13, v15, v14, v13
.LBB9_392:
	s_or_b64 exec, exec, s[6:7]
	flat_load_dwordx4 a[0:3], v[10:11] offset:48
	s_movk_i32 s4, 0x7f
                                        ; implicit-def: $sgpr10
	s_waitcnt vmcnt(0) lgkmcnt(0)
	v_mfma_f32_16x16x4f32 a[0:3], v12, v13, a[0:3]
	v_lshrrev_b32_e32 v13, 8, v6
	v_cmp_gt_i16_sdwa s[6:7], v13, s4 src0_sel:BYTE_0 src1_sel:DWORD
	s_mov_b64 s[4:5], 0
	s_and_saveexec_b64 s[8:9], s[6:7]
	s_xor_b64 s[6:7], exec, s[8:9]
	s_cbranch_execnz .LBB9_2441
; %bb.393:
	s_or_saveexec_b64 s[6:7], s[6:7]
	v_mov_b32_e32 v12, s10
	s_xor_b64 exec, exec, s[6:7]
	s_cbranch_execnz .LBB9_2444
.LBB9_394:
	s_or_b64 exec, exec, s[6:7]
	s_and_saveexec_b64 s[6:7], s[4:5]
	s_cbranch_execz .LBB9_396
.LBB9_395:
	v_bfe_u32 v12, v6, 8, 3
	v_ffbh_u32_e32 v15, v12
	v_min_u32_e32 v15, 32, v15
	v_lshrrev_b16_e32 v14, 3, v13
	v_subrev_u32_e32 v16, 28, v15
	v_and_b32_e32 v14, 15, v14
	v_lshlrev_b32_e32 v13, v16, v13
	v_sub_u32_e32 v15, 29, v15
	v_and_b32_e32 v13, 7, v13
	v_cmp_eq_u16_e32 vcc, 0, v14
	v_cndmask_b32_e32 v12, v12, v13, vcc
	v_cndmask_b32_e32 v13, v14, v15, vcc
	v_lshlrev_b32_e32 v14, 16, v6
	v_mov_b32_e32 v15, 0x3b800000
	v_lshlrev_b32_e32 v12, 20, v12
	v_and_b32_e32 v14, 0x80000000, v14
	v_lshl_add_u32 v13, v13, 23, v15
	v_or3_b32 v12, v14, v13, v12
.LBB9_396:
	s_or_b64 exec, exec, s[6:7]
	v_lshrrev_b32_e32 v13, 8, v2
	s_movk_i32 s4, 0x7f
	v_cmp_gt_i16_sdwa s[6:7], v13, s4 src0_sel:BYTE_0 src1_sel:DWORD
	s_mov_b64 s[4:5], 0
                                        ; implicit-def: $sgpr10
	s_and_saveexec_b64 s[8:9], s[6:7]
	s_xor_b64 s[6:7], exec, s[8:9]
	s_cbranch_execnz .LBB9_2445
; %bb.397:
	s_or_saveexec_b64 s[6:7], s[6:7]
	v_mov_b32_e32 v14, s10
	s_xor_b64 exec, exec, s[6:7]
	s_cbranch_execnz .LBB9_2448
.LBB9_398:
	s_or_b64 exec, exec, s[6:7]
	s_and_saveexec_b64 s[6:7], s[4:5]
	s_cbranch_execz .LBB9_400
.LBB9_399:
	v_bfe_u32 v14, v2, 8, 3
	v_ffbh_u32_e32 v16, v14
	v_min_u32_e32 v16, 32, v16
	v_lshrrev_b16_e32 v15, 3, v13
	v_subrev_u32_e32 v17, 28, v16
	v_and_b32_e32 v15, 15, v15
	v_lshlrev_b32_e32 v13, v17, v13
	v_sub_u32_e32 v16, 29, v16
	v_and_b32_e32 v13, 7, v13
	v_cmp_eq_u16_e32 vcc, 0, v15
	v_cndmask_b32_e32 v13, v14, v13, vcc
	v_cndmask_b32_e32 v14, v15, v16, vcc
	v_lshlrev_b32_e32 v15, 16, v2
	v_mov_b32_e32 v16, 0x3b800000
	v_lshlrev_b32_e32 v13, 20, v13
	v_and_b32_e32 v15, 0x80000000, v15
	v_lshl_add_u32 v14, v14, 23, v16
	v_or3_b32 v14, v15, v14, v13
.LBB9_400:
	s_or_b64 exec, exec, s[6:7]
	s_nop 0
	v_mfma_f32_16x16x4f32 a[0:3], v12, v14, a[0:3]
	s_movk_i32 s4, 0xff
	v_and_b32_sdwa v13, v6, s4 dst_sel:DWORD dst_unused:UNUSED_PAD src0_sel:WORD_1 src1_sel:DWORD
	s_movk_i32 s4, 0x7f
	v_cmp_lt_i16_e32 vcc, s4, v13
	s_mov_b64 s[4:5], 0
                                        ; implicit-def: $sgpr10
	s_and_saveexec_b64 s[6:7], vcc
	s_xor_b64 s[6:7], exec, s[6:7]
	s_cbranch_execnz .LBB9_2449
; %bb.401:
	s_or_saveexec_b64 s[6:7], s[6:7]
	v_mov_b32_e32 v12, s10
	s_xor_b64 exec, exec, s[6:7]
	s_cbranch_execnz .LBB9_2452
.LBB9_402:
	s_or_b64 exec, exec, s[6:7]
	s_and_saveexec_b64 s[6:7], s[4:5]
	s_cbranch_execz .LBB9_404
.LBB9_403:
	v_bfe_u32 v12, v6, 16, 3
	v_ffbh_u32_e32 v15, v12
	v_min_u32_e32 v15, 32, v15
	v_lshrrev_b32_e32 v13, 19, v6
	v_subrev_u32_e32 v16, 28, v15
	v_and_b32_e32 v13, 15, v13
	v_lshlrev_b32_sdwa v16, v16, v6 dst_sel:DWORD dst_unused:UNUSED_PAD src0_sel:DWORD src1_sel:WORD_1
	v_bfe_u32 v14, v6, 19, 4
	v_sub_u32_e32 v15, 29, v15
	v_and_b32_e32 v16, 7, v16
	v_cmp_eq_u16_e32 vcc, 0, v13
	v_cndmask_b32_e32 v12, v12, v16, vcc
	v_cndmask_b32_e32 v13, v14, v15, vcc
	v_lshlrev_b32_e32 v14, 8, v6
	v_mov_b32_e32 v15, 0x3b800000
	v_lshlrev_b32_e32 v12, 20, v12
	v_and_b32_e32 v14, 0x80000000, v14
	v_lshl_add_u32 v13, v13, 23, v15
	v_or3_b32 v12, v14, v13, v12
.LBB9_404:
	s_or_b64 exec, exec, s[6:7]
	s_movk_i32 s4, 0xff
	v_and_b32_sdwa v13, v2, s4 dst_sel:DWORD dst_unused:UNUSED_PAD src0_sel:WORD_1 src1_sel:DWORD
	s_movk_i32 s4, 0x7f
	v_cmp_lt_i16_e32 vcc, s4, v13
	s_mov_b64 s[4:5], 0
                                        ; implicit-def: $sgpr10
	s_and_saveexec_b64 s[6:7], vcc
	s_xor_b64 s[6:7], exec, s[6:7]
	s_cbranch_execnz .LBB9_2453
; %bb.405:
	s_or_saveexec_b64 s[6:7], s[6:7]
	v_mov_b32_e32 v14, s10
	s_xor_b64 exec, exec, s[6:7]
	s_cbranch_execnz .LBB9_2456
.LBB9_406:
	s_or_b64 exec, exec, s[6:7]
	s_and_saveexec_b64 s[6:7], s[4:5]
	s_cbranch_execz .LBB9_408
.LBB9_407:
	v_bfe_u32 v13, v2, 16, 3
	v_ffbh_u32_e32 v16, v13
	v_min_u32_e32 v16, 32, v16
	v_lshrrev_b32_e32 v14, 19, v2
	v_subrev_u32_e32 v17, 28, v16
	v_and_b32_e32 v14, 15, v14
	v_lshlrev_b32_sdwa v17, v17, v2 dst_sel:DWORD dst_unused:UNUSED_PAD src0_sel:DWORD src1_sel:WORD_1
	v_bfe_u32 v15, v2, 19, 4
	v_sub_u32_e32 v16, 29, v16
	v_and_b32_e32 v17, 7, v17
	v_cmp_eq_u16_e32 vcc, 0, v14
	v_cndmask_b32_e32 v13, v13, v17, vcc
	v_cndmask_b32_e32 v14, v15, v16, vcc
	v_lshlrev_b32_e32 v15, 8, v2
	v_mov_b32_e32 v16, 0x3b800000
	v_lshlrev_b32_e32 v13, 20, v13
	v_and_b32_e32 v15, 0x80000000, v15
	v_lshl_add_u32 v14, v14, 23, v16
	v_or3_b32 v14, v15, v14, v13
.LBB9_408:
	s_or_b64 exec, exec, s[6:7]
	s_nop 0
	v_mfma_f32_16x16x4f32 a[0:3], v12, v14, a[0:3]
	s_movk_i32 s4, 0x7f
	v_cmp_gt_i16_sdwa s[6:7], v6, s4 src0_sel:BYTE_3 src1_sel:DWORD
	s_mov_b64 s[4:5], 0
                                        ; implicit-def: $sgpr10
	s_and_saveexec_b64 s[8:9], s[6:7]
	s_xor_b64 s[6:7], exec, s[8:9]
	s_cbranch_execnz .LBB9_2457
; %bb.409:
	s_or_saveexec_b64 s[6:7], s[6:7]
	v_mov_b32_e32 v12, s10
	s_xor_b64 exec, exec, s[6:7]
	s_cbranch_execnz .LBB9_2460
.LBB9_410:
	s_or_b64 exec, exec, s[6:7]
	s_and_saveexec_b64 s[6:7], s[4:5]
	s_cbranch_execz .LBB9_412
.LBB9_411:
	v_bfe_u32 v12, v6, 24, 3
	v_ffbh_u32_e32 v16, v12
	v_min_u32_e32 v16, 32, v16
	v_lshrrev_b32_e32 v14, 27, v6
	v_subrev_u32_e32 v17, 28, v16
	v_and_b32_e32 v13, 0x80000000, v6
	v_and_b32_e32 v14, 15, v14
	v_bfe_u32 v15, v6, 27, 4
	v_lshlrev_b32_sdwa v6, v17, v6 dst_sel:DWORD dst_unused:UNUSED_PAD src0_sel:DWORD src1_sel:BYTE_3
	v_sub_u32_e32 v16, 29, v16
	v_and_b32_e32 v6, 7, v6
	v_cmp_eq_u16_e32 vcc, 0, v14
	v_cndmask_b32_e32 v6, v12, v6, vcc
	v_cndmask_b32_e32 v12, v15, v16, vcc
	v_mov_b32_e32 v14, 0x3b800000
	v_lshlrev_b32_e32 v6, 20, v6
	v_lshl_add_u32 v12, v12, 23, v14
	v_or3_b32 v12, v13, v12, v6
.LBB9_412:
	s_or_b64 exec, exec, s[6:7]
	s_movk_i32 s4, 0x7f
	v_cmp_gt_i16_sdwa s[6:7], v2, s4 src0_sel:BYTE_3 src1_sel:DWORD
	s_mov_b64 s[4:5], 0
                                        ; implicit-def: $sgpr10
	s_and_saveexec_b64 s[8:9], s[6:7]
	s_xor_b64 s[6:7], exec, s[8:9]
	s_cbranch_execnz .LBB9_2461
; %bb.413:
	s_or_saveexec_b64 s[6:7], s[6:7]
	v_mov_b32_e32 v6, s10
	s_xor_b64 exec, exec, s[6:7]
	s_cbranch_execnz .LBB9_2464
.LBB9_414:
	s_or_b64 exec, exec, s[6:7]
	s_and_saveexec_b64 s[6:7], s[4:5]
	s_cbranch_execz .LBB9_416
.LBB9_415:
	v_bfe_u32 v6, v2, 24, 3
	v_ffbh_u32_e32 v16, v6
	v_min_u32_e32 v16, 32, v16
	v_lshrrev_b32_e32 v14, 27, v2
	v_subrev_u32_e32 v17, 28, v16
	v_and_b32_e32 v13, 0x80000000, v2
	v_and_b32_e32 v14, 15, v14
	v_bfe_u32 v15, v2, 27, 4
	v_lshlrev_b32_sdwa v2, v17, v2 dst_sel:DWORD dst_unused:UNUSED_PAD src0_sel:DWORD src1_sel:BYTE_3
	v_sub_u32_e32 v16, 29, v16
	v_and_b32_e32 v2, 7, v2
	v_cmp_eq_u16_e32 vcc, 0, v14
	v_cndmask_b32_e32 v2, v6, v2, vcc
	v_cndmask_b32_e32 v6, v15, v16, vcc
	v_mov_b32_e32 v14, 0x3b800000
	v_lshlrev_b32_e32 v2, 20, v2
	v_lshl_add_u32 v6, v6, 23, v14
	v_or3_b32 v6, v13, v6, v2
.LBB9_416:
	s_or_b64 exec, exec, s[6:7]
	s_nop 0
	v_mfma_f32_16x16x4f32 a[0:3], v12, v6, a[0:3]
	s_movk_i32 s4, 0x7f
	v_cmp_gt_i16_sdwa s[6:7], v7, s4 src0_sel:BYTE_0 src1_sel:DWORD
	s_mov_b64 s[4:5], 0
                                        ; implicit-def: $sgpr10
	s_and_saveexec_b64 s[8:9], s[6:7]
	s_xor_b64 s[6:7], exec, s[8:9]
	s_cbranch_execnz .LBB9_2465
; %bb.417:
	s_or_saveexec_b64 s[6:7], s[6:7]
	v_mov_b32_e32 v2, s10
	s_xor_b64 exec, exec, s[6:7]
	s_cbranch_execnz .LBB9_2468
.LBB9_418:
	s_or_b64 exec, exec, s[6:7]
	s_and_saveexec_b64 s[6:7], s[4:5]
	s_cbranch_execz .LBB9_420
.LBB9_419:
	v_and_b32_e32 v2, 7, v7
	v_ffbh_u32_e32 v12, v2
	v_min_u32_e32 v12, 32, v12
	v_lshrrev_b16_e32 v6, 3, v7
	v_subrev_u32_e32 v13, 28, v12
	v_and_b32_e32 v6, 15, v6
	v_lshlrev_b32_e32 v13, v13, v7
	v_sub_u32_e32 v12, 29, v12
	v_and_b32_e32 v13, 7, v13
	v_cmp_eq_u16_e32 vcc, 0, v6
	v_cndmask_b32_e32 v2, v2, v13, vcc
	v_cndmask_b32_e32 v6, v6, v12, vcc
	v_lshlrev_b32_e32 v12, 24, v7
	v_mov_b32_e32 v13, 0x3b800000
	v_lshlrev_b32_e32 v2, 20, v2
	v_and_b32_e32 v12, 0x80000000, v12
	v_lshl_add_u32 v6, v6, 23, v13
	v_or3_b32 v2, v12, v6, v2
.LBB9_420:
	s_or_b64 exec, exec, s[6:7]
	s_movk_i32 s4, 0x7f
	v_cmp_gt_i16_sdwa s[6:7], v3, s4 src0_sel:BYTE_0 src1_sel:DWORD
	s_mov_b64 s[4:5], 0
                                        ; implicit-def: $sgpr10
	s_and_saveexec_b64 s[8:9], s[6:7]
	s_xor_b64 s[6:7], exec, s[8:9]
	s_cbranch_execnz .LBB9_2469
; %bb.421:
	s_or_saveexec_b64 s[6:7], s[6:7]
	v_mov_b32_e32 v6, s10
	s_xor_b64 exec, exec, s[6:7]
	s_cbranch_execnz .LBB9_2472
.LBB9_422:
	s_or_b64 exec, exec, s[6:7]
	s_and_saveexec_b64 s[6:7], s[4:5]
	s_cbranch_execz .LBB9_424
.LBB9_423:
	v_and_b32_e32 v6, 7, v3
	v_ffbh_u32_e32 v13, v6
	v_min_u32_e32 v13, 32, v13
	v_lshrrev_b16_e32 v12, 3, v3
	v_subrev_u32_e32 v14, 28, v13
	v_and_b32_e32 v12, 15, v12
	v_lshlrev_b32_e32 v14, v14, v3
	v_sub_u32_e32 v13, 29, v13
	v_and_b32_e32 v14, 7, v14
	v_cmp_eq_u16_e32 vcc, 0, v12
	v_cndmask_b32_e32 v6, v6, v14, vcc
	v_cndmask_b32_e32 v12, v12, v13, vcc
	v_lshlrev_b32_e32 v13, 24, v3
	v_mov_b32_e32 v14, 0x3b800000
	v_lshlrev_b32_e32 v6, 20, v6
	v_and_b32_e32 v13, 0x80000000, v13
	v_lshl_add_u32 v12, v12, 23, v14
	v_or3_b32 v6, v13, v12, v6
.LBB9_424:
	s_or_b64 exec, exec, s[6:7]
	s_nop 0
	v_mfma_f32_16x16x4f32 a[0:3], v2, v6, a[0:3]
	v_lshrrev_b32_e32 v6, 8, v7
	s_movk_i32 s4, 0x7f
	v_cmp_gt_i16_sdwa s[6:7], v6, s4 src0_sel:BYTE_0 src1_sel:DWORD
	s_mov_b64 s[4:5], 0
                                        ; implicit-def: $sgpr10
	s_and_saveexec_b64 s[8:9], s[6:7]
	s_xor_b64 s[6:7], exec, s[8:9]
	s_cbranch_execnz .LBB9_2473
; %bb.425:
	s_or_saveexec_b64 s[6:7], s[6:7]
	v_mov_b32_e32 v2, s10
	s_xor_b64 exec, exec, s[6:7]
	s_cbranch_execnz .LBB9_2476
.LBB9_426:
	s_or_b64 exec, exec, s[6:7]
	s_and_saveexec_b64 s[6:7], s[4:5]
	s_cbranch_execz .LBB9_428
.LBB9_427:
	v_bfe_u32 v2, v7, 8, 3
	v_ffbh_u32_e32 v13, v2
	v_min_u32_e32 v13, 32, v13
	v_lshrrev_b16_e32 v12, 3, v6
	v_subrev_u32_e32 v14, 28, v13
	v_and_b32_e32 v12, 15, v12
	v_lshlrev_b32_e32 v6, v14, v6
	v_sub_u32_e32 v13, 29, v13
	v_and_b32_e32 v6, 7, v6
	v_cmp_eq_u16_e32 vcc, 0, v12
	v_cndmask_b32_e32 v2, v2, v6, vcc
	v_cndmask_b32_e32 v6, v12, v13, vcc
	v_lshlrev_b32_e32 v12, 16, v7
	v_mov_b32_e32 v13, 0x3b800000
	v_lshlrev_b32_e32 v2, 20, v2
	v_and_b32_e32 v12, 0x80000000, v12
	v_lshl_add_u32 v6, v6, 23, v13
	v_or3_b32 v2, v12, v6, v2
.LBB9_428:
	s_or_b64 exec, exec, s[6:7]
	v_lshrrev_b32_e32 v6, 8, v3
	s_movk_i32 s4, 0x7f
	v_cmp_gt_i16_sdwa s[6:7], v6, s4 src0_sel:BYTE_0 src1_sel:DWORD
	s_mov_b64 s[4:5], 0
                                        ; implicit-def: $sgpr10
	s_and_saveexec_b64 s[8:9], s[6:7]
	s_xor_b64 s[6:7], exec, s[8:9]
	s_cbranch_execnz .LBB9_2477
; %bb.429:
	s_or_saveexec_b64 s[6:7], s[6:7]
	v_mov_b32_e32 v12, s10
	s_xor_b64 exec, exec, s[6:7]
	s_cbranch_execnz .LBB9_2480
.LBB9_430:
	s_or_b64 exec, exec, s[6:7]
	s_and_saveexec_b64 s[6:7], s[4:5]
	s_cbranch_execz .LBB9_432
.LBB9_431:
	v_bfe_u32 v12, v3, 8, 3
	v_ffbh_u32_e32 v14, v12
	v_min_u32_e32 v14, 32, v14
	v_lshrrev_b16_e32 v13, 3, v6
	v_subrev_u32_e32 v15, 28, v14
	v_and_b32_e32 v13, 15, v13
	v_lshlrev_b32_e32 v6, v15, v6
	v_sub_u32_e32 v14, 29, v14
	v_and_b32_e32 v6, 7, v6
	v_cmp_eq_u16_e32 vcc, 0, v13
	v_cndmask_b32_e32 v6, v12, v6, vcc
	v_cndmask_b32_e32 v12, v13, v14, vcc
	v_lshlrev_b32_e32 v13, 16, v3
	v_mov_b32_e32 v14, 0x3b800000
	v_lshlrev_b32_e32 v6, 20, v6
	v_and_b32_e32 v13, 0x80000000, v13
	v_lshl_add_u32 v12, v12, 23, v14
	v_or3_b32 v12, v13, v12, v6
.LBB9_432:
	s_or_b64 exec, exec, s[6:7]
	s_nop 0
	v_mfma_f32_16x16x4f32 a[0:3], v2, v12, a[0:3]
	s_movk_i32 s4, 0xff
	v_and_b32_sdwa v6, v7, s4 dst_sel:DWORD dst_unused:UNUSED_PAD src0_sel:WORD_1 src1_sel:DWORD
	s_movk_i32 s4, 0x7f
	v_cmp_lt_i16_e32 vcc, s4, v6
	s_mov_b64 s[4:5], 0
                                        ; implicit-def: $sgpr10
	s_and_saveexec_b64 s[6:7], vcc
	s_xor_b64 s[6:7], exec, s[6:7]
	s_cbranch_execnz .LBB9_2481
; %bb.433:
	s_or_saveexec_b64 s[6:7], s[6:7]
	v_mov_b32_e32 v2, s10
	s_xor_b64 exec, exec, s[6:7]
	s_cbranch_execnz .LBB9_2484
.LBB9_434:
	s_or_b64 exec, exec, s[6:7]
	s_and_saveexec_b64 s[6:7], s[4:5]
	s_cbranch_execz .LBB9_436
.LBB9_435:
	v_bfe_u32 v2, v7, 16, 3
	v_ffbh_u32_e32 v13, v2
	v_min_u32_e32 v13, 32, v13
	v_lshrrev_b32_e32 v6, 19, v7
	v_subrev_u32_e32 v14, 28, v13
	v_and_b32_e32 v6, 15, v6
	v_lshlrev_b32_sdwa v14, v14, v7 dst_sel:DWORD dst_unused:UNUSED_PAD src0_sel:DWORD src1_sel:WORD_1
	v_bfe_u32 v12, v7, 19, 4
	v_sub_u32_e32 v13, 29, v13
	v_and_b32_e32 v14, 7, v14
	v_cmp_eq_u16_e32 vcc, 0, v6
	v_cndmask_b32_e32 v2, v2, v14, vcc
	v_cndmask_b32_e32 v6, v12, v13, vcc
	v_lshlrev_b32_e32 v12, 8, v7
	v_mov_b32_e32 v13, 0x3b800000
	v_lshlrev_b32_e32 v2, 20, v2
	v_and_b32_e32 v12, 0x80000000, v12
	v_lshl_add_u32 v6, v6, 23, v13
	v_or3_b32 v2, v12, v6, v2
.LBB9_436:
	s_or_b64 exec, exec, s[6:7]
	s_movk_i32 s4, 0xff
	v_and_b32_sdwa v6, v3, s4 dst_sel:DWORD dst_unused:UNUSED_PAD src0_sel:WORD_1 src1_sel:DWORD
	s_movk_i32 s4, 0x7f
	v_cmp_lt_i16_e32 vcc, s4, v6
	s_mov_b64 s[4:5], 0
                                        ; implicit-def: $sgpr10
	s_and_saveexec_b64 s[6:7], vcc
	s_xor_b64 s[6:7], exec, s[6:7]
	s_cbranch_execnz .LBB9_2485
; %bb.437:
	s_or_saveexec_b64 s[6:7], s[6:7]
	v_mov_b32_e32 v12, s10
	s_xor_b64 exec, exec, s[6:7]
	s_cbranch_execnz .LBB9_2488
.LBB9_438:
	s_or_b64 exec, exec, s[6:7]
	s_and_saveexec_b64 s[6:7], s[4:5]
	s_cbranch_execz .LBB9_440
.LBB9_439:
	v_bfe_u32 v6, v3, 16, 3
	v_ffbh_u32_e32 v14, v6
	v_min_u32_e32 v14, 32, v14
	v_lshrrev_b32_e32 v12, 19, v3
	v_subrev_u32_e32 v15, 28, v14
	v_and_b32_e32 v12, 15, v12
	v_lshlrev_b32_sdwa v15, v15, v3 dst_sel:DWORD dst_unused:UNUSED_PAD src0_sel:DWORD src1_sel:WORD_1
	v_bfe_u32 v13, v3, 19, 4
	v_sub_u32_e32 v14, 29, v14
	v_and_b32_e32 v15, 7, v15
	v_cmp_eq_u16_e32 vcc, 0, v12
	v_cndmask_b32_e32 v6, v6, v15, vcc
	v_cndmask_b32_e32 v12, v13, v14, vcc
	v_lshlrev_b32_e32 v13, 8, v3
	v_mov_b32_e32 v14, 0x3b800000
	v_lshlrev_b32_e32 v6, 20, v6
	v_and_b32_e32 v13, 0x80000000, v13
	v_lshl_add_u32 v12, v12, 23, v14
	v_or3_b32 v12, v13, v12, v6
.LBB9_440:
	s_or_b64 exec, exec, s[6:7]
	s_nop 0
	v_mfma_f32_16x16x4f32 a[0:3], v2, v12, a[0:3]
	s_movk_i32 s4, 0x7f
	v_cmp_gt_i16_sdwa s[6:7], v7, s4 src0_sel:BYTE_3 src1_sel:DWORD
	s_mov_b64 s[4:5], 0
                                        ; implicit-def: $sgpr10
	s_and_saveexec_b64 s[8:9], s[6:7]
	s_xor_b64 s[6:7], exec, s[8:9]
	s_cbranch_execnz .LBB9_2489
; %bb.441:
	s_or_saveexec_b64 s[6:7], s[6:7]
	v_mov_b32_e32 v2, s10
	s_xor_b64 exec, exec, s[6:7]
	s_cbranch_execnz .LBB9_2492
.LBB9_442:
	s_or_b64 exec, exec, s[6:7]
	s_and_saveexec_b64 s[6:7], s[4:5]
	s_cbranch_execz .LBB9_444
.LBB9_443:
	v_bfe_u32 v2, v7, 24, 3
	v_ffbh_u32_e32 v14, v2
	v_min_u32_e32 v14, 32, v14
	v_lshrrev_b32_e32 v12, 27, v7
	v_subrev_u32_e32 v15, 28, v14
	v_and_b32_e32 v6, 0x80000000, v7
	v_and_b32_e32 v12, 15, v12
	v_bfe_u32 v13, v7, 27, 4
	v_lshlrev_b32_sdwa v7, v15, v7 dst_sel:DWORD dst_unused:UNUSED_PAD src0_sel:DWORD src1_sel:BYTE_3
	v_sub_u32_e32 v14, 29, v14
	v_and_b32_e32 v7, 7, v7
	v_cmp_eq_u16_e32 vcc, 0, v12
	v_cndmask_b32_e32 v2, v2, v7, vcc
	v_cndmask_b32_e32 v7, v13, v14, vcc
	v_mov_b32_e32 v12, 0x3b800000
	v_lshlrev_b32_e32 v2, 20, v2
	v_lshl_add_u32 v7, v7, 23, v12
	v_or3_b32 v2, v6, v7, v2
.LBB9_444:
	s_or_b64 exec, exec, s[6:7]
	s_movk_i32 s4, 0x7f
	v_cmp_gt_i16_sdwa s[6:7], v3, s4 src0_sel:BYTE_3 src1_sel:DWORD
	s_mov_b64 s[4:5], 0
                                        ; implicit-def: $sgpr10
	s_and_saveexec_b64 s[8:9], s[6:7]
	s_xor_b64 s[6:7], exec, s[8:9]
	s_cbranch_execnz .LBB9_2493
; %bb.445:
	s_or_saveexec_b64 s[6:7], s[6:7]
	v_mov_b32_e32 v6, s10
	s_xor_b64 exec, exec, s[6:7]
	s_cbranch_execnz .LBB9_2496
.LBB9_446:
	s_or_b64 exec, exec, s[6:7]
	s_and_saveexec_b64 s[6:7], s[4:5]
	s_cbranch_execz .LBB9_448
.LBB9_447:
	v_bfe_u32 v6, v3, 24, 3
	v_ffbh_u32_e32 v14, v6
	v_min_u32_e32 v14, 32, v14
	v_lshrrev_b32_e32 v12, 27, v3
	v_subrev_u32_e32 v15, 28, v14
	v_and_b32_e32 v7, 0x80000000, v3
	v_and_b32_e32 v12, 15, v12
	v_bfe_u32 v13, v3, 27, 4
	v_lshlrev_b32_sdwa v3, v15, v3 dst_sel:DWORD dst_unused:UNUSED_PAD src0_sel:DWORD src1_sel:BYTE_3
	v_sub_u32_e32 v14, 29, v14
	v_and_b32_e32 v3, 7, v3
	v_cmp_eq_u16_e32 vcc, 0, v12
	v_cndmask_b32_e32 v3, v6, v3, vcc
	v_cndmask_b32_e32 v6, v13, v14, vcc
	v_mov_b32_e32 v12, 0x3b800000
	v_lshlrev_b32_e32 v3, 20, v3
	v_lshl_add_u32 v6, v6, 23, v12
	v_or3_b32 v6, v7, v6, v3
.LBB9_448:
	s_or_b64 exec, exec, s[6:7]
	s_nop 0
	v_mfma_f32_16x16x4f32 a[0:3], v2, v6, a[0:3]
	s_movk_i32 s4, 0x7f
	v_cmp_gt_i16_sdwa s[6:7], v8, s4 src0_sel:BYTE_0 src1_sel:DWORD
	s_mov_b64 s[4:5], 0
                                        ; implicit-def: $sgpr10
	s_and_saveexec_b64 s[8:9], s[6:7]
	s_xor_b64 s[6:7], exec, s[8:9]
	s_cbranch_execnz .LBB9_2497
; %bb.449:
	s_or_saveexec_b64 s[6:7], s[6:7]
	v_mov_b32_e32 v2, s10
	s_xor_b64 exec, exec, s[6:7]
	s_cbranch_execnz .LBB9_2500
.LBB9_450:
	s_or_b64 exec, exec, s[6:7]
	s_and_saveexec_b64 s[6:7], s[4:5]
	s_cbranch_execz .LBB9_452
.LBB9_451:
	v_and_b32_e32 v2, 7, v8
	v_ffbh_u32_e32 v6, v2
	v_min_u32_e32 v6, 32, v6
	v_lshrrev_b16_e32 v3, 3, v8
	v_subrev_u32_e32 v7, 28, v6
	v_and_b32_e32 v3, 15, v3
	v_lshlrev_b32_e32 v7, v7, v8
	v_sub_u32_e32 v6, 29, v6
	v_and_b32_e32 v7, 7, v7
	v_cmp_eq_u16_e32 vcc, 0, v3
	v_cndmask_b32_e32 v2, v2, v7, vcc
	v_cndmask_b32_e32 v3, v3, v6, vcc
	v_lshlrev_b32_e32 v6, 24, v8
	v_mov_b32_e32 v7, 0x3b800000
	v_lshlrev_b32_e32 v2, 20, v2
	v_and_b32_e32 v6, 0x80000000, v6
	v_lshl_add_u32 v3, v3, 23, v7
	v_or3_b32 v2, v6, v3, v2
.LBB9_452:
	s_or_b64 exec, exec, s[6:7]
	s_movk_i32 s4, 0x7f
	v_cmp_gt_i16_sdwa s[6:7], v4, s4 src0_sel:BYTE_0 src1_sel:DWORD
	s_mov_b64 s[4:5], 0
                                        ; implicit-def: $sgpr10
	s_and_saveexec_b64 s[8:9], s[6:7]
	s_xor_b64 s[6:7], exec, s[8:9]
	s_cbranch_execnz .LBB9_2501
; %bb.453:
	s_or_saveexec_b64 s[6:7], s[6:7]
	v_mov_b32_e32 v3, s10
	s_xor_b64 exec, exec, s[6:7]
	s_cbranch_execnz .LBB9_2504
.LBB9_454:
	s_or_b64 exec, exec, s[6:7]
	s_and_saveexec_b64 s[6:7], s[4:5]
	s_cbranch_execz .LBB9_456
.LBB9_455:
	v_and_b32_e32 v3, 7, v4
	v_ffbh_u32_e32 v7, v3
	v_min_u32_e32 v7, 32, v7
	v_lshrrev_b16_e32 v6, 3, v4
	v_subrev_u32_e32 v12, 28, v7
	v_and_b32_e32 v6, 15, v6
	v_lshlrev_b32_e32 v12, v12, v4
	v_sub_u32_e32 v7, 29, v7
	v_and_b32_e32 v12, 7, v12
	v_cmp_eq_u16_e32 vcc, 0, v6
	v_cndmask_b32_e32 v3, v3, v12, vcc
	v_cndmask_b32_e32 v6, v6, v7, vcc
	v_lshlrev_b32_e32 v7, 24, v4
	v_mov_b32_e32 v12, 0x3b800000
	v_lshlrev_b32_e32 v3, 20, v3
	v_and_b32_e32 v7, 0x80000000, v7
	v_lshl_add_u32 v6, v6, 23, v12
	v_or3_b32 v3, v7, v6, v3
.LBB9_456:
	s_or_b64 exec, exec, s[6:7]
	s_nop 0
	v_mfma_f32_16x16x4f32 a[0:3], v2, v3, a[0:3]
	v_lshrrev_b32_e32 v3, 8, v8
	s_movk_i32 s4, 0x7f
	v_cmp_gt_i16_sdwa s[6:7], v3, s4 src0_sel:BYTE_0 src1_sel:DWORD
	s_mov_b64 s[4:5], 0
                                        ; implicit-def: $sgpr10
	s_and_saveexec_b64 s[8:9], s[6:7]
	s_xor_b64 s[6:7], exec, s[8:9]
	s_cbranch_execnz .LBB9_2505
; %bb.457:
	s_or_saveexec_b64 s[6:7], s[6:7]
	v_mov_b32_e32 v2, s10
	s_xor_b64 exec, exec, s[6:7]
	s_cbranch_execnz .LBB9_2508
.LBB9_458:
	s_or_b64 exec, exec, s[6:7]
	s_and_saveexec_b64 s[6:7], s[4:5]
	s_cbranch_execz .LBB9_460
.LBB9_459:
	v_bfe_u32 v2, v8, 8, 3
	v_ffbh_u32_e32 v7, v2
	v_min_u32_e32 v7, 32, v7
	v_lshrrev_b16_e32 v6, 3, v3
	v_subrev_u32_e32 v12, 28, v7
	v_and_b32_e32 v6, 15, v6
	v_lshlrev_b32_e32 v3, v12, v3
	v_sub_u32_e32 v7, 29, v7
	v_and_b32_e32 v3, 7, v3
	v_cmp_eq_u16_e32 vcc, 0, v6
	v_cndmask_b32_e32 v2, v2, v3, vcc
	v_cndmask_b32_e32 v3, v6, v7, vcc
	v_lshlrev_b32_e32 v6, 16, v8
	v_mov_b32_e32 v7, 0x3b800000
	v_lshlrev_b32_e32 v2, 20, v2
	v_and_b32_e32 v6, 0x80000000, v6
	v_lshl_add_u32 v3, v3, 23, v7
	v_or3_b32 v2, v6, v3, v2
.LBB9_460:
	s_or_b64 exec, exec, s[6:7]
	v_lshrrev_b32_e32 v3, 8, v4
	s_movk_i32 s4, 0x7f
	v_cmp_gt_i16_sdwa s[6:7], v3, s4 src0_sel:BYTE_0 src1_sel:DWORD
	s_mov_b64 s[4:5], 0
                                        ; implicit-def: $sgpr10
	s_and_saveexec_b64 s[8:9], s[6:7]
	s_xor_b64 s[6:7], exec, s[8:9]
	s_cbranch_execnz .LBB9_2509
; %bb.461:
	s_or_saveexec_b64 s[6:7], s[6:7]
	v_mov_b32_e32 v6, s10
	s_xor_b64 exec, exec, s[6:7]
	s_cbranch_execnz .LBB9_2512
.LBB9_462:
	s_or_b64 exec, exec, s[6:7]
	s_and_saveexec_b64 s[6:7], s[4:5]
	s_cbranch_execz .LBB9_464
.LBB9_463:
	v_bfe_u32 v6, v4, 8, 3
	v_ffbh_u32_e32 v12, v6
	v_min_u32_e32 v12, 32, v12
	v_lshrrev_b16_e32 v7, 3, v3
	v_subrev_u32_e32 v13, 28, v12
	v_and_b32_e32 v7, 15, v7
	v_lshlrev_b32_e32 v3, v13, v3
	v_sub_u32_e32 v12, 29, v12
	v_and_b32_e32 v3, 7, v3
	v_cmp_eq_u16_e32 vcc, 0, v7
	v_cndmask_b32_e32 v3, v6, v3, vcc
	v_cndmask_b32_e32 v6, v7, v12, vcc
	v_lshlrev_b32_e32 v7, 16, v4
	v_mov_b32_e32 v12, 0x3b800000
	v_lshlrev_b32_e32 v3, 20, v3
	v_and_b32_e32 v7, 0x80000000, v7
	v_lshl_add_u32 v6, v6, 23, v12
	v_or3_b32 v6, v7, v6, v3
.LBB9_464:
	s_or_b64 exec, exec, s[6:7]
	s_nop 0
	v_mfma_f32_16x16x4f32 a[0:3], v2, v6, a[0:3]
	s_movk_i32 s4, 0xff
	v_and_b32_sdwa v3, v8, s4 dst_sel:DWORD dst_unused:UNUSED_PAD src0_sel:WORD_1 src1_sel:DWORD
	s_movk_i32 s4, 0x7f
	v_cmp_lt_i16_e32 vcc, s4, v3
	s_mov_b64 s[4:5], 0
                                        ; implicit-def: $sgpr10
	s_and_saveexec_b64 s[6:7], vcc
	s_xor_b64 s[6:7], exec, s[6:7]
	s_cbranch_execnz .LBB9_2513
; %bb.465:
	s_or_saveexec_b64 s[6:7], s[6:7]
	v_mov_b32_e32 v2, s10
	s_xor_b64 exec, exec, s[6:7]
	s_cbranch_execnz .LBB9_2516
.LBB9_466:
	s_or_b64 exec, exec, s[6:7]
	s_and_saveexec_b64 s[6:7], s[4:5]
	s_cbranch_execz .LBB9_468
.LBB9_467:
	v_bfe_u32 v2, v8, 16, 3
	v_ffbh_u32_e32 v7, v2
	v_min_u32_e32 v7, 32, v7
	v_lshrrev_b32_e32 v3, 19, v8
	v_subrev_u32_e32 v12, 28, v7
	v_and_b32_e32 v3, 15, v3
	v_lshlrev_b32_sdwa v12, v12, v8 dst_sel:DWORD dst_unused:UNUSED_PAD src0_sel:DWORD src1_sel:WORD_1
	v_bfe_u32 v6, v8, 19, 4
	v_sub_u32_e32 v7, 29, v7
	v_and_b32_e32 v12, 7, v12
	v_cmp_eq_u16_e32 vcc, 0, v3
	v_cndmask_b32_e32 v2, v2, v12, vcc
	v_cndmask_b32_e32 v3, v6, v7, vcc
	v_lshlrev_b32_e32 v6, 8, v8
	v_mov_b32_e32 v7, 0x3b800000
	v_lshlrev_b32_e32 v2, 20, v2
	v_and_b32_e32 v6, 0x80000000, v6
	v_lshl_add_u32 v3, v3, 23, v7
	v_or3_b32 v2, v6, v3, v2
.LBB9_468:
	s_or_b64 exec, exec, s[6:7]
	s_movk_i32 s4, 0xff
	v_and_b32_sdwa v3, v4, s4 dst_sel:DWORD dst_unused:UNUSED_PAD src0_sel:WORD_1 src1_sel:DWORD
	s_movk_i32 s4, 0x7f
	v_cmp_lt_i16_e32 vcc, s4, v3
	s_mov_b64 s[4:5], 0
                                        ; implicit-def: $sgpr10
	s_and_saveexec_b64 s[6:7], vcc
	s_xor_b64 s[6:7], exec, s[6:7]
	s_cbranch_execnz .LBB9_2517
; %bb.469:
	s_or_saveexec_b64 s[6:7], s[6:7]
	v_mov_b32_e32 v6, s10
	s_xor_b64 exec, exec, s[6:7]
	s_cbranch_execnz .LBB9_2520
.LBB9_470:
	s_or_b64 exec, exec, s[6:7]
	s_and_saveexec_b64 s[6:7], s[4:5]
	s_cbranch_execz .LBB9_472
.LBB9_471:
	v_bfe_u32 v3, v4, 16, 3
	v_ffbh_u32_e32 v12, v3
	v_min_u32_e32 v12, 32, v12
	v_lshrrev_b32_e32 v6, 19, v4
	v_subrev_u32_e32 v13, 28, v12
	v_and_b32_e32 v6, 15, v6
	v_lshlrev_b32_sdwa v13, v13, v4 dst_sel:DWORD dst_unused:UNUSED_PAD src0_sel:DWORD src1_sel:WORD_1
	v_bfe_u32 v7, v4, 19, 4
	v_sub_u32_e32 v12, 29, v12
	v_and_b32_e32 v13, 7, v13
	v_cmp_eq_u16_e32 vcc, 0, v6
	v_cndmask_b32_e32 v3, v3, v13, vcc
	v_cndmask_b32_e32 v6, v7, v12, vcc
	v_lshlrev_b32_e32 v7, 8, v4
	v_mov_b32_e32 v12, 0x3b800000
	v_lshlrev_b32_e32 v3, 20, v3
	v_and_b32_e32 v7, 0x80000000, v7
	v_lshl_add_u32 v6, v6, 23, v12
	v_or3_b32 v6, v7, v6, v3
.LBB9_472:
	s_or_b64 exec, exec, s[6:7]
	s_nop 0
	v_mfma_f32_16x16x4f32 a[0:3], v2, v6, a[0:3]
	s_movk_i32 s4, 0x7f
	v_cmp_gt_i16_sdwa s[6:7], v8, s4 src0_sel:BYTE_3 src1_sel:DWORD
	s_mov_b64 s[4:5], 0
                                        ; implicit-def: $sgpr10
	s_and_saveexec_b64 s[8:9], s[6:7]
	s_xor_b64 s[6:7], exec, s[8:9]
	s_cbranch_execnz .LBB9_2521
; %bb.473:
	s_or_saveexec_b64 s[6:7], s[6:7]
	v_mov_b32_e32 v2, s10
	s_xor_b64 exec, exec, s[6:7]
	s_cbranch_execnz .LBB9_2524
.LBB9_474:
	s_or_b64 exec, exec, s[6:7]
	s_and_saveexec_b64 s[6:7], s[4:5]
	s_cbranch_execz .LBB9_476
.LBB9_475:
	v_bfe_u32 v2, v8, 24, 3
	v_ffbh_u32_e32 v12, v2
	v_min_u32_e32 v12, 32, v12
	v_lshrrev_b32_e32 v6, 27, v8
	v_subrev_u32_e32 v13, 28, v12
	v_and_b32_e32 v3, 0x80000000, v8
	v_and_b32_e32 v6, 15, v6
	v_bfe_u32 v7, v8, 27, 4
	v_lshlrev_b32_sdwa v8, v13, v8 dst_sel:DWORD dst_unused:UNUSED_PAD src0_sel:DWORD src1_sel:BYTE_3
	v_sub_u32_e32 v12, 29, v12
	v_and_b32_e32 v8, 7, v8
	v_cmp_eq_u16_e32 vcc, 0, v6
	v_cndmask_b32_e32 v2, v2, v8, vcc
	v_cndmask_b32_e32 v6, v7, v12, vcc
	v_mov_b32_e32 v7, 0x3b800000
	v_lshlrev_b32_e32 v2, 20, v2
	v_lshl_add_u32 v6, v6, 23, v7
	v_or3_b32 v2, v3, v6, v2
.LBB9_476:
	s_or_b64 exec, exec, s[6:7]
	s_movk_i32 s4, 0x7f
	v_cmp_gt_i16_sdwa s[6:7], v4, s4 src0_sel:BYTE_3 src1_sel:DWORD
	s_mov_b64 s[4:5], 0
                                        ; implicit-def: $sgpr10
	s_and_saveexec_b64 s[8:9], s[6:7]
	s_xor_b64 s[6:7], exec, s[8:9]
	s_cbranch_execnz .LBB9_2525
; %bb.477:
	s_or_saveexec_b64 s[6:7], s[6:7]
	v_mov_b32_e32 v3, s10
	s_xor_b64 exec, exec, s[6:7]
	s_cbranch_execnz .LBB9_2528
.LBB9_478:
	s_or_b64 exec, exec, s[6:7]
	s_and_saveexec_b64 s[6:7], s[4:5]
	s_cbranch_execz .LBB9_480
.LBB9_479:
	v_bfe_u32 v3, v4, 24, 3
	v_ffbh_u32_e32 v12, v3
	v_min_u32_e32 v12, 32, v12
	v_lshrrev_b32_e32 v7, 27, v4
	v_subrev_u32_e32 v13, 28, v12
	v_and_b32_e32 v6, 0x80000000, v4
	v_and_b32_e32 v7, 15, v7
	v_bfe_u32 v8, v4, 27, 4
	v_lshlrev_b32_sdwa v4, v13, v4 dst_sel:DWORD dst_unused:UNUSED_PAD src0_sel:DWORD src1_sel:BYTE_3
	v_sub_u32_e32 v12, 29, v12
	v_and_b32_e32 v4, 7, v4
	v_cmp_eq_u16_e32 vcc, 0, v7
	v_cndmask_b32_e32 v3, v3, v4, vcc
	v_cndmask_b32_e32 v4, v8, v12, vcc
	v_mov_b32_e32 v7, 0x3b800000
	v_lshlrev_b32_e32 v3, 20, v3
	v_lshl_add_u32 v4, v4, 23, v7
	v_or3_b32 v3, v6, v4, v3
.LBB9_480:
	s_or_b64 exec, exec, s[6:7]
	s_nop 0
	v_mfma_f32_16x16x4f32 a[0:3], v2, v3, a[0:3]
	s_movk_i32 s4, 0x7f
	v_cmp_gt_i16_sdwa s[6:7], v9, s4 src0_sel:BYTE_0 src1_sel:DWORD
	s_mov_b64 s[4:5], 0
                                        ; implicit-def: $sgpr10
	s_and_saveexec_b64 s[8:9], s[6:7]
	s_xor_b64 s[6:7], exec, s[8:9]
	s_cbranch_execnz .LBB9_2529
; %bb.481:
	s_or_saveexec_b64 s[6:7], s[6:7]
	v_mov_b32_e32 v2, s10
	s_xor_b64 exec, exec, s[6:7]
	s_cbranch_execnz .LBB9_2532
.LBB9_482:
	s_or_b64 exec, exec, s[6:7]
	s_and_saveexec_b64 s[6:7], s[4:5]
	s_cbranch_execz .LBB9_484
.LBB9_483:
	v_mov_b32_e32 v2, 8
	v_and_b32_e32 v3, 7, v9
	v_lshrrev_b32_sdwa v2, v2, v9 dst_sel:BYTE_1 dst_unused:UNUSED_PAD src0_sel:DWORD src1_sel:DWORD
	v_ffbh_u32_e32 v4, v3
	v_or_b32_sdwa v2, v9, v2 dst_sel:DWORD dst_unused:UNUSED_PAD src0_sel:BYTE_0 src1_sel:DWORD
	v_min_u32_e32 v4, 32, v4
	v_lshrrev_b16_e32 v2, 3, v2
	v_subrev_u32_e32 v6, 28, v4
	v_and_b32_e32 v2, 15, v2
	v_lshlrev_b32_e32 v6, v6, v9
	v_sub_u32_e32 v4, 29, v4
	v_and_b32_e32 v6, 7, v6
	v_cmp_eq_u16_e32 vcc, 0, v2
	v_cndmask_b32_e32 v3, v3, v6, vcc
	v_cndmask_b32_e32 v2, v2, v4, vcc
	v_lshlrev_b32_e32 v4, 24, v9
	v_mov_b32_e32 v6, 0x3b800000
	v_lshlrev_b32_e32 v3, 20, v3
	v_and_b32_e32 v4, 0x80000000, v4
	v_lshl_add_u32 v2, v2, 23, v6
	v_or3_b32 v2, v4, v2, v3
.LBB9_484:
	s_or_b64 exec, exec, s[6:7]
	s_movk_i32 s4, 0x7f
	v_cmp_gt_i16_sdwa s[6:7], v5, s4 src0_sel:BYTE_0 src1_sel:DWORD
	s_mov_b64 s[4:5], 0
                                        ; implicit-def: $sgpr10
	s_and_saveexec_b64 s[8:9], s[6:7]
	s_xor_b64 s[6:7], exec, s[8:9]
	s_cbranch_execnz .LBB9_2533
; %bb.485:
	s_or_saveexec_b64 s[6:7], s[6:7]
	v_mov_b32_e32 v3, s10
	s_xor_b64 exec, exec, s[6:7]
	s_cbranch_execnz .LBB9_2536
.LBB9_486:
	s_or_b64 exec, exec, s[6:7]
	s_and_saveexec_b64 s[6:7], s[4:5]
	s_cbranch_execz .LBB9_488
.LBB9_487:
	v_mov_b32_e32 v3, 8
	v_and_b32_e32 v4, 7, v5
	v_lshrrev_b32_sdwa v3, v3, v5 dst_sel:BYTE_1 dst_unused:UNUSED_PAD src0_sel:DWORD src1_sel:DWORD
	v_ffbh_u32_e32 v6, v4
	v_or_b32_sdwa v3, v5, v3 dst_sel:DWORD dst_unused:UNUSED_PAD src0_sel:BYTE_0 src1_sel:DWORD
	v_min_u32_e32 v6, 32, v6
	v_lshrrev_b16_e32 v3, 3, v3
	v_subrev_u32_e32 v7, 28, v6
	v_and_b32_e32 v3, 15, v3
	v_lshlrev_b32_e32 v7, v7, v5
	v_sub_u32_e32 v6, 29, v6
	v_and_b32_e32 v7, 7, v7
	v_cmp_eq_u16_e32 vcc, 0, v3
	v_cndmask_b32_e32 v4, v4, v7, vcc
	v_cndmask_b32_e32 v3, v3, v6, vcc
	v_lshlrev_b32_e32 v6, 24, v5
	v_mov_b32_e32 v7, 0x3b800000
	v_lshlrev_b32_e32 v4, 20, v4
	v_and_b32_e32 v6, 0x80000000, v6
	v_lshl_add_u32 v3, v3, 23, v7
	v_or3_b32 v3, v6, v3, v4
.LBB9_488:
	s_or_b64 exec, exec, s[6:7]
	s_nop 0
	v_mfma_f32_16x16x4f32 a[0:3], v2, v3, a[0:3]
	v_lshrrev_b32_e32 v3, 8, v9
	s_movk_i32 s4, 0x7f
	v_cmp_gt_i16_sdwa s[6:7], v3, s4 src0_sel:BYTE_0 src1_sel:DWORD
	s_mov_b64 s[4:5], 0
                                        ; implicit-def: $sgpr10
	s_and_saveexec_b64 s[8:9], s[6:7]
	s_xor_b64 s[6:7], exec, s[8:9]
	s_cbranch_execnz .LBB9_2537
; %bb.489:
	s_or_saveexec_b64 s[6:7], s[6:7]
	v_mov_b32_e32 v2, s10
	s_xor_b64 exec, exec, s[6:7]
	s_cbranch_execnz .LBB9_2540
.LBB9_490:
	s_or_b64 exec, exec, s[6:7]
	s_and_saveexec_b64 s[6:7], s[4:5]
	s_cbranch_execz .LBB9_492
.LBB9_491:
	v_bfe_u32 v2, v9, 8, 3
	v_ffbh_u32_e32 v6, v2
	v_min_u32_e32 v6, 32, v6
	v_lshrrev_b16_e32 v4, 3, v3
	v_subrev_u32_e32 v7, 28, v6
	v_and_b32_e32 v4, 15, v4
	v_lshlrev_b32_e32 v3, v7, v3
	v_sub_u32_e32 v6, 29, v6
	v_and_b32_e32 v3, 7, v3
	v_cmp_eq_u16_e32 vcc, 0, v4
	v_cndmask_b32_e32 v2, v2, v3, vcc
	v_cndmask_b32_e32 v3, v4, v6, vcc
	v_lshlrev_b32_e32 v4, 16, v9
	v_mov_b32_e32 v6, 0x3b800000
	v_lshlrev_b32_e32 v2, 20, v2
	v_and_b32_e32 v4, 0x80000000, v4
	v_lshl_add_u32 v3, v3, 23, v6
	v_or3_b32 v2, v4, v3, v2
.LBB9_492:
	s_or_b64 exec, exec, s[6:7]
	v_lshrrev_b32_e32 v3, 8, v5
	s_movk_i32 s4, 0x7f
	v_cmp_gt_i16_sdwa s[6:7], v3, s4 src0_sel:BYTE_0 src1_sel:DWORD
	s_mov_b64 s[4:5], 0
                                        ; implicit-def: $sgpr10
	s_and_saveexec_b64 s[8:9], s[6:7]
	s_xor_b64 s[6:7], exec, s[8:9]
	s_cbranch_execnz .LBB9_2541
; %bb.493:
	s_or_saveexec_b64 s[6:7], s[6:7]
	v_mov_b32_e32 v4, s10
	s_xor_b64 exec, exec, s[6:7]
	s_cbranch_execnz .LBB9_2544
.LBB9_494:
	s_or_b64 exec, exec, s[6:7]
	s_and_saveexec_b64 s[6:7], s[4:5]
	s_cbranch_execz .LBB9_496
.LBB9_495:
	v_bfe_u32 v4, v5, 8, 3
	v_ffbh_u32_e32 v7, v4
	v_min_u32_e32 v7, 32, v7
	v_lshrrev_b16_e32 v6, 3, v3
	v_subrev_u32_e32 v8, 28, v7
	v_and_b32_e32 v6, 15, v6
	v_lshlrev_b32_e32 v3, v8, v3
	v_sub_u32_e32 v7, 29, v7
	v_and_b32_e32 v3, 7, v3
	v_cmp_eq_u16_e32 vcc, 0, v6
	v_cndmask_b32_e32 v3, v4, v3, vcc
	v_cndmask_b32_e32 v4, v6, v7, vcc
	v_lshlrev_b32_e32 v6, 16, v5
	v_mov_b32_e32 v7, 0x3b800000
	v_lshlrev_b32_e32 v3, 20, v3
	v_and_b32_e32 v6, 0x80000000, v6
	v_lshl_add_u32 v4, v4, 23, v7
	v_or3_b32 v4, v6, v4, v3
.LBB9_496:
	s_or_b64 exec, exec, s[6:7]
	s_nop 0
	v_mfma_f32_16x16x4f32 a[0:3], v2, v4, a[0:3]
	s_movk_i32 s4, 0xff
	v_and_b32_sdwa v3, v9, s4 dst_sel:DWORD dst_unused:UNUSED_PAD src0_sel:WORD_1 src1_sel:DWORD
	s_movk_i32 s4, 0x7f
	v_cmp_lt_i16_e32 vcc, s4, v3
	s_mov_b64 s[4:5], 0
                                        ; implicit-def: $sgpr10
	s_and_saveexec_b64 s[6:7], vcc
	s_xor_b64 s[6:7], exec, s[6:7]
	s_cbranch_execnz .LBB9_2545
; %bb.497:
	s_or_saveexec_b64 s[6:7], s[6:7]
	v_mov_b32_e32 v2, s10
	s_xor_b64 exec, exec, s[6:7]
	s_cbranch_execnz .LBB9_2548
.LBB9_498:
	s_or_b64 exec, exec, s[6:7]
	s_and_saveexec_b64 s[6:7], s[4:5]
	s_cbranch_execz .LBB9_500
.LBB9_499:
	v_bfe_u32 v2, v9, 16, 3
	v_ffbh_u32_e32 v6, v2
	v_min_u32_e32 v6, 32, v6
	v_lshrrev_b32_e32 v3, 19, v9
	v_subrev_u32_e32 v7, 28, v6
	v_and_b32_e32 v3, 15, v3
	v_lshlrev_b32_sdwa v7, v7, v9 dst_sel:DWORD dst_unused:UNUSED_PAD src0_sel:DWORD src1_sel:WORD_1
	v_bfe_u32 v4, v9, 19, 4
	v_sub_u32_e32 v6, 29, v6
	v_and_b32_e32 v7, 7, v7
	v_cmp_eq_u16_e32 vcc, 0, v3
	v_cndmask_b32_e32 v2, v2, v7, vcc
	v_cndmask_b32_e32 v3, v4, v6, vcc
	v_lshlrev_b32_e32 v4, 8, v9
	v_mov_b32_e32 v6, 0x3b800000
	v_lshlrev_b32_e32 v2, 20, v2
	v_and_b32_e32 v4, 0x80000000, v4
	v_lshl_add_u32 v3, v3, 23, v6
	v_or3_b32 v2, v4, v3, v2
.LBB9_500:
	s_or_b64 exec, exec, s[6:7]
	s_movk_i32 s4, 0xff
	v_and_b32_sdwa v3, v5, s4 dst_sel:DWORD dst_unused:UNUSED_PAD src0_sel:WORD_1 src1_sel:DWORD
	s_movk_i32 s4, 0x7f
	v_cmp_lt_i16_e32 vcc, s4, v3
	s_mov_b64 s[4:5], 0
                                        ; implicit-def: $sgpr10
	s_and_saveexec_b64 s[6:7], vcc
	s_xor_b64 s[6:7], exec, s[6:7]
	s_cbranch_execnz .LBB9_2549
; %bb.501:
	s_or_saveexec_b64 s[6:7], s[6:7]
	v_mov_b32_e32 v4, s10
	s_xor_b64 exec, exec, s[6:7]
	s_cbranch_execnz .LBB9_2552
.LBB9_502:
	s_or_b64 exec, exec, s[6:7]
	s_and_saveexec_b64 s[6:7], s[4:5]
	s_cbranch_execz .LBB9_504
.LBB9_503:
	v_bfe_u32 v3, v5, 16, 3
	v_ffbh_u32_e32 v7, v3
	v_min_u32_e32 v7, 32, v7
	v_lshrrev_b32_e32 v4, 19, v5
	v_subrev_u32_e32 v8, 28, v7
	v_and_b32_e32 v4, 15, v4
	v_lshlrev_b32_sdwa v8, v8, v5 dst_sel:DWORD dst_unused:UNUSED_PAD src0_sel:DWORD src1_sel:WORD_1
	v_bfe_u32 v6, v5, 19, 4
	v_sub_u32_e32 v7, 29, v7
	v_and_b32_e32 v8, 7, v8
	v_cmp_eq_u16_e32 vcc, 0, v4
	v_cndmask_b32_e32 v3, v3, v8, vcc
	v_cndmask_b32_e32 v4, v6, v7, vcc
	v_lshlrev_b32_e32 v6, 8, v5
	v_mov_b32_e32 v7, 0x3b800000
	v_lshlrev_b32_e32 v3, 20, v3
	v_and_b32_e32 v6, 0x80000000, v6
	v_lshl_add_u32 v4, v4, 23, v7
	v_or3_b32 v4, v6, v4, v3
.LBB9_504:
	s_or_b64 exec, exec, s[6:7]
	s_nop 0
	v_mfma_f32_16x16x4f32 a[0:3], v2, v4, a[0:3]
	s_movk_i32 s4, 0x7f
	v_cmp_gt_i16_sdwa s[6:7], v9, s4 src0_sel:BYTE_3 src1_sel:DWORD
	s_mov_b64 s[4:5], 0
                                        ; implicit-def: $sgpr10
	s_and_saveexec_b64 s[8:9], s[6:7]
	s_xor_b64 s[6:7], exec, s[8:9]
	s_cbranch_execnz .LBB9_2553
; %bb.505:
	s_or_saveexec_b64 s[6:7], s[6:7]
	v_mov_b32_e32 v2, s10
	s_xor_b64 exec, exec, s[6:7]
	s_cbranch_execnz .LBB9_2556
.LBB9_506:
	s_or_b64 exec, exec, s[6:7]
	s_and_saveexec_b64 s[6:7], s[4:5]
	s_cbranch_execz .LBB9_508
.LBB9_507:
	v_bfe_u32 v2, v9, 24, 3
	v_ffbh_u32_e32 v7, v2
	v_min_u32_e32 v7, 32, v7
	v_lshrrev_b32_e32 v4, 27, v9
	v_subrev_u32_e32 v8, 28, v7
	v_and_b32_e32 v4, 15, v4
	v_lshlrev_b32_sdwa v8, v8, v9 dst_sel:DWORD dst_unused:UNUSED_PAD src0_sel:DWORD src1_sel:BYTE_3
	v_bfe_u32 v6, v9, 27, 4
	v_sub_u32_e32 v7, 29, v7
	v_and_b32_e32 v8, 7, v8
	v_cmp_eq_u16_e32 vcc, 0, v4
	v_cndmask_b32_e32 v2, v2, v8, vcc
	v_cndmask_b32_e32 v4, v6, v7, vcc
	v_mov_b32_e32 v6, 0x3b800000
	v_and_b32_e32 v3, 0x80000000, v9
	v_lshlrev_b32_e32 v2, 20, v2
	v_lshl_add_u32 v4, v4, 23, v6
	v_or3_b32 v2, v3, v4, v2
.LBB9_508:
	s_or_b64 exec, exec, s[6:7]
	s_movk_i32 s4, 0x7f
	v_cmp_gt_i16_sdwa s[6:7], v5, s4 src0_sel:BYTE_3 src1_sel:DWORD
	s_mov_b64 s[4:5], 0
                                        ; implicit-def: $sgpr10
	s_and_saveexec_b64 s[8:9], s[6:7]
	s_xor_b64 s[6:7], exec, s[8:9]
	s_cbranch_execnz .LBB9_2557
; %bb.509:
	s_or_saveexec_b64 s[6:7], s[6:7]
	v_mov_b32_e32 v3, s10
	s_xor_b64 exec, exec, s[6:7]
	s_cbranch_execnz .LBB9_2560
.LBB9_510:
	s_or_b64 exec, exec, s[6:7]
	s_and_saveexec_b64 s[6:7], s[4:5]
	s_cbranch_execz .LBB9_512
.LBB9_511:
	v_bfe_u32 v3, v5, 24, 3
	v_ffbh_u32_e32 v8, v3
	v_min_u32_e32 v8, 32, v8
	v_lshrrev_b32_e32 v6, 27, v5
	v_subrev_u32_e32 v9, 28, v8
	v_and_b32_e32 v4, 0x80000000, v5
	v_and_b32_e32 v6, 15, v6
	v_bfe_u32 v7, v5, 27, 4
	v_lshlrev_b32_sdwa v5, v9, v5 dst_sel:DWORD dst_unused:UNUSED_PAD src0_sel:DWORD src1_sel:BYTE_3
	v_sub_u32_e32 v8, 29, v8
	v_and_b32_e32 v5, 7, v5
	v_cmp_eq_u16_e32 vcc, 0, v6
	v_cndmask_b32_e32 v3, v3, v5, vcc
	v_cndmask_b32_e32 v5, v7, v8, vcc
	v_mov_b32_e32 v6, 0x3b800000
	v_lshlrev_b32_e32 v3, 20, v3
	v_lshl_add_u32 v5, v5, 23, v6
	v_or3_b32 v3, v4, v5, v3
.LBB9_512:
	s_or_b64 exec, exec, s[6:7]
	s_nop 0
	v_mfma_f32_16x16x4f32 a[0:3], v2, v3, a[0:3]
	s_movk_i32 s4, 0x7f
                                        ; implicit-def: $sgpr10
	s_nop 7
	s_nop 1
	flat_store_dwordx4 v[10:11], a[0:3] offset:48
	flat_load_dwordx4 v[12:15], v[0:1] offset:8
	s_nop 0
	flat_load_dwordx2 v[10:11], v[0:1] offset:32
	s_waitcnt vmcnt(0) lgkmcnt(0)
	flat_load_dwordx4 v[6:9], v[12:13] offset:48
	flat_load_dwordx4 v[2:5], v[14:15] offset:16
	s_waitcnt vmcnt(0) lgkmcnt(0)
	v_cmp_gt_i16_sdwa s[6:7], v6, s4 src0_sel:BYTE_0 src1_sel:DWORD
	s_mov_b64 s[4:5], 0
	s_and_saveexec_b64 s[8:9], s[6:7]
	s_xor_b64 s[6:7], exec, s[8:9]
	s_cbranch_execnz .LBB9_2561
; %bb.513:
	s_or_saveexec_b64 s[6:7], s[6:7]
	v_mov_b32_e32 v12, s10
	s_xor_b64 exec, exec, s[6:7]
	s_cbranch_execnz .LBB9_2564
.LBB9_514:
	s_or_b64 exec, exec, s[6:7]
	s_and_saveexec_b64 s[6:7], s[4:5]
	s_cbranch_execz .LBB9_516
.LBB9_515:
	v_and_b32_e32 v12, 7, v6
	v_ffbh_u32_e32 v14, v12
	v_min_u32_e32 v14, 32, v14
	v_lshrrev_b16_e32 v13, 3, v6
	v_subrev_u32_e32 v15, 28, v14
	v_and_b32_e32 v13, 15, v13
	v_lshlrev_b32_e32 v15, v15, v6
	v_sub_u32_e32 v14, 29, v14
	v_and_b32_e32 v15, 7, v15
	v_cmp_eq_u16_e32 vcc, 0, v13
	v_cndmask_b32_e32 v12, v12, v15, vcc
	v_cndmask_b32_e32 v13, v13, v14, vcc
	v_lshlrev_b32_e32 v14, 24, v6
	v_mov_b32_e32 v15, 0x3b800000
	v_lshlrev_b32_e32 v12, 20, v12
	v_and_b32_e32 v14, 0x80000000, v14
	v_lshl_add_u32 v13, v13, 23, v15
	v_or3_b32 v12, v14, v13, v12
.LBB9_516:
	s_or_b64 exec, exec, s[6:7]
	s_movk_i32 s4, 0x7f
	v_cmp_gt_i16_sdwa s[6:7], v2, s4 src0_sel:BYTE_0 src1_sel:DWORD
	s_mov_b64 s[4:5], 0
                                        ; implicit-def: $sgpr10
	s_and_saveexec_b64 s[8:9], s[6:7]
	s_xor_b64 s[6:7], exec, s[8:9]
	s_cbranch_execnz .LBB9_2565
; %bb.517:
	s_or_saveexec_b64 s[6:7], s[6:7]
	v_mov_b32_e32 v13, s10
	s_xor_b64 exec, exec, s[6:7]
	s_cbranch_execnz .LBB9_2568
.LBB9_518:
	s_or_b64 exec, exec, s[6:7]
	s_and_saveexec_b64 s[6:7], s[4:5]
	s_cbranch_execz .LBB9_520
.LBB9_519:
	v_and_b32_e32 v13, 7, v2
	v_ffbh_u32_e32 v15, v13
	v_min_u32_e32 v15, 32, v15
	v_lshrrev_b16_e32 v14, 3, v2
	v_subrev_u32_e32 v16, 28, v15
	v_and_b32_e32 v14, 15, v14
	v_lshlrev_b32_e32 v16, v16, v2
	v_sub_u32_e32 v15, 29, v15
	v_and_b32_e32 v16, 7, v16
	v_cmp_eq_u16_e32 vcc, 0, v14
	v_cndmask_b32_e32 v13, v13, v16, vcc
	v_cndmask_b32_e32 v14, v14, v15, vcc
	v_lshlrev_b32_e32 v15, 24, v2
	v_mov_b32_e32 v16, 0x3b800000
	v_lshlrev_b32_e32 v13, 20, v13
	v_and_b32_e32 v15, 0x80000000, v15
	v_lshl_add_u32 v14, v14, 23, v16
	v_or3_b32 v13, v15, v14, v13
.LBB9_520:
	s_or_b64 exec, exec, s[6:7]
	flat_load_dwordx4 a[0:3], v[10:11] offset:64
	s_movk_i32 s4, 0x7f
                                        ; implicit-def: $sgpr10
	s_waitcnt vmcnt(0) lgkmcnt(0)
	v_mfma_f32_16x16x4f32 a[0:3], v12, v13, a[0:3]
	v_lshrrev_b32_e32 v13, 8, v6
	v_cmp_gt_i16_sdwa s[6:7], v13, s4 src0_sel:BYTE_0 src1_sel:DWORD
	s_mov_b64 s[4:5], 0
	s_and_saveexec_b64 s[8:9], s[6:7]
	s_xor_b64 s[6:7], exec, s[8:9]
	s_cbranch_execnz .LBB9_2569
; %bb.521:
	s_or_saveexec_b64 s[6:7], s[6:7]
	v_mov_b32_e32 v12, s10
	s_xor_b64 exec, exec, s[6:7]
	s_cbranch_execnz .LBB9_2572
.LBB9_522:
	s_or_b64 exec, exec, s[6:7]
	s_and_saveexec_b64 s[6:7], s[4:5]
	s_cbranch_execz .LBB9_524
.LBB9_523:
	v_bfe_u32 v12, v6, 8, 3
	v_ffbh_u32_e32 v15, v12
	v_min_u32_e32 v15, 32, v15
	v_lshrrev_b16_e32 v14, 3, v13
	v_subrev_u32_e32 v16, 28, v15
	v_and_b32_e32 v14, 15, v14
	v_lshlrev_b32_e32 v13, v16, v13
	v_sub_u32_e32 v15, 29, v15
	v_and_b32_e32 v13, 7, v13
	v_cmp_eq_u16_e32 vcc, 0, v14
	v_cndmask_b32_e32 v12, v12, v13, vcc
	v_cndmask_b32_e32 v13, v14, v15, vcc
	v_lshlrev_b32_e32 v14, 16, v6
	v_mov_b32_e32 v15, 0x3b800000
	v_lshlrev_b32_e32 v12, 20, v12
	v_and_b32_e32 v14, 0x80000000, v14
	v_lshl_add_u32 v13, v13, 23, v15
	v_or3_b32 v12, v14, v13, v12
.LBB9_524:
	s_or_b64 exec, exec, s[6:7]
	v_lshrrev_b32_e32 v13, 8, v2
	s_movk_i32 s4, 0x7f
	v_cmp_gt_i16_sdwa s[6:7], v13, s4 src0_sel:BYTE_0 src1_sel:DWORD
	s_mov_b64 s[4:5], 0
                                        ; implicit-def: $sgpr10
	s_and_saveexec_b64 s[8:9], s[6:7]
	s_xor_b64 s[6:7], exec, s[8:9]
	s_cbranch_execnz .LBB9_2573
; %bb.525:
	s_or_saveexec_b64 s[6:7], s[6:7]
	v_mov_b32_e32 v14, s10
	s_xor_b64 exec, exec, s[6:7]
	s_cbranch_execnz .LBB9_2576
.LBB9_526:
	s_or_b64 exec, exec, s[6:7]
	s_and_saveexec_b64 s[6:7], s[4:5]
	s_cbranch_execz .LBB9_528
.LBB9_527:
	v_bfe_u32 v14, v2, 8, 3
	v_ffbh_u32_e32 v16, v14
	v_min_u32_e32 v16, 32, v16
	v_lshrrev_b16_e32 v15, 3, v13
	v_subrev_u32_e32 v17, 28, v16
	v_and_b32_e32 v15, 15, v15
	v_lshlrev_b32_e32 v13, v17, v13
	v_sub_u32_e32 v16, 29, v16
	v_and_b32_e32 v13, 7, v13
	v_cmp_eq_u16_e32 vcc, 0, v15
	v_cndmask_b32_e32 v13, v14, v13, vcc
	v_cndmask_b32_e32 v14, v15, v16, vcc
	v_lshlrev_b32_e32 v15, 16, v2
	v_mov_b32_e32 v16, 0x3b800000
	v_lshlrev_b32_e32 v13, 20, v13
	v_and_b32_e32 v15, 0x80000000, v15
	v_lshl_add_u32 v14, v14, 23, v16
	v_or3_b32 v14, v15, v14, v13
.LBB9_528:
	s_or_b64 exec, exec, s[6:7]
	s_nop 0
	v_mfma_f32_16x16x4f32 a[0:3], v12, v14, a[0:3]
	s_movk_i32 s4, 0xff
	v_and_b32_sdwa v13, v6, s4 dst_sel:DWORD dst_unused:UNUSED_PAD src0_sel:WORD_1 src1_sel:DWORD
	s_movk_i32 s4, 0x7f
	v_cmp_lt_i16_e32 vcc, s4, v13
	s_mov_b64 s[4:5], 0
                                        ; implicit-def: $sgpr10
	s_and_saveexec_b64 s[6:7], vcc
	s_xor_b64 s[6:7], exec, s[6:7]
	s_cbranch_execnz .LBB9_2577
; %bb.529:
	s_or_saveexec_b64 s[6:7], s[6:7]
	v_mov_b32_e32 v12, s10
	s_xor_b64 exec, exec, s[6:7]
	s_cbranch_execnz .LBB9_2580
.LBB9_530:
	s_or_b64 exec, exec, s[6:7]
	s_and_saveexec_b64 s[6:7], s[4:5]
	s_cbranch_execz .LBB9_532
.LBB9_531:
	v_bfe_u32 v12, v6, 16, 3
	v_ffbh_u32_e32 v15, v12
	v_min_u32_e32 v15, 32, v15
	v_lshrrev_b32_e32 v13, 19, v6
	v_subrev_u32_e32 v16, 28, v15
	v_and_b32_e32 v13, 15, v13
	v_lshlrev_b32_sdwa v16, v16, v6 dst_sel:DWORD dst_unused:UNUSED_PAD src0_sel:DWORD src1_sel:WORD_1
	v_bfe_u32 v14, v6, 19, 4
	v_sub_u32_e32 v15, 29, v15
	v_and_b32_e32 v16, 7, v16
	v_cmp_eq_u16_e32 vcc, 0, v13
	v_cndmask_b32_e32 v12, v12, v16, vcc
	v_cndmask_b32_e32 v13, v14, v15, vcc
	v_lshlrev_b32_e32 v14, 8, v6
	v_mov_b32_e32 v15, 0x3b800000
	v_lshlrev_b32_e32 v12, 20, v12
	v_and_b32_e32 v14, 0x80000000, v14
	v_lshl_add_u32 v13, v13, 23, v15
	v_or3_b32 v12, v14, v13, v12
.LBB9_532:
	s_or_b64 exec, exec, s[6:7]
	s_movk_i32 s4, 0xff
	v_and_b32_sdwa v13, v2, s4 dst_sel:DWORD dst_unused:UNUSED_PAD src0_sel:WORD_1 src1_sel:DWORD
	s_movk_i32 s4, 0x7f
	v_cmp_lt_i16_e32 vcc, s4, v13
	s_mov_b64 s[4:5], 0
                                        ; implicit-def: $sgpr10
	s_and_saveexec_b64 s[6:7], vcc
	s_xor_b64 s[6:7], exec, s[6:7]
	s_cbranch_execnz .LBB9_2581
; %bb.533:
	s_or_saveexec_b64 s[6:7], s[6:7]
	v_mov_b32_e32 v14, s10
	s_xor_b64 exec, exec, s[6:7]
	s_cbranch_execnz .LBB9_2584
.LBB9_534:
	s_or_b64 exec, exec, s[6:7]
	s_and_saveexec_b64 s[6:7], s[4:5]
	s_cbranch_execz .LBB9_536
.LBB9_535:
	v_bfe_u32 v13, v2, 16, 3
	v_ffbh_u32_e32 v16, v13
	v_min_u32_e32 v16, 32, v16
	v_lshrrev_b32_e32 v14, 19, v2
	v_subrev_u32_e32 v17, 28, v16
	v_and_b32_e32 v14, 15, v14
	v_lshlrev_b32_sdwa v17, v17, v2 dst_sel:DWORD dst_unused:UNUSED_PAD src0_sel:DWORD src1_sel:WORD_1
	v_bfe_u32 v15, v2, 19, 4
	v_sub_u32_e32 v16, 29, v16
	v_and_b32_e32 v17, 7, v17
	v_cmp_eq_u16_e32 vcc, 0, v14
	v_cndmask_b32_e32 v13, v13, v17, vcc
	v_cndmask_b32_e32 v14, v15, v16, vcc
	v_lshlrev_b32_e32 v15, 8, v2
	v_mov_b32_e32 v16, 0x3b800000
	v_lshlrev_b32_e32 v13, 20, v13
	v_and_b32_e32 v15, 0x80000000, v15
	v_lshl_add_u32 v14, v14, 23, v16
	v_or3_b32 v14, v15, v14, v13
.LBB9_536:
	s_or_b64 exec, exec, s[6:7]
	s_nop 0
	v_mfma_f32_16x16x4f32 a[0:3], v12, v14, a[0:3]
	s_movk_i32 s4, 0x7f
	v_cmp_gt_i16_sdwa s[6:7], v6, s4 src0_sel:BYTE_3 src1_sel:DWORD
	s_mov_b64 s[4:5], 0
                                        ; implicit-def: $sgpr10
	s_and_saveexec_b64 s[8:9], s[6:7]
	s_xor_b64 s[6:7], exec, s[8:9]
	s_cbranch_execnz .LBB9_2585
; %bb.537:
	s_or_saveexec_b64 s[6:7], s[6:7]
	v_mov_b32_e32 v12, s10
	s_xor_b64 exec, exec, s[6:7]
	s_cbranch_execnz .LBB9_2588
.LBB9_538:
	s_or_b64 exec, exec, s[6:7]
	s_and_saveexec_b64 s[6:7], s[4:5]
	s_cbranch_execz .LBB9_540
.LBB9_539:
	v_bfe_u32 v12, v6, 24, 3
	v_ffbh_u32_e32 v16, v12
	v_min_u32_e32 v16, 32, v16
	v_lshrrev_b32_e32 v14, 27, v6
	v_subrev_u32_e32 v17, 28, v16
	v_and_b32_e32 v13, 0x80000000, v6
	v_and_b32_e32 v14, 15, v14
	v_bfe_u32 v15, v6, 27, 4
	v_lshlrev_b32_sdwa v6, v17, v6 dst_sel:DWORD dst_unused:UNUSED_PAD src0_sel:DWORD src1_sel:BYTE_3
	v_sub_u32_e32 v16, 29, v16
	v_and_b32_e32 v6, 7, v6
	v_cmp_eq_u16_e32 vcc, 0, v14
	v_cndmask_b32_e32 v6, v12, v6, vcc
	v_cndmask_b32_e32 v12, v15, v16, vcc
	v_mov_b32_e32 v14, 0x3b800000
	v_lshlrev_b32_e32 v6, 20, v6
	v_lshl_add_u32 v12, v12, 23, v14
	v_or3_b32 v12, v13, v12, v6
.LBB9_540:
	s_or_b64 exec, exec, s[6:7]
	s_movk_i32 s4, 0x7f
	v_cmp_gt_i16_sdwa s[6:7], v2, s4 src0_sel:BYTE_3 src1_sel:DWORD
	s_mov_b64 s[4:5], 0
                                        ; implicit-def: $sgpr10
	s_and_saveexec_b64 s[8:9], s[6:7]
	s_xor_b64 s[6:7], exec, s[8:9]
	s_cbranch_execnz .LBB9_2589
; %bb.541:
	s_or_saveexec_b64 s[6:7], s[6:7]
	v_mov_b32_e32 v6, s10
	s_xor_b64 exec, exec, s[6:7]
	s_cbranch_execnz .LBB9_2592
.LBB9_542:
	s_or_b64 exec, exec, s[6:7]
	s_and_saveexec_b64 s[6:7], s[4:5]
	s_cbranch_execz .LBB9_544
.LBB9_543:
	v_bfe_u32 v6, v2, 24, 3
	v_ffbh_u32_e32 v16, v6
	v_min_u32_e32 v16, 32, v16
	v_lshrrev_b32_e32 v14, 27, v2
	v_subrev_u32_e32 v17, 28, v16
	v_and_b32_e32 v13, 0x80000000, v2
	v_and_b32_e32 v14, 15, v14
	v_bfe_u32 v15, v2, 27, 4
	v_lshlrev_b32_sdwa v2, v17, v2 dst_sel:DWORD dst_unused:UNUSED_PAD src0_sel:DWORD src1_sel:BYTE_3
	v_sub_u32_e32 v16, 29, v16
	v_and_b32_e32 v2, 7, v2
	v_cmp_eq_u16_e32 vcc, 0, v14
	v_cndmask_b32_e32 v2, v6, v2, vcc
	v_cndmask_b32_e32 v6, v15, v16, vcc
	v_mov_b32_e32 v14, 0x3b800000
	v_lshlrev_b32_e32 v2, 20, v2
	v_lshl_add_u32 v6, v6, 23, v14
	v_or3_b32 v6, v13, v6, v2
.LBB9_544:
	s_or_b64 exec, exec, s[6:7]
	s_nop 0
	v_mfma_f32_16x16x4f32 a[0:3], v12, v6, a[0:3]
	s_movk_i32 s4, 0x7f
	v_cmp_gt_i16_sdwa s[6:7], v7, s4 src0_sel:BYTE_0 src1_sel:DWORD
	s_mov_b64 s[4:5], 0
                                        ; implicit-def: $sgpr10
	s_and_saveexec_b64 s[8:9], s[6:7]
	s_xor_b64 s[6:7], exec, s[8:9]
	s_cbranch_execnz .LBB9_2593
; %bb.545:
	s_or_saveexec_b64 s[6:7], s[6:7]
	v_mov_b32_e32 v2, s10
	s_xor_b64 exec, exec, s[6:7]
	s_cbranch_execnz .LBB9_2596
.LBB9_546:
	s_or_b64 exec, exec, s[6:7]
	s_and_saveexec_b64 s[6:7], s[4:5]
	s_cbranch_execz .LBB9_548
.LBB9_547:
	v_and_b32_e32 v2, 7, v7
	v_ffbh_u32_e32 v12, v2
	v_min_u32_e32 v12, 32, v12
	v_lshrrev_b16_e32 v6, 3, v7
	v_subrev_u32_e32 v13, 28, v12
	v_and_b32_e32 v6, 15, v6
	v_lshlrev_b32_e32 v13, v13, v7
	v_sub_u32_e32 v12, 29, v12
	v_and_b32_e32 v13, 7, v13
	v_cmp_eq_u16_e32 vcc, 0, v6
	v_cndmask_b32_e32 v2, v2, v13, vcc
	v_cndmask_b32_e32 v6, v6, v12, vcc
	v_lshlrev_b32_e32 v12, 24, v7
	v_mov_b32_e32 v13, 0x3b800000
	v_lshlrev_b32_e32 v2, 20, v2
	v_and_b32_e32 v12, 0x80000000, v12
	v_lshl_add_u32 v6, v6, 23, v13
	v_or3_b32 v2, v12, v6, v2
.LBB9_548:
	s_or_b64 exec, exec, s[6:7]
	s_movk_i32 s4, 0x7f
	v_cmp_gt_i16_sdwa s[6:7], v3, s4 src0_sel:BYTE_0 src1_sel:DWORD
	s_mov_b64 s[4:5], 0
                                        ; implicit-def: $sgpr10
	s_and_saveexec_b64 s[8:9], s[6:7]
	s_xor_b64 s[6:7], exec, s[8:9]
	s_cbranch_execnz .LBB9_2597
; %bb.549:
	s_or_saveexec_b64 s[6:7], s[6:7]
	v_mov_b32_e32 v6, s10
	s_xor_b64 exec, exec, s[6:7]
	s_cbranch_execnz .LBB9_2600
.LBB9_550:
	s_or_b64 exec, exec, s[6:7]
	s_and_saveexec_b64 s[6:7], s[4:5]
	s_cbranch_execz .LBB9_552
.LBB9_551:
	v_and_b32_e32 v6, 7, v3
	v_ffbh_u32_e32 v13, v6
	v_min_u32_e32 v13, 32, v13
	v_lshrrev_b16_e32 v12, 3, v3
	v_subrev_u32_e32 v14, 28, v13
	v_and_b32_e32 v12, 15, v12
	v_lshlrev_b32_e32 v14, v14, v3
	v_sub_u32_e32 v13, 29, v13
	v_and_b32_e32 v14, 7, v14
	v_cmp_eq_u16_e32 vcc, 0, v12
	v_cndmask_b32_e32 v6, v6, v14, vcc
	v_cndmask_b32_e32 v12, v12, v13, vcc
	v_lshlrev_b32_e32 v13, 24, v3
	v_mov_b32_e32 v14, 0x3b800000
	v_lshlrev_b32_e32 v6, 20, v6
	v_and_b32_e32 v13, 0x80000000, v13
	v_lshl_add_u32 v12, v12, 23, v14
	v_or3_b32 v6, v13, v12, v6
.LBB9_552:
	s_or_b64 exec, exec, s[6:7]
	s_nop 0
	v_mfma_f32_16x16x4f32 a[0:3], v2, v6, a[0:3]
	v_lshrrev_b32_e32 v6, 8, v7
	s_movk_i32 s4, 0x7f
	v_cmp_gt_i16_sdwa s[6:7], v6, s4 src0_sel:BYTE_0 src1_sel:DWORD
	s_mov_b64 s[4:5], 0
                                        ; implicit-def: $sgpr10
	s_and_saveexec_b64 s[8:9], s[6:7]
	s_xor_b64 s[6:7], exec, s[8:9]
	s_cbranch_execnz .LBB9_2601
; %bb.553:
	s_or_saveexec_b64 s[6:7], s[6:7]
	v_mov_b32_e32 v2, s10
	s_xor_b64 exec, exec, s[6:7]
	s_cbranch_execnz .LBB9_2604
.LBB9_554:
	s_or_b64 exec, exec, s[6:7]
	s_and_saveexec_b64 s[6:7], s[4:5]
	s_cbranch_execz .LBB9_556
.LBB9_555:
	v_bfe_u32 v2, v7, 8, 3
	v_ffbh_u32_e32 v13, v2
	v_min_u32_e32 v13, 32, v13
	v_lshrrev_b16_e32 v12, 3, v6
	v_subrev_u32_e32 v14, 28, v13
	v_and_b32_e32 v12, 15, v12
	v_lshlrev_b32_e32 v6, v14, v6
	v_sub_u32_e32 v13, 29, v13
	v_and_b32_e32 v6, 7, v6
	v_cmp_eq_u16_e32 vcc, 0, v12
	v_cndmask_b32_e32 v2, v2, v6, vcc
	v_cndmask_b32_e32 v6, v12, v13, vcc
	v_lshlrev_b32_e32 v12, 16, v7
	v_mov_b32_e32 v13, 0x3b800000
	v_lshlrev_b32_e32 v2, 20, v2
	v_and_b32_e32 v12, 0x80000000, v12
	v_lshl_add_u32 v6, v6, 23, v13
	v_or3_b32 v2, v12, v6, v2
.LBB9_556:
	s_or_b64 exec, exec, s[6:7]
	v_lshrrev_b32_e32 v6, 8, v3
	s_movk_i32 s4, 0x7f
	v_cmp_gt_i16_sdwa s[6:7], v6, s4 src0_sel:BYTE_0 src1_sel:DWORD
	s_mov_b64 s[4:5], 0
                                        ; implicit-def: $sgpr10
	s_and_saveexec_b64 s[8:9], s[6:7]
	s_xor_b64 s[6:7], exec, s[8:9]
	s_cbranch_execnz .LBB9_2605
; %bb.557:
	s_or_saveexec_b64 s[6:7], s[6:7]
	v_mov_b32_e32 v12, s10
	s_xor_b64 exec, exec, s[6:7]
	s_cbranch_execnz .LBB9_2608
.LBB9_558:
	s_or_b64 exec, exec, s[6:7]
	s_and_saveexec_b64 s[6:7], s[4:5]
	s_cbranch_execz .LBB9_560
.LBB9_559:
	v_bfe_u32 v12, v3, 8, 3
	v_ffbh_u32_e32 v14, v12
	v_min_u32_e32 v14, 32, v14
	v_lshrrev_b16_e32 v13, 3, v6
	v_subrev_u32_e32 v15, 28, v14
	v_and_b32_e32 v13, 15, v13
	v_lshlrev_b32_e32 v6, v15, v6
	v_sub_u32_e32 v14, 29, v14
	v_and_b32_e32 v6, 7, v6
	v_cmp_eq_u16_e32 vcc, 0, v13
	v_cndmask_b32_e32 v6, v12, v6, vcc
	v_cndmask_b32_e32 v12, v13, v14, vcc
	v_lshlrev_b32_e32 v13, 16, v3
	v_mov_b32_e32 v14, 0x3b800000
	v_lshlrev_b32_e32 v6, 20, v6
	v_and_b32_e32 v13, 0x80000000, v13
	v_lshl_add_u32 v12, v12, 23, v14
	v_or3_b32 v12, v13, v12, v6
.LBB9_560:
	s_or_b64 exec, exec, s[6:7]
	s_nop 0
	v_mfma_f32_16x16x4f32 a[0:3], v2, v12, a[0:3]
	s_movk_i32 s4, 0xff
	v_and_b32_sdwa v6, v7, s4 dst_sel:DWORD dst_unused:UNUSED_PAD src0_sel:WORD_1 src1_sel:DWORD
	s_movk_i32 s4, 0x7f
	v_cmp_lt_i16_e32 vcc, s4, v6
	s_mov_b64 s[4:5], 0
                                        ; implicit-def: $sgpr10
	s_and_saveexec_b64 s[6:7], vcc
	s_xor_b64 s[6:7], exec, s[6:7]
	s_cbranch_execnz .LBB9_2609
; %bb.561:
	s_or_saveexec_b64 s[6:7], s[6:7]
	v_mov_b32_e32 v2, s10
	s_xor_b64 exec, exec, s[6:7]
	s_cbranch_execnz .LBB9_2612
.LBB9_562:
	s_or_b64 exec, exec, s[6:7]
	s_and_saveexec_b64 s[6:7], s[4:5]
	s_cbranch_execz .LBB9_564
.LBB9_563:
	v_bfe_u32 v2, v7, 16, 3
	v_ffbh_u32_e32 v13, v2
	v_min_u32_e32 v13, 32, v13
	v_lshrrev_b32_e32 v6, 19, v7
	v_subrev_u32_e32 v14, 28, v13
	v_and_b32_e32 v6, 15, v6
	v_lshlrev_b32_sdwa v14, v14, v7 dst_sel:DWORD dst_unused:UNUSED_PAD src0_sel:DWORD src1_sel:WORD_1
	v_bfe_u32 v12, v7, 19, 4
	v_sub_u32_e32 v13, 29, v13
	v_and_b32_e32 v14, 7, v14
	v_cmp_eq_u16_e32 vcc, 0, v6
	v_cndmask_b32_e32 v2, v2, v14, vcc
	v_cndmask_b32_e32 v6, v12, v13, vcc
	v_lshlrev_b32_e32 v12, 8, v7
	v_mov_b32_e32 v13, 0x3b800000
	v_lshlrev_b32_e32 v2, 20, v2
	v_and_b32_e32 v12, 0x80000000, v12
	v_lshl_add_u32 v6, v6, 23, v13
	v_or3_b32 v2, v12, v6, v2
.LBB9_564:
	s_or_b64 exec, exec, s[6:7]
	s_movk_i32 s4, 0xff
	v_and_b32_sdwa v6, v3, s4 dst_sel:DWORD dst_unused:UNUSED_PAD src0_sel:WORD_1 src1_sel:DWORD
	s_movk_i32 s4, 0x7f
	v_cmp_lt_i16_e32 vcc, s4, v6
	s_mov_b64 s[4:5], 0
                                        ; implicit-def: $sgpr10
	s_and_saveexec_b64 s[6:7], vcc
	s_xor_b64 s[6:7], exec, s[6:7]
	s_cbranch_execnz .LBB9_2613
; %bb.565:
	s_or_saveexec_b64 s[6:7], s[6:7]
	v_mov_b32_e32 v12, s10
	s_xor_b64 exec, exec, s[6:7]
	s_cbranch_execnz .LBB9_2616
.LBB9_566:
	s_or_b64 exec, exec, s[6:7]
	s_and_saveexec_b64 s[6:7], s[4:5]
	s_cbranch_execz .LBB9_568
.LBB9_567:
	v_bfe_u32 v6, v3, 16, 3
	v_ffbh_u32_e32 v14, v6
	v_min_u32_e32 v14, 32, v14
	v_lshrrev_b32_e32 v12, 19, v3
	v_subrev_u32_e32 v15, 28, v14
	v_and_b32_e32 v12, 15, v12
	v_lshlrev_b32_sdwa v15, v15, v3 dst_sel:DWORD dst_unused:UNUSED_PAD src0_sel:DWORD src1_sel:WORD_1
	v_bfe_u32 v13, v3, 19, 4
	v_sub_u32_e32 v14, 29, v14
	v_and_b32_e32 v15, 7, v15
	v_cmp_eq_u16_e32 vcc, 0, v12
	v_cndmask_b32_e32 v6, v6, v15, vcc
	v_cndmask_b32_e32 v12, v13, v14, vcc
	v_lshlrev_b32_e32 v13, 8, v3
	v_mov_b32_e32 v14, 0x3b800000
	v_lshlrev_b32_e32 v6, 20, v6
	v_and_b32_e32 v13, 0x80000000, v13
	v_lshl_add_u32 v12, v12, 23, v14
	v_or3_b32 v12, v13, v12, v6
.LBB9_568:
	s_or_b64 exec, exec, s[6:7]
	s_nop 0
	v_mfma_f32_16x16x4f32 a[0:3], v2, v12, a[0:3]
	s_movk_i32 s4, 0x7f
	v_cmp_gt_i16_sdwa s[6:7], v7, s4 src0_sel:BYTE_3 src1_sel:DWORD
	s_mov_b64 s[4:5], 0
                                        ; implicit-def: $sgpr10
	s_and_saveexec_b64 s[8:9], s[6:7]
	s_xor_b64 s[6:7], exec, s[8:9]
	s_cbranch_execnz .LBB9_2617
; %bb.569:
	s_or_saveexec_b64 s[6:7], s[6:7]
	v_mov_b32_e32 v2, s10
	s_xor_b64 exec, exec, s[6:7]
	s_cbranch_execnz .LBB9_2620
.LBB9_570:
	s_or_b64 exec, exec, s[6:7]
	s_and_saveexec_b64 s[6:7], s[4:5]
	s_cbranch_execz .LBB9_572
.LBB9_571:
	v_bfe_u32 v2, v7, 24, 3
	v_ffbh_u32_e32 v14, v2
	v_min_u32_e32 v14, 32, v14
	v_lshrrev_b32_e32 v12, 27, v7
	v_subrev_u32_e32 v15, 28, v14
	v_and_b32_e32 v6, 0x80000000, v7
	v_and_b32_e32 v12, 15, v12
	v_bfe_u32 v13, v7, 27, 4
	v_lshlrev_b32_sdwa v7, v15, v7 dst_sel:DWORD dst_unused:UNUSED_PAD src0_sel:DWORD src1_sel:BYTE_3
	v_sub_u32_e32 v14, 29, v14
	v_and_b32_e32 v7, 7, v7
	v_cmp_eq_u16_e32 vcc, 0, v12
	v_cndmask_b32_e32 v2, v2, v7, vcc
	v_cndmask_b32_e32 v7, v13, v14, vcc
	v_mov_b32_e32 v12, 0x3b800000
	v_lshlrev_b32_e32 v2, 20, v2
	v_lshl_add_u32 v7, v7, 23, v12
	v_or3_b32 v2, v6, v7, v2
.LBB9_572:
	s_or_b64 exec, exec, s[6:7]
	s_movk_i32 s4, 0x7f
	v_cmp_gt_i16_sdwa s[6:7], v3, s4 src0_sel:BYTE_3 src1_sel:DWORD
	s_mov_b64 s[4:5], 0
                                        ; implicit-def: $sgpr10
	s_and_saveexec_b64 s[8:9], s[6:7]
	s_xor_b64 s[6:7], exec, s[8:9]
	s_cbranch_execnz .LBB9_2621
; %bb.573:
	s_or_saveexec_b64 s[6:7], s[6:7]
	v_mov_b32_e32 v6, s10
	s_xor_b64 exec, exec, s[6:7]
	s_cbranch_execnz .LBB9_2624
.LBB9_574:
	s_or_b64 exec, exec, s[6:7]
	s_and_saveexec_b64 s[6:7], s[4:5]
	s_cbranch_execz .LBB9_576
.LBB9_575:
	v_bfe_u32 v6, v3, 24, 3
	v_ffbh_u32_e32 v14, v6
	v_min_u32_e32 v14, 32, v14
	v_lshrrev_b32_e32 v12, 27, v3
	v_subrev_u32_e32 v15, 28, v14
	v_and_b32_e32 v7, 0x80000000, v3
	v_and_b32_e32 v12, 15, v12
	v_bfe_u32 v13, v3, 27, 4
	v_lshlrev_b32_sdwa v3, v15, v3 dst_sel:DWORD dst_unused:UNUSED_PAD src0_sel:DWORD src1_sel:BYTE_3
	v_sub_u32_e32 v14, 29, v14
	v_and_b32_e32 v3, 7, v3
	v_cmp_eq_u16_e32 vcc, 0, v12
	v_cndmask_b32_e32 v3, v6, v3, vcc
	v_cndmask_b32_e32 v6, v13, v14, vcc
	v_mov_b32_e32 v12, 0x3b800000
	v_lshlrev_b32_e32 v3, 20, v3
	v_lshl_add_u32 v6, v6, 23, v12
	v_or3_b32 v6, v7, v6, v3
.LBB9_576:
	s_or_b64 exec, exec, s[6:7]
	s_nop 0
	v_mfma_f32_16x16x4f32 a[0:3], v2, v6, a[0:3]
	s_movk_i32 s4, 0x7f
	v_cmp_gt_i16_sdwa s[6:7], v8, s4 src0_sel:BYTE_0 src1_sel:DWORD
	s_mov_b64 s[4:5], 0
                                        ; implicit-def: $sgpr10
	s_and_saveexec_b64 s[8:9], s[6:7]
	s_xor_b64 s[6:7], exec, s[8:9]
	s_cbranch_execnz .LBB9_2625
; %bb.577:
	s_or_saveexec_b64 s[6:7], s[6:7]
	v_mov_b32_e32 v2, s10
	s_xor_b64 exec, exec, s[6:7]
	s_cbranch_execnz .LBB9_2628
.LBB9_578:
	s_or_b64 exec, exec, s[6:7]
	s_and_saveexec_b64 s[6:7], s[4:5]
	s_cbranch_execz .LBB9_580
.LBB9_579:
	v_and_b32_e32 v2, 7, v8
	v_ffbh_u32_e32 v6, v2
	v_min_u32_e32 v6, 32, v6
	v_lshrrev_b16_e32 v3, 3, v8
	v_subrev_u32_e32 v7, 28, v6
	v_and_b32_e32 v3, 15, v3
	v_lshlrev_b32_e32 v7, v7, v8
	v_sub_u32_e32 v6, 29, v6
	v_and_b32_e32 v7, 7, v7
	v_cmp_eq_u16_e32 vcc, 0, v3
	v_cndmask_b32_e32 v2, v2, v7, vcc
	v_cndmask_b32_e32 v3, v3, v6, vcc
	v_lshlrev_b32_e32 v6, 24, v8
	v_mov_b32_e32 v7, 0x3b800000
	v_lshlrev_b32_e32 v2, 20, v2
	v_and_b32_e32 v6, 0x80000000, v6
	v_lshl_add_u32 v3, v3, 23, v7
	v_or3_b32 v2, v6, v3, v2
.LBB9_580:
	s_or_b64 exec, exec, s[6:7]
	s_movk_i32 s4, 0x7f
	v_cmp_gt_i16_sdwa s[6:7], v4, s4 src0_sel:BYTE_0 src1_sel:DWORD
	s_mov_b64 s[4:5], 0
                                        ; implicit-def: $sgpr10
	s_and_saveexec_b64 s[8:9], s[6:7]
	s_xor_b64 s[6:7], exec, s[8:9]
	s_cbranch_execnz .LBB9_2629
; %bb.581:
	s_or_saveexec_b64 s[6:7], s[6:7]
	v_mov_b32_e32 v3, s10
	s_xor_b64 exec, exec, s[6:7]
	s_cbranch_execnz .LBB9_2632
.LBB9_582:
	s_or_b64 exec, exec, s[6:7]
	s_and_saveexec_b64 s[6:7], s[4:5]
	s_cbranch_execz .LBB9_584
.LBB9_583:
	v_and_b32_e32 v3, 7, v4
	v_ffbh_u32_e32 v7, v3
	v_min_u32_e32 v7, 32, v7
	v_lshrrev_b16_e32 v6, 3, v4
	v_subrev_u32_e32 v12, 28, v7
	v_and_b32_e32 v6, 15, v6
	v_lshlrev_b32_e32 v12, v12, v4
	v_sub_u32_e32 v7, 29, v7
	v_and_b32_e32 v12, 7, v12
	v_cmp_eq_u16_e32 vcc, 0, v6
	v_cndmask_b32_e32 v3, v3, v12, vcc
	v_cndmask_b32_e32 v6, v6, v7, vcc
	v_lshlrev_b32_e32 v7, 24, v4
	v_mov_b32_e32 v12, 0x3b800000
	v_lshlrev_b32_e32 v3, 20, v3
	v_and_b32_e32 v7, 0x80000000, v7
	v_lshl_add_u32 v6, v6, 23, v12
	v_or3_b32 v3, v7, v6, v3
.LBB9_584:
	s_or_b64 exec, exec, s[6:7]
	s_nop 0
	v_mfma_f32_16x16x4f32 a[0:3], v2, v3, a[0:3]
	v_lshrrev_b32_e32 v3, 8, v8
	s_movk_i32 s4, 0x7f
	v_cmp_gt_i16_sdwa s[6:7], v3, s4 src0_sel:BYTE_0 src1_sel:DWORD
	s_mov_b64 s[4:5], 0
                                        ; implicit-def: $sgpr10
	s_and_saveexec_b64 s[8:9], s[6:7]
	s_xor_b64 s[6:7], exec, s[8:9]
	s_cbranch_execnz .LBB9_2633
; %bb.585:
	s_or_saveexec_b64 s[6:7], s[6:7]
	v_mov_b32_e32 v2, s10
	s_xor_b64 exec, exec, s[6:7]
	s_cbranch_execnz .LBB9_2636
.LBB9_586:
	s_or_b64 exec, exec, s[6:7]
	s_and_saveexec_b64 s[6:7], s[4:5]
	s_cbranch_execz .LBB9_588
.LBB9_587:
	v_bfe_u32 v2, v8, 8, 3
	v_ffbh_u32_e32 v7, v2
	v_min_u32_e32 v7, 32, v7
	v_lshrrev_b16_e32 v6, 3, v3
	v_subrev_u32_e32 v12, 28, v7
	v_and_b32_e32 v6, 15, v6
	v_lshlrev_b32_e32 v3, v12, v3
	v_sub_u32_e32 v7, 29, v7
	v_and_b32_e32 v3, 7, v3
	v_cmp_eq_u16_e32 vcc, 0, v6
	v_cndmask_b32_e32 v2, v2, v3, vcc
	v_cndmask_b32_e32 v3, v6, v7, vcc
	v_lshlrev_b32_e32 v6, 16, v8
	v_mov_b32_e32 v7, 0x3b800000
	v_lshlrev_b32_e32 v2, 20, v2
	v_and_b32_e32 v6, 0x80000000, v6
	v_lshl_add_u32 v3, v3, 23, v7
	v_or3_b32 v2, v6, v3, v2
.LBB9_588:
	s_or_b64 exec, exec, s[6:7]
	v_lshrrev_b32_e32 v3, 8, v4
	s_movk_i32 s4, 0x7f
	v_cmp_gt_i16_sdwa s[6:7], v3, s4 src0_sel:BYTE_0 src1_sel:DWORD
	s_mov_b64 s[4:5], 0
                                        ; implicit-def: $sgpr10
	s_and_saveexec_b64 s[8:9], s[6:7]
	s_xor_b64 s[6:7], exec, s[8:9]
	s_cbranch_execnz .LBB9_2637
; %bb.589:
	s_or_saveexec_b64 s[6:7], s[6:7]
	v_mov_b32_e32 v6, s10
	s_xor_b64 exec, exec, s[6:7]
	s_cbranch_execnz .LBB9_2640
.LBB9_590:
	s_or_b64 exec, exec, s[6:7]
	s_and_saveexec_b64 s[6:7], s[4:5]
	s_cbranch_execz .LBB9_592
.LBB9_591:
	v_bfe_u32 v6, v4, 8, 3
	v_ffbh_u32_e32 v12, v6
	v_min_u32_e32 v12, 32, v12
	v_lshrrev_b16_e32 v7, 3, v3
	v_subrev_u32_e32 v13, 28, v12
	v_and_b32_e32 v7, 15, v7
	v_lshlrev_b32_e32 v3, v13, v3
	v_sub_u32_e32 v12, 29, v12
	v_and_b32_e32 v3, 7, v3
	v_cmp_eq_u16_e32 vcc, 0, v7
	v_cndmask_b32_e32 v3, v6, v3, vcc
	v_cndmask_b32_e32 v6, v7, v12, vcc
	v_lshlrev_b32_e32 v7, 16, v4
	v_mov_b32_e32 v12, 0x3b800000
	v_lshlrev_b32_e32 v3, 20, v3
	v_and_b32_e32 v7, 0x80000000, v7
	v_lshl_add_u32 v6, v6, 23, v12
	v_or3_b32 v6, v7, v6, v3
.LBB9_592:
	s_or_b64 exec, exec, s[6:7]
	s_nop 0
	v_mfma_f32_16x16x4f32 a[0:3], v2, v6, a[0:3]
	s_movk_i32 s4, 0xff
	v_and_b32_sdwa v3, v8, s4 dst_sel:DWORD dst_unused:UNUSED_PAD src0_sel:WORD_1 src1_sel:DWORD
	s_movk_i32 s4, 0x7f
	v_cmp_lt_i16_e32 vcc, s4, v3
	s_mov_b64 s[4:5], 0
                                        ; implicit-def: $sgpr10
	s_and_saveexec_b64 s[6:7], vcc
	s_xor_b64 s[6:7], exec, s[6:7]
	s_cbranch_execnz .LBB9_2641
; %bb.593:
	s_or_saveexec_b64 s[6:7], s[6:7]
	v_mov_b32_e32 v2, s10
	s_xor_b64 exec, exec, s[6:7]
	s_cbranch_execnz .LBB9_2644
.LBB9_594:
	s_or_b64 exec, exec, s[6:7]
	s_and_saveexec_b64 s[6:7], s[4:5]
	s_cbranch_execz .LBB9_596
.LBB9_595:
	v_bfe_u32 v2, v8, 16, 3
	v_ffbh_u32_e32 v7, v2
	v_min_u32_e32 v7, 32, v7
	v_lshrrev_b32_e32 v3, 19, v8
	v_subrev_u32_e32 v12, 28, v7
	v_and_b32_e32 v3, 15, v3
	v_lshlrev_b32_sdwa v12, v12, v8 dst_sel:DWORD dst_unused:UNUSED_PAD src0_sel:DWORD src1_sel:WORD_1
	v_bfe_u32 v6, v8, 19, 4
	v_sub_u32_e32 v7, 29, v7
	v_and_b32_e32 v12, 7, v12
	v_cmp_eq_u16_e32 vcc, 0, v3
	v_cndmask_b32_e32 v2, v2, v12, vcc
	v_cndmask_b32_e32 v3, v6, v7, vcc
	v_lshlrev_b32_e32 v6, 8, v8
	v_mov_b32_e32 v7, 0x3b800000
	v_lshlrev_b32_e32 v2, 20, v2
	v_and_b32_e32 v6, 0x80000000, v6
	v_lshl_add_u32 v3, v3, 23, v7
	v_or3_b32 v2, v6, v3, v2
.LBB9_596:
	s_or_b64 exec, exec, s[6:7]
	s_movk_i32 s4, 0xff
	v_and_b32_sdwa v3, v4, s4 dst_sel:DWORD dst_unused:UNUSED_PAD src0_sel:WORD_1 src1_sel:DWORD
	s_movk_i32 s4, 0x7f
	v_cmp_lt_i16_e32 vcc, s4, v3
	s_mov_b64 s[4:5], 0
                                        ; implicit-def: $sgpr10
	s_and_saveexec_b64 s[6:7], vcc
	s_xor_b64 s[6:7], exec, s[6:7]
	s_cbranch_execnz .LBB9_2645
; %bb.597:
	s_or_saveexec_b64 s[6:7], s[6:7]
	v_mov_b32_e32 v6, s10
	s_xor_b64 exec, exec, s[6:7]
	s_cbranch_execnz .LBB9_2648
.LBB9_598:
	s_or_b64 exec, exec, s[6:7]
	s_and_saveexec_b64 s[6:7], s[4:5]
	s_cbranch_execz .LBB9_600
.LBB9_599:
	v_bfe_u32 v3, v4, 16, 3
	v_ffbh_u32_e32 v12, v3
	v_min_u32_e32 v12, 32, v12
	v_lshrrev_b32_e32 v6, 19, v4
	v_subrev_u32_e32 v13, 28, v12
	v_and_b32_e32 v6, 15, v6
	v_lshlrev_b32_sdwa v13, v13, v4 dst_sel:DWORD dst_unused:UNUSED_PAD src0_sel:DWORD src1_sel:WORD_1
	v_bfe_u32 v7, v4, 19, 4
	v_sub_u32_e32 v12, 29, v12
	v_and_b32_e32 v13, 7, v13
	v_cmp_eq_u16_e32 vcc, 0, v6
	v_cndmask_b32_e32 v3, v3, v13, vcc
	v_cndmask_b32_e32 v6, v7, v12, vcc
	v_lshlrev_b32_e32 v7, 8, v4
	v_mov_b32_e32 v12, 0x3b800000
	v_lshlrev_b32_e32 v3, 20, v3
	v_and_b32_e32 v7, 0x80000000, v7
	v_lshl_add_u32 v6, v6, 23, v12
	v_or3_b32 v6, v7, v6, v3
.LBB9_600:
	s_or_b64 exec, exec, s[6:7]
	s_nop 0
	v_mfma_f32_16x16x4f32 a[0:3], v2, v6, a[0:3]
	s_movk_i32 s4, 0x7f
	v_cmp_gt_i16_sdwa s[6:7], v8, s4 src0_sel:BYTE_3 src1_sel:DWORD
	s_mov_b64 s[4:5], 0
                                        ; implicit-def: $sgpr10
	s_and_saveexec_b64 s[8:9], s[6:7]
	s_xor_b64 s[6:7], exec, s[8:9]
	s_cbranch_execnz .LBB9_2649
; %bb.601:
	s_or_saveexec_b64 s[6:7], s[6:7]
	v_mov_b32_e32 v2, s10
	s_xor_b64 exec, exec, s[6:7]
	s_cbranch_execnz .LBB9_2652
.LBB9_602:
	s_or_b64 exec, exec, s[6:7]
	s_and_saveexec_b64 s[6:7], s[4:5]
	s_cbranch_execz .LBB9_604
.LBB9_603:
	v_bfe_u32 v2, v8, 24, 3
	v_ffbh_u32_e32 v12, v2
	v_min_u32_e32 v12, 32, v12
	v_lshrrev_b32_e32 v6, 27, v8
	v_subrev_u32_e32 v13, 28, v12
	v_and_b32_e32 v3, 0x80000000, v8
	v_and_b32_e32 v6, 15, v6
	v_bfe_u32 v7, v8, 27, 4
	v_lshlrev_b32_sdwa v8, v13, v8 dst_sel:DWORD dst_unused:UNUSED_PAD src0_sel:DWORD src1_sel:BYTE_3
	v_sub_u32_e32 v12, 29, v12
	v_and_b32_e32 v8, 7, v8
	v_cmp_eq_u16_e32 vcc, 0, v6
	v_cndmask_b32_e32 v2, v2, v8, vcc
	v_cndmask_b32_e32 v6, v7, v12, vcc
	v_mov_b32_e32 v7, 0x3b800000
	v_lshlrev_b32_e32 v2, 20, v2
	v_lshl_add_u32 v6, v6, 23, v7
	v_or3_b32 v2, v3, v6, v2
.LBB9_604:
	s_or_b64 exec, exec, s[6:7]
	s_movk_i32 s4, 0x7f
	v_cmp_gt_i16_sdwa s[6:7], v4, s4 src0_sel:BYTE_3 src1_sel:DWORD
	s_mov_b64 s[4:5], 0
                                        ; implicit-def: $sgpr10
	s_and_saveexec_b64 s[8:9], s[6:7]
	s_xor_b64 s[6:7], exec, s[8:9]
	s_cbranch_execnz .LBB9_2653
; %bb.605:
	s_or_saveexec_b64 s[6:7], s[6:7]
	v_mov_b32_e32 v3, s10
	s_xor_b64 exec, exec, s[6:7]
	s_cbranch_execnz .LBB9_2656
.LBB9_606:
	s_or_b64 exec, exec, s[6:7]
	s_and_saveexec_b64 s[6:7], s[4:5]
	s_cbranch_execz .LBB9_608
.LBB9_607:
	v_bfe_u32 v3, v4, 24, 3
	v_ffbh_u32_e32 v12, v3
	v_min_u32_e32 v12, 32, v12
	v_lshrrev_b32_e32 v7, 27, v4
	v_subrev_u32_e32 v13, 28, v12
	v_and_b32_e32 v6, 0x80000000, v4
	v_and_b32_e32 v7, 15, v7
	v_bfe_u32 v8, v4, 27, 4
	v_lshlrev_b32_sdwa v4, v13, v4 dst_sel:DWORD dst_unused:UNUSED_PAD src0_sel:DWORD src1_sel:BYTE_3
	v_sub_u32_e32 v12, 29, v12
	v_and_b32_e32 v4, 7, v4
	v_cmp_eq_u16_e32 vcc, 0, v7
	v_cndmask_b32_e32 v3, v3, v4, vcc
	v_cndmask_b32_e32 v4, v8, v12, vcc
	v_mov_b32_e32 v7, 0x3b800000
	v_lshlrev_b32_e32 v3, 20, v3
	v_lshl_add_u32 v4, v4, 23, v7
	v_or3_b32 v3, v6, v4, v3
.LBB9_608:
	s_or_b64 exec, exec, s[6:7]
	s_nop 0
	v_mfma_f32_16x16x4f32 a[0:3], v2, v3, a[0:3]
	s_movk_i32 s4, 0x7f
	v_cmp_gt_i16_sdwa s[6:7], v9, s4 src0_sel:BYTE_0 src1_sel:DWORD
	s_mov_b64 s[4:5], 0
                                        ; implicit-def: $sgpr10
	s_and_saveexec_b64 s[8:9], s[6:7]
	s_xor_b64 s[6:7], exec, s[8:9]
	s_cbranch_execnz .LBB9_2657
; %bb.609:
	s_or_saveexec_b64 s[6:7], s[6:7]
	v_mov_b32_e32 v2, s10
	s_xor_b64 exec, exec, s[6:7]
	s_cbranch_execnz .LBB9_2660
.LBB9_610:
	s_or_b64 exec, exec, s[6:7]
	s_and_saveexec_b64 s[6:7], s[4:5]
	s_cbranch_execz .LBB9_612
.LBB9_611:
	v_mov_b32_e32 v2, 8
	v_and_b32_e32 v3, 7, v9
	v_lshrrev_b32_sdwa v2, v2, v9 dst_sel:BYTE_1 dst_unused:UNUSED_PAD src0_sel:DWORD src1_sel:DWORD
	v_ffbh_u32_e32 v4, v3
	v_or_b32_sdwa v2, v9, v2 dst_sel:DWORD dst_unused:UNUSED_PAD src0_sel:BYTE_0 src1_sel:DWORD
	v_min_u32_e32 v4, 32, v4
	v_lshrrev_b16_e32 v2, 3, v2
	v_subrev_u32_e32 v6, 28, v4
	v_and_b32_e32 v2, 15, v2
	v_lshlrev_b32_e32 v6, v6, v9
	v_sub_u32_e32 v4, 29, v4
	v_and_b32_e32 v6, 7, v6
	v_cmp_eq_u16_e32 vcc, 0, v2
	v_cndmask_b32_e32 v3, v3, v6, vcc
	v_cndmask_b32_e32 v2, v2, v4, vcc
	v_lshlrev_b32_e32 v4, 24, v9
	v_mov_b32_e32 v6, 0x3b800000
	v_lshlrev_b32_e32 v3, 20, v3
	v_and_b32_e32 v4, 0x80000000, v4
	v_lshl_add_u32 v2, v2, 23, v6
	v_or3_b32 v2, v4, v2, v3
.LBB9_612:
	s_or_b64 exec, exec, s[6:7]
	s_movk_i32 s4, 0x7f
	v_cmp_gt_i16_sdwa s[6:7], v5, s4 src0_sel:BYTE_0 src1_sel:DWORD
	s_mov_b64 s[4:5], 0
                                        ; implicit-def: $sgpr10
	s_and_saveexec_b64 s[8:9], s[6:7]
	s_xor_b64 s[6:7], exec, s[8:9]
	s_cbranch_execnz .LBB9_2661
; %bb.613:
	s_or_saveexec_b64 s[6:7], s[6:7]
	v_mov_b32_e32 v3, s10
	s_xor_b64 exec, exec, s[6:7]
	s_cbranch_execnz .LBB9_2664
.LBB9_614:
	s_or_b64 exec, exec, s[6:7]
	s_and_saveexec_b64 s[6:7], s[4:5]
	s_cbranch_execz .LBB9_616
.LBB9_615:
	v_mov_b32_e32 v3, 8
	v_and_b32_e32 v4, 7, v5
	v_lshrrev_b32_sdwa v3, v3, v5 dst_sel:BYTE_1 dst_unused:UNUSED_PAD src0_sel:DWORD src1_sel:DWORD
	v_ffbh_u32_e32 v6, v4
	v_or_b32_sdwa v3, v5, v3 dst_sel:DWORD dst_unused:UNUSED_PAD src0_sel:BYTE_0 src1_sel:DWORD
	v_min_u32_e32 v6, 32, v6
	v_lshrrev_b16_e32 v3, 3, v3
	v_subrev_u32_e32 v7, 28, v6
	v_and_b32_e32 v3, 15, v3
	v_lshlrev_b32_e32 v7, v7, v5
	v_sub_u32_e32 v6, 29, v6
	v_and_b32_e32 v7, 7, v7
	v_cmp_eq_u16_e32 vcc, 0, v3
	v_cndmask_b32_e32 v4, v4, v7, vcc
	v_cndmask_b32_e32 v3, v3, v6, vcc
	v_lshlrev_b32_e32 v6, 24, v5
	v_mov_b32_e32 v7, 0x3b800000
	v_lshlrev_b32_e32 v4, 20, v4
	v_and_b32_e32 v6, 0x80000000, v6
	v_lshl_add_u32 v3, v3, 23, v7
	v_or3_b32 v3, v6, v3, v4
.LBB9_616:
	s_or_b64 exec, exec, s[6:7]
	s_nop 0
	v_mfma_f32_16x16x4f32 a[0:3], v2, v3, a[0:3]
	v_lshrrev_b32_e32 v3, 8, v9
	s_movk_i32 s4, 0x7f
	v_cmp_gt_i16_sdwa s[6:7], v3, s4 src0_sel:BYTE_0 src1_sel:DWORD
	s_mov_b64 s[4:5], 0
                                        ; implicit-def: $sgpr10
	s_and_saveexec_b64 s[8:9], s[6:7]
	s_xor_b64 s[6:7], exec, s[8:9]
	s_cbranch_execnz .LBB9_2665
; %bb.617:
	s_or_saveexec_b64 s[6:7], s[6:7]
	v_mov_b32_e32 v2, s10
	s_xor_b64 exec, exec, s[6:7]
	s_cbranch_execnz .LBB9_2668
.LBB9_618:
	s_or_b64 exec, exec, s[6:7]
	s_and_saveexec_b64 s[6:7], s[4:5]
	s_cbranch_execz .LBB9_620
.LBB9_619:
	v_bfe_u32 v2, v9, 8, 3
	v_ffbh_u32_e32 v6, v2
	v_min_u32_e32 v6, 32, v6
	v_lshrrev_b16_e32 v4, 3, v3
	v_subrev_u32_e32 v7, 28, v6
	v_and_b32_e32 v4, 15, v4
	v_lshlrev_b32_e32 v3, v7, v3
	v_sub_u32_e32 v6, 29, v6
	v_and_b32_e32 v3, 7, v3
	v_cmp_eq_u16_e32 vcc, 0, v4
	v_cndmask_b32_e32 v2, v2, v3, vcc
	v_cndmask_b32_e32 v3, v4, v6, vcc
	v_lshlrev_b32_e32 v4, 16, v9
	v_mov_b32_e32 v6, 0x3b800000
	v_lshlrev_b32_e32 v2, 20, v2
	v_and_b32_e32 v4, 0x80000000, v4
	v_lshl_add_u32 v3, v3, 23, v6
	v_or3_b32 v2, v4, v3, v2
.LBB9_620:
	s_or_b64 exec, exec, s[6:7]
	v_lshrrev_b32_e32 v3, 8, v5
	s_movk_i32 s4, 0x7f
	v_cmp_gt_i16_sdwa s[6:7], v3, s4 src0_sel:BYTE_0 src1_sel:DWORD
	s_mov_b64 s[4:5], 0
                                        ; implicit-def: $sgpr10
	s_and_saveexec_b64 s[8:9], s[6:7]
	s_xor_b64 s[6:7], exec, s[8:9]
	s_cbranch_execnz .LBB9_2669
; %bb.621:
	s_or_saveexec_b64 s[6:7], s[6:7]
	v_mov_b32_e32 v4, s10
	s_xor_b64 exec, exec, s[6:7]
	s_cbranch_execnz .LBB9_2672
.LBB9_622:
	s_or_b64 exec, exec, s[6:7]
	s_and_saveexec_b64 s[6:7], s[4:5]
	s_cbranch_execz .LBB9_624
.LBB9_623:
	v_bfe_u32 v4, v5, 8, 3
	v_ffbh_u32_e32 v7, v4
	v_min_u32_e32 v7, 32, v7
	v_lshrrev_b16_e32 v6, 3, v3
	v_subrev_u32_e32 v8, 28, v7
	v_and_b32_e32 v6, 15, v6
	v_lshlrev_b32_e32 v3, v8, v3
	v_sub_u32_e32 v7, 29, v7
	v_and_b32_e32 v3, 7, v3
	v_cmp_eq_u16_e32 vcc, 0, v6
	v_cndmask_b32_e32 v3, v4, v3, vcc
	v_cndmask_b32_e32 v4, v6, v7, vcc
	v_lshlrev_b32_e32 v6, 16, v5
	v_mov_b32_e32 v7, 0x3b800000
	v_lshlrev_b32_e32 v3, 20, v3
	v_and_b32_e32 v6, 0x80000000, v6
	v_lshl_add_u32 v4, v4, 23, v7
	v_or3_b32 v4, v6, v4, v3
.LBB9_624:
	s_or_b64 exec, exec, s[6:7]
	s_nop 0
	v_mfma_f32_16x16x4f32 a[0:3], v2, v4, a[0:3]
	s_movk_i32 s4, 0xff
	v_and_b32_sdwa v3, v9, s4 dst_sel:DWORD dst_unused:UNUSED_PAD src0_sel:WORD_1 src1_sel:DWORD
	s_movk_i32 s4, 0x7f
	v_cmp_lt_i16_e32 vcc, s4, v3
	s_mov_b64 s[4:5], 0
                                        ; implicit-def: $sgpr10
	s_and_saveexec_b64 s[6:7], vcc
	s_xor_b64 s[6:7], exec, s[6:7]
	s_cbranch_execnz .LBB9_2673
; %bb.625:
	s_or_saveexec_b64 s[6:7], s[6:7]
	v_mov_b32_e32 v2, s10
	s_xor_b64 exec, exec, s[6:7]
	s_cbranch_execnz .LBB9_2676
.LBB9_626:
	s_or_b64 exec, exec, s[6:7]
	s_and_saveexec_b64 s[6:7], s[4:5]
	s_cbranch_execz .LBB9_628
.LBB9_627:
	v_bfe_u32 v2, v9, 16, 3
	v_ffbh_u32_e32 v6, v2
	v_min_u32_e32 v6, 32, v6
	v_lshrrev_b32_e32 v3, 19, v9
	v_subrev_u32_e32 v7, 28, v6
	v_and_b32_e32 v3, 15, v3
	v_lshlrev_b32_sdwa v7, v7, v9 dst_sel:DWORD dst_unused:UNUSED_PAD src0_sel:DWORD src1_sel:WORD_1
	v_bfe_u32 v4, v9, 19, 4
	v_sub_u32_e32 v6, 29, v6
	v_and_b32_e32 v7, 7, v7
	v_cmp_eq_u16_e32 vcc, 0, v3
	v_cndmask_b32_e32 v2, v2, v7, vcc
	v_cndmask_b32_e32 v3, v4, v6, vcc
	v_lshlrev_b32_e32 v4, 8, v9
	v_mov_b32_e32 v6, 0x3b800000
	v_lshlrev_b32_e32 v2, 20, v2
	v_and_b32_e32 v4, 0x80000000, v4
	v_lshl_add_u32 v3, v3, 23, v6
	v_or3_b32 v2, v4, v3, v2
.LBB9_628:
	s_or_b64 exec, exec, s[6:7]
	s_movk_i32 s4, 0xff
	v_and_b32_sdwa v3, v5, s4 dst_sel:DWORD dst_unused:UNUSED_PAD src0_sel:WORD_1 src1_sel:DWORD
	s_movk_i32 s4, 0x7f
	v_cmp_lt_i16_e32 vcc, s4, v3
	s_mov_b64 s[4:5], 0
                                        ; implicit-def: $sgpr10
	s_and_saveexec_b64 s[6:7], vcc
	s_xor_b64 s[6:7], exec, s[6:7]
	s_cbranch_execnz .LBB9_2677
; %bb.629:
	s_or_saveexec_b64 s[6:7], s[6:7]
	v_mov_b32_e32 v4, s10
	s_xor_b64 exec, exec, s[6:7]
	s_cbranch_execnz .LBB9_2680
.LBB9_630:
	s_or_b64 exec, exec, s[6:7]
	s_and_saveexec_b64 s[6:7], s[4:5]
	s_cbranch_execz .LBB9_632
.LBB9_631:
	v_bfe_u32 v3, v5, 16, 3
	v_ffbh_u32_e32 v7, v3
	v_min_u32_e32 v7, 32, v7
	v_lshrrev_b32_e32 v4, 19, v5
	v_subrev_u32_e32 v8, 28, v7
	v_and_b32_e32 v4, 15, v4
	v_lshlrev_b32_sdwa v8, v8, v5 dst_sel:DWORD dst_unused:UNUSED_PAD src0_sel:DWORD src1_sel:WORD_1
	v_bfe_u32 v6, v5, 19, 4
	v_sub_u32_e32 v7, 29, v7
	v_and_b32_e32 v8, 7, v8
	v_cmp_eq_u16_e32 vcc, 0, v4
	v_cndmask_b32_e32 v3, v3, v8, vcc
	v_cndmask_b32_e32 v4, v6, v7, vcc
	v_lshlrev_b32_e32 v6, 8, v5
	v_mov_b32_e32 v7, 0x3b800000
	v_lshlrev_b32_e32 v3, 20, v3
	v_and_b32_e32 v6, 0x80000000, v6
	v_lshl_add_u32 v4, v4, 23, v7
	v_or3_b32 v4, v6, v4, v3
.LBB9_632:
	s_or_b64 exec, exec, s[6:7]
	s_nop 0
	v_mfma_f32_16x16x4f32 a[0:3], v2, v4, a[0:3]
	s_movk_i32 s4, 0x7f
	v_cmp_gt_i16_sdwa s[6:7], v9, s4 src0_sel:BYTE_3 src1_sel:DWORD
	s_mov_b64 s[4:5], 0
                                        ; implicit-def: $sgpr10
	s_and_saveexec_b64 s[8:9], s[6:7]
	s_xor_b64 s[6:7], exec, s[8:9]
	s_cbranch_execnz .LBB9_2681
; %bb.633:
	s_or_saveexec_b64 s[6:7], s[6:7]
	v_mov_b32_e32 v2, s10
	s_xor_b64 exec, exec, s[6:7]
	s_cbranch_execnz .LBB9_2684
.LBB9_634:
	s_or_b64 exec, exec, s[6:7]
	s_and_saveexec_b64 s[6:7], s[4:5]
	s_cbranch_execz .LBB9_636
.LBB9_635:
	v_bfe_u32 v2, v9, 24, 3
	v_ffbh_u32_e32 v7, v2
	v_min_u32_e32 v7, 32, v7
	v_lshrrev_b32_e32 v4, 27, v9
	v_subrev_u32_e32 v8, 28, v7
	v_and_b32_e32 v4, 15, v4
	v_lshlrev_b32_sdwa v8, v8, v9 dst_sel:DWORD dst_unused:UNUSED_PAD src0_sel:DWORD src1_sel:BYTE_3
	v_bfe_u32 v6, v9, 27, 4
	v_sub_u32_e32 v7, 29, v7
	v_and_b32_e32 v8, 7, v8
	v_cmp_eq_u16_e32 vcc, 0, v4
	v_cndmask_b32_e32 v2, v2, v8, vcc
	v_cndmask_b32_e32 v4, v6, v7, vcc
	v_mov_b32_e32 v6, 0x3b800000
	v_and_b32_e32 v3, 0x80000000, v9
	v_lshlrev_b32_e32 v2, 20, v2
	v_lshl_add_u32 v4, v4, 23, v6
	v_or3_b32 v2, v3, v4, v2
.LBB9_636:
	s_or_b64 exec, exec, s[6:7]
	s_movk_i32 s4, 0x7f
	v_cmp_gt_i16_sdwa s[6:7], v5, s4 src0_sel:BYTE_3 src1_sel:DWORD
	s_mov_b64 s[4:5], 0
                                        ; implicit-def: $sgpr10
	s_and_saveexec_b64 s[8:9], s[6:7]
	s_xor_b64 s[6:7], exec, s[8:9]
	s_cbranch_execnz .LBB9_2685
; %bb.637:
	s_or_saveexec_b64 s[6:7], s[6:7]
	v_mov_b32_e32 v3, s10
	s_xor_b64 exec, exec, s[6:7]
	s_cbranch_execnz .LBB9_2688
.LBB9_638:
	s_or_b64 exec, exec, s[6:7]
	s_and_saveexec_b64 s[6:7], s[4:5]
	s_cbranch_execz .LBB9_640
.LBB9_639:
	v_bfe_u32 v3, v5, 24, 3
	v_ffbh_u32_e32 v8, v3
	v_min_u32_e32 v8, 32, v8
	v_lshrrev_b32_e32 v6, 27, v5
	v_subrev_u32_e32 v9, 28, v8
	v_and_b32_e32 v4, 0x80000000, v5
	v_and_b32_e32 v6, 15, v6
	v_bfe_u32 v7, v5, 27, 4
	v_lshlrev_b32_sdwa v5, v9, v5 dst_sel:DWORD dst_unused:UNUSED_PAD src0_sel:DWORD src1_sel:BYTE_3
	v_sub_u32_e32 v8, 29, v8
	v_and_b32_e32 v5, 7, v5
	v_cmp_eq_u16_e32 vcc, 0, v6
	v_cndmask_b32_e32 v3, v3, v5, vcc
	v_cndmask_b32_e32 v5, v7, v8, vcc
	v_mov_b32_e32 v6, 0x3b800000
	v_lshlrev_b32_e32 v3, 20, v3
	v_lshl_add_u32 v5, v5, 23, v6
	v_or3_b32 v3, v4, v5, v3
.LBB9_640:
	s_or_b64 exec, exec, s[6:7]
	s_nop 0
	v_mfma_f32_16x16x4f32 a[0:3], v2, v3, a[0:3]
	s_movk_i32 s4, 0x7f
                                        ; implicit-def: $sgpr10
	s_nop 7
	s_nop 1
	flat_store_dwordx4 v[10:11], a[0:3] offset:64
	flat_load_dwordx4 v[12:15], v[0:1] offset:8
	s_nop 0
	flat_load_dwordx2 v[10:11], v[0:1] offset:32
	s_waitcnt vmcnt(0) lgkmcnt(0)
	flat_load_dwordx4 v[6:9], v[12:13] offset:48
	flat_load_dwordx4 v[2:5], v[14:15] offset:48
	s_waitcnt vmcnt(0) lgkmcnt(0)
	v_cmp_gt_i16_sdwa s[6:7], v6, s4 src0_sel:BYTE_0 src1_sel:DWORD
	s_mov_b64 s[4:5], 0
	s_and_saveexec_b64 s[8:9], s[6:7]
	s_xor_b64 s[6:7], exec, s[8:9]
	s_cbranch_execnz .LBB9_2689
; %bb.641:
	s_or_saveexec_b64 s[6:7], s[6:7]
	v_mov_b32_e32 v12, s10
	s_xor_b64 exec, exec, s[6:7]
	s_cbranch_execnz .LBB9_2692
.LBB9_642:
	s_or_b64 exec, exec, s[6:7]
	s_and_saveexec_b64 s[6:7], s[4:5]
	s_cbranch_execz .LBB9_644
.LBB9_643:
	v_and_b32_e32 v12, 7, v6
	v_ffbh_u32_e32 v14, v12
	v_min_u32_e32 v14, 32, v14
	v_lshrrev_b16_e32 v13, 3, v6
	v_subrev_u32_e32 v15, 28, v14
	v_and_b32_e32 v13, 15, v13
	v_lshlrev_b32_e32 v15, v15, v6
	v_sub_u32_e32 v14, 29, v14
	v_and_b32_e32 v15, 7, v15
	v_cmp_eq_u16_e32 vcc, 0, v13
	v_cndmask_b32_e32 v12, v12, v15, vcc
	v_cndmask_b32_e32 v13, v13, v14, vcc
	v_lshlrev_b32_e32 v14, 24, v6
	v_mov_b32_e32 v15, 0x3b800000
	v_lshlrev_b32_e32 v12, 20, v12
	v_and_b32_e32 v14, 0x80000000, v14
	v_lshl_add_u32 v13, v13, 23, v15
	v_or3_b32 v12, v14, v13, v12
.LBB9_644:
	s_or_b64 exec, exec, s[6:7]
	s_movk_i32 s4, 0x7f
	v_cmp_gt_i16_sdwa s[6:7], v2, s4 src0_sel:BYTE_0 src1_sel:DWORD
	s_mov_b64 s[4:5], 0
                                        ; implicit-def: $sgpr10
	s_and_saveexec_b64 s[8:9], s[6:7]
	s_xor_b64 s[6:7], exec, s[8:9]
	s_cbranch_execnz .LBB9_2693
; %bb.645:
	s_or_saveexec_b64 s[6:7], s[6:7]
	v_mov_b32_e32 v13, s10
	s_xor_b64 exec, exec, s[6:7]
	s_cbranch_execnz .LBB9_2696
.LBB9_646:
	s_or_b64 exec, exec, s[6:7]
	s_and_saveexec_b64 s[6:7], s[4:5]
	s_cbranch_execz .LBB9_648
.LBB9_647:
	v_and_b32_e32 v13, 7, v2
	v_ffbh_u32_e32 v15, v13
	v_min_u32_e32 v15, 32, v15
	v_lshrrev_b16_e32 v14, 3, v2
	v_subrev_u32_e32 v16, 28, v15
	v_and_b32_e32 v14, 15, v14
	v_lshlrev_b32_e32 v16, v16, v2
	v_sub_u32_e32 v15, 29, v15
	v_and_b32_e32 v16, 7, v16
	v_cmp_eq_u16_e32 vcc, 0, v14
	v_cndmask_b32_e32 v13, v13, v16, vcc
	v_cndmask_b32_e32 v14, v14, v15, vcc
	v_lshlrev_b32_e32 v15, 24, v2
	v_mov_b32_e32 v16, 0x3b800000
	v_lshlrev_b32_e32 v13, 20, v13
	v_and_b32_e32 v15, 0x80000000, v15
	v_lshl_add_u32 v14, v14, 23, v16
	v_or3_b32 v13, v15, v14, v13
.LBB9_648:
	s_or_b64 exec, exec, s[6:7]
	flat_load_dwordx4 a[0:3], v[10:11] offset:80
	s_movk_i32 s4, 0x7f
                                        ; implicit-def: $sgpr10
	s_waitcnt vmcnt(0) lgkmcnt(0)
	v_mfma_f32_16x16x4f32 a[0:3], v12, v13, a[0:3]
	v_lshrrev_b32_e32 v13, 8, v6
	v_cmp_gt_i16_sdwa s[6:7], v13, s4 src0_sel:BYTE_0 src1_sel:DWORD
	s_mov_b64 s[4:5], 0
	s_and_saveexec_b64 s[8:9], s[6:7]
	s_xor_b64 s[6:7], exec, s[8:9]
	s_cbranch_execnz .LBB9_2697
; %bb.649:
	s_or_saveexec_b64 s[6:7], s[6:7]
	v_mov_b32_e32 v12, s10
	s_xor_b64 exec, exec, s[6:7]
	s_cbranch_execnz .LBB9_2700
.LBB9_650:
	s_or_b64 exec, exec, s[6:7]
	s_and_saveexec_b64 s[6:7], s[4:5]
	s_cbranch_execz .LBB9_652
.LBB9_651:
	v_bfe_u32 v12, v6, 8, 3
	v_ffbh_u32_e32 v15, v12
	v_min_u32_e32 v15, 32, v15
	v_lshrrev_b16_e32 v14, 3, v13
	v_subrev_u32_e32 v16, 28, v15
	v_and_b32_e32 v14, 15, v14
	v_lshlrev_b32_e32 v13, v16, v13
	v_sub_u32_e32 v15, 29, v15
	v_and_b32_e32 v13, 7, v13
	v_cmp_eq_u16_e32 vcc, 0, v14
	v_cndmask_b32_e32 v12, v12, v13, vcc
	v_cndmask_b32_e32 v13, v14, v15, vcc
	v_lshlrev_b32_e32 v14, 16, v6
	v_mov_b32_e32 v15, 0x3b800000
	v_lshlrev_b32_e32 v12, 20, v12
	v_and_b32_e32 v14, 0x80000000, v14
	v_lshl_add_u32 v13, v13, 23, v15
	v_or3_b32 v12, v14, v13, v12
.LBB9_652:
	s_or_b64 exec, exec, s[6:7]
	v_lshrrev_b32_e32 v13, 8, v2
	s_movk_i32 s4, 0x7f
	v_cmp_gt_i16_sdwa s[6:7], v13, s4 src0_sel:BYTE_0 src1_sel:DWORD
	s_mov_b64 s[4:5], 0
                                        ; implicit-def: $sgpr10
	s_and_saveexec_b64 s[8:9], s[6:7]
	s_xor_b64 s[6:7], exec, s[8:9]
	s_cbranch_execnz .LBB9_2701
; %bb.653:
	s_or_saveexec_b64 s[6:7], s[6:7]
	v_mov_b32_e32 v14, s10
	s_xor_b64 exec, exec, s[6:7]
	s_cbranch_execnz .LBB9_2704
.LBB9_654:
	s_or_b64 exec, exec, s[6:7]
	s_and_saveexec_b64 s[6:7], s[4:5]
	s_cbranch_execz .LBB9_656
.LBB9_655:
	v_bfe_u32 v14, v2, 8, 3
	v_ffbh_u32_e32 v16, v14
	v_min_u32_e32 v16, 32, v16
	v_lshrrev_b16_e32 v15, 3, v13
	v_subrev_u32_e32 v17, 28, v16
	v_and_b32_e32 v15, 15, v15
	v_lshlrev_b32_e32 v13, v17, v13
	v_sub_u32_e32 v16, 29, v16
	v_and_b32_e32 v13, 7, v13
	v_cmp_eq_u16_e32 vcc, 0, v15
	v_cndmask_b32_e32 v13, v14, v13, vcc
	v_cndmask_b32_e32 v14, v15, v16, vcc
	v_lshlrev_b32_e32 v15, 16, v2
	v_mov_b32_e32 v16, 0x3b800000
	v_lshlrev_b32_e32 v13, 20, v13
	v_and_b32_e32 v15, 0x80000000, v15
	v_lshl_add_u32 v14, v14, 23, v16
	v_or3_b32 v14, v15, v14, v13
.LBB9_656:
	s_or_b64 exec, exec, s[6:7]
	s_nop 0
	v_mfma_f32_16x16x4f32 a[0:3], v12, v14, a[0:3]
	s_movk_i32 s4, 0xff
	v_and_b32_sdwa v13, v6, s4 dst_sel:DWORD dst_unused:UNUSED_PAD src0_sel:WORD_1 src1_sel:DWORD
	s_movk_i32 s4, 0x7f
	v_cmp_lt_i16_e32 vcc, s4, v13
	s_mov_b64 s[4:5], 0
                                        ; implicit-def: $sgpr10
	s_and_saveexec_b64 s[6:7], vcc
	s_xor_b64 s[6:7], exec, s[6:7]
	s_cbranch_execnz .LBB9_2705
; %bb.657:
	s_or_saveexec_b64 s[6:7], s[6:7]
	v_mov_b32_e32 v12, s10
	s_xor_b64 exec, exec, s[6:7]
	s_cbranch_execnz .LBB9_2708
.LBB9_658:
	s_or_b64 exec, exec, s[6:7]
	s_and_saveexec_b64 s[6:7], s[4:5]
	s_cbranch_execz .LBB9_660
.LBB9_659:
	v_bfe_u32 v12, v6, 16, 3
	v_ffbh_u32_e32 v15, v12
	v_min_u32_e32 v15, 32, v15
	v_lshrrev_b32_e32 v13, 19, v6
	v_subrev_u32_e32 v16, 28, v15
	v_and_b32_e32 v13, 15, v13
	v_lshlrev_b32_sdwa v16, v16, v6 dst_sel:DWORD dst_unused:UNUSED_PAD src0_sel:DWORD src1_sel:WORD_1
	v_bfe_u32 v14, v6, 19, 4
	v_sub_u32_e32 v15, 29, v15
	v_and_b32_e32 v16, 7, v16
	v_cmp_eq_u16_e32 vcc, 0, v13
	v_cndmask_b32_e32 v12, v12, v16, vcc
	v_cndmask_b32_e32 v13, v14, v15, vcc
	v_lshlrev_b32_e32 v14, 8, v6
	v_mov_b32_e32 v15, 0x3b800000
	v_lshlrev_b32_e32 v12, 20, v12
	v_and_b32_e32 v14, 0x80000000, v14
	v_lshl_add_u32 v13, v13, 23, v15
	v_or3_b32 v12, v14, v13, v12
.LBB9_660:
	s_or_b64 exec, exec, s[6:7]
	s_movk_i32 s4, 0xff
	v_and_b32_sdwa v13, v2, s4 dst_sel:DWORD dst_unused:UNUSED_PAD src0_sel:WORD_1 src1_sel:DWORD
	s_movk_i32 s4, 0x7f
	v_cmp_lt_i16_e32 vcc, s4, v13
	s_mov_b64 s[4:5], 0
                                        ; implicit-def: $sgpr10
	s_and_saveexec_b64 s[6:7], vcc
	s_xor_b64 s[6:7], exec, s[6:7]
	s_cbranch_execnz .LBB9_2709
; %bb.661:
	s_or_saveexec_b64 s[6:7], s[6:7]
	v_mov_b32_e32 v14, s10
	s_xor_b64 exec, exec, s[6:7]
	s_cbranch_execnz .LBB9_2712
.LBB9_662:
	s_or_b64 exec, exec, s[6:7]
	s_and_saveexec_b64 s[6:7], s[4:5]
	s_cbranch_execz .LBB9_664
.LBB9_663:
	v_bfe_u32 v13, v2, 16, 3
	v_ffbh_u32_e32 v16, v13
	v_min_u32_e32 v16, 32, v16
	v_lshrrev_b32_e32 v14, 19, v2
	v_subrev_u32_e32 v17, 28, v16
	v_and_b32_e32 v14, 15, v14
	v_lshlrev_b32_sdwa v17, v17, v2 dst_sel:DWORD dst_unused:UNUSED_PAD src0_sel:DWORD src1_sel:WORD_1
	v_bfe_u32 v15, v2, 19, 4
	v_sub_u32_e32 v16, 29, v16
	v_and_b32_e32 v17, 7, v17
	v_cmp_eq_u16_e32 vcc, 0, v14
	v_cndmask_b32_e32 v13, v13, v17, vcc
	v_cndmask_b32_e32 v14, v15, v16, vcc
	v_lshlrev_b32_e32 v15, 8, v2
	v_mov_b32_e32 v16, 0x3b800000
	v_lshlrev_b32_e32 v13, 20, v13
	v_and_b32_e32 v15, 0x80000000, v15
	v_lshl_add_u32 v14, v14, 23, v16
	v_or3_b32 v14, v15, v14, v13
.LBB9_664:
	s_or_b64 exec, exec, s[6:7]
	s_nop 0
	v_mfma_f32_16x16x4f32 a[0:3], v12, v14, a[0:3]
	s_movk_i32 s4, 0x7f
	v_cmp_gt_i16_sdwa s[6:7], v6, s4 src0_sel:BYTE_3 src1_sel:DWORD
	s_mov_b64 s[4:5], 0
                                        ; implicit-def: $sgpr10
	s_and_saveexec_b64 s[8:9], s[6:7]
	s_xor_b64 s[6:7], exec, s[8:9]
	s_cbranch_execnz .LBB9_2713
; %bb.665:
	s_or_saveexec_b64 s[6:7], s[6:7]
	v_mov_b32_e32 v12, s10
	s_xor_b64 exec, exec, s[6:7]
	s_cbranch_execnz .LBB9_2716
.LBB9_666:
	s_or_b64 exec, exec, s[6:7]
	s_and_saveexec_b64 s[6:7], s[4:5]
	s_cbranch_execz .LBB9_668
.LBB9_667:
	v_bfe_u32 v12, v6, 24, 3
	v_ffbh_u32_e32 v16, v12
	v_min_u32_e32 v16, 32, v16
	v_lshrrev_b32_e32 v14, 27, v6
	v_subrev_u32_e32 v17, 28, v16
	v_and_b32_e32 v13, 0x80000000, v6
	v_and_b32_e32 v14, 15, v14
	v_bfe_u32 v15, v6, 27, 4
	v_lshlrev_b32_sdwa v6, v17, v6 dst_sel:DWORD dst_unused:UNUSED_PAD src0_sel:DWORD src1_sel:BYTE_3
	v_sub_u32_e32 v16, 29, v16
	v_and_b32_e32 v6, 7, v6
	v_cmp_eq_u16_e32 vcc, 0, v14
	v_cndmask_b32_e32 v6, v12, v6, vcc
	v_cndmask_b32_e32 v12, v15, v16, vcc
	v_mov_b32_e32 v14, 0x3b800000
	v_lshlrev_b32_e32 v6, 20, v6
	v_lshl_add_u32 v12, v12, 23, v14
	v_or3_b32 v12, v13, v12, v6
.LBB9_668:
	s_or_b64 exec, exec, s[6:7]
	s_movk_i32 s4, 0x7f
	v_cmp_gt_i16_sdwa s[6:7], v2, s4 src0_sel:BYTE_3 src1_sel:DWORD
	s_mov_b64 s[4:5], 0
                                        ; implicit-def: $sgpr10
	s_and_saveexec_b64 s[8:9], s[6:7]
	s_xor_b64 s[6:7], exec, s[8:9]
	s_cbranch_execnz .LBB9_2717
; %bb.669:
	s_or_saveexec_b64 s[6:7], s[6:7]
	v_mov_b32_e32 v6, s10
	s_xor_b64 exec, exec, s[6:7]
	s_cbranch_execnz .LBB9_2720
.LBB9_670:
	s_or_b64 exec, exec, s[6:7]
	s_and_saveexec_b64 s[6:7], s[4:5]
	s_cbranch_execz .LBB9_672
.LBB9_671:
	v_bfe_u32 v6, v2, 24, 3
	v_ffbh_u32_e32 v16, v6
	v_min_u32_e32 v16, 32, v16
	v_lshrrev_b32_e32 v14, 27, v2
	v_subrev_u32_e32 v17, 28, v16
	v_and_b32_e32 v13, 0x80000000, v2
	v_and_b32_e32 v14, 15, v14
	v_bfe_u32 v15, v2, 27, 4
	v_lshlrev_b32_sdwa v2, v17, v2 dst_sel:DWORD dst_unused:UNUSED_PAD src0_sel:DWORD src1_sel:BYTE_3
	v_sub_u32_e32 v16, 29, v16
	v_and_b32_e32 v2, 7, v2
	v_cmp_eq_u16_e32 vcc, 0, v14
	v_cndmask_b32_e32 v2, v6, v2, vcc
	v_cndmask_b32_e32 v6, v15, v16, vcc
	v_mov_b32_e32 v14, 0x3b800000
	v_lshlrev_b32_e32 v2, 20, v2
	v_lshl_add_u32 v6, v6, 23, v14
	v_or3_b32 v6, v13, v6, v2
.LBB9_672:
	s_or_b64 exec, exec, s[6:7]
	s_nop 0
	v_mfma_f32_16x16x4f32 a[0:3], v12, v6, a[0:3]
	s_movk_i32 s4, 0x7f
	v_cmp_gt_i16_sdwa s[6:7], v7, s4 src0_sel:BYTE_0 src1_sel:DWORD
	s_mov_b64 s[4:5], 0
                                        ; implicit-def: $sgpr10
	s_and_saveexec_b64 s[8:9], s[6:7]
	s_xor_b64 s[6:7], exec, s[8:9]
	s_cbranch_execnz .LBB9_2721
; %bb.673:
	s_or_saveexec_b64 s[6:7], s[6:7]
	v_mov_b32_e32 v2, s10
	s_xor_b64 exec, exec, s[6:7]
	s_cbranch_execnz .LBB9_2724
.LBB9_674:
	s_or_b64 exec, exec, s[6:7]
	s_and_saveexec_b64 s[6:7], s[4:5]
	s_cbranch_execz .LBB9_676
.LBB9_675:
	v_and_b32_e32 v2, 7, v7
	v_ffbh_u32_e32 v12, v2
	v_min_u32_e32 v12, 32, v12
	v_lshrrev_b16_e32 v6, 3, v7
	v_subrev_u32_e32 v13, 28, v12
	v_and_b32_e32 v6, 15, v6
	v_lshlrev_b32_e32 v13, v13, v7
	v_sub_u32_e32 v12, 29, v12
	v_and_b32_e32 v13, 7, v13
	v_cmp_eq_u16_e32 vcc, 0, v6
	v_cndmask_b32_e32 v2, v2, v13, vcc
	v_cndmask_b32_e32 v6, v6, v12, vcc
	v_lshlrev_b32_e32 v12, 24, v7
	v_mov_b32_e32 v13, 0x3b800000
	v_lshlrev_b32_e32 v2, 20, v2
	v_and_b32_e32 v12, 0x80000000, v12
	v_lshl_add_u32 v6, v6, 23, v13
	v_or3_b32 v2, v12, v6, v2
.LBB9_676:
	s_or_b64 exec, exec, s[6:7]
	s_movk_i32 s4, 0x7f
	v_cmp_gt_i16_sdwa s[6:7], v3, s4 src0_sel:BYTE_0 src1_sel:DWORD
	s_mov_b64 s[4:5], 0
                                        ; implicit-def: $sgpr10
	s_and_saveexec_b64 s[8:9], s[6:7]
	s_xor_b64 s[6:7], exec, s[8:9]
	s_cbranch_execnz .LBB9_2725
; %bb.677:
	s_or_saveexec_b64 s[6:7], s[6:7]
	v_mov_b32_e32 v6, s10
	s_xor_b64 exec, exec, s[6:7]
	s_cbranch_execnz .LBB9_2728
.LBB9_678:
	s_or_b64 exec, exec, s[6:7]
	s_and_saveexec_b64 s[6:7], s[4:5]
	s_cbranch_execz .LBB9_680
.LBB9_679:
	v_and_b32_e32 v6, 7, v3
	v_ffbh_u32_e32 v13, v6
	v_min_u32_e32 v13, 32, v13
	v_lshrrev_b16_e32 v12, 3, v3
	v_subrev_u32_e32 v14, 28, v13
	v_and_b32_e32 v12, 15, v12
	v_lshlrev_b32_e32 v14, v14, v3
	v_sub_u32_e32 v13, 29, v13
	v_and_b32_e32 v14, 7, v14
	v_cmp_eq_u16_e32 vcc, 0, v12
	v_cndmask_b32_e32 v6, v6, v14, vcc
	v_cndmask_b32_e32 v12, v12, v13, vcc
	v_lshlrev_b32_e32 v13, 24, v3
	v_mov_b32_e32 v14, 0x3b800000
	v_lshlrev_b32_e32 v6, 20, v6
	v_and_b32_e32 v13, 0x80000000, v13
	v_lshl_add_u32 v12, v12, 23, v14
	v_or3_b32 v6, v13, v12, v6
.LBB9_680:
	s_or_b64 exec, exec, s[6:7]
	s_nop 0
	v_mfma_f32_16x16x4f32 a[0:3], v2, v6, a[0:3]
	v_lshrrev_b32_e32 v6, 8, v7
	s_movk_i32 s4, 0x7f
	v_cmp_gt_i16_sdwa s[6:7], v6, s4 src0_sel:BYTE_0 src1_sel:DWORD
	s_mov_b64 s[4:5], 0
                                        ; implicit-def: $sgpr10
	s_and_saveexec_b64 s[8:9], s[6:7]
	s_xor_b64 s[6:7], exec, s[8:9]
	s_cbranch_execnz .LBB9_2729
; %bb.681:
	s_or_saveexec_b64 s[6:7], s[6:7]
	v_mov_b32_e32 v2, s10
	s_xor_b64 exec, exec, s[6:7]
	s_cbranch_execnz .LBB9_2732
.LBB9_682:
	s_or_b64 exec, exec, s[6:7]
	s_and_saveexec_b64 s[6:7], s[4:5]
	s_cbranch_execz .LBB9_684
.LBB9_683:
	v_bfe_u32 v2, v7, 8, 3
	v_ffbh_u32_e32 v13, v2
	v_min_u32_e32 v13, 32, v13
	v_lshrrev_b16_e32 v12, 3, v6
	v_subrev_u32_e32 v14, 28, v13
	v_and_b32_e32 v12, 15, v12
	v_lshlrev_b32_e32 v6, v14, v6
	v_sub_u32_e32 v13, 29, v13
	v_and_b32_e32 v6, 7, v6
	v_cmp_eq_u16_e32 vcc, 0, v12
	v_cndmask_b32_e32 v2, v2, v6, vcc
	v_cndmask_b32_e32 v6, v12, v13, vcc
	v_lshlrev_b32_e32 v12, 16, v7
	v_mov_b32_e32 v13, 0x3b800000
	v_lshlrev_b32_e32 v2, 20, v2
	v_and_b32_e32 v12, 0x80000000, v12
	v_lshl_add_u32 v6, v6, 23, v13
	v_or3_b32 v2, v12, v6, v2
.LBB9_684:
	s_or_b64 exec, exec, s[6:7]
	v_lshrrev_b32_e32 v6, 8, v3
	s_movk_i32 s4, 0x7f
	v_cmp_gt_i16_sdwa s[6:7], v6, s4 src0_sel:BYTE_0 src1_sel:DWORD
	s_mov_b64 s[4:5], 0
                                        ; implicit-def: $sgpr10
	s_and_saveexec_b64 s[8:9], s[6:7]
	s_xor_b64 s[6:7], exec, s[8:9]
	s_cbranch_execnz .LBB9_2733
; %bb.685:
	s_or_saveexec_b64 s[6:7], s[6:7]
	v_mov_b32_e32 v12, s10
	s_xor_b64 exec, exec, s[6:7]
	s_cbranch_execnz .LBB9_2736
.LBB9_686:
	s_or_b64 exec, exec, s[6:7]
	s_and_saveexec_b64 s[6:7], s[4:5]
	s_cbranch_execz .LBB9_688
.LBB9_687:
	v_bfe_u32 v12, v3, 8, 3
	v_ffbh_u32_e32 v14, v12
	v_min_u32_e32 v14, 32, v14
	v_lshrrev_b16_e32 v13, 3, v6
	v_subrev_u32_e32 v15, 28, v14
	v_and_b32_e32 v13, 15, v13
	v_lshlrev_b32_e32 v6, v15, v6
	v_sub_u32_e32 v14, 29, v14
	v_and_b32_e32 v6, 7, v6
	v_cmp_eq_u16_e32 vcc, 0, v13
	v_cndmask_b32_e32 v6, v12, v6, vcc
	v_cndmask_b32_e32 v12, v13, v14, vcc
	v_lshlrev_b32_e32 v13, 16, v3
	v_mov_b32_e32 v14, 0x3b800000
	v_lshlrev_b32_e32 v6, 20, v6
	v_and_b32_e32 v13, 0x80000000, v13
	v_lshl_add_u32 v12, v12, 23, v14
	v_or3_b32 v12, v13, v12, v6
.LBB9_688:
	s_or_b64 exec, exec, s[6:7]
	s_nop 0
	v_mfma_f32_16x16x4f32 a[0:3], v2, v12, a[0:3]
	s_movk_i32 s4, 0xff
	v_and_b32_sdwa v6, v7, s4 dst_sel:DWORD dst_unused:UNUSED_PAD src0_sel:WORD_1 src1_sel:DWORD
	s_movk_i32 s4, 0x7f
	v_cmp_lt_i16_e32 vcc, s4, v6
	s_mov_b64 s[4:5], 0
                                        ; implicit-def: $sgpr10
	s_and_saveexec_b64 s[6:7], vcc
	s_xor_b64 s[6:7], exec, s[6:7]
	s_cbranch_execnz .LBB9_2737
; %bb.689:
	s_or_saveexec_b64 s[6:7], s[6:7]
	v_mov_b32_e32 v2, s10
	s_xor_b64 exec, exec, s[6:7]
	s_cbranch_execnz .LBB9_2740
.LBB9_690:
	s_or_b64 exec, exec, s[6:7]
	s_and_saveexec_b64 s[6:7], s[4:5]
	s_cbranch_execz .LBB9_692
.LBB9_691:
	v_bfe_u32 v2, v7, 16, 3
	v_ffbh_u32_e32 v13, v2
	v_min_u32_e32 v13, 32, v13
	v_lshrrev_b32_e32 v6, 19, v7
	v_subrev_u32_e32 v14, 28, v13
	v_and_b32_e32 v6, 15, v6
	v_lshlrev_b32_sdwa v14, v14, v7 dst_sel:DWORD dst_unused:UNUSED_PAD src0_sel:DWORD src1_sel:WORD_1
	v_bfe_u32 v12, v7, 19, 4
	v_sub_u32_e32 v13, 29, v13
	v_and_b32_e32 v14, 7, v14
	v_cmp_eq_u16_e32 vcc, 0, v6
	v_cndmask_b32_e32 v2, v2, v14, vcc
	v_cndmask_b32_e32 v6, v12, v13, vcc
	v_lshlrev_b32_e32 v12, 8, v7
	v_mov_b32_e32 v13, 0x3b800000
	v_lshlrev_b32_e32 v2, 20, v2
	v_and_b32_e32 v12, 0x80000000, v12
	v_lshl_add_u32 v6, v6, 23, v13
	v_or3_b32 v2, v12, v6, v2
.LBB9_692:
	s_or_b64 exec, exec, s[6:7]
	s_movk_i32 s4, 0xff
	v_and_b32_sdwa v6, v3, s4 dst_sel:DWORD dst_unused:UNUSED_PAD src0_sel:WORD_1 src1_sel:DWORD
	s_movk_i32 s4, 0x7f
	v_cmp_lt_i16_e32 vcc, s4, v6
	s_mov_b64 s[4:5], 0
                                        ; implicit-def: $sgpr10
	s_and_saveexec_b64 s[6:7], vcc
	s_xor_b64 s[6:7], exec, s[6:7]
	s_cbranch_execnz .LBB9_2741
; %bb.693:
	s_or_saveexec_b64 s[6:7], s[6:7]
	v_mov_b32_e32 v12, s10
	s_xor_b64 exec, exec, s[6:7]
	s_cbranch_execnz .LBB9_2744
.LBB9_694:
	s_or_b64 exec, exec, s[6:7]
	s_and_saveexec_b64 s[6:7], s[4:5]
	s_cbranch_execz .LBB9_696
.LBB9_695:
	v_bfe_u32 v6, v3, 16, 3
	v_ffbh_u32_e32 v14, v6
	v_min_u32_e32 v14, 32, v14
	v_lshrrev_b32_e32 v12, 19, v3
	v_subrev_u32_e32 v15, 28, v14
	v_and_b32_e32 v12, 15, v12
	v_lshlrev_b32_sdwa v15, v15, v3 dst_sel:DWORD dst_unused:UNUSED_PAD src0_sel:DWORD src1_sel:WORD_1
	v_bfe_u32 v13, v3, 19, 4
	v_sub_u32_e32 v14, 29, v14
	v_and_b32_e32 v15, 7, v15
	v_cmp_eq_u16_e32 vcc, 0, v12
	v_cndmask_b32_e32 v6, v6, v15, vcc
	v_cndmask_b32_e32 v12, v13, v14, vcc
	v_lshlrev_b32_e32 v13, 8, v3
	v_mov_b32_e32 v14, 0x3b800000
	v_lshlrev_b32_e32 v6, 20, v6
	v_and_b32_e32 v13, 0x80000000, v13
	v_lshl_add_u32 v12, v12, 23, v14
	v_or3_b32 v12, v13, v12, v6
.LBB9_696:
	s_or_b64 exec, exec, s[6:7]
	s_nop 0
	v_mfma_f32_16x16x4f32 a[0:3], v2, v12, a[0:3]
	s_movk_i32 s4, 0x7f
	v_cmp_gt_i16_sdwa s[6:7], v7, s4 src0_sel:BYTE_3 src1_sel:DWORD
	s_mov_b64 s[4:5], 0
                                        ; implicit-def: $sgpr10
	s_and_saveexec_b64 s[8:9], s[6:7]
	s_xor_b64 s[6:7], exec, s[8:9]
	s_cbranch_execnz .LBB9_2745
; %bb.697:
	s_or_saveexec_b64 s[6:7], s[6:7]
	v_mov_b32_e32 v2, s10
	s_xor_b64 exec, exec, s[6:7]
	s_cbranch_execnz .LBB9_2748
.LBB9_698:
	s_or_b64 exec, exec, s[6:7]
	s_and_saveexec_b64 s[6:7], s[4:5]
	s_cbranch_execz .LBB9_700
.LBB9_699:
	v_bfe_u32 v2, v7, 24, 3
	v_ffbh_u32_e32 v14, v2
	v_min_u32_e32 v14, 32, v14
	v_lshrrev_b32_e32 v12, 27, v7
	v_subrev_u32_e32 v15, 28, v14
	v_and_b32_e32 v6, 0x80000000, v7
	v_and_b32_e32 v12, 15, v12
	v_bfe_u32 v13, v7, 27, 4
	v_lshlrev_b32_sdwa v7, v15, v7 dst_sel:DWORD dst_unused:UNUSED_PAD src0_sel:DWORD src1_sel:BYTE_3
	v_sub_u32_e32 v14, 29, v14
	v_and_b32_e32 v7, 7, v7
	v_cmp_eq_u16_e32 vcc, 0, v12
	v_cndmask_b32_e32 v2, v2, v7, vcc
	v_cndmask_b32_e32 v7, v13, v14, vcc
	v_mov_b32_e32 v12, 0x3b800000
	v_lshlrev_b32_e32 v2, 20, v2
	v_lshl_add_u32 v7, v7, 23, v12
	v_or3_b32 v2, v6, v7, v2
.LBB9_700:
	s_or_b64 exec, exec, s[6:7]
	s_movk_i32 s4, 0x7f
	v_cmp_gt_i16_sdwa s[6:7], v3, s4 src0_sel:BYTE_3 src1_sel:DWORD
	s_mov_b64 s[4:5], 0
                                        ; implicit-def: $sgpr10
	s_and_saveexec_b64 s[8:9], s[6:7]
	s_xor_b64 s[6:7], exec, s[8:9]
	s_cbranch_execnz .LBB9_2749
; %bb.701:
	s_or_saveexec_b64 s[6:7], s[6:7]
	v_mov_b32_e32 v6, s10
	s_xor_b64 exec, exec, s[6:7]
	s_cbranch_execnz .LBB9_2752
.LBB9_702:
	s_or_b64 exec, exec, s[6:7]
	s_and_saveexec_b64 s[6:7], s[4:5]
	s_cbranch_execz .LBB9_704
.LBB9_703:
	v_bfe_u32 v6, v3, 24, 3
	v_ffbh_u32_e32 v14, v6
	v_min_u32_e32 v14, 32, v14
	v_lshrrev_b32_e32 v12, 27, v3
	v_subrev_u32_e32 v15, 28, v14
	v_and_b32_e32 v7, 0x80000000, v3
	v_and_b32_e32 v12, 15, v12
	v_bfe_u32 v13, v3, 27, 4
	v_lshlrev_b32_sdwa v3, v15, v3 dst_sel:DWORD dst_unused:UNUSED_PAD src0_sel:DWORD src1_sel:BYTE_3
	v_sub_u32_e32 v14, 29, v14
	v_and_b32_e32 v3, 7, v3
	v_cmp_eq_u16_e32 vcc, 0, v12
	v_cndmask_b32_e32 v3, v6, v3, vcc
	v_cndmask_b32_e32 v6, v13, v14, vcc
	v_mov_b32_e32 v12, 0x3b800000
	v_lshlrev_b32_e32 v3, 20, v3
	v_lshl_add_u32 v6, v6, 23, v12
	v_or3_b32 v6, v7, v6, v3
.LBB9_704:
	s_or_b64 exec, exec, s[6:7]
	s_nop 0
	v_mfma_f32_16x16x4f32 a[0:3], v2, v6, a[0:3]
	s_movk_i32 s4, 0x7f
	v_cmp_gt_i16_sdwa s[6:7], v8, s4 src0_sel:BYTE_0 src1_sel:DWORD
	s_mov_b64 s[4:5], 0
                                        ; implicit-def: $sgpr10
	s_and_saveexec_b64 s[8:9], s[6:7]
	s_xor_b64 s[6:7], exec, s[8:9]
	s_cbranch_execnz .LBB9_2753
; %bb.705:
	s_or_saveexec_b64 s[6:7], s[6:7]
	v_mov_b32_e32 v2, s10
	s_xor_b64 exec, exec, s[6:7]
	s_cbranch_execnz .LBB9_2756
.LBB9_706:
	s_or_b64 exec, exec, s[6:7]
	s_and_saveexec_b64 s[6:7], s[4:5]
	s_cbranch_execz .LBB9_708
.LBB9_707:
	v_and_b32_e32 v2, 7, v8
	v_ffbh_u32_e32 v6, v2
	v_min_u32_e32 v6, 32, v6
	v_lshrrev_b16_e32 v3, 3, v8
	v_subrev_u32_e32 v7, 28, v6
	v_and_b32_e32 v3, 15, v3
	v_lshlrev_b32_e32 v7, v7, v8
	v_sub_u32_e32 v6, 29, v6
	v_and_b32_e32 v7, 7, v7
	v_cmp_eq_u16_e32 vcc, 0, v3
	v_cndmask_b32_e32 v2, v2, v7, vcc
	v_cndmask_b32_e32 v3, v3, v6, vcc
	v_lshlrev_b32_e32 v6, 24, v8
	v_mov_b32_e32 v7, 0x3b800000
	v_lshlrev_b32_e32 v2, 20, v2
	v_and_b32_e32 v6, 0x80000000, v6
	v_lshl_add_u32 v3, v3, 23, v7
	v_or3_b32 v2, v6, v3, v2
.LBB9_708:
	s_or_b64 exec, exec, s[6:7]
	s_movk_i32 s4, 0x7f
	v_cmp_gt_i16_sdwa s[6:7], v4, s4 src0_sel:BYTE_0 src1_sel:DWORD
	s_mov_b64 s[4:5], 0
                                        ; implicit-def: $sgpr10
	s_and_saveexec_b64 s[8:9], s[6:7]
	s_xor_b64 s[6:7], exec, s[8:9]
	s_cbranch_execnz .LBB9_2757
; %bb.709:
	s_or_saveexec_b64 s[6:7], s[6:7]
	v_mov_b32_e32 v3, s10
	s_xor_b64 exec, exec, s[6:7]
	s_cbranch_execnz .LBB9_2760
.LBB9_710:
	s_or_b64 exec, exec, s[6:7]
	s_and_saveexec_b64 s[6:7], s[4:5]
	s_cbranch_execz .LBB9_712
.LBB9_711:
	v_and_b32_e32 v3, 7, v4
	v_ffbh_u32_e32 v7, v3
	v_min_u32_e32 v7, 32, v7
	v_lshrrev_b16_e32 v6, 3, v4
	v_subrev_u32_e32 v12, 28, v7
	v_and_b32_e32 v6, 15, v6
	v_lshlrev_b32_e32 v12, v12, v4
	v_sub_u32_e32 v7, 29, v7
	v_and_b32_e32 v12, 7, v12
	v_cmp_eq_u16_e32 vcc, 0, v6
	v_cndmask_b32_e32 v3, v3, v12, vcc
	v_cndmask_b32_e32 v6, v6, v7, vcc
	v_lshlrev_b32_e32 v7, 24, v4
	v_mov_b32_e32 v12, 0x3b800000
	v_lshlrev_b32_e32 v3, 20, v3
	v_and_b32_e32 v7, 0x80000000, v7
	v_lshl_add_u32 v6, v6, 23, v12
	v_or3_b32 v3, v7, v6, v3
.LBB9_712:
	s_or_b64 exec, exec, s[6:7]
	s_nop 0
	v_mfma_f32_16x16x4f32 a[0:3], v2, v3, a[0:3]
	v_lshrrev_b32_e32 v3, 8, v8
	s_movk_i32 s4, 0x7f
	v_cmp_gt_i16_sdwa s[6:7], v3, s4 src0_sel:BYTE_0 src1_sel:DWORD
	s_mov_b64 s[4:5], 0
                                        ; implicit-def: $sgpr10
	s_and_saveexec_b64 s[8:9], s[6:7]
	s_xor_b64 s[6:7], exec, s[8:9]
	s_cbranch_execnz .LBB9_2761
; %bb.713:
	s_or_saveexec_b64 s[6:7], s[6:7]
	v_mov_b32_e32 v2, s10
	s_xor_b64 exec, exec, s[6:7]
	s_cbranch_execnz .LBB9_2764
.LBB9_714:
	s_or_b64 exec, exec, s[6:7]
	s_and_saveexec_b64 s[6:7], s[4:5]
	s_cbranch_execz .LBB9_716
.LBB9_715:
	v_bfe_u32 v2, v8, 8, 3
	v_ffbh_u32_e32 v7, v2
	v_min_u32_e32 v7, 32, v7
	v_lshrrev_b16_e32 v6, 3, v3
	v_subrev_u32_e32 v12, 28, v7
	v_and_b32_e32 v6, 15, v6
	v_lshlrev_b32_e32 v3, v12, v3
	v_sub_u32_e32 v7, 29, v7
	v_and_b32_e32 v3, 7, v3
	v_cmp_eq_u16_e32 vcc, 0, v6
	v_cndmask_b32_e32 v2, v2, v3, vcc
	v_cndmask_b32_e32 v3, v6, v7, vcc
	v_lshlrev_b32_e32 v6, 16, v8
	v_mov_b32_e32 v7, 0x3b800000
	v_lshlrev_b32_e32 v2, 20, v2
	v_and_b32_e32 v6, 0x80000000, v6
	v_lshl_add_u32 v3, v3, 23, v7
	v_or3_b32 v2, v6, v3, v2
.LBB9_716:
	s_or_b64 exec, exec, s[6:7]
	v_lshrrev_b32_e32 v3, 8, v4
	s_movk_i32 s4, 0x7f
	v_cmp_gt_i16_sdwa s[6:7], v3, s4 src0_sel:BYTE_0 src1_sel:DWORD
	s_mov_b64 s[4:5], 0
                                        ; implicit-def: $sgpr10
	s_and_saveexec_b64 s[8:9], s[6:7]
	s_xor_b64 s[6:7], exec, s[8:9]
	s_cbranch_execnz .LBB9_2765
; %bb.717:
	s_or_saveexec_b64 s[6:7], s[6:7]
	v_mov_b32_e32 v6, s10
	s_xor_b64 exec, exec, s[6:7]
	s_cbranch_execnz .LBB9_2768
.LBB9_718:
	s_or_b64 exec, exec, s[6:7]
	s_and_saveexec_b64 s[6:7], s[4:5]
	s_cbranch_execz .LBB9_720
.LBB9_719:
	v_bfe_u32 v6, v4, 8, 3
	v_ffbh_u32_e32 v12, v6
	v_min_u32_e32 v12, 32, v12
	v_lshrrev_b16_e32 v7, 3, v3
	v_subrev_u32_e32 v13, 28, v12
	v_and_b32_e32 v7, 15, v7
	v_lshlrev_b32_e32 v3, v13, v3
	v_sub_u32_e32 v12, 29, v12
	v_and_b32_e32 v3, 7, v3
	v_cmp_eq_u16_e32 vcc, 0, v7
	v_cndmask_b32_e32 v3, v6, v3, vcc
	v_cndmask_b32_e32 v6, v7, v12, vcc
	v_lshlrev_b32_e32 v7, 16, v4
	v_mov_b32_e32 v12, 0x3b800000
	v_lshlrev_b32_e32 v3, 20, v3
	v_and_b32_e32 v7, 0x80000000, v7
	v_lshl_add_u32 v6, v6, 23, v12
	v_or3_b32 v6, v7, v6, v3
.LBB9_720:
	s_or_b64 exec, exec, s[6:7]
	s_nop 0
	v_mfma_f32_16x16x4f32 a[0:3], v2, v6, a[0:3]
	s_movk_i32 s4, 0xff
	v_and_b32_sdwa v3, v8, s4 dst_sel:DWORD dst_unused:UNUSED_PAD src0_sel:WORD_1 src1_sel:DWORD
	s_movk_i32 s4, 0x7f
	v_cmp_lt_i16_e32 vcc, s4, v3
	s_mov_b64 s[4:5], 0
                                        ; implicit-def: $sgpr10
	s_and_saveexec_b64 s[6:7], vcc
	s_xor_b64 s[6:7], exec, s[6:7]
	s_cbranch_execnz .LBB9_2769
; %bb.721:
	s_or_saveexec_b64 s[6:7], s[6:7]
	v_mov_b32_e32 v2, s10
	s_xor_b64 exec, exec, s[6:7]
	s_cbranch_execnz .LBB9_2772
.LBB9_722:
	s_or_b64 exec, exec, s[6:7]
	s_and_saveexec_b64 s[6:7], s[4:5]
	s_cbranch_execz .LBB9_724
.LBB9_723:
	v_bfe_u32 v2, v8, 16, 3
	v_ffbh_u32_e32 v7, v2
	v_min_u32_e32 v7, 32, v7
	v_lshrrev_b32_e32 v3, 19, v8
	v_subrev_u32_e32 v12, 28, v7
	v_and_b32_e32 v3, 15, v3
	v_lshlrev_b32_sdwa v12, v12, v8 dst_sel:DWORD dst_unused:UNUSED_PAD src0_sel:DWORD src1_sel:WORD_1
	v_bfe_u32 v6, v8, 19, 4
	v_sub_u32_e32 v7, 29, v7
	v_and_b32_e32 v12, 7, v12
	v_cmp_eq_u16_e32 vcc, 0, v3
	v_cndmask_b32_e32 v2, v2, v12, vcc
	v_cndmask_b32_e32 v3, v6, v7, vcc
	v_lshlrev_b32_e32 v6, 8, v8
	v_mov_b32_e32 v7, 0x3b800000
	v_lshlrev_b32_e32 v2, 20, v2
	v_and_b32_e32 v6, 0x80000000, v6
	v_lshl_add_u32 v3, v3, 23, v7
	v_or3_b32 v2, v6, v3, v2
.LBB9_724:
	s_or_b64 exec, exec, s[6:7]
	s_movk_i32 s4, 0xff
	v_and_b32_sdwa v3, v4, s4 dst_sel:DWORD dst_unused:UNUSED_PAD src0_sel:WORD_1 src1_sel:DWORD
	s_movk_i32 s4, 0x7f
	v_cmp_lt_i16_e32 vcc, s4, v3
	s_mov_b64 s[4:5], 0
                                        ; implicit-def: $sgpr10
	s_and_saveexec_b64 s[6:7], vcc
	s_xor_b64 s[6:7], exec, s[6:7]
	s_cbranch_execnz .LBB9_2773
; %bb.725:
	s_or_saveexec_b64 s[6:7], s[6:7]
	v_mov_b32_e32 v6, s10
	s_xor_b64 exec, exec, s[6:7]
	s_cbranch_execnz .LBB9_2776
.LBB9_726:
	s_or_b64 exec, exec, s[6:7]
	s_and_saveexec_b64 s[6:7], s[4:5]
	s_cbranch_execz .LBB9_728
.LBB9_727:
	v_bfe_u32 v3, v4, 16, 3
	v_ffbh_u32_e32 v12, v3
	v_min_u32_e32 v12, 32, v12
	v_lshrrev_b32_e32 v6, 19, v4
	v_subrev_u32_e32 v13, 28, v12
	v_and_b32_e32 v6, 15, v6
	v_lshlrev_b32_sdwa v13, v13, v4 dst_sel:DWORD dst_unused:UNUSED_PAD src0_sel:DWORD src1_sel:WORD_1
	v_bfe_u32 v7, v4, 19, 4
	v_sub_u32_e32 v12, 29, v12
	v_and_b32_e32 v13, 7, v13
	v_cmp_eq_u16_e32 vcc, 0, v6
	v_cndmask_b32_e32 v3, v3, v13, vcc
	v_cndmask_b32_e32 v6, v7, v12, vcc
	v_lshlrev_b32_e32 v7, 8, v4
	v_mov_b32_e32 v12, 0x3b800000
	v_lshlrev_b32_e32 v3, 20, v3
	v_and_b32_e32 v7, 0x80000000, v7
	v_lshl_add_u32 v6, v6, 23, v12
	v_or3_b32 v6, v7, v6, v3
.LBB9_728:
	s_or_b64 exec, exec, s[6:7]
	s_nop 0
	v_mfma_f32_16x16x4f32 a[0:3], v2, v6, a[0:3]
	s_movk_i32 s4, 0x7f
	v_cmp_gt_i16_sdwa s[6:7], v8, s4 src0_sel:BYTE_3 src1_sel:DWORD
	s_mov_b64 s[4:5], 0
                                        ; implicit-def: $sgpr10
	s_and_saveexec_b64 s[8:9], s[6:7]
	s_xor_b64 s[6:7], exec, s[8:9]
	s_cbranch_execnz .LBB9_2777
; %bb.729:
	s_or_saveexec_b64 s[6:7], s[6:7]
	v_mov_b32_e32 v2, s10
	s_xor_b64 exec, exec, s[6:7]
	s_cbranch_execnz .LBB9_2780
.LBB9_730:
	s_or_b64 exec, exec, s[6:7]
	s_and_saveexec_b64 s[6:7], s[4:5]
	s_cbranch_execz .LBB9_732
.LBB9_731:
	v_bfe_u32 v2, v8, 24, 3
	v_ffbh_u32_e32 v12, v2
	v_min_u32_e32 v12, 32, v12
	v_lshrrev_b32_e32 v6, 27, v8
	v_subrev_u32_e32 v13, 28, v12
	v_and_b32_e32 v3, 0x80000000, v8
	v_and_b32_e32 v6, 15, v6
	v_bfe_u32 v7, v8, 27, 4
	v_lshlrev_b32_sdwa v8, v13, v8 dst_sel:DWORD dst_unused:UNUSED_PAD src0_sel:DWORD src1_sel:BYTE_3
	v_sub_u32_e32 v12, 29, v12
	v_and_b32_e32 v8, 7, v8
	v_cmp_eq_u16_e32 vcc, 0, v6
	v_cndmask_b32_e32 v2, v2, v8, vcc
	v_cndmask_b32_e32 v6, v7, v12, vcc
	v_mov_b32_e32 v7, 0x3b800000
	v_lshlrev_b32_e32 v2, 20, v2
	v_lshl_add_u32 v6, v6, 23, v7
	v_or3_b32 v2, v3, v6, v2
.LBB9_732:
	s_or_b64 exec, exec, s[6:7]
	s_movk_i32 s4, 0x7f
	v_cmp_gt_i16_sdwa s[6:7], v4, s4 src0_sel:BYTE_3 src1_sel:DWORD
	s_mov_b64 s[4:5], 0
                                        ; implicit-def: $sgpr10
	s_and_saveexec_b64 s[8:9], s[6:7]
	s_xor_b64 s[6:7], exec, s[8:9]
	s_cbranch_execnz .LBB9_2781
; %bb.733:
	s_or_saveexec_b64 s[6:7], s[6:7]
	v_mov_b32_e32 v3, s10
	s_xor_b64 exec, exec, s[6:7]
	s_cbranch_execnz .LBB9_2784
.LBB9_734:
	s_or_b64 exec, exec, s[6:7]
	s_and_saveexec_b64 s[6:7], s[4:5]
	s_cbranch_execz .LBB9_736
.LBB9_735:
	v_bfe_u32 v3, v4, 24, 3
	v_ffbh_u32_e32 v12, v3
	v_min_u32_e32 v12, 32, v12
	v_lshrrev_b32_e32 v7, 27, v4
	v_subrev_u32_e32 v13, 28, v12
	v_and_b32_e32 v6, 0x80000000, v4
	v_and_b32_e32 v7, 15, v7
	v_bfe_u32 v8, v4, 27, 4
	v_lshlrev_b32_sdwa v4, v13, v4 dst_sel:DWORD dst_unused:UNUSED_PAD src0_sel:DWORD src1_sel:BYTE_3
	v_sub_u32_e32 v12, 29, v12
	v_and_b32_e32 v4, 7, v4
	v_cmp_eq_u16_e32 vcc, 0, v7
	v_cndmask_b32_e32 v3, v3, v4, vcc
	v_cndmask_b32_e32 v4, v8, v12, vcc
	v_mov_b32_e32 v7, 0x3b800000
	v_lshlrev_b32_e32 v3, 20, v3
	v_lshl_add_u32 v4, v4, 23, v7
	v_or3_b32 v3, v6, v4, v3
.LBB9_736:
	s_or_b64 exec, exec, s[6:7]
	s_nop 0
	v_mfma_f32_16x16x4f32 a[0:3], v2, v3, a[0:3]
	s_movk_i32 s4, 0x7f
	v_cmp_gt_i16_sdwa s[6:7], v9, s4 src0_sel:BYTE_0 src1_sel:DWORD
	s_mov_b64 s[4:5], 0
                                        ; implicit-def: $sgpr10
	s_and_saveexec_b64 s[8:9], s[6:7]
	s_xor_b64 s[6:7], exec, s[8:9]
	s_cbranch_execnz .LBB9_2785
; %bb.737:
	s_or_saveexec_b64 s[6:7], s[6:7]
	v_mov_b32_e32 v2, s10
	s_xor_b64 exec, exec, s[6:7]
	s_cbranch_execnz .LBB9_2788
.LBB9_738:
	s_or_b64 exec, exec, s[6:7]
	s_and_saveexec_b64 s[6:7], s[4:5]
	s_cbranch_execz .LBB9_740
.LBB9_739:
	v_mov_b32_e32 v2, 8
	v_and_b32_e32 v3, 7, v9
	v_lshrrev_b32_sdwa v2, v2, v9 dst_sel:BYTE_1 dst_unused:UNUSED_PAD src0_sel:DWORD src1_sel:DWORD
	v_ffbh_u32_e32 v4, v3
	v_or_b32_sdwa v2, v9, v2 dst_sel:DWORD dst_unused:UNUSED_PAD src0_sel:BYTE_0 src1_sel:DWORD
	v_min_u32_e32 v4, 32, v4
	v_lshrrev_b16_e32 v2, 3, v2
	v_subrev_u32_e32 v6, 28, v4
	v_and_b32_e32 v2, 15, v2
	v_lshlrev_b32_e32 v6, v6, v9
	v_sub_u32_e32 v4, 29, v4
	v_and_b32_e32 v6, 7, v6
	v_cmp_eq_u16_e32 vcc, 0, v2
	v_cndmask_b32_e32 v3, v3, v6, vcc
	v_cndmask_b32_e32 v2, v2, v4, vcc
	v_lshlrev_b32_e32 v4, 24, v9
	v_mov_b32_e32 v6, 0x3b800000
	v_lshlrev_b32_e32 v3, 20, v3
	v_and_b32_e32 v4, 0x80000000, v4
	v_lshl_add_u32 v2, v2, 23, v6
	v_or3_b32 v2, v4, v2, v3
.LBB9_740:
	s_or_b64 exec, exec, s[6:7]
	s_movk_i32 s4, 0x7f
	v_cmp_gt_i16_sdwa s[6:7], v5, s4 src0_sel:BYTE_0 src1_sel:DWORD
	s_mov_b64 s[4:5], 0
                                        ; implicit-def: $sgpr10
	s_and_saveexec_b64 s[8:9], s[6:7]
	s_xor_b64 s[6:7], exec, s[8:9]
	s_cbranch_execnz .LBB9_2789
; %bb.741:
	s_or_saveexec_b64 s[6:7], s[6:7]
	v_mov_b32_e32 v3, s10
	s_xor_b64 exec, exec, s[6:7]
	s_cbranch_execnz .LBB9_2792
.LBB9_742:
	s_or_b64 exec, exec, s[6:7]
	s_and_saveexec_b64 s[6:7], s[4:5]
	s_cbranch_execz .LBB9_744
.LBB9_743:
	v_mov_b32_e32 v3, 8
	v_and_b32_e32 v4, 7, v5
	v_lshrrev_b32_sdwa v3, v3, v5 dst_sel:BYTE_1 dst_unused:UNUSED_PAD src0_sel:DWORD src1_sel:DWORD
	v_ffbh_u32_e32 v6, v4
	v_or_b32_sdwa v3, v5, v3 dst_sel:DWORD dst_unused:UNUSED_PAD src0_sel:BYTE_0 src1_sel:DWORD
	v_min_u32_e32 v6, 32, v6
	v_lshrrev_b16_e32 v3, 3, v3
	v_subrev_u32_e32 v7, 28, v6
	v_and_b32_e32 v3, 15, v3
	v_lshlrev_b32_e32 v7, v7, v5
	v_sub_u32_e32 v6, 29, v6
	v_and_b32_e32 v7, 7, v7
	v_cmp_eq_u16_e32 vcc, 0, v3
	v_cndmask_b32_e32 v4, v4, v7, vcc
	v_cndmask_b32_e32 v3, v3, v6, vcc
	v_lshlrev_b32_e32 v6, 24, v5
	v_mov_b32_e32 v7, 0x3b800000
	v_lshlrev_b32_e32 v4, 20, v4
	v_and_b32_e32 v6, 0x80000000, v6
	v_lshl_add_u32 v3, v3, 23, v7
	v_or3_b32 v3, v6, v3, v4
.LBB9_744:
	s_or_b64 exec, exec, s[6:7]
	s_nop 0
	v_mfma_f32_16x16x4f32 a[0:3], v2, v3, a[0:3]
	v_lshrrev_b32_e32 v3, 8, v9
	s_movk_i32 s4, 0x7f
	v_cmp_gt_i16_sdwa s[6:7], v3, s4 src0_sel:BYTE_0 src1_sel:DWORD
	s_mov_b64 s[4:5], 0
                                        ; implicit-def: $sgpr10
	s_and_saveexec_b64 s[8:9], s[6:7]
	s_xor_b64 s[6:7], exec, s[8:9]
	s_cbranch_execnz .LBB9_2793
; %bb.745:
	s_or_saveexec_b64 s[6:7], s[6:7]
	v_mov_b32_e32 v2, s10
	s_xor_b64 exec, exec, s[6:7]
	s_cbranch_execnz .LBB9_2796
.LBB9_746:
	s_or_b64 exec, exec, s[6:7]
	s_and_saveexec_b64 s[6:7], s[4:5]
	s_cbranch_execz .LBB9_748
.LBB9_747:
	v_bfe_u32 v2, v9, 8, 3
	v_ffbh_u32_e32 v6, v2
	v_min_u32_e32 v6, 32, v6
	v_lshrrev_b16_e32 v4, 3, v3
	v_subrev_u32_e32 v7, 28, v6
	v_and_b32_e32 v4, 15, v4
	v_lshlrev_b32_e32 v3, v7, v3
	v_sub_u32_e32 v6, 29, v6
	v_and_b32_e32 v3, 7, v3
	v_cmp_eq_u16_e32 vcc, 0, v4
	v_cndmask_b32_e32 v2, v2, v3, vcc
	v_cndmask_b32_e32 v3, v4, v6, vcc
	v_lshlrev_b32_e32 v4, 16, v9
	v_mov_b32_e32 v6, 0x3b800000
	v_lshlrev_b32_e32 v2, 20, v2
	v_and_b32_e32 v4, 0x80000000, v4
	v_lshl_add_u32 v3, v3, 23, v6
	v_or3_b32 v2, v4, v3, v2
.LBB9_748:
	s_or_b64 exec, exec, s[6:7]
	v_lshrrev_b32_e32 v3, 8, v5
	s_movk_i32 s4, 0x7f
	v_cmp_gt_i16_sdwa s[6:7], v3, s4 src0_sel:BYTE_0 src1_sel:DWORD
	s_mov_b64 s[4:5], 0
                                        ; implicit-def: $sgpr10
	s_and_saveexec_b64 s[8:9], s[6:7]
	s_xor_b64 s[6:7], exec, s[8:9]
	s_cbranch_execnz .LBB9_2797
; %bb.749:
	s_or_saveexec_b64 s[6:7], s[6:7]
	v_mov_b32_e32 v4, s10
	s_xor_b64 exec, exec, s[6:7]
	s_cbranch_execnz .LBB9_2800
.LBB9_750:
	s_or_b64 exec, exec, s[6:7]
	s_and_saveexec_b64 s[6:7], s[4:5]
	s_cbranch_execz .LBB9_752
.LBB9_751:
	v_bfe_u32 v4, v5, 8, 3
	v_ffbh_u32_e32 v7, v4
	v_min_u32_e32 v7, 32, v7
	v_lshrrev_b16_e32 v6, 3, v3
	v_subrev_u32_e32 v8, 28, v7
	v_and_b32_e32 v6, 15, v6
	v_lshlrev_b32_e32 v3, v8, v3
	v_sub_u32_e32 v7, 29, v7
	v_and_b32_e32 v3, 7, v3
	v_cmp_eq_u16_e32 vcc, 0, v6
	v_cndmask_b32_e32 v3, v4, v3, vcc
	v_cndmask_b32_e32 v4, v6, v7, vcc
	v_lshlrev_b32_e32 v6, 16, v5
	v_mov_b32_e32 v7, 0x3b800000
	v_lshlrev_b32_e32 v3, 20, v3
	v_and_b32_e32 v6, 0x80000000, v6
	v_lshl_add_u32 v4, v4, 23, v7
	v_or3_b32 v4, v6, v4, v3
.LBB9_752:
	s_or_b64 exec, exec, s[6:7]
	s_nop 0
	v_mfma_f32_16x16x4f32 a[0:3], v2, v4, a[0:3]
	s_movk_i32 s4, 0xff
	v_and_b32_sdwa v3, v9, s4 dst_sel:DWORD dst_unused:UNUSED_PAD src0_sel:WORD_1 src1_sel:DWORD
	s_movk_i32 s4, 0x7f
	v_cmp_lt_i16_e32 vcc, s4, v3
	s_mov_b64 s[4:5], 0
                                        ; implicit-def: $sgpr10
	s_and_saveexec_b64 s[6:7], vcc
	s_xor_b64 s[6:7], exec, s[6:7]
	s_cbranch_execnz .LBB9_2801
; %bb.753:
	s_or_saveexec_b64 s[6:7], s[6:7]
	v_mov_b32_e32 v2, s10
	s_xor_b64 exec, exec, s[6:7]
	s_cbranch_execnz .LBB9_2804
.LBB9_754:
	s_or_b64 exec, exec, s[6:7]
	s_and_saveexec_b64 s[6:7], s[4:5]
	s_cbranch_execz .LBB9_756
.LBB9_755:
	v_bfe_u32 v2, v9, 16, 3
	v_ffbh_u32_e32 v6, v2
	v_min_u32_e32 v6, 32, v6
	v_lshrrev_b32_e32 v3, 19, v9
	v_subrev_u32_e32 v7, 28, v6
	v_and_b32_e32 v3, 15, v3
	v_lshlrev_b32_sdwa v7, v7, v9 dst_sel:DWORD dst_unused:UNUSED_PAD src0_sel:DWORD src1_sel:WORD_1
	v_bfe_u32 v4, v9, 19, 4
	v_sub_u32_e32 v6, 29, v6
	v_and_b32_e32 v7, 7, v7
	v_cmp_eq_u16_e32 vcc, 0, v3
	v_cndmask_b32_e32 v2, v2, v7, vcc
	v_cndmask_b32_e32 v3, v4, v6, vcc
	v_lshlrev_b32_e32 v4, 8, v9
	v_mov_b32_e32 v6, 0x3b800000
	v_lshlrev_b32_e32 v2, 20, v2
	v_and_b32_e32 v4, 0x80000000, v4
	v_lshl_add_u32 v3, v3, 23, v6
	v_or3_b32 v2, v4, v3, v2
.LBB9_756:
	s_or_b64 exec, exec, s[6:7]
	s_movk_i32 s4, 0xff
	v_and_b32_sdwa v3, v5, s4 dst_sel:DWORD dst_unused:UNUSED_PAD src0_sel:WORD_1 src1_sel:DWORD
	s_movk_i32 s4, 0x7f
	v_cmp_lt_i16_e32 vcc, s4, v3
	s_mov_b64 s[4:5], 0
                                        ; implicit-def: $sgpr10
	s_and_saveexec_b64 s[6:7], vcc
	s_xor_b64 s[6:7], exec, s[6:7]
	s_cbranch_execnz .LBB9_2805
; %bb.757:
	s_or_saveexec_b64 s[6:7], s[6:7]
	v_mov_b32_e32 v4, s10
	s_xor_b64 exec, exec, s[6:7]
	s_cbranch_execnz .LBB9_2808
.LBB9_758:
	s_or_b64 exec, exec, s[6:7]
	s_and_saveexec_b64 s[6:7], s[4:5]
	s_cbranch_execz .LBB9_760
.LBB9_759:
	v_bfe_u32 v3, v5, 16, 3
	v_ffbh_u32_e32 v7, v3
	v_min_u32_e32 v7, 32, v7
	v_lshrrev_b32_e32 v4, 19, v5
	v_subrev_u32_e32 v8, 28, v7
	v_and_b32_e32 v4, 15, v4
	v_lshlrev_b32_sdwa v8, v8, v5 dst_sel:DWORD dst_unused:UNUSED_PAD src0_sel:DWORD src1_sel:WORD_1
	v_bfe_u32 v6, v5, 19, 4
	v_sub_u32_e32 v7, 29, v7
	v_and_b32_e32 v8, 7, v8
	v_cmp_eq_u16_e32 vcc, 0, v4
	v_cndmask_b32_e32 v3, v3, v8, vcc
	v_cndmask_b32_e32 v4, v6, v7, vcc
	v_lshlrev_b32_e32 v6, 8, v5
	v_mov_b32_e32 v7, 0x3b800000
	v_lshlrev_b32_e32 v3, 20, v3
	v_and_b32_e32 v6, 0x80000000, v6
	v_lshl_add_u32 v4, v4, 23, v7
	v_or3_b32 v4, v6, v4, v3
.LBB9_760:
	s_or_b64 exec, exec, s[6:7]
	s_nop 0
	v_mfma_f32_16x16x4f32 a[0:3], v2, v4, a[0:3]
	s_movk_i32 s4, 0x7f
	v_cmp_gt_i16_sdwa s[6:7], v9, s4 src0_sel:BYTE_3 src1_sel:DWORD
	s_mov_b64 s[4:5], 0
                                        ; implicit-def: $sgpr10
	s_and_saveexec_b64 s[8:9], s[6:7]
	s_xor_b64 s[6:7], exec, s[8:9]
	s_cbranch_execnz .LBB9_2809
; %bb.761:
	s_or_saveexec_b64 s[6:7], s[6:7]
	v_mov_b32_e32 v2, s10
	s_xor_b64 exec, exec, s[6:7]
	s_cbranch_execnz .LBB9_2812
.LBB9_762:
	s_or_b64 exec, exec, s[6:7]
	s_and_saveexec_b64 s[6:7], s[4:5]
	s_cbranch_execz .LBB9_764
.LBB9_763:
	v_bfe_u32 v2, v9, 24, 3
	v_ffbh_u32_e32 v7, v2
	v_min_u32_e32 v7, 32, v7
	v_lshrrev_b32_e32 v4, 27, v9
	v_subrev_u32_e32 v8, 28, v7
	v_and_b32_e32 v4, 15, v4
	v_lshlrev_b32_sdwa v8, v8, v9 dst_sel:DWORD dst_unused:UNUSED_PAD src0_sel:DWORD src1_sel:BYTE_3
	v_bfe_u32 v6, v9, 27, 4
	v_sub_u32_e32 v7, 29, v7
	v_and_b32_e32 v8, 7, v8
	v_cmp_eq_u16_e32 vcc, 0, v4
	v_cndmask_b32_e32 v2, v2, v8, vcc
	v_cndmask_b32_e32 v4, v6, v7, vcc
	v_mov_b32_e32 v6, 0x3b800000
	v_and_b32_e32 v3, 0x80000000, v9
	v_lshlrev_b32_e32 v2, 20, v2
	v_lshl_add_u32 v4, v4, 23, v6
	v_or3_b32 v2, v3, v4, v2
.LBB9_764:
	s_or_b64 exec, exec, s[6:7]
	s_movk_i32 s4, 0x7f
	v_cmp_gt_i16_sdwa s[6:7], v5, s4 src0_sel:BYTE_3 src1_sel:DWORD
	s_mov_b64 s[4:5], 0
                                        ; implicit-def: $sgpr10
	s_and_saveexec_b64 s[8:9], s[6:7]
	s_xor_b64 s[6:7], exec, s[8:9]
	s_cbranch_execnz .LBB9_2813
; %bb.765:
	s_or_saveexec_b64 s[6:7], s[6:7]
	v_mov_b32_e32 v3, s10
	s_xor_b64 exec, exec, s[6:7]
	s_cbranch_execnz .LBB9_2816
.LBB9_766:
	s_or_b64 exec, exec, s[6:7]
	s_and_saveexec_b64 s[6:7], s[4:5]
	s_cbranch_execz .LBB9_768
.LBB9_767:
	v_bfe_u32 v3, v5, 24, 3
	v_ffbh_u32_e32 v8, v3
	v_min_u32_e32 v8, 32, v8
	v_lshrrev_b32_e32 v6, 27, v5
	v_subrev_u32_e32 v9, 28, v8
	v_and_b32_e32 v4, 0x80000000, v5
	v_and_b32_e32 v6, 15, v6
	v_bfe_u32 v7, v5, 27, 4
	v_lshlrev_b32_sdwa v5, v9, v5 dst_sel:DWORD dst_unused:UNUSED_PAD src0_sel:DWORD src1_sel:BYTE_3
	v_sub_u32_e32 v8, 29, v8
	v_and_b32_e32 v5, 7, v5
	v_cmp_eq_u16_e32 vcc, 0, v6
	v_cndmask_b32_e32 v3, v3, v5, vcc
	v_cndmask_b32_e32 v5, v7, v8, vcc
	v_mov_b32_e32 v6, 0x3b800000
	v_lshlrev_b32_e32 v3, 20, v3
	v_lshl_add_u32 v5, v5, 23, v6
	v_or3_b32 v3, v4, v5, v3
.LBB9_768:
	s_or_b64 exec, exec, s[6:7]
	s_nop 0
	v_mfma_f32_16x16x4f32 a[0:3], v2, v3, a[0:3]
	s_movk_i32 s4, 0x7f
                                        ; implicit-def: $sgpr10
	s_nop 7
	s_nop 1
	flat_store_dwordx4 v[10:11], a[0:3] offset:80
	flat_load_dwordx4 v[12:15], v[0:1] offset:8
	s_nop 0
	flat_load_dwordx2 v[10:11], v[0:1] offset:32
	s_waitcnt vmcnt(0) lgkmcnt(0)
	flat_load_dwordx4 v[6:9], v[12:13] offset:48
	flat_load_dwordx4 v[2:5], v[14:15] offset:80
	s_waitcnt vmcnt(0) lgkmcnt(0)
	v_cmp_gt_i16_sdwa s[6:7], v6, s4 src0_sel:BYTE_0 src1_sel:DWORD
	s_mov_b64 s[4:5], 0
	s_and_saveexec_b64 s[8:9], s[6:7]
	s_xor_b64 s[6:7], exec, s[8:9]
	s_cbranch_execnz .LBB9_2817
; %bb.769:
	s_or_saveexec_b64 s[6:7], s[6:7]
	v_mov_b32_e32 v12, s10
	s_xor_b64 exec, exec, s[6:7]
	s_cbranch_execnz .LBB9_2820
.LBB9_770:
	s_or_b64 exec, exec, s[6:7]
	s_and_saveexec_b64 s[6:7], s[4:5]
	s_cbranch_execz .LBB9_772
.LBB9_771:
	v_and_b32_e32 v12, 7, v6
	v_ffbh_u32_e32 v14, v12
	v_min_u32_e32 v14, 32, v14
	v_lshrrev_b16_e32 v13, 3, v6
	v_subrev_u32_e32 v15, 28, v14
	v_and_b32_e32 v13, 15, v13
	v_lshlrev_b32_e32 v15, v15, v6
	v_sub_u32_e32 v14, 29, v14
	v_and_b32_e32 v15, 7, v15
	v_cmp_eq_u16_e32 vcc, 0, v13
	v_cndmask_b32_e32 v12, v12, v15, vcc
	v_cndmask_b32_e32 v13, v13, v14, vcc
	v_lshlrev_b32_e32 v14, 24, v6
	v_mov_b32_e32 v15, 0x3b800000
	v_lshlrev_b32_e32 v12, 20, v12
	v_and_b32_e32 v14, 0x80000000, v14
	v_lshl_add_u32 v13, v13, 23, v15
	v_or3_b32 v12, v14, v13, v12
.LBB9_772:
	s_or_b64 exec, exec, s[6:7]
	s_movk_i32 s4, 0x7f
	v_cmp_gt_i16_sdwa s[6:7], v2, s4 src0_sel:BYTE_0 src1_sel:DWORD
	s_mov_b64 s[4:5], 0
                                        ; implicit-def: $sgpr10
	s_and_saveexec_b64 s[8:9], s[6:7]
	s_xor_b64 s[6:7], exec, s[8:9]
	s_cbranch_execnz .LBB9_2821
; %bb.773:
	s_or_saveexec_b64 s[6:7], s[6:7]
	v_mov_b32_e32 v13, s10
	s_xor_b64 exec, exec, s[6:7]
	s_cbranch_execnz .LBB9_2824
.LBB9_774:
	s_or_b64 exec, exec, s[6:7]
	s_and_saveexec_b64 s[6:7], s[4:5]
	s_cbranch_execz .LBB9_776
.LBB9_775:
	v_and_b32_e32 v13, 7, v2
	v_ffbh_u32_e32 v15, v13
	v_min_u32_e32 v15, 32, v15
	v_lshrrev_b16_e32 v14, 3, v2
	v_subrev_u32_e32 v16, 28, v15
	v_and_b32_e32 v14, 15, v14
	v_lshlrev_b32_e32 v16, v16, v2
	v_sub_u32_e32 v15, 29, v15
	v_and_b32_e32 v16, 7, v16
	v_cmp_eq_u16_e32 vcc, 0, v14
	v_cndmask_b32_e32 v13, v13, v16, vcc
	v_cndmask_b32_e32 v14, v14, v15, vcc
	v_lshlrev_b32_e32 v15, 24, v2
	v_mov_b32_e32 v16, 0x3b800000
	v_lshlrev_b32_e32 v13, 20, v13
	v_and_b32_e32 v15, 0x80000000, v15
	v_lshl_add_u32 v14, v14, 23, v16
	v_or3_b32 v13, v15, v14, v13
.LBB9_776:
	s_or_b64 exec, exec, s[6:7]
	flat_load_dwordx4 a[0:3], v[10:11] offset:96
	s_movk_i32 s4, 0x7f
                                        ; implicit-def: $sgpr10
	s_waitcnt vmcnt(0) lgkmcnt(0)
	v_mfma_f32_16x16x4f32 a[0:3], v12, v13, a[0:3]
	v_lshrrev_b32_e32 v13, 8, v6
	v_cmp_gt_i16_sdwa s[6:7], v13, s4 src0_sel:BYTE_0 src1_sel:DWORD
	s_mov_b64 s[4:5], 0
	s_and_saveexec_b64 s[8:9], s[6:7]
	s_xor_b64 s[6:7], exec, s[8:9]
	s_cbranch_execnz .LBB9_2825
; %bb.777:
	s_or_saveexec_b64 s[6:7], s[6:7]
	v_mov_b32_e32 v12, s10
	s_xor_b64 exec, exec, s[6:7]
	s_cbranch_execnz .LBB9_2828
.LBB9_778:
	s_or_b64 exec, exec, s[6:7]
	s_and_saveexec_b64 s[6:7], s[4:5]
	s_cbranch_execz .LBB9_780
.LBB9_779:
	v_bfe_u32 v12, v6, 8, 3
	v_ffbh_u32_e32 v15, v12
	v_min_u32_e32 v15, 32, v15
	v_lshrrev_b16_e32 v14, 3, v13
	v_subrev_u32_e32 v16, 28, v15
	v_and_b32_e32 v14, 15, v14
	v_lshlrev_b32_e32 v13, v16, v13
	v_sub_u32_e32 v15, 29, v15
	v_and_b32_e32 v13, 7, v13
	v_cmp_eq_u16_e32 vcc, 0, v14
	v_cndmask_b32_e32 v12, v12, v13, vcc
	v_cndmask_b32_e32 v13, v14, v15, vcc
	v_lshlrev_b32_e32 v14, 16, v6
	v_mov_b32_e32 v15, 0x3b800000
	v_lshlrev_b32_e32 v12, 20, v12
	v_and_b32_e32 v14, 0x80000000, v14
	v_lshl_add_u32 v13, v13, 23, v15
	v_or3_b32 v12, v14, v13, v12
.LBB9_780:
	s_or_b64 exec, exec, s[6:7]
	v_lshrrev_b32_e32 v13, 8, v2
	s_movk_i32 s4, 0x7f
	v_cmp_gt_i16_sdwa s[6:7], v13, s4 src0_sel:BYTE_0 src1_sel:DWORD
	s_mov_b64 s[4:5], 0
                                        ; implicit-def: $sgpr10
	s_and_saveexec_b64 s[8:9], s[6:7]
	s_xor_b64 s[6:7], exec, s[8:9]
	s_cbranch_execnz .LBB9_2829
; %bb.781:
	s_or_saveexec_b64 s[6:7], s[6:7]
	v_mov_b32_e32 v14, s10
	s_xor_b64 exec, exec, s[6:7]
	s_cbranch_execnz .LBB9_2832
.LBB9_782:
	s_or_b64 exec, exec, s[6:7]
	s_and_saveexec_b64 s[6:7], s[4:5]
	s_cbranch_execz .LBB9_784
.LBB9_783:
	v_bfe_u32 v14, v2, 8, 3
	v_ffbh_u32_e32 v16, v14
	v_min_u32_e32 v16, 32, v16
	v_lshrrev_b16_e32 v15, 3, v13
	v_subrev_u32_e32 v17, 28, v16
	v_and_b32_e32 v15, 15, v15
	v_lshlrev_b32_e32 v13, v17, v13
	v_sub_u32_e32 v16, 29, v16
	v_and_b32_e32 v13, 7, v13
	v_cmp_eq_u16_e32 vcc, 0, v15
	v_cndmask_b32_e32 v13, v14, v13, vcc
	v_cndmask_b32_e32 v14, v15, v16, vcc
	v_lshlrev_b32_e32 v15, 16, v2
	v_mov_b32_e32 v16, 0x3b800000
	v_lshlrev_b32_e32 v13, 20, v13
	v_and_b32_e32 v15, 0x80000000, v15
	v_lshl_add_u32 v14, v14, 23, v16
	v_or3_b32 v14, v15, v14, v13
.LBB9_784:
	s_or_b64 exec, exec, s[6:7]
	s_nop 0
	v_mfma_f32_16x16x4f32 a[0:3], v12, v14, a[0:3]
	s_movk_i32 s4, 0xff
	v_and_b32_sdwa v13, v6, s4 dst_sel:DWORD dst_unused:UNUSED_PAD src0_sel:WORD_1 src1_sel:DWORD
	s_movk_i32 s4, 0x7f
	v_cmp_lt_i16_e32 vcc, s4, v13
	s_mov_b64 s[4:5], 0
                                        ; implicit-def: $sgpr10
	s_and_saveexec_b64 s[6:7], vcc
	s_xor_b64 s[6:7], exec, s[6:7]
	s_cbranch_execnz .LBB9_2833
; %bb.785:
	s_or_saveexec_b64 s[6:7], s[6:7]
	v_mov_b32_e32 v12, s10
	s_xor_b64 exec, exec, s[6:7]
	s_cbranch_execnz .LBB9_2836
.LBB9_786:
	s_or_b64 exec, exec, s[6:7]
	s_and_saveexec_b64 s[6:7], s[4:5]
	s_cbranch_execz .LBB9_788
.LBB9_787:
	v_bfe_u32 v12, v6, 16, 3
	v_ffbh_u32_e32 v15, v12
	v_min_u32_e32 v15, 32, v15
	v_lshrrev_b32_e32 v13, 19, v6
	v_subrev_u32_e32 v16, 28, v15
	v_and_b32_e32 v13, 15, v13
	v_lshlrev_b32_sdwa v16, v16, v6 dst_sel:DWORD dst_unused:UNUSED_PAD src0_sel:DWORD src1_sel:WORD_1
	v_bfe_u32 v14, v6, 19, 4
	v_sub_u32_e32 v15, 29, v15
	v_and_b32_e32 v16, 7, v16
	v_cmp_eq_u16_e32 vcc, 0, v13
	v_cndmask_b32_e32 v12, v12, v16, vcc
	v_cndmask_b32_e32 v13, v14, v15, vcc
	v_lshlrev_b32_e32 v14, 8, v6
	v_mov_b32_e32 v15, 0x3b800000
	v_lshlrev_b32_e32 v12, 20, v12
	v_and_b32_e32 v14, 0x80000000, v14
	v_lshl_add_u32 v13, v13, 23, v15
	v_or3_b32 v12, v14, v13, v12
.LBB9_788:
	s_or_b64 exec, exec, s[6:7]
	s_movk_i32 s4, 0xff
	v_and_b32_sdwa v13, v2, s4 dst_sel:DWORD dst_unused:UNUSED_PAD src0_sel:WORD_1 src1_sel:DWORD
	s_movk_i32 s4, 0x7f
	v_cmp_lt_i16_e32 vcc, s4, v13
	s_mov_b64 s[4:5], 0
                                        ; implicit-def: $sgpr10
	s_and_saveexec_b64 s[6:7], vcc
	s_xor_b64 s[6:7], exec, s[6:7]
	s_cbranch_execnz .LBB9_2837
; %bb.789:
	s_or_saveexec_b64 s[6:7], s[6:7]
	v_mov_b32_e32 v14, s10
	s_xor_b64 exec, exec, s[6:7]
	s_cbranch_execnz .LBB9_2840
.LBB9_790:
	s_or_b64 exec, exec, s[6:7]
	s_and_saveexec_b64 s[6:7], s[4:5]
	s_cbranch_execz .LBB9_792
.LBB9_791:
	v_bfe_u32 v13, v2, 16, 3
	v_ffbh_u32_e32 v16, v13
	v_min_u32_e32 v16, 32, v16
	v_lshrrev_b32_e32 v14, 19, v2
	v_subrev_u32_e32 v17, 28, v16
	v_and_b32_e32 v14, 15, v14
	v_lshlrev_b32_sdwa v17, v17, v2 dst_sel:DWORD dst_unused:UNUSED_PAD src0_sel:DWORD src1_sel:WORD_1
	v_bfe_u32 v15, v2, 19, 4
	v_sub_u32_e32 v16, 29, v16
	v_and_b32_e32 v17, 7, v17
	v_cmp_eq_u16_e32 vcc, 0, v14
	v_cndmask_b32_e32 v13, v13, v17, vcc
	v_cndmask_b32_e32 v14, v15, v16, vcc
	v_lshlrev_b32_e32 v15, 8, v2
	v_mov_b32_e32 v16, 0x3b800000
	v_lshlrev_b32_e32 v13, 20, v13
	v_and_b32_e32 v15, 0x80000000, v15
	v_lshl_add_u32 v14, v14, 23, v16
	v_or3_b32 v14, v15, v14, v13
.LBB9_792:
	s_or_b64 exec, exec, s[6:7]
	s_nop 0
	v_mfma_f32_16x16x4f32 a[0:3], v12, v14, a[0:3]
	s_movk_i32 s4, 0x7f
	v_cmp_gt_i16_sdwa s[6:7], v6, s4 src0_sel:BYTE_3 src1_sel:DWORD
	s_mov_b64 s[4:5], 0
                                        ; implicit-def: $sgpr10
	s_and_saveexec_b64 s[8:9], s[6:7]
	s_xor_b64 s[6:7], exec, s[8:9]
	s_cbranch_execnz .LBB9_2841
; %bb.793:
	s_or_saveexec_b64 s[6:7], s[6:7]
	v_mov_b32_e32 v12, s10
	s_xor_b64 exec, exec, s[6:7]
	s_cbranch_execnz .LBB9_2844
.LBB9_794:
	s_or_b64 exec, exec, s[6:7]
	s_and_saveexec_b64 s[6:7], s[4:5]
	s_cbranch_execz .LBB9_796
.LBB9_795:
	v_bfe_u32 v12, v6, 24, 3
	v_ffbh_u32_e32 v16, v12
	v_min_u32_e32 v16, 32, v16
	v_lshrrev_b32_e32 v14, 27, v6
	v_subrev_u32_e32 v17, 28, v16
	v_and_b32_e32 v13, 0x80000000, v6
	v_and_b32_e32 v14, 15, v14
	v_bfe_u32 v15, v6, 27, 4
	v_lshlrev_b32_sdwa v6, v17, v6 dst_sel:DWORD dst_unused:UNUSED_PAD src0_sel:DWORD src1_sel:BYTE_3
	v_sub_u32_e32 v16, 29, v16
	v_and_b32_e32 v6, 7, v6
	v_cmp_eq_u16_e32 vcc, 0, v14
	v_cndmask_b32_e32 v6, v12, v6, vcc
	v_cndmask_b32_e32 v12, v15, v16, vcc
	v_mov_b32_e32 v14, 0x3b800000
	v_lshlrev_b32_e32 v6, 20, v6
	v_lshl_add_u32 v12, v12, 23, v14
	v_or3_b32 v12, v13, v12, v6
.LBB9_796:
	s_or_b64 exec, exec, s[6:7]
	s_movk_i32 s4, 0x7f
	v_cmp_gt_i16_sdwa s[6:7], v2, s4 src0_sel:BYTE_3 src1_sel:DWORD
	s_mov_b64 s[4:5], 0
                                        ; implicit-def: $sgpr10
	s_and_saveexec_b64 s[8:9], s[6:7]
	s_xor_b64 s[6:7], exec, s[8:9]
	s_cbranch_execnz .LBB9_2845
; %bb.797:
	s_or_saveexec_b64 s[6:7], s[6:7]
	v_mov_b32_e32 v6, s10
	s_xor_b64 exec, exec, s[6:7]
	s_cbranch_execnz .LBB9_2848
.LBB9_798:
	s_or_b64 exec, exec, s[6:7]
	s_and_saveexec_b64 s[6:7], s[4:5]
	s_cbranch_execz .LBB9_800
.LBB9_799:
	v_bfe_u32 v6, v2, 24, 3
	v_ffbh_u32_e32 v16, v6
	v_min_u32_e32 v16, 32, v16
	v_lshrrev_b32_e32 v14, 27, v2
	v_subrev_u32_e32 v17, 28, v16
	v_and_b32_e32 v13, 0x80000000, v2
	v_and_b32_e32 v14, 15, v14
	v_bfe_u32 v15, v2, 27, 4
	v_lshlrev_b32_sdwa v2, v17, v2 dst_sel:DWORD dst_unused:UNUSED_PAD src0_sel:DWORD src1_sel:BYTE_3
	v_sub_u32_e32 v16, 29, v16
	v_and_b32_e32 v2, 7, v2
	v_cmp_eq_u16_e32 vcc, 0, v14
	v_cndmask_b32_e32 v2, v6, v2, vcc
	v_cndmask_b32_e32 v6, v15, v16, vcc
	v_mov_b32_e32 v14, 0x3b800000
	v_lshlrev_b32_e32 v2, 20, v2
	v_lshl_add_u32 v6, v6, 23, v14
	v_or3_b32 v6, v13, v6, v2
.LBB9_800:
	s_or_b64 exec, exec, s[6:7]
	s_nop 0
	v_mfma_f32_16x16x4f32 a[0:3], v12, v6, a[0:3]
	s_movk_i32 s4, 0x7f
	v_cmp_gt_i16_sdwa s[6:7], v7, s4 src0_sel:BYTE_0 src1_sel:DWORD
	s_mov_b64 s[4:5], 0
                                        ; implicit-def: $sgpr10
	s_and_saveexec_b64 s[8:9], s[6:7]
	s_xor_b64 s[6:7], exec, s[8:9]
	s_cbranch_execnz .LBB9_2849
; %bb.801:
	s_or_saveexec_b64 s[6:7], s[6:7]
	v_mov_b32_e32 v2, s10
	s_xor_b64 exec, exec, s[6:7]
	s_cbranch_execnz .LBB9_2852
.LBB9_802:
	s_or_b64 exec, exec, s[6:7]
	s_and_saveexec_b64 s[6:7], s[4:5]
	s_cbranch_execz .LBB9_804
.LBB9_803:
	v_and_b32_e32 v2, 7, v7
	v_ffbh_u32_e32 v12, v2
	v_min_u32_e32 v12, 32, v12
	v_lshrrev_b16_e32 v6, 3, v7
	v_subrev_u32_e32 v13, 28, v12
	v_and_b32_e32 v6, 15, v6
	v_lshlrev_b32_e32 v13, v13, v7
	v_sub_u32_e32 v12, 29, v12
	v_and_b32_e32 v13, 7, v13
	v_cmp_eq_u16_e32 vcc, 0, v6
	v_cndmask_b32_e32 v2, v2, v13, vcc
	v_cndmask_b32_e32 v6, v6, v12, vcc
	v_lshlrev_b32_e32 v12, 24, v7
	v_mov_b32_e32 v13, 0x3b800000
	v_lshlrev_b32_e32 v2, 20, v2
	v_and_b32_e32 v12, 0x80000000, v12
	v_lshl_add_u32 v6, v6, 23, v13
	v_or3_b32 v2, v12, v6, v2
.LBB9_804:
	s_or_b64 exec, exec, s[6:7]
	s_movk_i32 s4, 0x7f
	v_cmp_gt_i16_sdwa s[6:7], v3, s4 src0_sel:BYTE_0 src1_sel:DWORD
	s_mov_b64 s[4:5], 0
                                        ; implicit-def: $sgpr10
	s_and_saveexec_b64 s[8:9], s[6:7]
	s_xor_b64 s[6:7], exec, s[8:9]
	s_cbranch_execnz .LBB9_2853
; %bb.805:
	s_or_saveexec_b64 s[6:7], s[6:7]
	v_mov_b32_e32 v6, s10
	s_xor_b64 exec, exec, s[6:7]
	s_cbranch_execnz .LBB9_2856
.LBB9_806:
	s_or_b64 exec, exec, s[6:7]
	s_and_saveexec_b64 s[6:7], s[4:5]
	s_cbranch_execz .LBB9_808
.LBB9_807:
	v_and_b32_e32 v6, 7, v3
	v_ffbh_u32_e32 v13, v6
	v_min_u32_e32 v13, 32, v13
	v_lshrrev_b16_e32 v12, 3, v3
	v_subrev_u32_e32 v14, 28, v13
	v_and_b32_e32 v12, 15, v12
	v_lshlrev_b32_e32 v14, v14, v3
	v_sub_u32_e32 v13, 29, v13
	v_and_b32_e32 v14, 7, v14
	v_cmp_eq_u16_e32 vcc, 0, v12
	v_cndmask_b32_e32 v6, v6, v14, vcc
	v_cndmask_b32_e32 v12, v12, v13, vcc
	v_lshlrev_b32_e32 v13, 24, v3
	v_mov_b32_e32 v14, 0x3b800000
	v_lshlrev_b32_e32 v6, 20, v6
	v_and_b32_e32 v13, 0x80000000, v13
	v_lshl_add_u32 v12, v12, 23, v14
	v_or3_b32 v6, v13, v12, v6
.LBB9_808:
	s_or_b64 exec, exec, s[6:7]
	s_nop 0
	v_mfma_f32_16x16x4f32 a[0:3], v2, v6, a[0:3]
	v_lshrrev_b32_e32 v6, 8, v7
	s_movk_i32 s4, 0x7f
	v_cmp_gt_i16_sdwa s[6:7], v6, s4 src0_sel:BYTE_0 src1_sel:DWORD
	s_mov_b64 s[4:5], 0
                                        ; implicit-def: $sgpr10
	s_and_saveexec_b64 s[8:9], s[6:7]
	s_xor_b64 s[6:7], exec, s[8:9]
	s_cbranch_execnz .LBB9_2857
; %bb.809:
	s_or_saveexec_b64 s[6:7], s[6:7]
	v_mov_b32_e32 v2, s10
	s_xor_b64 exec, exec, s[6:7]
	s_cbranch_execnz .LBB9_2860
.LBB9_810:
	s_or_b64 exec, exec, s[6:7]
	s_and_saveexec_b64 s[6:7], s[4:5]
	s_cbranch_execz .LBB9_812
.LBB9_811:
	v_bfe_u32 v2, v7, 8, 3
	v_ffbh_u32_e32 v13, v2
	v_min_u32_e32 v13, 32, v13
	v_lshrrev_b16_e32 v12, 3, v6
	v_subrev_u32_e32 v14, 28, v13
	v_and_b32_e32 v12, 15, v12
	v_lshlrev_b32_e32 v6, v14, v6
	v_sub_u32_e32 v13, 29, v13
	v_and_b32_e32 v6, 7, v6
	v_cmp_eq_u16_e32 vcc, 0, v12
	v_cndmask_b32_e32 v2, v2, v6, vcc
	v_cndmask_b32_e32 v6, v12, v13, vcc
	v_lshlrev_b32_e32 v12, 16, v7
	v_mov_b32_e32 v13, 0x3b800000
	v_lshlrev_b32_e32 v2, 20, v2
	v_and_b32_e32 v12, 0x80000000, v12
	v_lshl_add_u32 v6, v6, 23, v13
	v_or3_b32 v2, v12, v6, v2
.LBB9_812:
	s_or_b64 exec, exec, s[6:7]
	v_lshrrev_b32_e32 v6, 8, v3
	s_movk_i32 s4, 0x7f
	v_cmp_gt_i16_sdwa s[6:7], v6, s4 src0_sel:BYTE_0 src1_sel:DWORD
	s_mov_b64 s[4:5], 0
                                        ; implicit-def: $sgpr10
	s_and_saveexec_b64 s[8:9], s[6:7]
	s_xor_b64 s[6:7], exec, s[8:9]
	s_cbranch_execnz .LBB9_2861
; %bb.813:
	s_or_saveexec_b64 s[6:7], s[6:7]
	v_mov_b32_e32 v12, s10
	s_xor_b64 exec, exec, s[6:7]
	s_cbranch_execnz .LBB9_2864
.LBB9_814:
	s_or_b64 exec, exec, s[6:7]
	s_and_saveexec_b64 s[6:7], s[4:5]
	s_cbranch_execz .LBB9_816
.LBB9_815:
	v_bfe_u32 v12, v3, 8, 3
	v_ffbh_u32_e32 v14, v12
	v_min_u32_e32 v14, 32, v14
	v_lshrrev_b16_e32 v13, 3, v6
	v_subrev_u32_e32 v15, 28, v14
	v_and_b32_e32 v13, 15, v13
	v_lshlrev_b32_e32 v6, v15, v6
	v_sub_u32_e32 v14, 29, v14
	v_and_b32_e32 v6, 7, v6
	v_cmp_eq_u16_e32 vcc, 0, v13
	v_cndmask_b32_e32 v6, v12, v6, vcc
	v_cndmask_b32_e32 v12, v13, v14, vcc
	v_lshlrev_b32_e32 v13, 16, v3
	v_mov_b32_e32 v14, 0x3b800000
	v_lshlrev_b32_e32 v6, 20, v6
	v_and_b32_e32 v13, 0x80000000, v13
	v_lshl_add_u32 v12, v12, 23, v14
	v_or3_b32 v12, v13, v12, v6
.LBB9_816:
	s_or_b64 exec, exec, s[6:7]
	s_nop 0
	v_mfma_f32_16x16x4f32 a[0:3], v2, v12, a[0:3]
	s_movk_i32 s4, 0xff
	v_and_b32_sdwa v6, v7, s4 dst_sel:DWORD dst_unused:UNUSED_PAD src0_sel:WORD_1 src1_sel:DWORD
	s_movk_i32 s4, 0x7f
	v_cmp_lt_i16_e32 vcc, s4, v6
	s_mov_b64 s[4:5], 0
                                        ; implicit-def: $sgpr10
	s_and_saveexec_b64 s[6:7], vcc
	s_xor_b64 s[6:7], exec, s[6:7]
	s_cbranch_execnz .LBB9_2865
; %bb.817:
	s_or_saveexec_b64 s[6:7], s[6:7]
	v_mov_b32_e32 v2, s10
	s_xor_b64 exec, exec, s[6:7]
	s_cbranch_execnz .LBB9_2868
.LBB9_818:
	s_or_b64 exec, exec, s[6:7]
	s_and_saveexec_b64 s[6:7], s[4:5]
	s_cbranch_execz .LBB9_820
.LBB9_819:
	v_bfe_u32 v2, v7, 16, 3
	v_ffbh_u32_e32 v13, v2
	v_min_u32_e32 v13, 32, v13
	v_lshrrev_b32_e32 v6, 19, v7
	v_subrev_u32_e32 v14, 28, v13
	v_and_b32_e32 v6, 15, v6
	v_lshlrev_b32_sdwa v14, v14, v7 dst_sel:DWORD dst_unused:UNUSED_PAD src0_sel:DWORD src1_sel:WORD_1
	v_bfe_u32 v12, v7, 19, 4
	v_sub_u32_e32 v13, 29, v13
	v_and_b32_e32 v14, 7, v14
	v_cmp_eq_u16_e32 vcc, 0, v6
	v_cndmask_b32_e32 v2, v2, v14, vcc
	v_cndmask_b32_e32 v6, v12, v13, vcc
	v_lshlrev_b32_e32 v12, 8, v7
	v_mov_b32_e32 v13, 0x3b800000
	v_lshlrev_b32_e32 v2, 20, v2
	v_and_b32_e32 v12, 0x80000000, v12
	v_lshl_add_u32 v6, v6, 23, v13
	v_or3_b32 v2, v12, v6, v2
.LBB9_820:
	s_or_b64 exec, exec, s[6:7]
	s_movk_i32 s4, 0xff
	v_and_b32_sdwa v6, v3, s4 dst_sel:DWORD dst_unused:UNUSED_PAD src0_sel:WORD_1 src1_sel:DWORD
	s_movk_i32 s4, 0x7f
	v_cmp_lt_i16_e32 vcc, s4, v6
	s_mov_b64 s[4:5], 0
                                        ; implicit-def: $sgpr10
	s_and_saveexec_b64 s[6:7], vcc
	s_xor_b64 s[6:7], exec, s[6:7]
	s_cbranch_execnz .LBB9_2869
; %bb.821:
	s_or_saveexec_b64 s[6:7], s[6:7]
	v_mov_b32_e32 v12, s10
	s_xor_b64 exec, exec, s[6:7]
	s_cbranch_execnz .LBB9_2872
.LBB9_822:
	s_or_b64 exec, exec, s[6:7]
	s_and_saveexec_b64 s[6:7], s[4:5]
	s_cbranch_execz .LBB9_824
.LBB9_823:
	v_bfe_u32 v6, v3, 16, 3
	v_ffbh_u32_e32 v14, v6
	v_min_u32_e32 v14, 32, v14
	v_lshrrev_b32_e32 v12, 19, v3
	v_subrev_u32_e32 v15, 28, v14
	v_and_b32_e32 v12, 15, v12
	v_lshlrev_b32_sdwa v15, v15, v3 dst_sel:DWORD dst_unused:UNUSED_PAD src0_sel:DWORD src1_sel:WORD_1
	v_bfe_u32 v13, v3, 19, 4
	v_sub_u32_e32 v14, 29, v14
	v_and_b32_e32 v15, 7, v15
	v_cmp_eq_u16_e32 vcc, 0, v12
	v_cndmask_b32_e32 v6, v6, v15, vcc
	v_cndmask_b32_e32 v12, v13, v14, vcc
	v_lshlrev_b32_e32 v13, 8, v3
	v_mov_b32_e32 v14, 0x3b800000
	v_lshlrev_b32_e32 v6, 20, v6
	v_and_b32_e32 v13, 0x80000000, v13
	v_lshl_add_u32 v12, v12, 23, v14
	v_or3_b32 v12, v13, v12, v6
.LBB9_824:
	s_or_b64 exec, exec, s[6:7]
	s_nop 0
	v_mfma_f32_16x16x4f32 a[0:3], v2, v12, a[0:3]
	s_movk_i32 s4, 0x7f
	v_cmp_gt_i16_sdwa s[6:7], v7, s4 src0_sel:BYTE_3 src1_sel:DWORD
	s_mov_b64 s[4:5], 0
                                        ; implicit-def: $sgpr10
	s_and_saveexec_b64 s[8:9], s[6:7]
	s_xor_b64 s[6:7], exec, s[8:9]
	s_cbranch_execnz .LBB9_2873
; %bb.825:
	s_or_saveexec_b64 s[6:7], s[6:7]
	v_mov_b32_e32 v2, s10
	s_xor_b64 exec, exec, s[6:7]
	s_cbranch_execnz .LBB9_2876
.LBB9_826:
	s_or_b64 exec, exec, s[6:7]
	s_and_saveexec_b64 s[6:7], s[4:5]
	s_cbranch_execz .LBB9_828
.LBB9_827:
	v_bfe_u32 v2, v7, 24, 3
	v_ffbh_u32_e32 v14, v2
	v_min_u32_e32 v14, 32, v14
	v_lshrrev_b32_e32 v12, 27, v7
	v_subrev_u32_e32 v15, 28, v14
	v_and_b32_e32 v6, 0x80000000, v7
	v_and_b32_e32 v12, 15, v12
	v_bfe_u32 v13, v7, 27, 4
	v_lshlrev_b32_sdwa v7, v15, v7 dst_sel:DWORD dst_unused:UNUSED_PAD src0_sel:DWORD src1_sel:BYTE_3
	v_sub_u32_e32 v14, 29, v14
	v_and_b32_e32 v7, 7, v7
	v_cmp_eq_u16_e32 vcc, 0, v12
	v_cndmask_b32_e32 v2, v2, v7, vcc
	v_cndmask_b32_e32 v7, v13, v14, vcc
	v_mov_b32_e32 v12, 0x3b800000
	v_lshlrev_b32_e32 v2, 20, v2
	v_lshl_add_u32 v7, v7, 23, v12
	v_or3_b32 v2, v6, v7, v2
.LBB9_828:
	s_or_b64 exec, exec, s[6:7]
	s_movk_i32 s4, 0x7f
	v_cmp_gt_i16_sdwa s[6:7], v3, s4 src0_sel:BYTE_3 src1_sel:DWORD
	s_mov_b64 s[4:5], 0
                                        ; implicit-def: $sgpr10
	s_and_saveexec_b64 s[8:9], s[6:7]
	s_xor_b64 s[6:7], exec, s[8:9]
	s_cbranch_execnz .LBB9_2877
; %bb.829:
	s_or_saveexec_b64 s[6:7], s[6:7]
	v_mov_b32_e32 v6, s10
	s_xor_b64 exec, exec, s[6:7]
	s_cbranch_execnz .LBB9_2880
.LBB9_830:
	s_or_b64 exec, exec, s[6:7]
	s_and_saveexec_b64 s[6:7], s[4:5]
	s_cbranch_execz .LBB9_832
.LBB9_831:
	v_bfe_u32 v6, v3, 24, 3
	v_ffbh_u32_e32 v14, v6
	v_min_u32_e32 v14, 32, v14
	v_lshrrev_b32_e32 v12, 27, v3
	v_subrev_u32_e32 v15, 28, v14
	v_and_b32_e32 v7, 0x80000000, v3
	v_and_b32_e32 v12, 15, v12
	v_bfe_u32 v13, v3, 27, 4
	v_lshlrev_b32_sdwa v3, v15, v3 dst_sel:DWORD dst_unused:UNUSED_PAD src0_sel:DWORD src1_sel:BYTE_3
	v_sub_u32_e32 v14, 29, v14
	v_and_b32_e32 v3, 7, v3
	v_cmp_eq_u16_e32 vcc, 0, v12
	v_cndmask_b32_e32 v3, v6, v3, vcc
	v_cndmask_b32_e32 v6, v13, v14, vcc
	v_mov_b32_e32 v12, 0x3b800000
	v_lshlrev_b32_e32 v3, 20, v3
	v_lshl_add_u32 v6, v6, 23, v12
	v_or3_b32 v6, v7, v6, v3
.LBB9_832:
	s_or_b64 exec, exec, s[6:7]
	s_nop 0
	v_mfma_f32_16x16x4f32 a[0:3], v2, v6, a[0:3]
	s_movk_i32 s4, 0x7f
	v_cmp_gt_i16_sdwa s[6:7], v8, s4 src0_sel:BYTE_0 src1_sel:DWORD
	s_mov_b64 s[4:5], 0
                                        ; implicit-def: $sgpr10
	s_and_saveexec_b64 s[8:9], s[6:7]
	s_xor_b64 s[6:7], exec, s[8:9]
	s_cbranch_execnz .LBB9_2881
; %bb.833:
	s_or_saveexec_b64 s[6:7], s[6:7]
	v_mov_b32_e32 v2, s10
	s_xor_b64 exec, exec, s[6:7]
	s_cbranch_execnz .LBB9_2884
.LBB9_834:
	s_or_b64 exec, exec, s[6:7]
	s_and_saveexec_b64 s[6:7], s[4:5]
	s_cbranch_execz .LBB9_836
.LBB9_835:
	v_and_b32_e32 v2, 7, v8
	v_ffbh_u32_e32 v6, v2
	v_min_u32_e32 v6, 32, v6
	v_lshrrev_b16_e32 v3, 3, v8
	v_subrev_u32_e32 v7, 28, v6
	v_and_b32_e32 v3, 15, v3
	v_lshlrev_b32_e32 v7, v7, v8
	v_sub_u32_e32 v6, 29, v6
	v_and_b32_e32 v7, 7, v7
	v_cmp_eq_u16_e32 vcc, 0, v3
	v_cndmask_b32_e32 v2, v2, v7, vcc
	v_cndmask_b32_e32 v3, v3, v6, vcc
	v_lshlrev_b32_e32 v6, 24, v8
	v_mov_b32_e32 v7, 0x3b800000
	v_lshlrev_b32_e32 v2, 20, v2
	v_and_b32_e32 v6, 0x80000000, v6
	v_lshl_add_u32 v3, v3, 23, v7
	v_or3_b32 v2, v6, v3, v2
.LBB9_836:
	s_or_b64 exec, exec, s[6:7]
	s_movk_i32 s4, 0x7f
	v_cmp_gt_i16_sdwa s[6:7], v4, s4 src0_sel:BYTE_0 src1_sel:DWORD
	s_mov_b64 s[4:5], 0
                                        ; implicit-def: $sgpr10
	s_and_saveexec_b64 s[8:9], s[6:7]
	s_xor_b64 s[6:7], exec, s[8:9]
	s_cbranch_execnz .LBB9_2885
; %bb.837:
	s_or_saveexec_b64 s[6:7], s[6:7]
	v_mov_b32_e32 v3, s10
	s_xor_b64 exec, exec, s[6:7]
	s_cbranch_execnz .LBB9_2888
.LBB9_838:
	s_or_b64 exec, exec, s[6:7]
	s_and_saveexec_b64 s[6:7], s[4:5]
	s_cbranch_execz .LBB9_840
.LBB9_839:
	v_and_b32_e32 v3, 7, v4
	v_ffbh_u32_e32 v7, v3
	v_min_u32_e32 v7, 32, v7
	v_lshrrev_b16_e32 v6, 3, v4
	v_subrev_u32_e32 v12, 28, v7
	v_and_b32_e32 v6, 15, v6
	v_lshlrev_b32_e32 v12, v12, v4
	v_sub_u32_e32 v7, 29, v7
	v_and_b32_e32 v12, 7, v12
	v_cmp_eq_u16_e32 vcc, 0, v6
	v_cndmask_b32_e32 v3, v3, v12, vcc
	v_cndmask_b32_e32 v6, v6, v7, vcc
	v_lshlrev_b32_e32 v7, 24, v4
	v_mov_b32_e32 v12, 0x3b800000
	v_lshlrev_b32_e32 v3, 20, v3
	v_and_b32_e32 v7, 0x80000000, v7
	v_lshl_add_u32 v6, v6, 23, v12
	v_or3_b32 v3, v7, v6, v3
.LBB9_840:
	s_or_b64 exec, exec, s[6:7]
	s_nop 0
	v_mfma_f32_16x16x4f32 a[0:3], v2, v3, a[0:3]
	v_lshrrev_b32_e32 v3, 8, v8
	s_movk_i32 s4, 0x7f
	v_cmp_gt_i16_sdwa s[6:7], v3, s4 src0_sel:BYTE_0 src1_sel:DWORD
	s_mov_b64 s[4:5], 0
                                        ; implicit-def: $sgpr10
	s_and_saveexec_b64 s[8:9], s[6:7]
	s_xor_b64 s[6:7], exec, s[8:9]
	s_cbranch_execnz .LBB9_2889
; %bb.841:
	s_or_saveexec_b64 s[6:7], s[6:7]
	v_mov_b32_e32 v2, s10
	s_xor_b64 exec, exec, s[6:7]
	s_cbranch_execnz .LBB9_2892
.LBB9_842:
	s_or_b64 exec, exec, s[6:7]
	s_and_saveexec_b64 s[6:7], s[4:5]
	s_cbranch_execz .LBB9_844
.LBB9_843:
	v_bfe_u32 v2, v8, 8, 3
	v_ffbh_u32_e32 v7, v2
	v_min_u32_e32 v7, 32, v7
	v_lshrrev_b16_e32 v6, 3, v3
	v_subrev_u32_e32 v12, 28, v7
	v_and_b32_e32 v6, 15, v6
	v_lshlrev_b32_e32 v3, v12, v3
	v_sub_u32_e32 v7, 29, v7
	v_and_b32_e32 v3, 7, v3
	v_cmp_eq_u16_e32 vcc, 0, v6
	v_cndmask_b32_e32 v2, v2, v3, vcc
	v_cndmask_b32_e32 v3, v6, v7, vcc
	v_lshlrev_b32_e32 v6, 16, v8
	v_mov_b32_e32 v7, 0x3b800000
	v_lshlrev_b32_e32 v2, 20, v2
	v_and_b32_e32 v6, 0x80000000, v6
	v_lshl_add_u32 v3, v3, 23, v7
	v_or3_b32 v2, v6, v3, v2
.LBB9_844:
	s_or_b64 exec, exec, s[6:7]
	v_lshrrev_b32_e32 v3, 8, v4
	s_movk_i32 s4, 0x7f
	v_cmp_gt_i16_sdwa s[6:7], v3, s4 src0_sel:BYTE_0 src1_sel:DWORD
	s_mov_b64 s[4:5], 0
                                        ; implicit-def: $sgpr10
	s_and_saveexec_b64 s[8:9], s[6:7]
	s_xor_b64 s[6:7], exec, s[8:9]
	s_cbranch_execnz .LBB9_2893
; %bb.845:
	s_or_saveexec_b64 s[6:7], s[6:7]
	v_mov_b32_e32 v6, s10
	s_xor_b64 exec, exec, s[6:7]
	s_cbranch_execnz .LBB9_2896
.LBB9_846:
	s_or_b64 exec, exec, s[6:7]
	s_and_saveexec_b64 s[6:7], s[4:5]
	s_cbranch_execz .LBB9_848
.LBB9_847:
	v_bfe_u32 v6, v4, 8, 3
	v_ffbh_u32_e32 v12, v6
	v_min_u32_e32 v12, 32, v12
	v_lshrrev_b16_e32 v7, 3, v3
	v_subrev_u32_e32 v13, 28, v12
	v_and_b32_e32 v7, 15, v7
	v_lshlrev_b32_e32 v3, v13, v3
	v_sub_u32_e32 v12, 29, v12
	v_and_b32_e32 v3, 7, v3
	v_cmp_eq_u16_e32 vcc, 0, v7
	v_cndmask_b32_e32 v3, v6, v3, vcc
	v_cndmask_b32_e32 v6, v7, v12, vcc
	v_lshlrev_b32_e32 v7, 16, v4
	v_mov_b32_e32 v12, 0x3b800000
	v_lshlrev_b32_e32 v3, 20, v3
	v_and_b32_e32 v7, 0x80000000, v7
	v_lshl_add_u32 v6, v6, 23, v12
	v_or3_b32 v6, v7, v6, v3
.LBB9_848:
	s_or_b64 exec, exec, s[6:7]
	s_nop 0
	v_mfma_f32_16x16x4f32 a[0:3], v2, v6, a[0:3]
	s_movk_i32 s4, 0xff
	v_and_b32_sdwa v3, v8, s4 dst_sel:DWORD dst_unused:UNUSED_PAD src0_sel:WORD_1 src1_sel:DWORD
	s_movk_i32 s4, 0x7f
	v_cmp_lt_i16_e32 vcc, s4, v3
	s_mov_b64 s[4:5], 0
                                        ; implicit-def: $sgpr10
	s_and_saveexec_b64 s[6:7], vcc
	s_xor_b64 s[6:7], exec, s[6:7]
	s_cbranch_execnz .LBB9_2897
; %bb.849:
	s_or_saveexec_b64 s[6:7], s[6:7]
	v_mov_b32_e32 v2, s10
	s_xor_b64 exec, exec, s[6:7]
	s_cbranch_execnz .LBB9_2900
.LBB9_850:
	s_or_b64 exec, exec, s[6:7]
	s_and_saveexec_b64 s[6:7], s[4:5]
	s_cbranch_execz .LBB9_852
.LBB9_851:
	v_bfe_u32 v2, v8, 16, 3
	v_ffbh_u32_e32 v7, v2
	v_min_u32_e32 v7, 32, v7
	v_lshrrev_b32_e32 v3, 19, v8
	v_subrev_u32_e32 v12, 28, v7
	v_and_b32_e32 v3, 15, v3
	v_lshlrev_b32_sdwa v12, v12, v8 dst_sel:DWORD dst_unused:UNUSED_PAD src0_sel:DWORD src1_sel:WORD_1
	v_bfe_u32 v6, v8, 19, 4
	v_sub_u32_e32 v7, 29, v7
	v_and_b32_e32 v12, 7, v12
	v_cmp_eq_u16_e32 vcc, 0, v3
	v_cndmask_b32_e32 v2, v2, v12, vcc
	v_cndmask_b32_e32 v3, v6, v7, vcc
	v_lshlrev_b32_e32 v6, 8, v8
	v_mov_b32_e32 v7, 0x3b800000
	v_lshlrev_b32_e32 v2, 20, v2
	v_and_b32_e32 v6, 0x80000000, v6
	v_lshl_add_u32 v3, v3, 23, v7
	v_or3_b32 v2, v6, v3, v2
.LBB9_852:
	s_or_b64 exec, exec, s[6:7]
	s_movk_i32 s4, 0xff
	v_and_b32_sdwa v3, v4, s4 dst_sel:DWORD dst_unused:UNUSED_PAD src0_sel:WORD_1 src1_sel:DWORD
	s_movk_i32 s4, 0x7f
	v_cmp_lt_i16_e32 vcc, s4, v3
	s_mov_b64 s[4:5], 0
                                        ; implicit-def: $sgpr10
	s_and_saveexec_b64 s[6:7], vcc
	s_xor_b64 s[6:7], exec, s[6:7]
	s_cbranch_execnz .LBB9_2901
; %bb.853:
	s_or_saveexec_b64 s[6:7], s[6:7]
	v_mov_b32_e32 v6, s10
	s_xor_b64 exec, exec, s[6:7]
	s_cbranch_execnz .LBB9_2904
.LBB9_854:
	s_or_b64 exec, exec, s[6:7]
	s_and_saveexec_b64 s[6:7], s[4:5]
	s_cbranch_execz .LBB9_856
.LBB9_855:
	v_bfe_u32 v3, v4, 16, 3
	v_ffbh_u32_e32 v12, v3
	v_min_u32_e32 v12, 32, v12
	v_lshrrev_b32_e32 v6, 19, v4
	v_subrev_u32_e32 v13, 28, v12
	v_and_b32_e32 v6, 15, v6
	v_lshlrev_b32_sdwa v13, v13, v4 dst_sel:DWORD dst_unused:UNUSED_PAD src0_sel:DWORD src1_sel:WORD_1
	v_bfe_u32 v7, v4, 19, 4
	v_sub_u32_e32 v12, 29, v12
	v_and_b32_e32 v13, 7, v13
	v_cmp_eq_u16_e32 vcc, 0, v6
	v_cndmask_b32_e32 v3, v3, v13, vcc
	v_cndmask_b32_e32 v6, v7, v12, vcc
	v_lshlrev_b32_e32 v7, 8, v4
	v_mov_b32_e32 v12, 0x3b800000
	v_lshlrev_b32_e32 v3, 20, v3
	v_and_b32_e32 v7, 0x80000000, v7
	v_lshl_add_u32 v6, v6, 23, v12
	v_or3_b32 v6, v7, v6, v3
.LBB9_856:
	s_or_b64 exec, exec, s[6:7]
	s_nop 0
	v_mfma_f32_16x16x4f32 a[0:3], v2, v6, a[0:3]
	s_movk_i32 s4, 0x7f
	v_cmp_gt_i16_sdwa s[6:7], v8, s4 src0_sel:BYTE_3 src1_sel:DWORD
	s_mov_b64 s[4:5], 0
                                        ; implicit-def: $sgpr10
	s_and_saveexec_b64 s[8:9], s[6:7]
	s_xor_b64 s[6:7], exec, s[8:9]
	s_cbranch_execnz .LBB9_2905
; %bb.857:
	s_or_saveexec_b64 s[6:7], s[6:7]
	v_mov_b32_e32 v2, s10
	s_xor_b64 exec, exec, s[6:7]
	s_cbranch_execnz .LBB9_2908
.LBB9_858:
	s_or_b64 exec, exec, s[6:7]
	s_and_saveexec_b64 s[6:7], s[4:5]
	s_cbranch_execz .LBB9_860
.LBB9_859:
	v_bfe_u32 v2, v8, 24, 3
	v_ffbh_u32_e32 v12, v2
	v_min_u32_e32 v12, 32, v12
	v_lshrrev_b32_e32 v6, 27, v8
	v_subrev_u32_e32 v13, 28, v12
	v_and_b32_e32 v3, 0x80000000, v8
	v_and_b32_e32 v6, 15, v6
	v_bfe_u32 v7, v8, 27, 4
	v_lshlrev_b32_sdwa v8, v13, v8 dst_sel:DWORD dst_unused:UNUSED_PAD src0_sel:DWORD src1_sel:BYTE_3
	v_sub_u32_e32 v12, 29, v12
	v_and_b32_e32 v8, 7, v8
	v_cmp_eq_u16_e32 vcc, 0, v6
	v_cndmask_b32_e32 v2, v2, v8, vcc
	v_cndmask_b32_e32 v6, v7, v12, vcc
	v_mov_b32_e32 v7, 0x3b800000
	v_lshlrev_b32_e32 v2, 20, v2
	v_lshl_add_u32 v6, v6, 23, v7
	v_or3_b32 v2, v3, v6, v2
.LBB9_860:
	s_or_b64 exec, exec, s[6:7]
	s_movk_i32 s4, 0x7f
	v_cmp_gt_i16_sdwa s[6:7], v4, s4 src0_sel:BYTE_3 src1_sel:DWORD
	s_mov_b64 s[4:5], 0
                                        ; implicit-def: $sgpr10
	s_and_saveexec_b64 s[8:9], s[6:7]
	s_xor_b64 s[6:7], exec, s[8:9]
	s_cbranch_execnz .LBB9_2909
; %bb.861:
	s_or_saveexec_b64 s[6:7], s[6:7]
	v_mov_b32_e32 v3, s10
	s_xor_b64 exec, exec, s[6:7]
	s_cbranch_execnz .LBB9_2912
.LBB9_862:
	s_or_b64 exec, exec, s[6:7]
	s_and_saveexec_b64 s[6:7], s[4:5]
	s_cbranch_execz .LBB9_864
.LBB9_863:
	v_bfe_u32 v3, v4, 24, 3
	v_ffbh_u32_e32 v12, v3
	v_min_u32_e32 v12, 32, v12
	v_lshrrev_b32_e32 v7, 27, v4
	v_subrev_u32_e32 v13, 28, v12
	v_and_b32_e32 v6, 0x80000000, v4
	v_and_b32_e32 v7, 15, v7
	v_bfe_u32 v8, v4, 27, 4
	v_lshlrev_b32_sdwa v4, v13, v4 dst_sel:DWORD dst_unused:UNUSED_PAD src0_sel:DWORD src1_sel:BYTE_3
	v_sub_u32_e32 v12, 29, v12
	v_and_b32_e32 v4, 7, v4
	v_cmp_eq_u16_e32 vcc, 0, v7
	v_cndmask_b32_e32 v3, v3, v4, vcc
	v_cndmask_b32_e32 v4, v8, v12, vcc
	v_mov_b32_e32 v7, 0x3b800000
	v_lshlrev_b32_e32 v3, 20, v3
	v_lshl_add_u32 v4, v4, 23, v7
	v_or3_b32 v3, v6, v4, v3
.LBB9_864:
	s_or_b64 exec, exec, s[6:7]
	s_nop 0
	v_mfma_f32_16x16x4f32 a[0:3], v2, v3, a[0:3]
	s_movk_i32 s4, 0x7f
	v_cmp_gt_i16_sdwa s[6:7], v9, s4 src0_sel:BYTE_0 src1_sel:DWORD
	s_mov_b64 s[4:5], 0
                                        ; implicit-def: $sgpr10
	s_and_saveexec_b64 s[8:9], s[6:7]
	s_xor_b64 s[6:7], exec, s[8:9]
	s_cbranch_execnz .LBB9_2913
; %bb.865:
	s_or_saveexec_b64 s[6:7], s[6:7]
	v_mov_b32_e32 v2, s10
	s_xor_b64 exec, exec, s[6:7]
	s_cbranch_execnz .LBB9_2916
.LBB9_866:
	s_or_b64 exec, exec, s[6:7]
	s_and_saveexec_b64 s[6:7], s[4:5]
	s_cbranch_execz .LBB9_868
.LBB9_867:
	v_mov_b32_e32 v2, 8
	v_and_b32_e32 v3, 7, v9
	v_lshrrev_b32_sdwa v2, v2, v9 dst_sel:BYTE_1 dst_unused:UNUSED_PAD src0_sel:DWORD src1_sel:DWORD
	v_ffbh_u32_e32 v4, v3
	v_or_b32_sdwa v2, v9, v2 dst_sel:DWORD dst_unused:UNUSED_PAD src0_sel:BYTE_0 src1_sel:DWORD
	v_min_u32_e32 v4, 32, v4
	v_lshrrev_b16_e32 v2, 3, v2
	v_subrev_u32_e32 v6, 28, v4
	v_and_b32_e32 v2, 15, v2
	v_lshlrev_b32_e32 v6, v6, v9
	v_sub_u32_e32 v4, 29, v4
	v_and_b32_e32 v6, 7, v6
	v_cmp_eq_u16_e32 vcc, 0, v2
	v_cndmask_b32_e32 v3, v3, v6, vcc
	v_cndmask_b32_e32 v2, v2, v4, vcc
	v_lshlrev_b32_e32 v4, 24, v9
	v_mov_b32_e32 v6, 0x3b800000
	v_lshlrev_b32_e32 v3, 20, v3
	v_and_b32_e32 v4, 0x80000000, v4
	v_lshl_add_u32 v2, v2, 23, v6
	v_or3_b32 v2, v4, v2, v3
.LBB9_868:
	s_or_b64 exec, exec, s[6:7]
	s_movk_i32 s4, 0x7f
	v_cmp_gt_i16_sdwa s[6:7], v5, s4 src0_sel:BYTE_0 src1_sel:DWORD
	s_mov_b64 s[4:5], 0
                                        ; implicit-def: $sgpr10
	s_and_saveexec_b64 s[8:9], s[6:7]
	s_xor_b64 s[6:7], exec, s[8:9]
	s_cbranch_execnz .LBB9_2917
; %bb.869:
	s_or_saveexec_b64 s[6:7], s[6:7]
	v_mov_b32_e32 v3, s10
	s_xor_b64 exec, exec, s[6:7]
	s_cbranch_execnz .LBB9_2920
.LBB9_870:
	s_or_b64 exec, exec, s[6:7]
	s_and_saveexec_b64 s[6:7], s[4:5]
	s_cbranch_execz .LBB9_872
.LBB9_871:
	v_mov_b32_e32 v3, 8
	v_and_b32_e32 v4, 7, v5
	v_lshrrev_b32_sdwa v3, v3, v5 dst_sel:BYTE_1 dst_unused:UNUSED_PAD src0_sel:DWORD src1_sel:DWORD
	v_ffbh_u32_e32 v6, v4
	v_or_b32_sdwa v3, v5, v3 dst_sel:DWORD dst_unused:UNUSED_PAD src0_sel:BYTE_0 src1_sel:DWORD
	v_min_u32_e32 v6, 32, v6
	v_lshrrev_b16_e32 v3, 3, v3
	v_subrev_u32_e32 v7, 28, v6
	v_and_b32_e32 v3, 15, v3
	v_lshlrev_b32_e32 v7, v7, v5
	v_sub_u32_e32 v6, 29, v6
	v_and_b32_e32 v7, 7, v7
	v_cmp_eq_u16_e32 vcc, 0, v3
	v_cndmask_b32_e32 v4, v4, v7, vcc
	v_cndmask_b32_e32 v3, v3, v6, vcc
	v_lshlrev_b32_e32 v6, 24, v5
	v_mov_b32_e32 v7, 0x3b800000
	v_lshlrev_b32_e32 v4, 20, v4
	v_and_b32_e32 v6, 0x80000000, v6
	v_lshl_add_u32 v3, v3, 23, v7
	v_or3_b32 v3, v6, v3, v4
.LBB9_872:
	s_or_b64 exec, exec, s[6:7]
	s_nop 0
	v_mfma_f32_16x16x4f32 a[0:3], v2, v3, a[0:3]
	v_lshrrev_b32_e32 v3, 8, v9
	s_movk_i32 s4, 0x7f
	v_cmp_gt_i16_sdwa s[6:7], v3, s4 src0_sel:BYTE_0 src1_sel:DWORD
	s_mov_b64 s[4:5], 0
                                        ; implicit-def: $sgpr10
	s_and_saveexec_b64 s[8:9], s[6:7]
	s_xor_b64 s[6:7], exec, s[8:9]
	s_cbranch_execnz .LBB9_2921
; %bb.873:
	s_or_saveexec_b64 s[6:7], s[6:7]
	v_mov_b32_e32 v2, s10
	s_xor_b64 exec, exec, s[6:7]
	s_cbranch_execnz .LBB9_2924
.LBB9_874:
	s_or_b64 exec, exec, s[6:7]
	s_and_saveexec_b64 s[6:7], s[4:5]
	s_cbranch_execz .LBB9_876
.LBB9_875:
	v_bfe_u32 v2, v9, 8, 3
	v_ffbh_u32_e32 v6, v2
	v_min_u32_e32 v6, 32, v6
	v_lshrrev_b16_e32 v4, 3, v3
	v_subrev_u32_e32 v7, 28, v6
	v_and_b32_e32 v4, 15, v4
	v_lshlrev_b32_e32 v3, v7, v3
	v_sub_u32_e32 v6, 29, v6
	v_and_b32_e32 v3, 7, v3
	v_cmp_eq_u16_e32 vcc, 0, v4
	v_cndmask_b32_e32 v2, v2, v3, vcc
	v_cndmask_b32_e32 v3, v4, v6, vcc
	v_lshlrev_b32_e32 v4, 16, v9
	v_mov_b32_e32 v6, 0x3b800000
	v_lshlrev_b32_e32 v2, 20, v2
	v_and_b32_e32 v4, 0x80000000, v4
	v_lshl_add_u32 v3, v3, 23, v6
	v_or3_b32 v2, v4, v3, v2
.LBB9_876:
	s_or_b64 exec, exec, s[6:7]
	v_lshrrev_b32_e32 v3, 8, v5
	s_movk_i32 s4, 0x7f
	v_cmp_gt_i16_sdwa s[6:7], v3, s4 src0_sel:BYTE_0 src1_sel:DWORD
	s_mov_b64 s[4:5], 0
                                        ; implicit-def: $sgpr10
	s_and_saveexec_b64 s[8:9], s[6:7]
	s_xor_b64 s[6:7], exec, s[8:9]
	s_cbranch_execnz .LBB9_2925
; %bb.877:
	s_or_saveexec_b64 s[6:7], s[6:7]
	v_mov_b32_e32 v4, s10
	s_xor_b64 exec, exec, s[6:7]
	s_cbranch_execnz .LBB9_2928
.LBB9_878:
	s_or_b64 exec, exec, s[6:7]
	s_and_saveexec_b64 s[6:7], s[4:5]
	s_cbranch_execz .LBB9_880
.LBB9_879:
	v_bfe_u32 v4, v5, 8, 3
	v_ffbh_u32_e32 v7, v4
	v_min_u32_e32 v7, 32, v7
	v_lshrrev_b16_e32 v6, 3, v3
	v_subrev_u32_e32 v8, 28, v7
	v_and_b32_e32 v6, 15, v6
	v_lshlrev_b32_e32 v3, v8, v3
	v_sub_u32_e32 v7, 29, v7
	v_and_b32_e32 v3, 7, v3
	v_cmp_eq_u16_e32 vcc, 0, v6
	v_cndmask_b32_e32 v3, v4, v3, vcc
	v_cndmask_b32_e32 v4, v6, v7, vcc
	v_lshlrev_b32_e32 v6, 16, v5
	v_mov_b32_e32 v7, 0x3b800000
	v_lshlrev_b32_e32 v3, 20, v3
	v_and_b32_e32 v6, 0x80000000, v6
	v_lshl_add_u32 v4, v4, 23, v7
	v_or3_b32 v4, v6, v4, v3
.LBB9_880:
	s_or_b64 exec, exec, s[6:7]
	s_nop 0
	v_mfma_f32_16x16x4f32 a[0:3], v2, v4, a[0:3]
	s_movk_i32 s4, 0xff
	v_and_b32_sdwa v3, v9, s4 dst_sel:DWORD dst_unused:UNUSED_PAD src0_sel:WORD_1 src1_sel:DWORD
	s_movk_i32 s4, 0x7f
	v_cmp_lt_i16_e32 vcc, s4, v3
	s_mov_b64 s[4:5], 0
                                        ; implicit-def: $sgpr10
	s_and_saveexec_b64 s[6:7], vcc
	s_xor_b64 s[6:7], exec, s[6:7]
	s_cbranch_execnz .LBB9_2929
; %bb.881:
	s_or_saveexec_b64 s[6:7], s[6:7]
	v_mov_b32_e32 v2, s10
	s_xor_b64 exec, exec, s[6:7]
	s_cbranch_execnz .LBB9_2932
.LBB9_882:
	s_or_b64 exec, exec, s[6:7]
	s_and_saveexec_b64 s[6:7], s[4:5]
	s_cbranch_execz .LBB9_884
.LBB9_883:
	v_bfe_u32 v2, v9, 16, 3
	v_ffbh_u32_e32 v6, v2
	v_min_u32_e32 v6, 32, v6
	v_lshrrev_b32_e32 v3, 19, v9
	v_subrev_u32_e32 v7, 28, v6
	v_and_b32_e32 v3, 15, v3
	v_lshlrev_b32_sdwa v7, v7, v9 dst_sel:DWORD dst_unused:UNUSED_PAD src0_sel:DWORD src1_sel:WORD_1
	v_bfe_u32 v4, v9, 19, 4
	v_sub_u32_e32 v6, 29, v6
	v_and_b32_e32 v7, 7, v7
	v_cmp_eq_u16_e32 vcc, 0, v3
	v_cndmask_b32_e32 v2, v2, v7, vcc
	v_cndmask_b32_e32 v3, v4, v6, vcc
	v_lshlrev_b32_e32 v4, 8, v9
	v_mov_b32_e32 v6, 0x3b800000
	v_lshlrev_b32_e32 v2, 20, v2
	v_and_b32_e32 v4, 0x80000000, v4
	v_lshl_add_u32 v3, v3, 23, v6
	v_or3_b32 v2, v4, v3, v2
.LBB9_884:
	s_or_b64 exec, exec, s[6:7]
	s_movk_i32 s4, 0xff
	v_and_b32_sdwa v3, v5, s4 dst_sel:DWORD dst_unused:UNUSED_PAD src0_sel:WORD_1 src1_sel:DWORD
	s_movk_i32 s4, 0x7f
	v_cmp_lt_i16_e32 vcc, s4, v3
	s_mov_b64 s[4:5], 0
                                        ; implicit-def: $sgpr10
	s_and_saveexec_b64 s[6:7], vcc
	s_xor_b64 s[6:7], exec, s[6:7]
	s_cbranch_execnz .LBB9_2933
; %bb.885:
	s_or_saveexec_b64 s[6:7], s[6:7]
	v_mov_b32_e32 v4, s10
	s_xor_b64 exec, exec, s[6:7]
	s_cbranch_execnz .LBB9_2936
.LBB9_886:
	s_or_b64 exec, exec, s[6:7]
	s_and_saveexec_b64 s[6:7], s[4:5]
	s_cbranch_execz .LBB9_888
.LBB9_887:
	v_bfe_u32 v3, v5, 16, 3
	v_ffbh_u32_e32 v7, v3
	v_min_u32_e32 v7, 32, v7
	v_lshrrev_b32_e32 v4, 19, v5
	v_subrev_u32_e32 v8, 28, v7
	v_and_b32_e32 v4, 15, v4
	v_lshlrev_b32_sdwa v8, v8, v5 dst_sel:DWORD dst_unused:UNUSED_PAD src0_sel:DWORD src1_sel:WORD_1
	v_bfe_u32 v6, v5, 19, 4
	v_sub_u32_e32 v7, 29, v7
	v_and_b32_e32 v8, 7, v8
	v_cmp_eq_u16_e32 vcc, 0, v4
	v_cndmask_b32_e32 v3, v3, v8, vcc
	v_cndmask_b32_e32 v4, v6, v7, vcc
	v_lshlrev_b32_e32 v6, 8, v5
	v_mov_b32_e32 v7, 0x3b800000
	v_lshlrev_b32_e32 v3, 20, v3
	v_and_b32_e32 v6, 0x80000000, v6
	v_lshl_add_u32 v4, v4, 23, v7
	v_or3_b32 v4, v6, v4, v3
.LBB9_888:
	s_or_b64 exec, exec, s[6:7]
	s_nop 0
	v_mfma_f32_16x16x4f32 a[0:3], v2, v4, a[0:3]
	s_movk_i32 s4, 0x7f
	v_cmp_gt_i16_sdwa s[6:7], v9, s4 src0_sel:BYTE_3 src1_sel:DWORD
	s_mov_b64 s[4:5], 0
                                        ; implicit-def: $sgpr10
	s_and_saveexec_b64 s[8:9], s[6:7]
	s_xor_b64 s[6:7], exec, s[8:9]
	s_cbranch_execnz .LBB9_2937
; %bb.889:
	s_or_saveexec_b64 s[6:7], s[6:7]
	v_mov_b32_e32 v2, s10
	s_xor_b64 exec, exec, s[6:7]
	s_cbranch_execnz .LBB9_2940
.LBB9_890:
	s_or_b64 exec, exec, s[6:7]
	s_and_saveexec_b64 s[6:7], s[4:5]
	s_cbranch_execz .LBB9_892
.LBB9_891:
	v_bfe_u32 v2, v9, 24, 3
	v_ffbh_u32_e32 v7, v2
	v_min_u32_e32 v7, 32, v7
	v_lshrrev_b32_e32 v4, 27, v9
	v_subrev_u32_e32 v8, 28, v7
	v_and_b32_e32 v4, 15, v4
	v_lshlrev_b32_sdwa v8, v8, v9 dst_sel:DWORD dst_unused:UNUSED_PAD src0_sel:DWORD src1_sel:BYTE_3
	v_bfe_u32 v6, v9, 27, 4
	v_sub_u32_e32 v7, 29, v7
	v_and_b32_e32 v8, 7, v8
	v_cmp_eq_u16_e32 vcc, 0, v4
	v_cndmask_b32_e32 v2, v2, v8, vcc
	v_cndmask_b32_e32 v4, v6, v7, vcc
	v_mov_b32_e32 v6, 0x3b800000
	v_and_b32_e32 v3, 0x80000000, v9
	v_lshlrev_b32_e32 v2, 20, v2
	v_lshl_add_u32 v4, v4, 23, v6
	v_or3_b32 v2, v3, v4, v2
.LBB9_892:
	s_or_b64 exec, exec, s[6:7]
	s_movk_i32 s4, 0x7f
	v_cmp_gt_i16_sdwa s[6:7], v5, s4 src0_sel:BYTE_3 src1_sel:DWORD
	s_mov_b64 s[4:5], 0
                                        ; implicit-def: $sgpr10
	s_and_saveexec_b64 s[8:9], s[6:7]
	s_xor_b64 s[6:7], exec, s[8:9]
	s_cbranch_execnz .LBB9_2941
; %bb.893:
	s_or_saveexec_b64 s[6:7], s[6:7]
	v_mov_b32_e32 v3, s10
	s_xor_b64 exec, exec, s[6:7]
	s_cbranch_execnz .LBB9_2944
.LBB9_894:
	s_or_b64 exec, exec, s[6:7]
	s_and_saveexec_b64 s[6:7], s[4:5]
	s_cbranch_execz .LBB9_896
.LBB9_895:
	v_bfe_u32 v3, v5, 24, 3
	v_ffbh_u32_e32 v8, v3
	v_min_u32_e32 v8, 32, v8
	v_lshrrev_b32_e32 v6, 27, v5
	v_subrev_u32_e32 v9, 28, v8
	v_and_b32_e32 v4, 0x80000000, v5
	v_and_b32_e32 v6, 15, v6
	v_bfe_u32 v7, v5, 27, 4
	v_lshlrev_b32_sdwa v5, v9, v5 dst_sel:DWORD dst_unused:UNUSED_PAD src0_sel:DWORD src1_sel:BYTE_3
	v_sub_u32_e32 v8, 29, v8
	v_and_b32_e32 v5, 7, v5
	v_cmp_eq_u16_e32 vcc, 0, v6
	v_cndmask_b32_e32 v3, v3, v5, vcc
	v_cndmask_b32_e32 v5, v7, v8, vcc
	v_mov_b32_e32 v6, 0x3b800000
	v_lshlrev_b32_e32 v3, 20, v3
	v_lshl_add_u32 v5, v5, 23, v6
	v_or3_b32 v3, v4, v5, v3
.LBB9_896:
	s_or_b64 exec, exec, s[6:7]
	s_nop 0
	v_mfma_f32_16x16x4f32 a[0:3], v2, v3, a[0:3]
	s_movk_i32 s4, 0x7f
                                        ; implicit-def: $sgpr10
	s_nop 7
	s_nop 1
	flat_store_dwordx4 v[10:11], a[0:3] offset:96
	flat_load_dwordx4 v[12:15], v[0:1] offset:8
	s_nop 0
	flat_load_dwordx2 v[10:11], v[0:1] offset:32
	s_waitcnt vmcnt(0) lgkmcnt(0)
	flat_load_dwordx4 v[6:9], v[12:13] offset:48
	flat_load_dwordx4 v[2:5], v[14:15] offset:112
	s_waitcnt vmcnt(0) lgkmcnt(0)
	v_cmp_gt_i16_sdwa s[6:7], v6, s4 src0_sel:BYTE_0 src1_sel:DWORD
	s_mov_b64 s[4:5], 0
	s_and_saveexec_b64 s[8:9], s[6:7]
	s_xor_b64 s[6:7], exec, s[8:9]
	s_cbranch_execnz .LBB9_2945
; %bb.897:
	s_or_saveexec_b64 s[6:7], s[6:7]
	v_mov_b32_e32 v12, s10
	s_xor_b64 exec, exec, s[6:7]
	s_cbranch_execnz .LBB9_2948
.LBB9_898:
	s_or_b64 exec, exec, s[6:7]
	s_and_saveexec_b64 s[6:7], s[4:5]
	s_cbranch_execz .LBB9_900
.LBB9_899:
	v_and_b32_e32 v12, 7, v6
	v_ffbh_u32_e32 v14, v12
	v_min_u32_e32 v14, 32, v14
	v_lshrrev_b16_e32 v13, 3, v6
	v_subrev_u32_e32 v15, 28, v14
	v_and_b32_e32 v13, 15, v13
	v_lshlrev_b32_e32 v15, v15, v6
	v_sub_u32_e32 v14, 29, v14
	v_and_b32_e32 v15, 7, v15
	v_cmp_eq_u16_e32 vcc, 0, v13
	v_cndmask_b32_e32 v12, v12, v15, vcc
	v_cndmask_b32_e32 v13, v13, v14, vcc
	v_lshlrev_b32_e32 v14, 24, v6
	v_mov_b32_e32 v15, 0x3b800000
	v_lshlrev_b32_e32 v12, 20, v12
	v_and_b32_e32 v14, 0x80000000, v14
	v_lshl_add_u32 v13, v13, 23, v15
	v_or3_b32 v12, v14, v13, v12
.LBB9_900:
	s_or_b64 exec, exec, s[6:7]
	s_movk_i32 s4, 0x7f
	v_cmp_gt_i16_sdwa s[6:7], v2, s4 src0_sel:BYTE_0 src1_sel:DWORD
	s_mov_b64 s[4:5], 0
                                        ; implicit-def: $sgpr10
	s_and_saveexec_b64 s[8:9], s[6:7]
	s_xor_b64 s[6:7], exec, s[8:9]
	s_cbranch_execnz .LBB9_2949
; %bb.901:
	s_or_saveexec_b64 s[6:7], s[6:7]
	v_mov_b32_e32 v13, s10
	s_xor_b64 exec, exec, s[6:7]
	s_cbranch_execnz .LBB9_2952
.LBB9_902:
	s_or_b64 exec, exec, s[6:7]
	s_and_saveexec_b64 s[6:7], s[4:5]
	s_cbranch_execz .LBB9_904
.LBB9_903:
	v_and_b32_e32 v13, 7, v2
	v_ffbh_u32_e32 v15, v13
	v_min_u32_e32 v15, 32, v15
	v_lshrrev_b16_e32 v14, 3, v2
	v_subrev_u32_e32 v16, 28, v15
	v_and_b32_e32 v14, 15, v14
	v_lshlrev_b32_e32 v16, v16, v2
	v_sub_u32_e32 v15, 29, v15
	v_and_b32_e32 v16, 7, v16
	v_cmp_eq_u16_e32 vcc, 0, v14
	v_cndmask_b32_e32 v13, v13, v16, vcc
	v_cndmask_b32_e32 v14, v14, v15, vcc
	v_lshlrev_b32_e32 v15, 24, v2
	v_mov_b32_e32 v16, 0x3b800000
	v_lshlrev_b32_e32 v13, 20, v13
	v_and_b32_e32 v15, 0x80000000, v15
	v_lshl_add_u32 v14, v14, 23, v16
	v_or3_b32 v13, v15, v14, v13
.LBB9_904:
	s_or_b64 exec, exec, s[6:7]
	flat_load_dwordx4 a[0:3], v[10:11] offset:112
	s_movk_i32 s4, 0x7f
                                        ; implicit-def: $sgpr10
	s_waitcnt vmcnt(0) lgkmcnt(0)
	v_mfma_f32_16x16x4f32 a[0:3], v12, v13, a[0:3]
	v_lshrrev_b32_e32 v13, 8, v6
	v_cmp_gt_i16_sdwa s[6:7], v13, s4 src0_sel:BYTE_0 src1_sel:DWORD
	s_mov_b64 s[4:5], 0
	s_and_saveexec_b64 s[8:9], s[6:7]
	s_xor_b64 s[6:7], exec, s[8:9]
	s_cbranch_execnz .LBB9_2953
; %bb.905:
	s_or_saveexec_b64 s[6:7], s[6:7]
	v_mov_b32_e32 v12, s10
	s_xor_b64 exec, exec, s[6:7]
	s_cbranch_execnz .LBB9_2956
.LBB9_906:
	s_or_b64 exec, exec, s[6:7]
	s_and_saveexec_b64 s[6:7], s[4:5]
	s_cbranch_execz .LBB9_908
.LBB9_907:
	v_bfe_u32 v12, v6, 8, 3
	v_ffbh_u32_e32 v15, v12
	v_min_u32_e32 v15, 32, v15
	v_lshrrev_b16_e32 v14, 3, v13
	v_subrev_u32_e32 v16, 28, v15
	v_and_b32_e32 v14, 15, v14
	v_lshlrev_b32_e32 v13, v16, v13
	v_sub_u32_e32 v15, 29, v15
	v_and_b32_e32 v13, 7, v13
	v_cmp_eq_u16_e32 vcc, 0, v14
	v_cndmask_b32_e32 v12, v12, v13, vcc
	v_cndmask_b32_e32 v13, v14, v15, vcc
	v_lshlrev_b32_e32 v14, 16, v6
	v_mov_b32_e32 v15, 0x3b800000
	v_lshlrev_b32_e32 v12, 20, v12
	v_and_b32_e32 v14, 0x80000000, v14
	v_lshl_add_u32 v13, v13, 23, v15
	v_or3_b32 v12, v14, v13, v12
.LBB9_908:
	s_or_b64 exec, exec, s[6:7]
	v_lshrrev_b32_e32 v13, 8, v2
	s_movk_i32 s4, 0x7f
	v_cmp_gt_i16_sdwa s[6:7], v13, s4 src0_sel:BYTE_0 src1_sel:DWORD
	s_mov_b64 s[4:5], 0
                                        ; implicit-def: $sgpr10
	s_and_saveexec_b64 s[8:9], s[6:7]
	s_xor_b64 s[6:7], exec, s[8:9]
	s_cbranch_execnz .LBB9_2957
; %bb.909:
	s_or_saveexec_b64 s[6:7], s[6:7]
	v_mov_b32_e32 v14, s10
	s_xor_b64 exec, exec, s[6:7]
	s_cbranch_execnz .LBB9_2960
.LBB9_910:
	s_or_b64 exec, exec, s[6:7]
	s_and_saveexec_b64 s[6:7], s[4:5]
	s_cbranch_execz .LBB9_912
.LBB9_911:
	v_bfe_u32 v14, v2, 8, 3
	v_ffbh_u32_e32 v16, v14
	v_min_u32_e32 v16, 32, v16
	v_lshrrev_b16_e32 v15, 3, v13
	v_subrev_u32_e32 v17, 28, v16
	v_and_b32_e32 v15, 15, v15
	v_lshlrev_b32_e32 v13, v17, v13
	v_sub_u32_e32 v16, 29, v16
	v_and_b32_e32 v13, 7, v13
	v_cmp_eq_u16_e32 vcc, 0, v15
	v_cndmask_b32_e32 v13, v14, v13, vcc
	v_cndmask_b32_e32 v14, v15, v16, vcc
	v_lshlrev_b32_e32 v15, 16, v2
	v_mov_b32_e32 v16, 0x3b800000
	v_lshlrev_b32_e32 v13, 20, v13
	v_and_b32_e32 v15, 0x80000000, v15
	v_lshl_add_u32 v14, v14, 23, v16
	v_or3_b32 v14, v15, v14, v13
.LBB9_912:
	s_or_b64 exec, exec, s[6:7]
	s_nop 0
	v_mfma_f32_16x16x4f32 a[0:3], v12, v14, a[0:3]
	s_movk_i32 s4, 0xff
	v_and_b32_sdwa v13, v6, s4 dst_sel:DWORD dst_unused:UNUSED_PAD src0_sel:WORD_1 src1_sel:DWORD
	s_movk_i32 s4, 0x7f
	v_cmp_lt_i16_e32 vcc, s4, v13
	s_mov_b64 s[4:5], 0
                                        ; implicit-def: $sgpr10
	s_and_saveexec_b64 s[6:7], vcc
	s_xor_b64 s[6:7], exec, s[6:7]
	s_cbranch_execnz .LBB9_2961
; %bb.913:
	s_or_saveexec_b64 s[6:7], s[6:7]
	v_mov_b32_e32 v12, s10
	s_xor_b64 exec, exec, s[6:7]
	s_cbranch_execnz .LBB9_2964
.LBB9_914:
	s_or_b64 exec, exec, s[6:7]
	s_and_saveexec_b64 s[6:7], s[4:5]
	s_cbranch_execz .LBB9_916
.LBB9_915:
	v_bfe_u32 v12, v6, 16, 3
	v_ffbh_u32_e32 v15, v12
	v_min_u32_e32 v15, 32, v15
	v_lshrrev_b32_e32 v13, 19, v6
	v_subrev_u32_e32 v16, 28, v15
	v_and_b32_e32 v13, 15, v13
	v_lshlrev_b32_sdwa v16, v16, v6 dst_sel:DWORD dst_unused:UNUSED_PAD src0_sel:DWORD src1_sel:WORD_1
	v_bfe_u32 v14, v6, 19, 4
	v_sub_u32_e32 v15, 29, v15
	v_and_b32_e32 v16, 7, v16
	v_cmp_eq_u16_e32 vcc, 0, v13
	v_cndmask_b32_e32 v12, v12, v16, vcc
	v_cndmask_b32_e32 v13, v14, v15, vcc
	v_lshlrev_b32_e32 v14, 8, v6
	v_mov_b32_e32 v15, 0x3b800000
	v_lshlrev_b32_e32 v12, 20, v12
	v_and_b32_e32 v14, 0x80000000, v14
	v_lshl_add_u32 v13, v13, 23, v15
	v_or3_b32 v12, v14, v13, v12
.LBB9_916:
	s_or_b64 exec, exec, s[6:7]
	s_movk_i32 s4, 0xff
	v_and_b32_sdwa v13, v2, s4 dst_sel:DWORD dst_unused:UNUSED_PAD src0_sel:WORD_1 src1_sel:DWORD
	s_movk_i32 s4, 0x7f
	v_cmp_lt_i16_e32 vcc, s4, v13
	s_mov_b64 s[4:5], 0
                                        ; implicit-def: $sgpr10
	s_and_saveexec_b64 s[6:7], vcc
	s_xor_b64 s[6:7], exec, s[6:7]
	s_cbranch_execnz .LBB9_2965
; %bb.917:
	s_or_saveexec_b64 s[6:7], s[6:7]
	v_mov_b32_e32 v14, s10
	s_xor_b64 exec, exec, s[6:7]
	s_cbranch_execnz .LBB9_2968
.LBB9_918:
	s_or_b64 exec, exec, s[6:7]
	s_and_saveexec_b64 s[6:7], s[4:5]
	s_cbranch_execz .LBB9_920
.LBB9_919:
	v_bfe_u32 v13, v2, 16, 3
	v_ffbh_u32_e32 v16, v13
	v_min_u32_e32 v16, 32, v16
	v_lshrrev_b32_e32 v14, 19, v2
	v_subrev_u32_e32 v17, 28, v16
	v_and_b32_e32 v14, 15, v14
	v_lshlrev_b32_sdwa v17, v17, v2 dst_sel:DWORD dst_unused:UNUSED_PAD src0_sel:DWORD src1_sel:WORD_1
	v_bfe_u32 v15, v2, 19, 4
	v_sub_u32_e32 v16, 29, v16
	v_and_b32_e32 v17, 7, v17
	v_cmp_eq_u16_e32 vcc, 0, v14
	v_cndmask_b32_e32 v13, v13, v17, vcc
	v_cndmask_b32_e32 v14, v15, v16, vcc
	v_lshlrev_b32_e32 v15, 8, v2
	v_mov_b32_e32 v16, 0x3b800000
	v_lshlrev_b32_e32 v13, 20, v13
	v_and_b32_e32 v15, 0x80000000, v15
	v_lshl_add_u32 v14, v14, 23, v16
	v_or3_b32 v14, v15, v14, v13
.LBB9_920:
	s_or_b64 exec, exec, s[6:7]
	s_nop 0
	v_mfma_f32_16x16x4f32 a[0:3], v12, v14, a[0:3]
	s_movk_i32 s4, 0x7f
	v_cmp_gt_i16_sdwa s[6:7], v6, s4 src0_sel:BYTE_3 src1_sel:DWORD
	s_mov_b64 s[4:5], 0
                                        ; implicit-def: $sgpr10
	s_and_saveexec_b64 s[8:9], s[6:7]
	s_xor_b64 s[6:7], exec, s[8:9]
	s_cbranch_execnz .LBB9_2969
; %bb.921:
	s_or_saveexec_b64 s[6:7], s[6:7]
	v_mov_b32_e32 v12, s10
	s_xor_b64 exec, exec, s[6:7]
	s_cbranch_execnz .LBB9_2972
.LBB9_922:
	s_or_b64 exec, exec, s[6:7]
	s_and_saveexec_b64 s[6:7], s[4:5]
	s_cbranch_execz .LBB9_924
.LBB9_923:
	v_bfe_u32 v12, v6, 24, 3
	v_ffbh_u32_e32 v16, v12
	v_min_u32_e32 v16, 32, v16
	v_lshrrev_b32_e32 v14, 27, v6
	v_subrev_u32_e32 v17, 28, v16
	v_and_b32_e32 v13, 0x80000000, v6
	v_and_b32_e32 v14, 15, v14
	v_bfe_u32 v15, v6, 27, 4
	v_lshlrev_b32_sdwa v6, v17, v6 dst_sel:DWORD dst_unused:UNUSED_PAD src0_sel:DWORD src1_sel:BYTE_3
	v_sub_u32_e32 v16, 29, v16
	v_and_b32_e32 v6, 7, v6
	v_cmp_eq_u16_e32 vcc, 0, v14
	v_cndmask_b32_e32 v6, v12, v6, vcc
	v_cndmask_b32_e32 v12, v15, v16, vcc
	v_mov_b32_e32 v14, 0x3b800000
	v_lshlrev_b32_e32 v6, 20, v6
	v_lshl_add_u32 v12, v12, 23, v14
	v_or3_b32 v12, v13, v12, v6
.LBB9_924:
	s_or_b64 exec, exec, s[6:7]
	s_movk_i32 s4, 0x7f
	v_cmp_gt_i16_sdwa s[6:7], v2, s4 src0_sel:BYTE_3 src1_sel:DWORD
	s_mov_b64 s[4:5], 0
                                        ; implicit-def: $sgpr10
	s_and_saveexec_b64 s[8:9], s[6:7]
	s_xor_b64 s[6:7], exec, s[8:9]
	s_cbranch_execnz .LBB9_2973
; %bb.925:
	s_or_saveexec_b64 s[6:7], s[6:7]
	v_mov_b32_e32 v6, s10
	s_xor_b64 exec, exec, s[6:7]
	s_cbranch_execnz .LBB9_2976
.LBB9_926:
	s_or_b64 exec, exec, s[6:7]
	s_and_saveexec_b64 s[6:7], s[4:5]
	s_cbranch_execz .LBB9_928
.LBB9_927:
	v_bfe_u32 v6, v2, 24, 3
	v_ffbh_u32_e32 v16, v6
	v_min_u32_e32 v16, 32, v16
	v_lshrrev_b32_e32 v14, 27, v2
	v_subrev_u32_e32 v17, 28, v16
	v_and_b32_e32 v13, 0x80000000, v2
	v_and_b32_e32 v14, 15, v14
	v_bfe_u32 v15, v2, 27, 4
	v_lshlrev_b32_sdwa v2, v17, v2 dst_sel:DWORD dst_unused:UNUSED_PAD src0_sel:DWORD src1_sel:BYTE_3
	v_sub_u32_e32 v16, 29, v16
	v_and_b32_e32 v2, 7, v2
	v_cmp_eq_u16_e32 vcc, 0, v14
	v_cndmask_b32_e32 v2, v6, v2, vcc
	v_cndmask_b32_e32 v6, v15, v16, vcc
	v_mov_b32_e32 v14, 0x3b800000
	v_lshlrev_b32_e32 v2, 20, v2
	v_lshl_add_u32 v6, v6, 23, v14
	v_or3_b32 v6, v13, v6, v2
.LBB9_928:
	s_or_b64 exec, exec, s[6:7]
	s_nop 0
	v_mfma_f32_16x16x4f32 a[0:3], v12, v6, a[0:3]
	s_movk_i32 s4, 0x7f
	v_cmp_gt_i16_sdwa s[6:7], v7, s4 src0_sel:BYTE_0 src1_sel:DWORD
	s_mov_b64 s[4:5], 0
                                        ; implicit-def: $sgpr10
	s_and_saveexec_b64 s[8:9], s[6:7]
	s_xor_b64 s[6:7], exec, s[8:9]
	s_cbranch_execnz .LBB9_2977
; %bb.929:
	s_or_saveexec_b64 s[6:7], s[6:7]
	v_mov_b32_e32 v2, s10
	s_xor_b64 exec, exec, s[6:7]
	s_cbranch_execnz .LBB9_2980
.LBB9_930:
	s_or_b64 exec, exec, s[6:7]
	s_and_saveexec_b64 s[6:7], s[4:5]
	s_cbranch_execz .LBB9_932
.LBB9_931:
	v_and_b32_e32 v2, 7, v7
	v_ffbh_u32_e32 v12, v2
	v_min_u32_e32 v12, 32, v12
	v_lshrrev_b16_e32 v6, 3, v7
	v_subrev_u32_e32 v13, 28, v12
	v_and_b32_e32 v6, 15, v6
	v_lshlrev_b32_e32 v13, v13, v7
	v_sub_u32_e32 v12, 29, v12
	v_and_b32_e32 v13, 7, v13
	v_cmp_eq_u16_e32 vcc, 0, v6
	v_cndmask_b32_e32 v2, v2, v13, vcc
	v_cndmask_b32_e32 v6, v6, v12, vcc
	v_lshlrev_b32_e32 v12, 24, v7
	v_mov_b32_e32 v13, 0x3b800000
	v_lshlrev_b32_e32 v2, 20, v2
	v_and_b32_e32 v12, 0x80000000, v12
	v_lshl_add_u32 v6, v6, 23, v13
	v_or3_b32 v2, v12, v6, v2
.LBB9_932:
	s_or_b64 exec, exec, s[6:7]
	s_movk_i32 s4, 0x7f
	v_cmp_gt_i16_sdwa s[6:7], v3, s4 src0_sel:BYTE_0 src1_sel:DWORD
	s_mov_b64 s[4:5], 0
                                        ; implicit-def: $sgpr10
	s_and_saveexec_b64 s[8:9], s[6:7]
	s_xor_b64 s[6:7], exec, s[8:9]
	s_cbranch_execnz .LBB9_2981
; %bb.933:
	s_or_saveexec_b64 s[6:7], s[6:7]
	v_mov_b32_e32 v6, s10
	s_xor_b64 exec, exec, s[6:7]
	s_cbranch_execnz .LBB9_2984
.LBB9_934:
	s_or_b64 exec, exec, s[6:7]
	s_and_saveexec_b64 s[6:7], s[4:5]
	s_cbranch_execz .LBB9_936
.LBB9_935:
	v_and_b32_e32 v6, 7, v3
	v_ffbh_u32_e32 v13, v6
	v_min_u32_e32 v13, 32, v13
	v_lshrrev_b16_e32 v12, 3, v3
	v_subrev_u32_e32 v14, 28, v13
	v_and_b32_e32 v12, 15, v12
	v_lshlrev_b32_e32 v14, v14, v3
	v_sub_u32_e32 v13, 29, v13
	v_and_b32_e32 v14, 7, v14
	v_cmp_eq_u16_e32 vcc, 0, v12
	v_cndmask_b32_e32 v6, v6, v14, vcc
	v_cndmask_b32_e32 v12, v12, v13, vcc
	v_lshlrev_b32_e32 v13, 24, v3
	v_mov_b32_e32 v14, 0x3b800000
	v_lshlrev_b32_e32 v6, 20, v6
	v_and_b32_e32 v13, 0x80000000, v13
	v_lshl_add_u32 v12, v12, 23, v14
	v_or3_b32 v6, v13, v12, v6
.LBB9_936:
	s_or_b64 exec, exec, s[6:7]
	s_nop 0
	v_mfma_f32_16x16x4f32 a[0:3], v2, v6, a[0:3]
	v_lshrrev_b32_e32 v6, 8, v7
	s_movk_i32 s4, 0x7f
	v_cmp_gt_i16_sdwa s[6:7], v6, s4 src0_sel:BYTE_0 src1_sel:DWORD
	s_mov_b64 s[4:5], 0
                                        ; implicit-def: $sgpr10
	s_and_saveexec_b64 s[8:9], s[6:7]
	s_xor_b64 s[6:7], exec, s[8:9]
	s_cbranch_execnz .LBB9_2985
; %bb.937:
	s_or_saveexec_b64 s[6:7], s[6:7]
	v_mov_b32_e32 v2, s10
	s_xor_b64 exec, exec, s[6:7]
	s_cbranch_execnz .LBB9_2988
.LBB9_938:
	s_or_b64 exec, exec, s[6:7]
	s_and_saveexec_b64 s[6:7], s[4:5]
	s_cbranch_execz .LBB9_940
.LBB9_939:
	v_bfe_u32 v2, v7, 8, 3
	v_ffbh_u32_e32 v13, v2
	v_min_u32_e32 v13, 32, v13
	v_lshrrev_b16_e32 v12, 3, v6
	v_subrev_u32_e32 v14, 28, v13
	v_and_b32_e32 v12, 15, v12
	v_lshlrev_b32_e32 v6, v14, v6
	v_sub_u32_e32 v13, 29, v13
	v_and_b32_e32 v6, 7, v6
	v_cmp_eq_u16_e32 vcc, 0, v12
	v_cndmask_b32_e32 v2, v2, v6, vcc
	v_cndmask_b32_e32 v6, v12, v13, vcc
	v_lshlrev_b32_e32 v12, 16, v7
	v_mov_b32_e32 v13, 0x3b800000
	v_lshlrev_b32_e32 v2, 20, v2
	v_and_b32_e32 v12, 0x80000000, v12
	v_lshl_add_u32 v6, v6, 23, v13
	v_or3_b32 v2, v12, v6, v2
.LBB9_940:
	s_or_b64 exec, exec, s[6:7]
	v_lshrrev_b32_e32 v6, 8, v3
	s_movk_i32 s4, 0x7f
	v_cmp_gt_i16_sdwa s[6:7], v6, s4 src0_sel:BYTE_0 src1_sel:DWORD
	s_mov_b64 s[4:5], 0
                                        ; implicit-def: $sgpr10
	s_and_saveexec_b64 s[8:9], s[6:7]
	s_xor_b64 s[6:7], exec, s[8:9]
	s_cbranch_execnz .LBB9_2989
; %bb.941:
	s_or_saveexec_b64 s[6:7], s[6:7]
	v_mov_b32_e32 v12, s10
	s_xor_b64 exec, exec, s[6:7]
	s_cbranch_execnz .LBB9_2992
.LBB9_942:
	s_or_b64 exec, exec, s[6:7]
	s_and_saveexec_b64 s[6:7], s[4:5]
	s_cbranch_execz .LBB9_944
.LBB9_943:
	v_bfe_u32 v12, v3, 8, 3
	v_ffbh_u32_e32 v14, v12
	v_min_u32_e32 v14, 32, v14
	v_lshrrev_b16_e32 v13, 3, v6
	v_subrev_u32_e32 v15, 28, v14
	v_and_b32_e32 v13, 15, v13
	v_lshlrev_b32_e32 v6, v15, v6
	v_sub_u32_e32 v14, 29, v14
	v_and_b32_e32 v6, 7, v6
	v_cmp_eq_u16_e32 vcc, 0, v13
	v_cndmask_b32_e32 v6, v12, v6, vcc
	v_cndmask_b32_e32 v12, v13, v14, vcc
	v_lshlrev_b32_e32 v13, 16, v3
	v_mov_b32_e32 v14, 0x3b800000
	v_lshlrev_b32_e32 v6, 20, v6
	v_and_b32_e32 v13, 0x80000000, v13
	v_lshl_add_u32 v12, v12, 23, v14
	v_or3_b32 v12, v13, v12, v6
.LBB9_944:
	s_or_b64 exec, exec, s[6:7]
	s_nop 0
	v_mfma_f32_16x16x4f32 a[0:3], v2, v12, a[0:3]
	s_movk_i32 s4, 0xff
	v_and_b32_sdwa v6, v7, s4 dst_sel:DWORD dst_unused:UNUSED_PAD src0_sel:WORD_1 src1_sel:DWORD
	s_movk_i32 s4, 0x7f
	v_cmp_lt_i16_e32 vcc, s4, v6
	s_mov_b64 s[4:5], 0
                                        ; implicit-def: $sgpr10
	s_and_saveexec_b64 s[6:7], vcc
	s_xor_b64 s[6:7], exec, s[6:7]
	s_cbranch_execnz .LBB9_2993
; %bb.945:
	s_or_saveexec_b64 s[6:7], s[6:7]
	v_mov_b32_e32 v2, s10
	s_xor_b64 exec, exec, s[6:7]
	s_cbranch_execnz .LBB9_2996
.LBB9_946:
	s_or_b64 exec, exec, s[6:7]
	s_and_saveexec_b64 s[6:7], s[4:5]
	s_cbranch_execz .LBB9_948
.LBB9_947:
	v_bfe_u32 v2, v7, 16, 3
	v_ffbh_u32_e32 v13, v2
	v_min_u32_e32 v13, 32, v13
	v_lshrrev_b32_e32 v6, 19, v7
	v_subrev_u32_e32 v14, 28, v13
	v_and_b32_e32 v6, 15, v6
	v_lshlrev_b32_sdwa v14, v14, v7 dst_sel:DWORD dst_unused:UNUSED_PAD src0_sel:DWORD src1_sel:WORD_1
	v_bfe_u32 v12, v7, 19, 4
	v_sub_u32_e32 v13, 29, v13
	v_and_b32_e32 v14, 7, v14
	v_cmp_eq_u16_e32 vcc, 0, v6
	v_cndmask_b32_e32 v2, v2, v14, vcc
	v_cndmask_b32_e32 v6, v12, v13, vcc
	v_lshlrev_b32_e32 v12, 8, v7
	v_mov_b32_e32 v13, 0x3b800000
	v_lshlrev_b32_e32 v2, 20, v2
	v_and_b32_e32 v12, 0x80000000, v12
	v_lshl_add_u32 v6, v6, 23, v13
	v_or3_b32 v2, v12, v6, v2
.LBB9_948:
	s_or_b64 exec, exec, s[6:7]
	s_movk_i32 s4, 0xff
	v_and_b32_sdwa v6, v3, s4 dst_sel:DWORD dst_unused:UNUSED_PAD src0_sel:WORD_1 src1_sel:DWORD
	s_movk_i32 s4, 0x7f
	v_cmp_lt_i16_e32 vcc, s4, v6
	s_mov_b64 s[4:5], 0
                                        ; implicit-def: $sgpr10
	s_and_saveexec_b64 s[6:7], vcc
	s_xor_b64 s[6:7], exec, s[6:7]
	s_cbranch_execnz .LBB9_2997
; %bb.949:
	s_or_saveexec_b64 s[6:7], s[6:7]
	v_mov_b32_e32 v12, s10
	s_xor_b64 exec, exec, s[6:7]
	s_cbranch_execnz .LBB9_3000
.LBB9_950:
	s_or_b64 exec, exec, s[6:7]
	s_and_saveexec_b64 s[6:7], s[4:5]
	s_cbranch_execz .LBB9_952
.LBB9_951:
	v_bfe_u32 v6, v3, 16, 3
	v_ffbh_u32_e32 v14, v6
	v_min_u32_e32 v14, 32, v14
	v_lshrrev_b32_e32 v12, 19, v3
	v_subrev_u32_e32 v15, 28, v14
	v_and_b32_e32 v12, 15, v12
	v_lshlrev_b32_sdwa v15, v15, v3 dst_sel:DWORD dst_unused:UNUSED_PAD src0_sel:DWORD src1_sel:WORD_1
	v_bfe_u32 v13, v3, 19, 4
	v_sub_u32_e32 v14, 29, v14
	v_and_b32_e32 v15, 7, v15
	v_cmp_eq_u16_e32 vcc, 0, v12
	v_cndmask_b32_e32 v6, v6, v15, vcc
	v_cndmask_b32_e32 v12, v13, v14, vcc
	v_lshlrev_b32_e32 v13, 8, v3
	v_mov_b32_e32 v14, 0x3b800000
	v_lshlrev_b32_e32 v6, 20, v6
	v_and_b32_e32 v13, 0x80000000, v13
	v_lshl_add_u32 v12, v12, 23, v14
	v_or3_b32 v12, v13, v12, v6
.LBB9_952:
	s_or_b64 exec, exec, s[6:7]
	s_nop 0
	v_mfma_f32_16x16x4f32 a[0:3], v2, v12, a[0:3]
	s_movk_i32 s4, 0x7f
	v_cmp_gt_i16_sdwa s[6:7], v7, s4 src0_sel:BYTE_3 src1_sel:DWORD
	s_mov_b64 s[4:5], 0
                                        ; implicit-def: $sgpr10
	s_and_saveexec_b64 s[8:9], s[6:7]
	s_xor_b64 s[6:7], exec, s[8:9]
	s_cbranch_execnz .LBB9_3001
; %bb.953:
	s_or_saveexec_b64 s[6:7], s[6:7]
	v_mov_b32_e32 v2, s10
	s_xor_b64 exec, exec, s[6:7]
	s_cbranch_execnz .LBB9_3004
.LBB9_954:
	s_or_b64 exec, exec, s[6:7]
	s_and_saveexec_b64 s[6:7], s[4:5]
	s_cbranch_execz .LBB9_956
.LBB9_955:
	v_bfe_u32 v2, v7, 24, 3
	v_ffbh_u32_e32 v14, v2
	v_min_u32_e32 v14, 32, v14
	v_lshrrev_b32_e32 v12, 27, v7
	v_subrev_u32_e32 v15, 28, v14
	v_and_b32_e32 v6, 0x80000000, v7
	v_and_b32_e32 v12, 15, v12
	v_bfe_u32 v13, v7, 27, 4
	v_lshlrev_b32_sdwa v7, v15, v7 dst_sel:DWORD dst_unused:UNUSED_PAD src0_sel:DWORD src1_sel:BYTE_3
	v_sub_u32_e32 v14, 29, v14
	v_and_b32_e32 v7, 7, v7
	v_cmp_eq_u16_e32 vcc, 0, v12
	v_cndmask_b32_e32 v2, v2, v7, vcc
	v_cndmask_b32_e32 v7, v13, v14, vcc
	v_mov_b32_e32 v12, 0x3b800000
	v_lshlrev_b32_e32 v2, 20, v2
	v_lshl_add_u32 v7, v7, 23, v12
	v_or3_b32 v2, v6, v7, v2
.LBB9_956:
	s_or_b64 exec, exec, s[6:7]
	s_movk_i32 s4, 0x7f
	v_cmp_gt_i16_sdwa s[6:7], v3, s4 src0_sel:BYTE_3 src1_sel:DWORD
	s_mov_b64 s[4:5], 0
                                        ; implicit-def: $sgpr10
	s_and_saveexec_b64 s[8:9], s[6:7]
	s_xor_b64 s[6:7], exec, s[8:9]
	s_cbranch_execnz .LBB9_3005
; %bb.957:
	s_or_saveexec_b64 s[6:7], s[6:7]
	v_mov_b32_e32 v6, s10
	s_xor_b64 exec, exec, s[6:7]
	s_cbranch_execnz .LBB9_3008
.LBB9_958:
	s_or_b64 exec, exec, s[6:7]
	s_and_saveexec_b64 s[6:7], s[4:5]
	s_cbranch_execz .LBB9_960
.LBB9_959:
	v_bfe_u32 v6, v3, 24, 3
	v_ffbh_u32_e32 v14, v6
	v_min_u32_e32 v14, 32, v14
	v_lshrrev_b32_e32 v12, 27, v3
	v_subrev_u32_e32 v15, 28, v14
	v_and_b32_e32 v7, 0x80000000, v3
	v_and_b32_e32 v12, 15, v12
	v_bfe_u32 v13, v3, 27, 4
	v_lshlrev_b32_sdwa v3, v15, v3 dst_sel:DWORD dst_unused:UNUSED_PAD src0_sel:DWORD src1_sel:BYTE_3
	v_sub_u32_e32 v14, 29, v14
	v_and_b32_e32 v3, 7, v3
	v_cmp_eq_u16_e32 vcc, 0, v12
	v_cndmask_b32_e32 v3, v6, v3, vcc
	v_cndmask_b32_e32 v6, v13, v14, vcc
	v_mov_b32_e32 v12, 0x3b800000
	v_lshlrev_b32_e32 v3, 20, v3
	v_lshl_add_u32 v6, v6, 23, v12
	v_or3_b32 v6, v7, v6, v3
.LBB9_960:
	s_or_b64 exec, exec, s[6:7]
	s_nop 0
	v_mfma_f32_16x16x4f32 a[0:3], v2, v6, a[0:3]
	s_movk_i32 s4, 0x7f
	v_cmp_gt_i16_sdwa s[6:7], v8, s4 src0_sel:BYTE_0 src1_sel:DWORD
	s_mov_b64 s[4:5], 0
                                        ; implicit-def: $sgpr10
	s_and_saveexec_b64 s[8:9], s[6:7]
	s_xor_b64 s[6:7], exec, s[8:9]
	s_cbranch_execnz .LBB9_3009
; %bb.961:
	s_or_saveexec_b64 s[6:7], s[6:7]
	v_mov_b32_e32 v2, s10
	s_xor_b64 exec, exec, s[6:7]
	s_cbranch_execnz .LBB9_3012
.LBB9_962:
	s_or_b64 exec, exec, s[6:7]
	s_and_saveexec_b64 s[6:7], s[4:5]
	s_cbranch_execz .LBB9_964
.LBB9_963:
	v_and_b32_e32 v2, 7, v8
	v_ffbh_u32_e32 v6, v2
	v_min_u32_e32 v6, 32, v6
	v_lshrrev_b16_e32 v3, 3, v8
	v_subrev_u32_e32 v7, 28, v6
	v_and_b32_e32 v3, 15, v3
	v_lshlrev_b32_e32 v7, v7, v8
	v_sub_u32_e32 v6, 29, v6
	v_and_b32_e32 v7, 7, v7
	v_cmp_eq_u16_e32 vcc, 0, v3
	v_cndmask_b32_e32 v2, v2, v7, vcc
	v_cndmask_b32_e32 v3, v3, v6, vcc
	v_lshlrev_b32_e32 v6, 24, v8
	v_mov_b32_e32 v7, 0x3b800000
	v_lshlrev_b32_e32 v2, 20, v2
	v_and_b32_e32 v6, 0x80000000, v6
	v_lshl_add_u32 v3, v3, 23, v7
	v_or3_b32 v2, v6, v3, v2
.LBB9_964:
	s_or_b64 exec, exec, s[6:7]
	s_movk_i32 s4, 0x7f
	v_cmp_gt_i16_sdwa s[6:7], v4, s4 src0_sel:BYTE_0 src1_sel:DWORD
	s_mov_b64 s[4:5], 0
                                        ; implicit-def: $sgpr10
	s_and_saveexec_b64 s[8:9], s[6:7]
	s_xor_b64 s[6:7], exec, s[8:9]
	s_cbranch_execnz .LBB9_3013
; %bb.965:
	s_or_saveexec_b64 s[6:7], s[6:7]
	v_mov_b32_e32 v3, s10
	s_xor_b64 exec, exec, s[6:7]
	s_cbranch_execnz .LBB9_3016
.LBB9_966:
	s_or_b64 exec, exec, s[6:7]
	s_and_saveexec_b64 s[6:7], s[4:5]
	s_cbranch_execz .LBB9_968
.LBB9_967:
	v_and_b32_e32 v3, 7, v4
	v_ffbh_u32_e32 v7, v3
	v_min_u32_e32 v7, 32, v7
	v_lshrrev_b16_e32 v6, 3, v4
	v_subrev_u32_e32 v12, 28, v7
	v_and_b32_e32 v6, 15, v6
	v_lshlrev_b32_e32 v12, v12, v4
	v_sub_u32_e32 v7, 29, v7
	v_and_b32_e32 v12, 7, v12
	v_cmp_eq_u16_e32 vcc, 0, v6
	v_cndmask_b32_e32 v3, v3, v12, vcc
	v_cndmask_b32_e32 v6, v6, v7, vcc
	v_lshlrev_b32_e32 v7, 24, v4
	v_mov_b32_e32 v12, 0x3b800000
	v_lshlrev_b32_e32 v3, 20, v3
	v_and_b32_e32 v7, 0x80000000, v7
	v_lshl_add_u32 v6, v6, 23, v12
	v_or3_b32 v3, v7, v6, v3
.LBB9_968:
	s_or_b64 exec, exec, s[6:7]
	s_nop 0
	v_mfma_f32_16x16x4f32 a[0:3], v2, v3, a[0:3]
	v_lshrrev_b32_e32 v3, 8, v8
	s_movk_i32 s4, 0x7f
	v_cmp_gt_i16_sdwa s[6:7], v3, s4 src0_sel:BYTE_0 src1_sel:DWORD
	s_mov_b64 s[4:5], 0
                                        ; implicit-def: $sgpr10
	s_and_saveexec_b64 s[8:9], s[6:7]
	s_xor_b64 s[6:7], exec, s[8:9]
	s_cbranch_execnz .LBB9_3017
; %bb.969:
	s_or_saveexec_b64 s[6:7], s[6:7]
	v_mov_b32_e32 v2, s10
	s_xor_b64 exec, exec, s[6:7]
	s_cbranch_execnz .LBB9_3020
.LBB9_970:
	s_or_b64 exec, exec, s[6:7]
	s_and_saveexec_b64 s[6:7], s[4:5]
	s_cbranch_execz .LBB9_972
.LBB9_971:
	v_bfe_u32 v2, v8, 8, 3
	v_ffbh_u32_e32 v7, v2
	v_min_u32_e32 v7, 32, v7
	v_lshrrev_b16_e32 v6, 3, v3
	v_subrev_u32_e32 v12, 28, v7
	v_and_b32_e32 v6, 15, v6
	v_lshlrev_b32_e32 v3, v12, v3
	v_sub_u32_e32 v7, 29, v7
	v_and_b32_e32 v3, 7, v3
	v_cmp_eq_u16_e32 vcc, 0, v6
	v_cndmask_b32_e32 v2, v2, v3, vcc
	v_cndmask_b32_e32 v3, v6, v7, vcc
	v_lshlrev_b32_e32 v6, 16, v8
	v_mov_b32_e32 v7, 0x3b800000
	v_lshlrev_b32_e32 v2, 20, v2
	v_and_b32_e32 v6, 0x80000000, v6
	v_lshl_add_u32 v3, v3, 23, v7
	v_or3_b32 v2, v6, v3, v2
.LBB9_972:
	s_or_b64 exec, exec, s[6:7]
	v_lshrrev_b32_e32 v3, 8, v4
	s_movk_i32 s4, 0x7f
	v_cmp_gt_i16_sdwa s[6:7], v3, s4 src0_sel:BYTE_0 src1_sel:DWORD
	s_mov_b64 s[4:5], 0
                                        ; implicit-def: $sgpr10
	s_and_saveexec_b64 s[8:9], s[6:7]
	s_xor_b64 s[6:7], exec, s[8:9]
	s_cbranch_execnz .LBB9_3021
; %bb.973:
	s_or_saveexec_b64 s[6:7], s[6:7]
	v_mov_b32_e32 v6, s10
	s_xor_b64 exec, exec, s[6:7]
	s_cbranch_execnz .LBB9_3024
.LBB9_974:
	s_or_b64 exec, exec, s[6:7]
	s_and_saveexec_b64 s[6:7], s[4:5]
	s_cbranch_execz .LBB9_976
.LBB9_975:
	v_bfe_u32 v6, v4, 8, 3
	v_ffbh_u32_e32 v12, v6
	v_min_u32_e32 v12, 32, v12
	v_lshrrev_b16_e32 v7, 3, v3
	v_subrev_u32_e32 v13, 28, v12
	v_and_b32_e32 v7, 15, v7
	v_lshlrev_b32_e32 v3, v13, v3
	v_sub_u32_e32 v12, 29, v12
	v_and_b32_e32 v3, 7, v3
	v_cmp_eq_u16_e32 vcc, 0, v7
	v_cndmask_b32_e32 v3, v6, v3, vcc
	v_cndmask_b32_e32 v6, v7, v12, vcc
	v_lshlrev_b32_e32 v7, 16, v4
	v_mov_b32_e32 v12, 0x3b800000
	v_lshlrev_b32_e32 v3, 20, v3
	v_and_b32_e32 v7, 0x80000000, v7
	v_lshl_add_u32 v6, v6, 23, v12
	v_or3_b32 v6, v7, v6, v3
.LBB9_976:
	s_or_b64 exec, exec, s[6:7]
	s_nop 0
	v_mfma_f32_16x16x4f32 a[0:3], v2, v6, a[0:3]
	s_movk_i32 s4, 0xff
	v_and_b32_sdwa v3, v8, s4 dst_sel:DWORD dst_unused:UNUSED_PAD src0_sel:WORD_1 src1_sel:DWORD
	s_movk_i32 s4, 0x7f
	v_cmp_lt_i16_e32 vcc, s4, v3
	s_mov_b64 s[4:5], 0
                                        ; implicit-def: $sgpr10
	s_and_saveexec_b64 s[6:7], vcc
	s_xor_b64 s[6:7], exec, s[6:7]
	s_cbranch_execnz .LBB9_3025
; %bb.977:
	s_or_saveexec_b64 s[6:7], s[6:7]
	v_mov_b32_e32 v2, s10
	s_xor_b64 exec, exec, s[6:7]
	s_cbranch_execnz .LBB9_3028
.LBB9_978:
	s_or_b64 exec, exec, s[6:7]
	s_and_saveexec_b64 s[6:7], s[4:5]
	s_cbranch_execz .LBB9_980
.LBB9_979:
	v_bfe_u32 v2, v8, 16, 3
	v_ffbh_u32_e32 v7, v2
	v_min_u32_e32 v7, 32, v7
	v_lshrrev_b32_e32 v3, 19, v8
	v_subrev_u32_e32 v12, 28, v7
	v_and_b32_e32 v3, 15, v3
	v_lshlrev_b32_sdwa v12, v12, v8 dst_sel:DWORD dst_unused:UNUSED_PAD src0_sel:DWORD src1_sel:WORD_1
	v_bfe_u32 v6, v8, 19, 4
	v_sub_u32_e32 v7, 29, v7
	v_and_b32_e32 v12, 7, v12
	v_cmp_eq_u16_e32 vcc, 0, v3
	v_cndmask_b32_e32 v2, v2, v12, vcc
	v_cndmask_b32_e32 v3, v6, v7, vcc
	v_lshlrev_b32_e32 v6, 8, v8
	v_mov_b32_e32 v7, 0x3b800000
	v_lshlrev_b32_e32 v2, 20, v2
	v_and_b32_e32 v6, 0x80000000, v6
	v_lshl_add_u32 v3, v3, 23, v7
	v_or3_b32 v2, v6, v3, v2
.LBB9_980:
	s_or_b64 exec, exec, s[6:7]
	s_movk_i32 s4, 0xff
	v_and_b32_sdwa v3, v4, s4 dst_sel:DWORD dst_unused:UNUSED_PAD src0_sel:WORD_1 src1_sel:DWORD
	s_movk_i32 s4, 0x7f
	v_cmp_lt_i16_e32 vcc, s4, v3
	s_mov_b64 s[4:5], 0
                                        ; implicit-def: $sgpr10
	s_and_saveexec_b64 s[6:7], vcc
	s_xor_b64 s[6:7], exec, s[6:7]
	s_cbranch_execnz .LBB9_3029
; %bb.981:
	s_or_saveexec_b64 s[6:7], s[6:7]
	v_mov_b32_e32 v6, s10
	s_xor_b64 exec, exec, s[6:7]
	s_cbranch_execnz .LBB9_3032
.LBB9_982:
	s_or_b64 exec, exec, s[6:7]
	s_and_saveexec_b64 s[6:7], s[4:5]
	s_cbranch_execz .LBB9_984
.LBB9_983:
	v_bfe_u32 v3, v4, 16, 3
	v_ffbh_u32_e32 v12, v3
	v_min_u32_e32 v12, 32, v12
	v_lshrrev_b32_e32 v6, 19, v4
	v_subrev_u32_e32 v13, 28, v12
	v_and_b32_e32 v6, 15, v6
	v_lshlrev_b32_sdwa v13, v13, v4 dst_sel:DWORD dst_unused:UNUSED_PAD src0_sel:DWORD src1_sel:WORD_1
	v_bfe_u32 v7, v4, 19, 4
	v_sub_u32_e32 v12, 29, v12
	v_and_b32_e32 v13, 7, v13
	v_cmp_eq_u16_e32 vcc, 0, v6
	v_cndmask_b32_e32 v3, v3, v13, vcc
	v_cndmask_b32_e32 v6, v7, v12, vcc
	v_lshlrev_b32_e32 v7, 8, v4
	v_mov_b32_e32 v12, 0x3b800000
	v_lshlrev_b32_e32 v3, 20, v3
	v_and_b32_e32 v7, 0x80000000, v7
	v_lshl_add_u32 v6, v6, 23, v12
	v_or3_b32 v6, v7, v6, v3
.LBB9_984:
	s_or_b64 exec, exec, s[6:7]
	s_nop 0
	v_mfma_f32_16x16x4f32 a[0:3], v2, v6, a[0:3]
	s_movk_i32 s4, 0x7f
	v_cmp_gt_i16_sdwa s[6:7], v8, s4 src0_sel:BYTE_3 src1_sel:DWORD
	s_mov_b64 s[4:5], 0
                                        ; implicit-def: $sgpr10
	s_and_saveexec_b64 s[8:9], s[6:7]
	s_xor_b64 s[6:7], exec, s[8:9]
	s_cbranch_execnz .LBB9_3033
; %bb.985:
	s_or_saveexec_b64 s[6:7], s[6:7]
	v_mov_b32_e32 v2, s10
	s_xor_b64 exec, exec, s[6:7]
	s_cbranch_execnz .LBB9_3036
.LBB9_986:
	s_or_b64 exec, exec, s[6:7]
	s_and_saveexec_b64 s[6:7], s[4:5]
	s_cbranch_execz .LBB9_988
.LBB9_987:
	v_bfe_u32 v2, v8, 24, 3
	v_ffbh_u32_e32 v12, v2
	v_min_u32_e32 v12, 32, v12
	v_lshrrev_b32_e32 v6, 27, v8
	v_subrev_u32_e32 v13, 28, v12
	v_and_b32_e32 v3, 0x80000000, v8
	v_and_b32_e32 v6, 15, v6
	v_bfe_u32 v7, v8, 27, 4
	v_lshlrev_b32_sdwa v8, v13, v8 dst_sel:DWORD dst_unused:UNUSED_PAD src0_sel:DWORD src1_sel:BYTE_3
	v_sub_u32_e32 v12, 29, v12
	v_and_b32_e32 v8, 7, v8
	v_cmp_eq_u16_e32 vcc, 0, v6
	v_cndmask_b32_e32 v2, v2, v8, vcc
	v_cndmask_b32_e32 v6, v7, v12, vcc
	v_mov_b32_e32 v7, 0x3b800000
	v_lshlrev_b32_e32 v2, 20, v2
	v_lshl_add_u32 v6, v6, 23, v7
	v_or3_b32 v2, v3, v6, v2
.LBB9_988:
	s_or_b64 exec, exec, s[6:7]
	s_movk_i32 s4, 0x7f
	v_cmp_gt_i16_sdwa s[6:7], v4, s4 src0_sel:BYTE_3 src1_sel:DWORD
	s_mov_b64 s[4:5], 0
                                        ; implicit-def: $sgpr10
	s_and_saveexec_b64 s[8:9], s[6:7]
	s_xor_b64 s[6:7], exec, s[8:9]
	s_cbranch_execnz .LBB9_3037
; %bb.989:
	s_or_saveexec_b64 s[6:7], s[6:7]
	v_mov_b32_e32 v3, s10
	s_xor_b64 exec, exec, s[6:7]
	s_cbranch_execnz .LBB9_3040
.LBB9_990:
	s_or_b64 exec, exec, s[6:7]
	s_and_saveexec_b64 s[6:7], s[4:5]
	s_cbranch_execz .LBB9_992
.LBB9_991:
	v_bfe_u32 v3, v4, 24, 3
	v_ffbh_u32_e32 v12, v3
	v_min_u32_e32 v12, 32, v12
	v_lshrrev_b32_e32 v7, 27, v4
	v_subrev_u32_e32 v13, 28, v12
	v_and_b32_e32 v6, 0x80000000, v4
	v_and_b32_e32 v7, 15, v7
	v_bfe_u32 v8, v4, 27, 4
	v_lshlrev_b32_sdwa v4, v13, v4 dst_sel:DWORD dst_unused:UNUSED_PAD src0_sel:DWORD src1_sel:BYTE_3
	v_sub_u32_e32 v12, 29, v12
	v_and_b32_e32 v4, 7, v4
	v_cmp_eq_u16_e32 vcc, 0, v7
	v_cndmask_b32_e32 v3, v3, v4, vcc
	v_cndmask_b32_e32 v4, v8, v12, vcc
	v_mov_b32_e32 v7, 0x3b800000
	v_lshlrev_b32_e32 v3, 20, v3
	v_lshl_add_u32 v4, v4, 23, v7
	v_or3_b32 v3, v6, v4, v3
.LBB9_992:
	s_or_b64 exec, exec, s[6:7]
	s_nop 0
	v_mfma_f32_16x16x4f32 a[0:3], v2, v3, a[0:3]
	s_movk_i32 s4, 0x7f
	v_cmp_gt_i16_sdwa s[6:7], v9, s4 src0_sel:BYTE_0 src1_sel:DWORD
	s_mov_b64 s[4:5], 0
                                        ; implicit-def: $sgpr10
	s_and_saveexec_b64 s[8:9], s[6:7]
	s_xor_b64 s[6:7], exec, s[8:9]
	s_cbranch_execnz .LBB9_3041
; %bb.993:
	s_or_saveexec_b64 s[6:7], s[6:7]
	v_mov_b32_e32 v2, s10
	s_xor_b64 exec, exec, s[6:7]
	s_cbranch_execnz .LBB9_3044
.LBB9_994:
	s_or_b64 exec, exec, s[6:7]
	s_and_saveexec_b64 s[6:7], s[4:5]
	s_cbranch_execz .LBB9_996
.LBB9_995:
	v_mov_b32_e32 v2, 8
	v_and_b32_e32 v3, 7, v9
	v_lshrrev_b32_sdwa v2, v2, v9 dst_sel:BYTE_1 dst_unused:UNUSED_PAD src0_sel:DWORD src1_sel:DWORD
	v_ffbh_u32_e32 v4, v3
	v_or_b32_sdwa v2, v9, v2 dst_sel:DWORD dst_unused:UNUSED_PAD src0_sel:BYTE_0 src1_sel:DWORD
	v_min_u32_e32 v4, 32, v4
	v_lshrrev_b16_e32 v2, 3, v2
	v_subrev_u32_e32 v6, 28, v4
	v_and_b32_e32 v2, 15, v2
	v_lshlrev_b32_e32 v6, v6, v9
	v_sub_u32_e32 v4, 29, v4
	v_and_b32_e32 v6, 7, v6
	v_cmp_eq_u16_e32 vcc, 0, v2
	v_cndmask_b32_e32 v3, v3, v6, vcc
	v_cndmask_b32_e32 v2, v2, v4, vcc
	v_lshlrev_b32_e32 v4, 24, v9
	v_mov_b32_e32 v6, 0x3b800000
	v_lshlrev_b32_e32 v3, 20, v3
	v_and_b32_e32 v4, 0x80000000, v4
	v_lshl_add_u32 v2, v2, 23, v6
	v_or3_b32 v2, v4, v2, v3
.LBB9_996:
	s_or_b64 exec, exec, s[6:7]
	s_movk_i32 s4, 0x7f
	v_cmp_gt_i16_sdwa s[6:7], v5, s4 src0_sel:BYTE_0 src1_sel:DWORD
	s_mov_b64 s[4:5], 0
                                        ; implicit-def: $sgpr10
	s_and_saveexec_b64 s[8:9], s[6:7]
	s_xor_b64 s[6:7], exec, s[8:9]
	s_cbranch_execnz .LBB9_3045
; %bb.997:
	s_or_saveexec_b64 s[6:7], s[6:7]
	v_mov_b32_e32 v3, s10
	s_xor_b64 exec, exec, s[6:7]
	s_cbranch_execnz .LBB9_3048
.LBB9_998:
	s_or_b64 exec, exec, s[6:7]
	s_and_saveexec_b64 s[6:7], s[4:5]
	s_cbranch_execz .LBB9_1000
.LBB9_999:
	v_mov_b32_e32 v3, 8
	v_and_b32_e32 v4, 7, v5
	v_lshrrev_b32_sdwa v3, v3, v5 dst_sel:BYTE_1 dst_unused:UNUSED_PAD src0_sel:DWORD src1_sel:DWORD
	v_ffbh_u32_e32 v6, v4
	v_or_b32_sdwa v3, v5, v3 dst_sel:DWORD dst_unused:UNUSED_PAD src0_sel:BYTE_0 src1_sel:DWORD
	v_min_u32_e32 v6, 32, v6
	v_lshrrev_b16_e32 v3, 3, v3
	v_subrev_u32_e32 v7, 28, v6
	v_and_b32_e32 v3, 15, v3
	v_lshlrev_b32_e32 v7, v7, v5
	v_sub_u32_e32 v6, 29, v6
	v_and_b32_e32 v7, 7, v7
	v_cmp_eq_u16_e32 vcc, 0, v3
	v_cndmask_b32_e32 v4, v4, v7, vcc
	v_cndmask_b32_e32 v3, v3, v6, vcc
	v_lshlrev_b32_e32 v6, 24, v5
	v_mov_b32_e32 v7, 0x3b800000
	v_lshlrev_b32_e32 v4, 20, v4
	v_and_b32_e32 v6, 0x80000000, v6
	v_lshl_add_u32 v3, v3, 23, v7
	v_or3_b32 v3, v6, v3, v4
.LBB9_1000:
	s_or_b64 exec, exec, s[6:7]
	s_nop 0
	v_mfma_f32_16x16x4f32 a[0:3], v2, v3, a[0:3]
	v_lshrrev_b32_e32 v3, 8, v9
	s_movk_i32 s4, 0x7f
	v_cmp_gt_i16_sdwa s[6:7], v3, s4 src0_sel:BYTE_0 src1_sel:DWORD
	s_mov_b64 s[4:5], 0
                                        ; implicit-def: $sgpr10
	s_and_saveexec_b64 s[8:9], s[6:7]
	s_xor_b64 s[6:7], exec, s[8:9]
	s_cbranch_execnz .LBB9_3049
; %bb.1001:
	s_or_saveexec_b64 s[6:7], s[6:7]
	v_mov_b32_e32 v2, s10
	s_xor_b64 exec, exec, s[6:7]
	s_cbranch_execnz .LBB9_3052
.LBB9_1002:
	s_or_b64 exec, exec, s[6:7]
	s_and_saveexec_b64 s[6:7], s[4:5]
	s_cbranch_execz .LBB9_1004
.LBB9_1003:
	v_bfe_u32 v2, v9, 8, 3
	v_ffbh_u32_e32 v6, v2
	v_min_u32_e32 v6, 32, v6
	v_lshrrev_b16_e32 v4, 3, v3
	v_subrev_u32_e32 v7, 28, v6
	v_and_b32_e32 v4, 15, v4
	v_lshlrev_b32_e32 v3, v7, v3
	v_sub_u32_e32 v6, 29, v6
	v_and_b32_e32 v3, 7, v3
	v_cmp_eq_u16_e32 vcc, 0, v4
	v_cndmask_b32_e32 v2, v2, v3, vcc
	v_cndmask_b32_e32 v3, v4, v6, vcc
	v_lshlrev_b32_e32 v4, 16, v9
	v_mov_b32_e32 v6, 0x3b800000
	v_lshlrev_b32_e32 v2, 20, v2
	v_and_b32_e32 v4, 0x80000000, v4
	v_lshl_add_u32 v3, v3, 23, v6
	v_or3_b32 v2, v4, v3, v2
.LBB9_1004:
	s_or_b64 exec, exec, s[6:7]
	v_lshrrev_b32_e32 v3, 8, v5
	s_movk_i32 s4, 0x7f
	v_cmp_gt_i16_sdwa s[6:7], v3, s4 src0_sel:BYTE_0 src1_sel:DWORD
	s_mov_b64 s[4:5], 0
                                        ; implicit-def: $sgpr10
	s_and_saveexec_b64 s[8:9], s[6:7]
	s_xor_b64 s[6:7], exec, s[8:9]
	s_cbranch_execnz .LBB9_3053
; %bb.1005:
	s_or_saveexec_b64 s[6:7], s[6:7]
	v_mov_b32_e32 v4, s10
	s_xor_b64 exec, exec, s[6:7]
	s_cbranch_execnz .LBB9_3056
.LBB9_1006:
	s_or_b64 exec, exec, s[6:7]
	s_and_saveexec_b64 s[6:7], s[4:5]
	s_cbranch_execz .LBB9_1008
.LBB9_1007:
	v_bfe_u32 v4, v5, 8, 3
	v_ffbh_u32_e32 v7, v4
	v_min_u32_e32 v7, 32, v7
	v_lshrrev_b16_e32 v6, 3, v3
	v_subrev_u32_e32 v8, 28, v7
	v_and_b32_e32 v6, 15, v6
	v_lshlrev_b32_e32 v3, v8, v3
	v_sub_u32_e32 v7, 29, v7
	v_and_b32_e32 v3, 7, v3
	v_cmp_eq_u16_e32 vcc, 0, v6
	v_cndmask_b32_e32 v3, v4, v3, vcc
	v_cndmask_b32_e32 v4, v6, v7, vcc
	v_lshlrev_b32_e32 v6, 16, v5
	v_mov_b32_e32 v7, 0x3b800000
	v_lshlrev_b32_e32 v3, 20, v3
	v_and_b32_e32 v6, 0x80000000, v6
	v_lshl_add_u32 v4, v4, 23, v7
	v_or3_b32 v4, v6, v4, v3
.LBB9_1008:
	s_or_b64 exec, exec, s[6:7]
	s_nop 0
	v_mfma_f32_16x16x4f32 a[0:3], v2, v4, a[0:3]
	s_movk_i32 s4, 0xff
	v_and_b32_sdwa v3, v9, s4 dst_sel:DWORD dst_unused:UNUSED_PAD src0_sel:WORD_1 src1_sel:DWORD
	s_movk_i32 s4, 0x7f
	v_cmp_lt_i16_e32 vcc, s4, v3
	s_mov_b64 s[4:5], 0
                                        ; implicit-def: $sgpr10
	s_and_saveexec_b64 s[6:7], vcc
	s_xor_b64 s[6:7], exec, s[6:7]
	s_cbranch_execnz .LBB9_3057
; %bb.1009:
	s_or_saveexec_b64 s[6:7], s[6:7]
	v_mov_b32_e32 v2, s10
	s_xor_b64 exec, exec, s[6:7]
	s_cbranch_execnz .LBB9_3060
.LBB9_1010:
	s_or_b64 exec, exec, s[6:7]
	s_and_saveexec_b64 s[6:7], s[4:5]
	s_cbranch_execz .LBB9_1012
.LBB9_1011:
	v_bfe_u32 v2, v9, 16, 3
	v_ffbh_u32_e32 v6, v2
	v_min_u32_e32 v6, 32, v6
	v_lshrrev_b32_e32 v3, 19, v9
	v_subrev_u32_e32 v7, 28, v6
	v_and_b32_e32 v3, 15, v3
	v_lshlrev_b32_sdwa v7, v7, v9 dst_sel:DWORD dst_unused:UNUSED_PAD src0_sel:DWORD src1_sel:WORD_1
	v_bfe_u32 v4, v9, 19, 4
	v_sub_u32_e32 v6, 29, v6
	v_and_b32_e32 v7, 7, v7
	v_cmp_eq_u16_e32 vcc, 0, v3
	v_cndmask_b32_e32 v2, v2, v7, vcc
	v_cndmask_b32_e32 v3, v4, v6, vcc
	v_lshlrev_b32_e32 v4, 8, v9
	v_mov_b32_e32 v6, 0x3b800000
	v_lshlrev_b32_e32 v2, 20, v2
	v_and_b32_e32 v4, 0x80000000, v4
	v_lshl_add_u32 v3, v3, 23, v6
	v_or3_b32 v2, v4, v3, v2
.LBB9_1012:
	s_or_b64 exec, exec, s[6:7]
	s_movk_i32 s4, 0xff
	v_and_b32_sdwa v3, v5, s4 dst_sel:DWORD dst_unused:UNUSED_PAD src0_sel:WORD_1 src1_sel:DWORD
	s_movk_i32 s4, 0x7f
	v_cmp_lt_i16_e32 vcc, s4, v3
	s_mov_b64 s[4:5], 0
                                        ; implicit-def: $sgpr10
	s_and_saveexec_b64 s[6:7], vcc
	s_xor_b64 s[6:7], exec, s[6:7]
	s_cbranch_execnz .LBB9_3061
; %bb.1013:
	s_or_saveexec_b64 s[6:7], s[6:7]
	v_mov_b32_e32 v4, s10
	s_xor_b64 exec, exec, s[6:7]
	s_cbranch_execnz .LBB9_3064
.LBB9_1014:
	s_or_b64 exec, exec, s[6:7]
	s_and_saveexec_b64 s[6:7], s[4:5]
	s_cbranch_execz .LBB9_1016
.LBB9_1015:
	v_bfe_u32 v3, v5, 16, 3
	v_ffbh_u32_e32 v7, v3
	v_min_u32_e32 v7, 32, v7
	v_lshrrev_b32_e32 v4, 19, v5
	v_subrev_u32_e32 v8, 28, v7
	v_and_b32_e32 v4, 15, v4
	v_lshlrev_b32_sdwa v8, v8, v5 dst_sel:DWORD dst_unused:UNUSED_PAD src0_sel:DWORD src1_sel:WORD_1
	v_bfe_u32 v6, v5, 19, 4
	v_sub_u32_e32 v7, 29, v7
	v_and_b32_e32 v8, 7, v8
	v_cmp_eq_u16_e32 vcc, 0, v4
	v_cndmask_b32_e32 v3, v3, v8, vcc
	v_cndmask_b32_e32 v4, v6, v7, vcc
	v_lshlrev_b32_e32 v6, 8, v5
	v_mov_b32_e32 v7, 0x3b800000
	v_lshlrev_b32_e32 v3, 20, v3
	v_and_b32_e32 v6, 0x80000000, v6
	v_lshl_add_u32 v4, v4, 23, v7
	v_or3_b32 v4, v6, v4, v3
.LBB9_1016:
	s_or_b64 exec, exec, s[6:7]
	s_nop 0
	v_mfma_f32_16x16x4f32 a[0:3], v2, v4, a[0:3]
	s_movk_i32 s4, 0x7f
	v_cmp_gt_i16_sdwa s[6:7], v9, s4 src0_sel:BYTE_3 src1_sel:DWORD
	s_mov_b64 s[4:5], 0
                                        ; implicit-def: $sgpr10
	s_and_saveexec_b64 s[8:9], s[6:7]
	s_xor_b64 s[6:7], exec, s[8:9]
	s_cbranch_execnz .LBB9_3065
; %bb.1017:
	s_or_saveexec_b64 s[6:7], s[6:7]
	v_mov_b32_e32 v2, s10
	s_xor_b64 exec, exec, s[6:7]
	s_cbranch_execnz .LBB9_3068
.LBB9_1018:
	s_or_b64 exec, exec, s[6:7]
	s_and_saveexec_b64 s[6:7], s[4:5]
	s_cbranch_execz .LBB9_1020
.LBB9_1019:
	v_bfe_u32 v2, v9, 24, 3
	v_ffbh_u32_e32 v7, v2
	v_min_u32_e32 v7, 32, v7
	v_lshrrev_b32_e32 v4, 27, v9
	v_subrev_u32_e32 v8, 28, v7
	v_and_b32_e32 v4, 15, v4
	v_lshlrev_b32_sdwa v8, v8, v9 dst_sel:DWORD dst_unused:UNUSED_PAD src0_sel:DWORD src1_sel:BYTE_3
	v_bfe_u32 v6, v9, 27, 4
	v_sub_u32_e32 v7, 29, v7
	v_and_b32_e32 v8, 7, v8
	v_cmp_eq_u16_e32 vcc, 0, v4
	v_cndmask_b32_e32 v2, v2, v8, vcc
	v_cndmask_b32_e32 v4, v6, v7, vcc
	v_mov_b32_e32 v6, 0x3b800000
	v_and_b32_e32 v3, 0x80000000, v9
	v_lshlrev_b32_e32 v2, 20, v2
	v_lshl_add_u32 v4, v4, 23, v6
	v_or3_b32 v2, v3, v4, v2
.LBB9_1020:
	s_or_b64 exec, exec, s[6:7]
	s_movk_i32 s4, 0x7f
	v_cmp_gt_i16_sdwa s[6:7], v5, s4 src0_sel:BYTE_3 src1_sel:DWORD
	s_mov_b64 s[4:5], 0
                                        ; implicit-def: $sgpr10
	s_and_saveexec_b64 s[8:9], s[6:7]
	s_xor_b64 s[6:7], exec, s[8:9]
	s_cbranch_execnz .LBB9_3069
; %bb.1021:
	s_or_saveexec_b64 s[6:7], s[6:7]
	v_mov_b32_e32 v3, s10
	s_xor_b64 exec, exec, s[6:7]
	s_cbranch_execnz .LBB9_3072
.LBB9_1022:
	s_or_b64 exec, exec, s[6:7]
	s_and_saveexec_b64 s[6:7], s[4:5]
	s_cbranch_execz .LBB9_1024
.LBB9_1023:
	v_bfe_u32 v3, v5, 24, 3
	v_ffbh_u32_e32 v8, v3
	v_min_u32_e32 v8, 32, v8
	v_lshrrev_b32_e32 v6, 27, v5
	v_subrev_u32_e32 v9, 28, v8
	v_and_b32_e32 v4, 0x80000000, v5
	v_and_b32_e32 v6, 15, v6
	v_bfe_u32 v7, v5, 27, 4
	v_lshlrev_b32_sdwa v5, v9, v5 dst_sel:DWORD dst_unused:UNUSED_PAD src0_sel:DWORD src1_sel:BYTE_3
	v_sub_u32_e32 v8, 29, v8
	v_and_b32_e32 v5, 7, v5
	v_cmp_eq_u16_e32 vcc, 0, v6
	v_cndmask_b32_e32 v3, v3, v5, vcc
	v_cndmask_b32_e32 v5, v7, v8, vcc
	v_mov_b32_e32 v6, 0x3b800000
	v_lshlrev_b32_e32 v3, 20, v3
	v_lshl_add_u32 v5, v5, 23, v6
	v_or3_b32 v3, v4, v5, v3
.LBB9_1024:
	s_or_b64 exec, exec, s[6:7]
	s_nop 0
	v_mfma_f32_16x16x4f32 a[0:3], v2, v3, a[0:3]
	s_movk_i32 s4, 0x7f
                                        ; implicit-def: $sgpr10
	s_nop 7
	s_nop 1
	flat_store_dwordx4 v[10:11], a[0:3] offset:112
	flat_load_dwordx4 v[12:15], v[0:1] offset:8
	s_nop 0
	flat_load_dwordx2 v[10:11], v[0:1] offset:32
	s_waitcnt vmcnt(0) lgkmcnt(0)
	flat_load_dwordx4 v[6:9], v[12:13] offset:80
	flat_load_dwordx4 v[2:5], v[14:15] offset:16
	s_waitcnt vmcnt(0) lgkmcnt(0)
	v_cmp_gt_i16_sdwa s[6:7], v6, s4 src0_sel:BYTE_0 src1_sel:DWORD
	s_mov_b64 s[4:5], 0
	s_and_saveexec_b64 s[8:9], s[6:7]
	s_xor_b64 s[6:7], exec, s[8:9]
	s_cbranch_execnz .LBB9_3073
; %bb.1025:
	s_or_saveexec_b64 s[6:7], s[6:7]
	v_mov_b32_e32 v12, s10
	s_xor_b64 exec, exec, s[6:7]
	s_cbranch_execnz .LBB9_3076
.LBB9_1026:
	s_or_b64 exec, exec, s[6:7]
	s_and_saveexec_b64 s[6:7], s[4:5]
	s_cbranch_execz .LBB9_1028
.LBB9_1027:
	v_and_b32_e32 v12, 7, v6
	v_ffbh_u32_e32 v14, v12
	v_min_u32_e32 v14, 32, v14
	v_lshrrev_b16_e32 v13, 3, v6
	v_subrev_u32_e32 v15, 28, v14
	v_and_b32_e32 v13, 15, v13
	v_lshlrev_b32_e32 v15, v15, v6
	v_sub_u32_e32 v14, 29, v14
	v_and_b32_e32 v15, 7, v15
	v_cmp_eq_u16_e32 vcc, 0, v13
	v_cndmask_b32_e32 v12, v12, v15, vcc
	v_cndmask_b32_e32 v13, v13, v14, vcc
	v_lshlrev_b32_e32 v14, 24, v6
	v_mov_b32_e32 v15, 0x3b800000
	v_lshlrev_b32_e32 v12, 20, v12
	v_and_b32_e32 v14, 0x80000000, v14
	v_lshl_add_u32 v13, v13, 23, v15
	v_or3_b32 v12, v14, v13, v12
.LBB9_1028:
	s_or_b64 exec, exec, s[6:7]
	s_movk_i32 s4, 0x7f
	v_cmp_gt_i16_sdwa s[6:7], v2, s4 src0_sel:BYTE_0 src1_sel:DWORD
	s_mov_b64 s[4:5], 0
                                        ; implicit-def: $sgpr10
	s_and_saveexec_b64 s[8:9], s[6:7]
	s_xor_b64 s[6:7], exec, s[8:9]
	s_cbranch_execnz .LBB9_3077
; %bb.1029:
	s_or_saveexec_b64 s[6:7], s[6:7]
	v_mov_b32_e32 v13, s10
	s_xor_b64 exec, exec, s[6:7]
	s_cbranch_execnz .LBB9_3080
.LBB9_1030:
	s_or_b64 exec, exec, s[6:7]
	s_and_saveexec_b64 s[6:7], s[4:5]
	s_cbranch_execz .LBB9_1032
.LBB9_1031:
	v_and_b32_e32 v13, 7, v2
	v_ffbh_u32_e32 v15, v13
	v_min_u32_e32 v15, 32, v15
	v_lshrrev_b16_e32 v14, 3, v2
	v_subrev_u32_e32 v16, 28, v15
	v_and_b32_e32 v14, 15, v14
	v_lshlrev_b32_e32 v16, v16, v2
	v_sub_u32_e32 v15, 29, v15
	v_and_b32_e32 v16, 7, v16
	v_cmp_eq_u16_e32 vcc, 0, v14
	v_cndmask_b32_e32 v13, v13, v16, vcc
	v_cndmask_b32_e32 v14, v14, v15, vcc
	v_lshlrev_b32_e32 v15, 24, v2
	v_mov_b32_e32 v16, 0x3b800000
	v_lshlrev_b32_e32 v13, 20, v13
	v_and_b32_e32 v15, 0x80000000, v15
	v_lshl_add_u32 v14, v14, 23, v16
	v_or3_b32 v13, v15, v14, v13
.LBB9_1032:
	s_or_b64 exec, exec, s[6:7]
	flat_load_dwordx4 a[0:3], v[10:11] offset:128
	s_movk_i32 s4, 0x7f
                                        ; implicit-def: $sgpr10
	s_waitcnt vmcnt(0) lgkmcnt(0)
	v_mfma_f32_16x16x4f32 a[0:3], v12, v13, a[0:3]
	v_lshrrev_b32_e32 v13, 8, v6
	v_cmp_gt_i16_sdwa s[6:7], v13, s4 src0_sel:BYTE_0 src1_sel:DWORD
	s_mov_b64 s[4:5], 0
	s_and_saveexec_b64 s[8:9], s[6:7]
	s_xor_b64 s[6:7], exec, s[8:9]
	s_cbranch_execnz .LBB9_3081
; %bb.1033:
	s_or_saveexec_b64 s[6:7], s[6:7]
	v_mov_b32_e32 v12, s10
	s_xor_b64 exec, exec, s[6:7]
	s_cbranch_execnz .LBB9_3084
.LBB9_1034:
	s_or_b64 exec, exec, s[6:7]
	s_and_saveexec_b64 s[6:7], s[4:5]
	s_cbranch_execz .LBB9_1036
.LBB9_1035:
	v_bfe_u32 v12, v6, 8, 3
	v_ffbh_u32_e32 v15, v12
	v_min_u32_e32 v15, 32, v15
	v_lshrrev_b16_e32 v14, 3, v13
	v_subrev_u32_e32 v16, 28, v15
	v_and_b32_e32 v14, 15, v14
	v_lshlrev_b32_e32 v13, v16, v13
	v_sub_u32_e32 v15, 29, v15
	v_and_b32_e32 v13, 7, v13
	v_cmp_eq_u16_e32 vcc, 0, v14
	v_cndmask_b32_e32 v12, v12, v13, vcc
	v_cndmask_b32_e32 v13, v14, v15, vcc
	v_lshlrev_b32_e32 v14, 16, v6
	v_mov_b32_e32 v15, 0x3b800000
	v_lshlrev_b32_e32 v12, 20, v12
	v_and_b32_e32 v14, 0x80000000, v14
	v_lshl_add_u32 v13, v13, 23, v15
	v_or3_b32 v12, v14, v13, v12
.LBB9_1036:
	s_or_b64 exec, exec, s[6:7]
	v_lshrrev_b32_e32 v13, 8, v2
	s_movk_i32 s4, 0x7f
	v_cmp_gt_i16_sdwa s[6:7], v13, s4 src0_sel:BYTE_0 src1_sel:DWORD
	s_mov_b64 s[4:5], 0
                                        ; implicit-def: $sgpr10
	s_and_saveexec_b64 s[8:9], s[6:7]
	s_xor_b64 s[6:7], exec, s[8:9]
	s_cbranch_execnz .LBB9_3085
; %bb.1037:
	s_or_saveexec_b64 s[6:7], s[6:7]
	v_mov_b32_e32 v14, s10
	s_xor_b64 exec, exec, s[6:7]
	s_cbranch_execnz .LBB9_3088
.LBB9_1038:
	s_or_b64 exec, exec, s[6:7]
	s_and_saveexec_b64 s[6:7], s[4:5]
	s_cbranch_execz .LBB9_1040
.LBB9_1039:
	v_bfe_u32 v14, v2, 8, 3
	v_ffbh_u32_e32 v16, v14
	v_min_u32_e32 v16, 32, v16
	v_lshrrev_b16_e32 v15, 3, v13
	v_subrev_u32_e32 v17, 28, v16
	v_and_b32_e32 v15, 15, v15
	v_lshlrev_b32_e32 v13, v17, v13
	v_sub_u32_e32 v16, 29, v16
	v_and_b32_e32 v13, 7, v13
	v_cmp_eq_u16_e32 vcc, 0, v15
	v_cndmask_b32_e32 v13, v14, v13, vcc
	v_cndmask_b32_e32 v14, v15, v16, vcc
	v_lshlrev_b32_e32 v15, 16, v2
	v_mov_b32_e32 v16, 0x3b800000
	v_lshlrev_b32_e32 v13, 20, v13
	v_and_b32_e32 v15, 0x80000000, v15
	v_lshl_add_u32 v14, v14, 23, v16
	v_or3_b32 v14, v15, v14, v13
.LBB9_1040:
	s_or_b64 exec, exec, s[6:7]
	s_nop 0
	v_mfma_f32_16x16x4f32 a[0:3], v12, v14, a[0:3]
	s_movk_i32 s4, 0xff
	v_and_b32_sdwa v13, v6, s4 dst_sel:DWORD dst_unused:UNUSED_PAD src0_sel:WORD_1 src1_sel:DWORD
	s_movk_i32 s4, 0x7f
	v_cmp_lt_i16_e32 vcc, s4, v13
	s_mov_b64 s[4:5], 0
                                        ; implicit-def: $sgpr10
	s_and_saveexec_b64 s[6:7], vcc
	s_xor_b64 s[6:7], exec, s[6:7]
	s_cbranch_execnz .LBB9_3089
; %bb.1041:
	s_or_saveexec_b64 s[6:7], s[6:7]
	v_mov_b32_e32 v12, s10
	s_xor_b64 exec, exec, s[6:7]
	s_cbranch_execnz .LBB9_3092
.LBB9_1042:
	s_or_b64 exec, exec, s[6:7]
	s_and_saveexec_b64 s[6:7], s[4:5]
	s_cbranch_execz .LBB9_1044
.LBB9_1043:
	v_bfe_u32 v12, v6, 16, 3
	v_ffbh_u32_e32 v15, v12
	v_min_u32_e32 v15, 32, v15
	v_lshrrev_b32_e32 v13, 19, v6
	v_subrev_u32_e32 v16, 28, v15
	v_and_b32_e32 v13, 15, v13
	v_lshlrev_b32_sdwa v16, v16, v6 dst_sel:DWORD dst_unused:UNUSED_PAD src0_sel:DWORD src1_sel:WORD_1
	v_bfe_u32 v14, v6, 19, 4
	v_sub_u32_e32 v15, 29, v15
	v_and_b32_e32 v16, 7, v16
	v_cmp_eq_u16_e32 vcc, 0, v13
	v_cndmask_b32_e32 v12, v12, v16, vcc
	v_cndmask_b32_e32 v13, v14, v15, vcc
	v_lshlrev_b32_e32 v14, 8, v6
	v_mov_b32_e32 v15, 0x3b800000
	v_lshlrev_b32_e32 v12, 20, v12
	v_and_b32_e32 v14, 0x80000000, v14
	v_lshl_add_u32 v13, v13, 23, v15
	v_or3_b32 v12, v14, v13, v12
.LBB9_1044:
	s_or_b64 exec, exec, s[6:7]
	s_movk_i32 s4, 0xff
	v_and_b32_sdwa v13, v2, s4 dst_sel:DWORD dst_unused:UNUSED_PAD src0_sel:WORD_1 src1_sel:DWORD
	s_movk_i32 s4, 0x7f
	v_cmp_lt_i16_e32 vcc, s4, v13
	s_mov_b64 s[4:5], 0
                                        ; implicit-def: $sgpr10
	s_and_saveexec_b64 s[6:7], vcc
	s_xor_b64 s[6:7], exec, s[6:7]
	s_cbranch_execnz .LBB9_3093
; %bb.1045:
	s_or_saveexec_b64 s[6:7], s[6:7]
	v_mov_b32_e32 v14, s10
	s_xor_b64 exec, exec, s[6:7]
	s_cbranch_execnz .LBB9_3096
.LBB9_1046:
	s_or_b64 exec, exec, s[6:7]
	s_and_saveexec_b64 s[6:7], s[4:5]
	s_cbranch_execz .LBB9_1048
.LBB9_1047:
	v_bfe_u32 v13, v2, 16, 3
	v_ffbh_u32_e32 v16, v13
	v_min_u32_e32 v16, 32, v16
	v_lshrrev_b32_e32 v14, 19, v2
	v_subrev_u32_e32 v17, 28, v16
	v_and_b32_e32 v14, 15, v14
	v_lshlrev_b32_sdwa v17, v17, v2 dst_sel:DWORD dst_unused:UNUSED_PAD src0_sel:DWORD src1_sel:WORD_1
	v_bfe_u32 v15, v2, 19, 4
	v_sub_u32_e32 v16, 29, v16
	v_and_b32_e32 v17, 7, v17
	v_cmp_eq_u16_e32 vcc, 0, v14
	v_cndmask_b32_e32 v13, v13, v17, vcc
	v_cndmask_b32_e32 v14, v15, v16, vcc
	v_lshlrev_b32_e32 v15, 8, v2
	v_mov_b32_e32 v16, 0x3b800000
	v_lshlrev_b32_e32 v13, 20, v13
	v_and_b32_e32 v15, 0x80000000, v15
	v_lshl_add_u32 v14, v14, 23, v16
	v_or3_b32 v14, v15, v14, v13
.LBB9_1048:
	s_or_b64 exec, exec, s[6:7]
	s_nop 0
	v_mfma_f32_16x16x4f32 a[0:3], v12, v14, a[0:3]
	s_movk_i32 s4, 0x7f
	v_cmp_gt_i16_sdwa s[6:7], v6, s4 src0_sel:BYTE_3 src1_sel:DWORD
	s_mov_b64 s[4:5], 0
                                        ; implicit-def: $sgpr10
	s_and_saveexec_b64 s[8:9], s[6:7]
	s_xor_b64 s[6:7], exec, s[8:9]
	s_cbranch_execnz .LBB9_3097
; %bb.1049:
	s_or_saveexec_b64 s[6:7], s[6:7]
	v_mov_b32_e32 v12, s10
	s_xor_b64 exec, exec, s[6:7]
	s_cbranch_execnz .LBB9_3100
.LBB9_1050:
	s_or_b64 exec, exec, s[6:7]
	s_and_saveexec_b64 s[6:7], s[4:5]
	s_cbranch_execz .LBB9_1052
.LBB9_1051:
	v_bfe_u32 v12, v6, 24, 3
	v_ffbh_u32_e32 v16, v12
	v_min_u32_e32 v16, 32, v16
	v_lshrrev_b32_e32 v14, 27, v6
	v_subrev_u32_e32 v17, 28, v16
	v_and_b32_e32 v13, 0x80000000, v6
	v_and_b32_e32 v14, 15, v14
	v_bfe_u32 v15, v6, 27, 4
	v_lshlrev_b32_sdwa v6, v17, v6 dst_sel:DWORD dst_unused:UNUSED_PAD src0_sel:DWORD src1_sel:BYTE_3
	v_sub_u32_e32 v16, 29, v16
	v_and_b32_e32 v6, 7, v6
	v_cmp_eq_u16_e32 vcc, 0, v14
	v_cndmask_b32_e32 v6, v12, v6, vcc
	v_cndmask_b32_e32 v12, v15, v16, vcc
	v_mov_b32_e32 v14, 0x3b800000
	v_lshlrev_b32_e32 v6, 20, v6
	v_lshl_add_u32 v12, v12, 23, v14
	v_or3_b32 v12, v13, v12, v6
.LBB9_1052:
	s_or_b64 exec, exec, s[6:7]
	s_movk_i32 s4, 0x7f
	v_cmp_gt_i16_sdwa s[6:7], v2, s4 src0_sel:BYTE_3 src1_sel:DWORD
	s_mov_b64 s[4:5], 0
                                        ; implicit-def: $sgpr10
	s_and_saveexec_b64 s[8:9], s[6:7]
	s_xor_b64 s[6:7], exec, s[8:9]
	s_cbranch_execnz .LBB9_3101
; %bb.1053:
	s_or_saveexec_b64 s[6:7], s[6:7]
	v_mov_b32_e32 v6, s10
	s_xor_b64 exec, exec, s[6:7]
	s_cbranch_execnz .LBB9_3104
.LBB9_1054:
	s_or_b64 exec, exec, s[6:7]
	s_and_saveexec_b64 s[6:7], s[4:5]
	s_cbranch_execz .LBB9_1056
.LBB9_1055:
	v_bfe_u32 v6, v2, 24, 3
	v_ffbh_u32_e32 v16, v6
	v_min_u32_e32 v16, 32, v16
	v_lshrrev_b32_e32 v14, 27, v2
	v_subrev_u32_e32 v17, 28, v16
	v_and_b32_e32 v13, 0x80000000, v2
	v_and_b32_e32 v14, 15, v14
	v_bfe_u32 v15, v2, 27, 4
	v_lshlrev_b32_sdwa v2, v17, v2 dst_sel:DWORD dst_unused:UNUSED_PAD src0_sel:DWORD src1_sel:BYTE_3
	v_sub_u32_e32 v16, 29, v16
	v_and_b32_e32 v2, 7, v2
	v_cmp_eq_u16_e32 vcc, 0, v14
	v_cndmask_b32_e32 v2, v6, v2, vcc
	v_cndmask_b32_e32 v6, v15, v16, vcc
	v_mov_b32_e32 v14, 0x3b800000
	v_lshlrev_b32_e32 v2, 20, v2
	v_lshl_add_u32 v6, v6, 23, v14
	v_or3_b32 v6, v13, v6, v2
.LBB9_1056:
	s_or_b64 exec, exec, s[6:7]
	s_nop 0
	v_mfma_f32_16x16x4f32 a[0:3], v12, v6, a[0:3]
	s_movk_i32 s4, 0x7f
	v_cmp_gt_i16_sdwa s[6:7], v7, s4 src0_sel:BYTE_0 src1_sel:DWORD
	s_mov_b64 s[4:5], 0
                                        ; implicit-def: $sgpr10
	s_and_saveexec_b64 s[8:9], s[6:7]
	s_xor_b64 s[6:7], exec, s[8:9]
	s_cbranch_execnz .LBB9_3105
; %bb.1057:
	s_or_saveexec_b64 s[6:7], s[6:7]
	v_mov_b32_e32 v2, s10
	s_xor_b64 exec, exec, s[6:7]
	s_cbranch_execnz .LBB9_3108
.LBB9_1058:
	s_or_b64 exec, exec, s[6:7]
	s_and_saveexec_b64 s[6:7], s[4:5]
	s_cbranch_execz .LBB9_1060
.LBB9_1059:
	v_and_b32_e32 v2, 7, v7
	v_ffbh_u32_e32 v12, v2
	v_min_u32_e32 v12, 32, v12
	v_lshrrev_b16_e32 v6, 3, v7
	v_subrev_u32_e32 v13, 28, v12
	v_and_b32_e32 v6, 15, v6
	v_lshlrev_b32_e32 v13, v13, v7
	v_sub_u32_e32 v12, 29, v12
	v_and_b32_e32 v13, 7, v13
	v_cmp_eq_u16_e32 vcc, 0, v6
	v_cndmask_b32_e32 v2, v2, v13, vcc
	v_cndmask_b32_e32 v6, v6, v12, vcc
	v_lshlrev_b32_e32 v12, 24, v7
	v_mov_b32_e32 v13, 0x3b800000
	v_lshlrev_b32_e32 v2, 20, v2
	v_and_b32_e32 v12, 0x80000000, v12
	v_lshl_add_u32 v6, v6, 23, v13
	v_or3_b32 v2, v12, v6, v2
.LBB9_1060:
	s_or_b64 exec, exec, s[6:7]
	s_movk_i32 s4, 0x7f
	v_cmp_gt_i16_sdwa s[6:7], v3, s4 src0_sel:BYTE_0 src1_sel:DWORD
	s_mov_b64 s[4:5], 0
                                        ; implicit-def: $sgpr10
	s_and_saveexec_b64 s[8:9], s[6:7]
	s_xor_b64 s[6:7], exec, s[8:9]
	s_cbranch_execnz .LBB9_3109
; %bb.1061:
	s_or_saveexec_b64 s[6:7], s[6:7]
	v_mov_b32_e32 v6, s10
	s_xor_b64 exec, exec, s[6:7]
	s_cbranch_execnz .LBB9_3112
.LBB9_1062:
	s_or_b64 exec, exec, s[6:7]
	s_and_saveexec_b64 s[6:7], s[4:5]
	s_cbranch_execz .LBB9_1064
.LBB9_1063:
	v_and_b32_e32 v6, 7, v3
	v_ffbh_u32_e32 v13, v6
	v_min_u32_e32 v13, 32, v13
	v_lshrrev_b16_e32 v12, 3, v3
	v_subrev_u32_e32 v14, 28, v13
	v_and_b32_e32 v12, 15, v12
	v_lshlrev_b32_e32 v14, v14, v3
	v_sub_u32_e32 v13, 29, v13
	v_and_b32_e32 v14, 7, v14
	v_cmp_eq_u16_e32 vcc, 0, v12
	v_cndmask_b32_e32 v6, v6, v14, vcc
	v_cndmask_b32_e32 v12, v12, v13, vcc
	v_lshlrev_b32_e32 v13, 24, v3
	v_mov_b32_e32 v14, 0x3b800000
	v_lshlrev_b32_e32 v6, 20, v6
	v_and_b32_e32 v13, 0x80000000, v13
	v_lshl_add_u32 v12, v12, 23, v14
	v_or3_b32 v6, v13, v12, v6
.LBB9_1064:
	s_or_b64 exec, exec, s[6:7]
	s_nop 0
	v_mfma_f32_16x16x4f32 a[0:3], v2, v6, a[0:3]
	v_lshrrev_b32_e32 v6, 8, v7
	s_movk_i32 s4, 0x7f
	v_cmp_gt_i16_sdwa s[6:7], v6, s4 src0_sel:BYTE_0 src1_sel:DWORD
	s_mov_b64 s[4:5], 0
                                        ; implicit-def: $sgpr10
	s_and_saveexec_b64 s[8:9], s[6:7]
	s_xor_b64 s[6:7], exec, s[8:9]
	s_cbranch_execnz .LBB9_3113
; %bb.1065:
	s_or_saveexec_b64 s[6:7], s[6:7]
	v_mov_b32_e32 v2, s10
	s_xor_b64 exec, exec, s[6:7]
	s_cbranch_execnz .LBB9_3116
.LBB9_1066:
	s_or_b64 exec, exec, s[6:7]
	s_and_saveexec_b64 s[6:7], s[4:5]
	s_cbranch_execz .LBB9_1068
.LBB9_1067:
	v_bfe_u32 v2, v7, 8, 3
	v_ffbh_u32_e32 v13, v2
	v_min_u32_e32 v13, 32, v13
	v_lshrrev_b16_e32 v12, 3, v6
	v_subrev_u32_e32 v14, 28, v13
	v_and_b32_e32 v12, 15, v12
	v_lshlrev_b32_e32 v6, v14, v6
	v_sub_u32_e32 v13, 29, v13
	v_and_b32_e32 v6, 7, v6
	v_cmp_eq_u16_e32 vcc, 0, v12
	v_cndmask_b32_e32 v2, v2, v6, vcc
	v_cndmask_b32_e32 v6, v12, v13, vcc
	v_lshlrev_b32_e32 v12, 16, v7
	v_mov_b32_e32 v13, 0x3b800000
	v_lshlrev_b32_e32 v2, 20, v2
	v_and_b32_e32 v12, 0x80000000, v12
	v_lshl_add_u32 v6, v6, 23, v13
	v_or3_b32 v2, v12, v6, v2
.LBB9_1068:
	s_or_b64 exec, exec, s[6:7]
	v_lshrrev_b32_e32 v6, 8, v3
	s_movk_i32 s4, 0x7f
	v_cmp_gt_i16_sdwa s[6:7], v6, s4 src0_sel:BYTE_0 src1_sel:DWORD
	s_mov_b64 s[4:5], 0
                                        ; implicit-def: $sgpr10
	s_and_saveexec_b64 s[8:9], s[6:7]
	s_xor_b64 s[6:7], exec, s[8:9]
	s_cbranch_execnz .LBB9_3117
; %bb.1069:
	s_or_saveexec_b64 s[6:7], s[6:7]
	v_mov_b32_e32 v12, s10
	s_xor_b64 exec, exec, s[6:7]
	s_cbranch_execnz .LBB9_3120
.LBB9_1070:
	s_or_b64 exec, exec, s[6:7]
	s_and_saveexec_b64 s[6:7], s[4:5]
	s_cbranch_execz .LBB9_1072
.LBB9_1071:
	v_bfe_u32 v12, v3, 8, 3
	v_ffbh_u32_e32 v14, v12
	v_min_u32_e32 v14, 32, v14
	v_lshrrev_b16_e32 v13, 3, v6
	v_subrev_u32_e32 v15, 28, v14
	v_and_b32_e32 v13, 15, v13
	v_lshlrev_b32_e32 v6, v15, v6
	v_sub_u32_e32 v14, 29, v14
	v_and_b32_e32 v6, 7, v6
	v_cmp_eq_u16_e32 vcc, 0, v13
	v_cndmask_b32_e32 v6, v12, v6, vcc
	v_cndmask_b32_e32 v12, v13, v14, vcc
	v_lshlrev_b32_e32 v13, 16, v3
	v_mov_b32_e32 v14, 0x3b800000
	v_lshlrev_b32_e32 v6, 20, v6
	v_and_b32_e32 v13, 0x80000000, v13
	v_lshl_add_u32 v12, v12, 23, v14
	v_or3_b32 v12, v13, v12, v6
.LBB9_1072:
	s_or_b64 exec, exec, s[6:7]
	s_nop 0
	v_mfma_f32_16x16x4f32 a[0:3], v2, v12, a[0:3]
	s_movk_i32 s4, 0xff
	v_and_b32_sdwa v6, v7, s4 dst_sel:DWORD dst_unused:UNUSED_PAD src0_sel:WORD_1 src1_sel:DWORD
	s_movk_i32 s4, 0x7f
	v_cmp_lt_i16_e32 vcc, s4, v6
	s_mov_b64 s[4:5], 0
                                        ; implicit-def: $sgpr10
	s_and_saveexec_b64 s[6:7], vcc
	s_xor_b64 s[6:7], exec, s[6:7]
	s_cbranch_execnz .LBB9_3121
; %bb.1073:
	s_or_saveexec_b64 s[6:7], s[6:7]
	v_mov_b32_e32 v2, s10
	s_xor_b64 exec, exec, s[6:7]
	s_cbranch_execnz .LBB9_3124
.LBB9_1074:
	s_or_b64 exec, exec, s[6:7]
	s_and_saveexec_b64 s[6:7], s[4:5]
	s_cbranch_execz .LBB9_1076
.LBB9_1075:
	v_bfe_u32 v2, v7, 16, 3
	v_ffbh_u32_e32 v13, v2
	v_min_u32_e32 v13, 32, v13
	v_lshrrev_b32_e32 v6, 19, v7
	v_subrev_u32_e32 v14, 28, v13
	v_and_b32_e32 v6, 15, v6
	v_lshlrev_b32_sdwa v14, v14, v7 dst_sel:DWORD dst_unused:UNUSED_PAD src0_sel:DWORD src1_sel:WORD_1
	v_bfe_u32 v12, v7, 19, 4
	v_sub_u32_e32 v13, 29, v13
	v_and_b32_e32 v14, 7, v14
	v_cmp_eq_u16_e32 vcc, 0, v6
	v_cndmask_b32_e32 v2, v2, v14, vcc
	v_cndmask_b32_e32 v6, v12, v13, vcc
	v_lshlrev_b32_e32 v12, 8, v7
	v_mov_b32_e32 v13, 0x3b800000
	v_lshlrev_b32_e32 v2, 20, v2
	v_and_b32_e32 v12, 0x80000000, v12
	v_lshl_add_u32 v6, v6, 23, v13
	v_or3_b32 v2, v12, v6, v2
.LBB9_1076:
	s_or_b64 exec, exec, s[6:7]
	s_movk_i32 s4, 0xff
	v_and_b32_sdwa v6, v3, s4 dst_sel:DWORD dst_unused:UNUSED_PAD src0_sel:WORD_1 src1_sel:DWORD
	s_movk_i32 s4, 0x7f
	v_cmp_lt_i16_e32 vcc, s4, v6
	s_mov_b64 s[4:5], 0
                                        ; implicit-def: $sgpr10
	s_and_saveexec_b64 s[6:7], vcc
	s_xor_b64 s[6:7], exec, s[6:7]
	s_cbranch_execnz .LBB9_3125
; %bb.1077:
	s_or_saveexec_b64 s[6:7], s[6:7]
	v_mov_b32_e32 v12, s10
	s_xor_b64 exec, exec, s[6:7]
	s_cbranch_execnz .LBB9_3128
.LBB9_1078:
	s_or_b64 exec, exec, s[6:7]
	s_and_saveexec_b64 s[6:7], s[4:5]
	s_cbranch_execz .LBB9_1080
.LBB9_1079:
	v_bfe_u32 v6, v3, 16, 3
	v_ffbh_u32_e32 v14, v6
	v_min_u32_e32 v14, 32, v14
	v_lshrrev_b32_e32 v12, 19, v3
	v_subrev_u32_e32 v15, 28, v14
	v_and_b32_e32 v12, 15, v12
	v_lshlrev_b32_sdwa v15, v15, v3 dst_sel:DWORD dst_unused:UNUSED_PAD src0_sel:DWORD src1_sel:WORD_1
	v_bfe_u32 v13, v3, 19, 4
	v_sub_u32_e32 v14, 29, v14
	v_and_b32_e32 v15, 7, v15
	v_cmp_eq_u16_e32 vcc, 0, v12
	v_cndmask_b32_e32 v6, v6, v15, vcc
	v_cndmask_b32_e32 v12, v13, v14, vcc
	v_lshlrev_b32_e32 v13, 8, v3
	v_mov_b32_e32 v14, 0x3b800000
	v_lshlrev_b32_e32 v6, 20, v6
	v_and_b32_e32 v13, 0x80000000, v13
	v_lshl_add_u32 v12, v12, 23, v14
	v_or3_b32 v12, v13, v12, v6
.LBB9_1080:
	s_or_b64 exec, exec, s[6:7]
	s_nop 0
	v_mfma_f32_16x16x4f32 a[0:3], v2, v12, a[0:3]
	s_movk_i32 s4, 0x7f
	v_cmp_gt_i16_sdwa s[6:7], v7, s4 src0_sel:BYTE_3 src1_sel:DWORD
	s_mov_b64 s[4:5], 0
                                        ; implicit-def: $sgpr10
	s_and_saveexec_b64 s[8:9], s[6:7]
	s_xor_b64 s[6:7], exec, s[8:9]
	s_cbranch_execnz .LBB9_3129
; %bb.1081:
	s_or_saveexec_b64 s[6:7], s[6:7]
	v_mov_b32_e32 v2, s10
	s_xor_b64 exec, exec, s[6:7]
	s_cbranch_execnz .LBB9_3132
.LBB9_1082:
	s_or_b64 exec, exec, s[6:7]
	s_and_saveexec_b64 s[6:7], s[4:5]
	s_cbranch_execz .LBB9_1084
.LBB9_1083:
	v_bfe_u32 v2, v7, 24, 3
	v_ffbh_u32_e32 v14, v2
	v_min_u32_e32 v14, 32, v14
	v_lshrrev_b32_e32 v12, 27, v7
	v_subrev_u32_e32 v15, 28, v14
	v_and_b32_e32 v6, 0x80000000, v7
	v_and_b32_e32 v12, 15, v12
	v_bfe_u32 v13, v7, 27, 4
	v_lshlrev_b32_sdwa v7, v15, v7 dst_sel:DWORD dst_unused:UNUSED_PAD src0_sel:DWORD src1_sel:BYTE_3
	v_sub_u32_e32 v14, 29, v14
	v_and_b32_e32 v7, 7, v7
	v_cmp_eq_u16_e32 vcc, 0, v12
	v_cndmask_b32_e32 v2, v2, v7, vcc
	v_cndmask_b32_e32 v7, v13, v14, vcc
	v_mov_b32_e32 v12, 0x3b800000
	v_lshlrev_b32_e32 v2, 20, v2
	v_lshl_add_u32 v7, v7, 23, v12
	v_or3_b32 v2, v6, v7, v2
.LBB9_1084:
	s_or_b64 exec, exec, s[6:7]
	s_movk_i32 s4, 0x7f
	v_cmp_gt_i16_sdwa s[6:7], v3, s4 src0_sel:BYTE_3 src1_sel:DWORD
	s_mov_b64 s[4:5], 0
                                        ; implicit-def: $sgpr10
	s_and_saveexec_b64 s[8:9], s[6:7]
	s_xor_b64 s[6:7], exec, s[8:9]
	s_cbranch_execnz .LBB9_3133
; %bb.1085:
	s_or_saveexec_b64 s[6:7], s[6:7]
	v_mov_b32_e32 v6, s10
	s_xor_b64 exec, exec, s[6:7]
	s_cbranch_execnz .LBB9_3136
.LBB9_1086:
	s_or_b64 exec, exec, s[6:7]
	s_and_saveexec_b64 s[6:7], s[4:5]
	s_cbranch_execz .LBB9_1088
.LBB9_1087:
	v_bfe_u32 v6, v3, 24, 3
	v_ffbh_u32_e32 v14, v6
	v_min_u32_e32 v14, 32, v14
	v_lshrrev_b32_e32 v12, 27, v3
	v_subrev_u32_e32 v15, 28, v14
	v_and_b32_e32 v7, 0x80000000, v3
	v_and_b32_e32 v12, 15, v12
	v_bfe_u32 v13, v3, 27, 4
	v_lshlrev_b32_sdwa v3, v15, v3 dst_sel:DWORD dst_unused:UNUSED_PAD src0_sel:DWORD src1_sel:BYTE_3
	v_sub_u32_e32 v14, 29, v14
	v_and_b32_e32 v3, 7, v3
	v_cmp_eq_u16_e32 vcc, 0, v12
	v_cndmask_b32_e32 v3, v6, v3, vcc
	v_cndmask_b32_e32 v6, v13, v14, vcc
	v_mov_b32_e32 v12, 0x3b800000
	v_lshlrev_b32_e32 v3, 20, v3
	v_lshl_add_u32 v6, v6, 23, v12
	v_or3_b32 v6, v7, v6, v3
.LBB9_1088:
	s_or_b64 exec, exec, s[6:7]
	s_nop 0
	v_mfma_f32_16x16x4f32 a[0:3], v2, v6, a[0:3]
	s_movk_i32 s4, 0x7f
	v_cmp_gt_i16_sdwa s[6:7], v8, s4 src0_sel:BYTE_0 src1_sel:DWORD
	s_mov_b64 s[4:5], 0
                                        ; implicit-def: $sgpr10
	s_and_saveexec_b64 s[8:9], s[6:7]
	s_xor_b64 s[6:7], exec, s[8:9]
	s_cbranch_execnz .LBB9_3137
; %bb.1089:
	s_or_saveexec_b64 s[6:7], s[6:7]
	v_mov_b32_e32 v2, s10
	s_xor_b64 exec, exec, s[6:7]
	s_cbranch_execnz .LBB9_3140
.LBB9_1090:
	s_or_b64 exec, exec, s[6:7]
	s_and_saveexec_b64 s[6:7], s[4:5]
	s_cbranch_execz .LBB9_1092
.LBB9_1091:
	v_and_b32_e32 v2, 7, v8
	v_ffbh_u32_e32 v6, v2
	v_min_u32_e32 v6, 32, v6
	v_lshrrev_b16_e32 v3, 3, v8
	v_subrev_u32_e32 v7, 28, v6
	v_and_b32_e32 v3, 15, v3
	v_lshlrev_b32_e32 v7, v7, v8
	v_sub_u32_e32 v6, 29, v6
	v_and_b32_e32 v7, 7, v7
	v_cmp_eq_u16_e32 vcc, 0, v3
	v_cndmask_b32_e32 v2, v2, v7, vcc
	v_cndmask_b32_e32 v3, v3, v6, vcc
	v_lshlrev_b32_e32 v6, 24, v8
	v_mov_b32_e32 v7, 0x3b800000
	v_lshlrev_b32_e32 v2, 20, v2
	v_and_b32_e32 v6, 0x80000000, v6
	v_lshl_add_u32 v3, v3, 23, v7
	v_or3_b32 v2, v6, v3, v2
.LBB9_1092:
	s_or_b64 exec, exec, s[6:7]
	s_movk_i32 s4, 0x7f
	v_cmp_gt_i16_sdwa s[6:7], v4, s4 src0_sel:BYTE_0 src1_sel:DWORD
	s_mov_b64 s[4:5], 0
                                        ; implicit-def: $sgpr10
	s_and_saveexec_b64 s[8:9], s[6:7]
	s_xor_b64 s[6:7], exec, s[8:9]
	s_cbranch_execnz .LBB9_3141
; %bb.1093:
	s_or_saveexec_b64 s[6:7], s[6:7]
	v_mov_b32_e32 v3, s10
	s_xor_b64 exec, exec, s[6:7]
	s_cbranch_execnz .LBB9_3144
.LBB9_1094:
	s_or_b64 exec, exec, s[6:7]
	s_and_saveexec_b64 s[6:7], s[4:5]
	s_cbranch_execz .LBB9_1096
.LBB9_1095:
	v_and_b32_e32 v3, 7, v4
	v_ffbh_u32_e32 v7, v3
	v_min_u32_e32 v7, 32, v7
	v_lshrrev_b16_e32 v6, 3, v4
	v_subrev_u32_e32 v12, 28, v7
	v_and_b32_e32 v6, 15, v6
	v_lshlrev_b32_e32 v12, v12, v4
	v_sub_u32_e32 v7, 29, v7
	v_and_b32_e32 v12, 7, v12
	v_cmp_eq_u16_e32 vcc, 0, v6
	v_cndmask_b32_e32 v3, v3, v12, vcc
	v_cndmask_b32_e32 v6, v6, v7, vcc
	v_lshlrev_b32_e32 v7, 24, v4
	v_mov_b32_e32 v12, 0x3b800000
	v_lshlrev_b32_e32 v3, 20, v3
	v_and_b32_e32 v7, 0x80000000, v7
	v_lshl_add_u32 v6, v6, 23, v12
	v_or3_b32 v3, v7, v6, v3
.LBB9_1096:
	s_or_b64 exec, exec, s[6:7]
	s_nop 0
	v_mfma_f32_16x16x4f32 a[0:3], v2, v3, a[0:3]
	v_lshrrev_b32_e32 v3, 8, v8
	s_movk_i32 s4, 0x7f
	v_cmp_gt_i16_sdwa s[6:7], v3, s4 src0_sel:BYTE_0 src1_sel:DWORD
	s_mov_b64 s[4:5], 0
                                        ; implicit-def: $sgpr10
	s_and_saveexec_b64 s[8:9], s[6:7]
	s_xor_b64 s[6:7], exec, s[8:9]
	s_cbranch_execnz .LBB9_3145
; %bb.1097:
	s_or_saveexec_b64 s[6:7], s[6:7]
	v_mov_b32_e32 v2, s10
	s_xor_b64 exec, exec, s[6:7]
	s_cbranch_execnz .LBB9_3148
.LBB9_1098:
	s_or_b64 exec, exec, s[6:7]
	s_and_saveexec_b64 s[6:7], s[4:5]
	s_cbranch_execz .LBB9_1100
.LBB9_1099:
	v_bfe_u32 v2, v8, 8, 3
	v_ffbh_u32_e32 v7, v2
	v_min_u32_e32 v7, 32, v7
	v_lshrrev_b16_e32 v6, 3, v3
	v_subrev_u32_e32 v12, 28, v7
	v_and_b32_e32 v6, 15, v6
	v_lshlrev_b32_e32 v3, v12, v3
	v_sub_u32_e32 v7, 29, v7
	v_and_b32_e32 v3, 7, v3
	v_cmp_eq_u16_e32 vcc, 0, v6
	v_cndmask_b32_e32 v2, v2, v3, vcc
	v_cndmask_b32_e32 v3, v6, v7, vcc
	v_lshlrev_b32_e32 v6, 16, v8
	v_mov_b32_e32 v7, 0x3b800000
	v_lshlrev_b32_e32 v2, 20, v2
	v_and_b32_e32 v6, 0x80000000, v6
	v_lshl_add_u32 v3, v3, 23, v7
	v_or3_b32 v2, v6, v3, v2
.LBB9_1100:
	s_or_b64 exec, exec, s[6:7]
	v_lshrrev_b32_e32 v3, 8, v4
	s_movk_i32 s4, 0x7f
	v_cmp_gt_i16_sdwa s[6:7], v3, s4 src0_sel:BYTE_0 src1_sel:DWORD
	s_mov_b64 s[4:5], 0
                                        ; implicit-def: $sgpr10
	s_and_saveexec_b64 s[8:9], s[6:7]
	s_xor_b64 s[6:7], exec, s[8:9]
	s_cbranch_execnz .LBB9_3149
; %bb.1101:
	s_or_saveexec_b64 s[6:7], s[6:7]
	v_mov_b32_e32 v6, s10
	s_xor_b64 exec, exec, s[6:7]
	s_cbranch_execnz .LBB9_3152
.LBB9_1102:
	s_or_b64 exec, exec, s[6:7]
	s_and_saveexec_b64 s[6:7], s[4:5]
	s_cbranch_execz .LBB9_1104
.LBB9_1103:
	v_bfe_u32 v6, v4, 8, 3
	v_ffbh_u32_e32 v12, v6
	v_min_u32_e32 v12, 32, v12
	v_lshrrev_b16_e32 v7, 3, v3
	v_subrev_u32_e32 v13, 28, v12
	v_and_b32_e32 v7, 15, v7
	v_lshlrev_b32_e32 v3, v13, v3
	v_sub_u32_e32 v12, 29, v12
	v_and_b32_e32 v3, 7, v3
	v_cmp_eq_u16_e32 vcc, 0, v7
	v_cndmask_b32_e32 v3, v6, v3, vcc
	v_cndmask_b32_e32 v6, v7, v12, vcc
	v_lshlrev_b32_e32 v7, 16, v4
	v_mov_b32_e32 v12, 0x3b800000
	v_lshlrev_b32_e32 v3, 20, v3
	v_and_b32_e32 v7, 0x80000000, v7
	v_lshl_add_u32 v6, v6, 23, v12
	v_or3_b32 v6, v7, v6, v3
.LBB9_1104:
	s_or_b64 exec, exec, s[6:7]
	s_nop 0
	v_mfma_f32_16x16x4f32 a[0:3], v2, v6, a[0:3]
	s_movk_i32 s4, 0xff
	v_and_b32_sdwa v3, v8, s4 dst_sel:DWORD dst_unused:UNUSED_PAD src0_sel:WORD_1 src1_sel:DWORD
	s_movk_i32 s4, 0x7f
	v_cmp_lt_i16_e32 vcc, s4, v3
	s_mov_b64 s[4:5], 0
                                        ; implicit-def: $sgpr10
	s_and_saveexec_b64 s[6:7], vcc
	s_xor_b64 s[6:7], exec, s[6:7]
	s_cbranch_execnz .LBB9_3153
; %bb.1105:
	s_or_saveexec_b64 s[6:7], s[6:7]
	v_mov_b32_e32 v2, s10
	s_xor_b64 exec, exec, s[6:7]
	s_cbranch_execnz .LBB9_3156
.LBB9_1106:
	s_or_b64 exec, exec, s[6:7]
	s_and_saveexec_b64 s[6:7], s[4:5]
	s_cbranch_execz .LBB9_1108
.LBB9_1107:
	v_bfe_u32 v2, v8, 16, 3
	v_ffbh_u32_e32 v7, v2
	v_min_u32_e32 v7, 32, v7
	v_lshrrev_b32_e32 v3, 19, v8
	v_subrev_u32_e32 v12, 28, v7
	v_and_b32_e32 v3, 15, v3
	v_lshlrev_b32_sdwa v12, v12, v8 dst_sel:DWORD dst_unused:UNUSED_PAD src0_sel:DWORD src1_sel:WORD_1
	v_bfe_u32 v6, v8, 19, 4
	v_sub_u32_e32 v7, 29, v7
	v_and_b32_e32 v12, 7, v12
	v_cmp_eq_u16_e32 vcc, 0, v3
	v_cndmask_b32_e32 v2, v2, v12, vcc
	v_cndmask_b32_e32 v3, v6, v7, vcc
	v_lshlrev_b32_e32 v6, 8, v8
	v_mov_b32_e32 v7, 0x3b800000
	v_lshlrev_b32_e32 v2, 20, v2
	v_and_b32_e32 v6, 0x80000000, v6
	v_lshl_add_u32 v3, v3, 23, v7
	v_or3_b32 v2, v6, v3, v2
.LBB9_1108:
	s_or_b64 exec, exec, s[6:7]
	s_movk_i32 s4, 0xff
	v_and_b32_sdwa v3, v4, s4 dst_sel:DWORD dst_unused:UNUSED_PAD src0_sel:WORD_1 src1_sel:DWORD
	s_movk_i32 s4, 0x7f
	v_cmp_lt_i16_e32 vcc, s4, v3
	s_mov_b64 s[4:5], 0
                                        ; implicit-def: $sgpr10
	s_and_saveexec_b64 s[6:7], vcc
	s_xor_b64 s[6:7], exec, s[6:7]
	s_cbranch_execnz .LBB9_3157
; %bb.1109:
	s_or_saveexec_b64 s[6:7], s[6:7]
	v_mov_b32_e32 v6, s10
	s_xor_b64 exec, exec, s[6:7]
	s_cbranch_execnz .LBB9_3160
.LBB9_1110:
	s_or_b64 exec, exec, s[6:7]
	s_and_saveexec_b64 s[6:7], s[4:5]
	s_cbranch_execz .LBB9_1112
.LBB9_1111:
	v_bfe_u32 v3, v4, 16, 3
	v_ffbh_u32_e32 v12, v3
	v_min_u32_e32 v12, 32, v12
	v_lshrrev_b32_e32 v6, 19, v4
	v_subrev_u32_e32 v13, 28, v12
	v_and_b32_e32 v6, 15, v6
	v_lshlrev_b32_sdwa v13, v13, v4 dst_sel:DWORD dst_unused:UNUSED_PAD src0_sel:DWORD src1_sel:WORD_1
	v_bfe_u32 v7, v4, 19, 4
	v_sub_u32_e32 v12, 29, v12
	v_and_b32_e32 v13, 7, v13
	v_cmp_eq_u16_e32 vcc, 0, v6
	v_cndmask_b32_e32 v3, v3, v13, vcc
	v_cndmask_b32_e32 v6, v7, v12, vcc
	v_lshlrev_b32_e32 v7, 8, v4
	v_mov_b32_e32 v12, 0x3b800000
	v_lshlrev_b32_e32 v3, 20, v3
	v_and_b32_e32 v7, 0x80000000, v7
	v_lshl_add_u32 v6, v6, 23, v12
	v_or3_b32 v6, v7, v6, v3
.LBB9_1112:
	s_or_b64 exec, exec, s[6:7]
	s_nop 0
	v_mfma_f32_16x16x4f32 a[0:3], v2, v6, a[0:3]
	s_movk_i32 s4, 0x7f
	v_cmp_gt_i16_sdwa s[6:7], v8, s4 src0_sel:BYTE_3 src1_sel:DWORD
	s_mov_b64 s[4:5], 0
                                        ; implicit-def: $sgpr10
	s_and_saveexec_b64 s[8:9], s[6:7]
	s_xor_b64 s[6:7], exec, s[8:9]
	s_cbranch_execnz .LBB9_3161
; %bb.1113:
	s_or_saveexec_b64 s[6:7], s[6:7]
	v_mov_b32_e32 v2, s10
	s_xor_b64 exec, exec, s[6:7]
	s_cbranch_execnz .LBB9_3164
.LBB9_1114:
	s_or_b64 exec, exec, s[6:7]
	s_and_saveexec_b64 s[6:7], s[4:5]
	s_cbranch_execz .LBB9_1116
.LBB9_1115:
	v_bfe_u32 v2, v8, 24, 3
	v_ffbh_u32_e32 v12, v2
	v_min_u32_e32 v12, 32, v12
	v_lshrrev_b32_e32 v6, 27, v8
	v_subrev_u32_e32 v13, 28, v12
	v_and_b32_e32 v3, 0x80000000, v8
	v_and_b32_e32 v6, 15, v6
	v_bfe_u32 v7, v8, 27, 4
	v_lshlrev_b32_sdwa v8, v13, v8 dst_sel:DWORD dst_unused:UNUSED_PAD src0_sel:DWORD src1_sel:BYTE_3
	v_sub_u32_e32 v12, 29, v12
	v_and_b32_e32 v8, 7, v8
	v_cmp_eq_u16_e32 vcc, 0, v6
	v_cndmask_b32_e32 v2, v2, v8, vcc
	v_cndmask_b32_e32 v6, v7, v12, vcc
	v_mov_b32_e32 v7, 0x3b800000
	v_lshlrev_b32_e32 v2, 20, v2
	v_lshl_add_u32 v6, v6, 23, v7
	v_or3_b32 v2, v3, v6, v2
.LBB9_1116:
	s_or_b64 exec, exec, s[6:7]
	s_movk_i32 s4, 0x7f
	v_cmp_gt_i16_sdwa s[6:7], v4, s4 src0_sel:BYTE_3 src1_sel:DWORD
	s_mov_b64 s[4:5], 0
                                        ; implicit-def: $sgpr10
	s_and_saveexec_b64 s[8:9], s[6:7]
	s_xor_b64 s[6:7], exec, s[8:9]
	s_cbranch_execnz .LBB9_3165
; %bb.1117:
	s_or_saveexec_b64 s[6:7], s[6:7]
	v_mov_b32_e32 v3, s10
	s_xor_b64 exec, exec, s[6:7]
	s_cbranch_execnz .LBB9_3168
.LBB9_1118:
	s_or_b64 exec, exec, s[6:7]
	s_and_saveexec_b64 s[6:7], s[4:5]
	s_cbranch_execz .LBB9_1120
.LBB9_1119:
	v_bfe_u32 v3, v4, 24, 3
	v_ffbh_u32_e32 v12, v3
	v_min_u32_e32 v12, 32, v12
	v_lshrrev_b32_e32 v7, 27, v4
	v_subrev_u32_e32 v13, 28, v12
	v_and_b32_e32 v6, 0x80000000, v4
	v_and_b32_e32 v7, 15, v7
	v_bfe_u32 v8, v4, 27, 4
	v_lshlrev_b32_sdwa v4, v13, v4 dst_sel:DWORD dst_unused:UNUSED_PAD src0_sel:DWORD src1_sel:BYTE_3
	v_sub_u32_e32 v12, 29, v12
	v_and_b32_e32 v4, 7, v4
	v_cmp_eq_u16_e32 vcc, 0, v7
	v_cndmask_b32_e32 v3, v3, v4, vcc
	v_cndmask_b32_e32 v4, v8, v12, vcc
	v_mov_b32_e32 v7, 0x3b800000
	v_lshlrev_b32_e32 v3, 20, v3
	v_lshl_add_u32 v4, v4, 23, v7
	v_or3_b32 v3, v6, v4, v3
.LBB9_1120:
	s_or_b64 exec, exec, s[6:7]
	s_nop 0
	v_mfma_f32_16x16x4f32 a[0:3], v2, v3, a[0:3]
	s_movk_i32 s4, 0x7f
	v_cmp_gt_i16_sdwa s[6:7], v9, s4 src0_sel:BYTE_0 src1_sel:DWORD
	s_mov_b64 s[4:5], 0
                                        ; implicit-def: $sgpr10
	s_and_saveexec_b64 s[8:9], s[6:7]
	s_xor_b64 s[6:7], exec, s[8:9]
	s_cbranch_execnz .LBB9_3169
; %bb.1121:
	s_or_saveexec_b64 s[6:7], s[6:7]
	v_mov_b32_e32 v2, s10
	s_xor_b64 exec, exec, s[6:7]
	s_cbranch_execnz .LBB9_3172
.LBB9_1122:
	s_or_b64 exec, exec, s[6:7]
	s_and_saveexec_b64 s[6:7], s[4:5]
	s_cbranch_execz .LBB9_1124
.LBB9_1123:
	v_mov_b32_e32 v2, 8
	v_and_b32_e32 v3, 7, v9
	v_lshrrev_b32_sdwa v2, v2, v9 dst_sel:BYTE_1 dst_unused:UNUSED_PAD src0_sel:DWORD src1_sel:DWORD
	v_ffbh_u32_e32 v4, v3
	v_or_b32_sdwa v2, v9, v2 dst_sel:DWORD dst_unused:UNUSED_PAD src0_sel:BYTE_0 src1_sel:DWORD
	v_min_u32_e32 v4, 32, v4
	v_lshrrev_b16_e32 v2, 3, v2
	v_subrev_u32_e32 v6, 28, v4
	v_and_b32_e32 v2, 15, v2
	v_lshlrev_b32_e32 v6, v6, v9
	v_sub_u32_e32 v4, 29, v4
	v_and_b32_e32 v6, 7, v6
	v_cmp_eq_u16_e32 vcc, 0, v2
	v_cndmask_b32_e32 v3, v3, v6, vcc
	v_cndmask_b32_e32 v2, v2, v4, vcc
	v_lshlrev_b32_e32 v4, 24, v9
	v_mov_b32_e32 v6, 0x3b800000
	v_lshlrev_b32_e32 v3, 20, v3
	v_and_b32_e32 v4, 0x80000000, v4
	v_lshl_add_u32 v2, v2, 23, v6
	v_or3_b32 v2, v4, v2, v3
.LBB9_1124:
	s_or_b64 exec, exec, s[6:7]
	s_movk_i32 s4, 0x7f
	v_cmp_gt_i16_sdwa s[6:7], v5, s4 src0_sel:BYTE_0 src1_sel:DWORD
	s_mov_b64 s[4:5], 0
                                        ; implicit-def: $sgpr10
	s_and_saveexec_b64 s[8:9], s[6:7]
	s_xor_b64 s[6:7], exec, s[8:9]
	s_cbranch_execnz .LBB9_3173
; %bb.1125:
	s_or_saveexec_b64 s[6:7], s[6:7]
	v_mov_b32_e32 v3, s10
	s_xor_b64 exec, exec, s[6:7]
	s_cbranch_execnz .LBB9_3176
.LBB9_1126:
	s_or_b64 exec, exec, s[6:7]
	s_and_saveexec_b64 s[6:7], s[4:5]
	s_cbranch_execz .LBB9_1128
.LBB9_1127:
	v_mov_b32_e32 v3, 8
	v_and_b32_e32 v4, 7, v5
	v_lshrrev_b32_sdwa v3, v3, v5 dst_sel:BYTE_1 dst_unused:UNUSED_PAD src0_sel:DWORD src1_sel:DWORD
	v_ffbh_u32_e32 v6, v4
	v_or_b32_sdwa v3, v5, v3 dst_sel:DWORD dst_unused:UNUSED_PAD src0_sel:BYTE_0 src1_sel:DWORD
	v_min_u32_e32 v6, 32, v6
	v_lshrrev_b16_e32 v3, 3, v3
	v_subrev_u32_e32 v7, 28, v6
	v_and_b32_e32 v3, 15, v3
	v_lshlrev_b32_e32 v7, v7, v5
	v_sub_u32_e32 v6, 29, v6
	v_and_b32_e32 v7, 7, v7
	v_cmp_eq_u16_e32 vcc, 0, v3
	v_cndmask_b32_e32 v4, v4, v7, vcc
	v_cndmask_b32_e32 v3, v3, v6, vcc
	v_lshlrev_b32_e32 v6, 24, v5
	v_mov_b32_e32 v7, 0x3b800000
	v_lshlrev_b32_e32 v4, 20, v4
	v_and_b32_e32 v6, 0x80000000, v6
	v_lshl_add_u32 v3, v3, 23, v7
	v_or3_b32 v3, v6, v3, v4
.LBB9_1128:
	s_or_b64 exec, exec, s[6:7]
	s_nop 0
	v_mfma_f32_16x16x4f32 a[0:3], v2, v3, a[0:3]
	v_lshrrev_b32_e32 v3, 8, v9
	s_movk_i32 s4, 0x7f
	v_cmp_gt_i16_sdwa s[6:7], v3, s4 src0_sel:BYTE_0 src1_sel:DWORD
	s_mov_b64 s[4:5], 0
                                        ; implicit-def: $sgpr10
	s_and_saveexec_b64 s[8:9], s[6:7]
	s_xor_b64 s[6:7], exec, s[8:9]
	s_cbranch_execnz .LBB9_3177
; %bb.1129:
	s_or_saveexec_b64 s[6:7], s[6:7]
	v_mov_b32_e32 v2, s10
	s_xor_b64 exec, exec, s[6:7]
	s_cbranch_execnz .LBB9_3180
.LBB9_1130:
	s_or_b64 exec, exec, s[6:7]
	s_and_saveexec_b64 s[6:7], s[4:5]
	s_cbranch_execz .LBB9_1132
.LBB9_1131:
	v_bfe_u32 v2, v9, 8, 3
	v_ffbh_u32_e32 v6, v2
	v_min_u32_e32 v6, 32, v6
	v_lshrrev_b16_e32 v4, 3, v3
	v_subrev_u32_e32 v7, 28, v6
	v_and_b32_e32 v4, 15, v4
	v_lshlrev_b32_e32 v3, v7, v3
	v_sub_u32_e32 v6, 29, v6
	v_and_b32_e32 v3, 7, v3
	v_cmp_eq_u16_e32 vcc, 0, v4
	v_cndmask_b32_e32 v2, v2, v3, vcc
	v_cndmask_b32_e32 v3, v4, v6, vcc
	v_lshlrev_b32_e32 v4, 16, v9
	v_mov_b32_e32 v6, 0x3b800000
	v_lshlrev_b32_e32 v2, 20, v2
	v_and_b32_e32 v4, 0x80000000, v4
	v_lshl_add_u32 v3, v3, 23, v6
	v_or3_b32 v2, v4, v3, v2
.LBB9_1132:
	s_or_b64 exec, exec, s[6:7]
	v_lshrrev_b32_e32 v3, 8, v5
	s_movk_i32 s4, 0x7f
	v_cmp_gt_i16_sdwa s[6:7], v3, s4 src0_sel:BYTE_0 src1_sel:DWORD
	s_mov_b64 s[4:5], 0
                                        ; implicit-def: $sgpr10
	s_and_saveexec_b64 s[8:9], s[6:7]
	s_xor_b64 s[6:7], exec, s[8:9]
	s_cbranch_execnz .LBB9_3181
; %bb.1133:
	s_or_saveexec_b64 s[6:7], s[6:7]
	v_mov_b32_e32 v4, s10
	s_xor_b64 exec, exec, s[6:7]
	s_cbranch_execnz .LBB9_3184
.LBB9_1134:
	s_or_b64 exec, exec, s[6:7]
	s_and_saveexec_b64 s[6:7], s[4:5]
	s_cbranch_execz .LBB9_1136
.LBB9_1135:
	v_bfe_u32 v4, v5, 8, 3
	v_ffbh_u32_e32 v7, v4
	v_min_u32_e32 v7, 32, v7
	v_lshrrev_b16_e32 v6, 3, v3
	v_subrev_u32_e32 v8, 28, v7
	v_and_b32_e32 v6, 15, v6
	v_lshlrev_b32_e32 v3, v8, v3
	v_sub_u32_e32 v7, 29, v7
	v_and_b32_e32 v3, 7, v3
	v_cmp_eq_u16_e32 vcc, 0, v6
	v_cndmask_b32_e32 v3, v4, v3, vcc
	v_cndmask_b32_e32 v4, v6, v7, vcc
	v_lshlrev_b32_e32 v6, 16, v5
	v_mov_b32_e32 v7, 0x3b800000
	v_lshlrev_b32_e32 v3, 20, v3
	v_and_b32_e32 v6, 0x80000000, v6
	v_lshl_add_u32 v4, v4, 23, v7
	v_or3_b32 v4, v6, v4, v3
.LBB9_1136:
	s_or_b64 exec, exec, s[6:7]
	s_nop 0
	v_mfma_f32_16x16x4f32 a[0:3], v2, v4, a[0:3]
	s_movk_i32 s4, 0xff
	v_and_b32_sdwa v3, v9, s4 dst_sel:DWORD dst_unused:UNUSED_PAD src0_sel:WORD_1 src1_sel:DWORD
	s_movk_i32 s4, 0x7f
	v_cmp_lt_i16_e32 vcc, s4, v3
	s_mov_b64 s[4:5], 0
                                        ; implicit-def: $sgpr10
	s_and_saveexec_b64 s[6:7], vcc
	s_xor_b64 s[6:7], exec, s[6:7]
	s_cbranch_execnz .LBB9_3185
; %bb.1137:
	s_or_saveexec_b64 s[6:7], s[6:7]
	v_mov_b32_e32 v2, s10
	s_xor_b64 exec, exec, s[6:7]
	s_cbranch_execnz .LBB9_3188
.LBB9_1138:
	s_or_b64 exec, exec, s[6:7]
	s_and_saveexec_b64 s[6:7], s[4:5]
	s_cbranch_execz .LBB9_1140
.LBB9_1139:
	v_bfe_u32 v2, v9, 16, 3
	v_ffbh_u32_e32 v6, v2
	v_min_u32_e32 v6, 32, v6
	v_lshrrev_b32_e32 v3, 19, v9
	v_subrev_u32_e32 v7, 28, v6
	v_and_b32_e32 v3, 15, v3
	v_lshlrev_b32_sdwa v7, v7, v9 dst_sel:DWORD dst_unused:UNUSED_PAD src0_sel:DWORD src1_sel:WORD_1
	v_bfe_u32 v4, v9, 19, 4
	v_sub_u32_e32 v6, 29, v6
	v_and_b32_e32 v7, 7, v7
	v_cmp_eq_u16_e32 vcc, 0, v3
	v_cndmask_b32_e32 v2, v2, v7, vcc
	v_cndmask_b32_e32 v3, v4, v6, vcc
	v_lshlrev_b32_e32 v4, 8, v9
	v_mov_b32_e32 v6, 0x3b800000
	v_lshlrev_b32_e32 v2, 20, v2
	v_and_b32_e32 v4, 0x80000000, v4
	v_lshl_add_u32 v3, v3, 23, v6
	v_or3_b32 v2, v4, v3, v2
.LBB9_1140:
	s_or_b64 exec, exec, s[6:7]
	s_movk_i32 s4, 0xff
	v_and_b32_sdwa v3, v5, s4 dst_sel:DWORD dst_unused:UNUSED_PAD src0_sel:WORD_1 src1_sel:DWORD
	s_movk_i32 s4, 0x7f
	v_cmp_lt_i16_e32 vcc, s4, v3
	s_mov_b64 s[4:5], 0
                                        ; implicit-def: $sgpr10
	s_and_saveexec_b64 s[6:7], vcc
	s_xor_b64 s[6:7], exec, s[6:7]
	s_cbranch_execnz .LBB9_3189
; %bb.1141:
	s_or_saveexec_b64 s[6:7], s[6:7]
	v_mov_b32_e32 v4, s10
	s_xor_b64 exec, exec, s[6:7]
	s_cbranch_execnz .LBB9_3192
.LBB9_1142:
	s_or_b64 exec, exec, s[6:7]
	s_and_saveexec_b64 s[6:7], s[4:5]
	s_cbranch_execz .LBB9_1144
.LBB9_1143:
	v_bfe_u32 v3, v5, 16, 3
	v_ffbh_u32_e32 v7, v3
	v_min_u32_e32 v7, 32, v7
	v_lshrrev_b32_e32 v4, 19, v5
	v_subrev_u32_e32 v8, 28, v7
	v_and_b32_e32 v4, 15, v4
	v_lshlrev_b32_sdwa v8, v8, v5 dst_sel:DWORD dst_unused:UNUSED_PAD src0_sel:DWORD src1_sel:WORD_1
	v_bfe_u32 v6, v5, 19, 4
	v_sub_u32_e32 v7, 29, v7
	v_and_b32_e32 v8, 7, v8
	v_cmp_eq_u16_e32 vcc, 0, v4
	v_cndmask_b32_e32 v3, v3, v8, vcc
	v_cndmask_b32_e32 v4, v6, v7, vcc
	v_lshlrev_b32_e32 v6, 8, v5
	v_mov_b32_e32 v7, 0x3b800000
	v_lshlrev_b32_e32 v3, 20, v3
	v_and_b32_e32 v6, 0x80000000, v6
	v_lshl_add_u32 v4, v4, 23, v7
	v_or3_b32 v4, v6, v4, v3
.LBB9_1144:
	s_or_b64 exec, exec, s[6:7]
	s_nop 0
	v_mfma_f32_16x16x4f32 a[0:3], v2, v4, a[0:3]
	s_movk_i32 s4, 0x7f
	v_cmp_gt_i16_sdwa s[6:7], v9, s4 src0_sel:BYTE_3 src1_sel:DWORD
	s_mov_b64 s[4:5], 0
                                        ; implicit-def: $sgpr10
	s_and_saveexec_b64 s[8:9], s[6:7]
	s_xor_b64 s[6:7], exec, s[8:9]
	s_cbranch_execnz .LBB9_3193
; %bb.1145:
	s_or_saveexec_b64 s[6:7], s[6:7]
	v_mov_b32_e32 v2, s10
	s_xor_b64 exec, exec, s[6:7]
	s_cbranch_execnz .LBB9_3196
.LBB9_1146:
	s_or_b64 exec, exec, s[6:7]
	s_and_saveexec_b64 s[6:7], s[4:5]
	s_cbranch_execz .LBB9_1148
.LBB9_1147:
	v_bfe_u32 v2, v9, 24, 3
	v_ffbh_u32_e32 v7, v2
	v_min_u32_e32 v7, 32, v7
	v_lshrrev_b32_e32 v4, 27, v9
	v_subrev_u32_e32 v8, 28, v7
	v_and_b32_e32 v4, 15, v4
	v_lshlrev_b32_sdwa v8, v8, v9 dst_sel:DWORD dst_unused:UNUSED_PAD src0_sel:DWORD src1_sel:BYTE_3
	v_bfe_u32 v6, v9, 27, 4
	v_sub_u32_e32 v7, 29, v7
	v_and_b32_e32 v8, 7, v8
	v_cmp_eq_u16_e32 vcc, 0, v4
	v_cndmask_b32_e32 v2, v2, v8, vcc
	v_cndmask_b32_e32 v4, v6, v7, vcc
	v_mov_b32_e32 v6, 0x3b800000
	v_and_b32_e32 v3, 0x80000000, v9
	v_lshlrev_b32_e32 v2, 20, v2
	v_lshl_add_u32 v4, v4, 23, v6
	v_or3_b32 v2, v3, v4, v2
.LBB9_1148:
	s_or_b64 exec, exec, s[6:7]
	s_movk_i32 s4, 0x7f
	v_cmp_gt_i16_sdwa s[6:7], v5, s4 src0_sel:BYTE_3 src1_sel:DWORD
	s_mov_b64 s[4:5], 0
                                        ; implicit-def: $sgpr10
	s_and_saveexec_b64 s[8:9], s[6:7]
	s_xor_b64 s[6:7], exec, s[8:9]
	s_cbranch_execnz .LBB9_3197
; %bb.1149:
	s_or_saveexec_b64 s[6:7], s[6:7]
	v_mov_b32_e32 v3, s10
	s_xor_b64 exec, exec, s[6:7]
	s_cbranch_execnz .LBB9_3200
.LBB9_1150:
	s_or_b64 exec, exec, s[6:7]
	s_and_saveexec_b64 s[6:7], s[4:5]
	s_cbranch_execz .LBB9_1152
.LBB9_1151:
	v_bfe_u32 v3, v5, 24, 3
	v_ffbh_u32_e32 v8, v3
	v_min_u32_e32 v8, 32, v8
	v_lshrrev_b32_e32 v6, 27, v5
	v_subrev_u32_e32 v9, 28, v8
	v_and_b32_e32 v4, 0x80000000, v5
	v_and_b32_e32 v6, 15, v6
	v_bfe_u32 v7, v5, 27, 4
	v_lshlrev_b32_sdwa v5, v9, v5 dst_sel:DWORD dst_unused:UNUSED_PAD src0_sel:DWORD src1_sel:BYTE_3
	v_sub_u32_e32 v8, 29, v8
	v_and_b32_e32 v5, 7, v5
	v_cmp_eq_u16_e32 vcc, 0, v6
	v_cndmask_b32_e32 v3, v3, v5, vcc
	v_cndmask_b32_e32 v5, v7, v8, vcc
	v_mov_b32_e32 v6, 0x3b800000
	v_lshlrev_b32_e32 v3, 20, v3
	v_lshl_add_u32 v5, v5, 23, v6
	v_or3_b32 v3, v4, v5, v3
.LBB9_1152:
	s_or_b64 exec, exec, s[6:7]
	s_nop 0
	v_mfma_f32_16x16x4f32 a[0:3], v2, v3, a[0:3]
	s_movk_i32 s4, 0x7f
                                        ; implicit-def: $sgpr10
	s_nop 7
	s_nop 1
	flat_store_dwordx4 v[10:11], a[0:3] offset:128
	flat_load_dwordx4 v[12:15], v[0:1] offset:8
	s_nop 0
	flat_load_dwordx2 v[10:11], v[0:1] offset:32
	s_waitcnt vmcnt(0) lgkmcnt(0)
	flat_load_dwordx4 v[6:9], v[12:13] offset:80
	flat_load_dwordx4 v[2:5], v[14:15] offset:48
	s_waitcnt vmcnt(0) lgkmcnt(0)
	v_cmp_gt_i16_sdwa s[6:7], v6, s4 src0_sel:BYTE_0 src1_sel:DWORD
	s_mov_b64 s[4:5], 0
	s_and_saveexec_b64 s[8:9], s[6:7]
	s_xor_b64 s[6:7], exec, s[8:9]
	s_cbranch_execnz .LBB9_3201
; %bb.1153:
	s_or_saveexec_b64 s[6:7], s[6:7]
	v_mov_b32_e32 v12, s10
	s_xor_b64 exec, exec, s[6:7]
	s_cbranch_execnz .LBB9_3204
.LBB9_1154:
	s_or_b64 exec, exec, s[6:7]
	s_and_saveexec_b64 s[6:7], s[4:5]
	s_cbranch_execz .LBB9_1156
.LBB9_1155:
	v_and_b32_e32 v12, 7, v6
	v_ffbh_u32_e32 v14, v12
	v_min_u32_e32 v14, 32, v14
	v_lshrrev_b16_e32 v13, 3, v6
	v_subrev_u32_e32 v15, 28, v14
	v_and_b32_e32 v13, 15, v13
	v_lshlrev_b32_e32 v15, v15, v6
	v_sub_u32_e32 v14, 29, v14
	v_and_b32_e32 v15, 7, v15
	v_cmp_eq_u16_e32 vcc, 0, v13
	v_cndmask_b32_e32 v12, v12, v15, vcc
	v_cndmask_b32_e32 v13, v13, v14, vcc
	v_lshlrev_b32_e32 v14, 24, v6
	v_mov_b32_e32 v15, 0x3b800000
	v_lshlrev_b32_e32 v12, 20, v12
	v_and_b32_e32 v14, 0x80000000, v14
	v_lshl_add_u32 v13, v13, 23, v15
	v_or3_b32 v12, v14, v13, v12
.LBB9_1156:
	s_or_b64 exec, exec, s[6:7]
	s_movk_i32 s4, 0x7f
	v_cmp_gt_i16_sdwa s[6:7], v2, s4 src0_sel:BYTE_0 src1_sel:DWORD
	s_mov_b64 s[4:5], 0
                                        ; implicit-def: $sgpr10
	s_and_saveexec_b64 s[8:9], s[6:7]
	s_xor_b64 s[6:7], exec, s[8:9]
	s_cbranch_execnz .LBB9_3205
; %bb.1157:
	s_or_saveexec_b64 s[6:7], s[6:7]
	v_mov_b32_e32 v13, s10
	s_xor_b64 exec, exec, s[6:7]
	s_cbranch_execnz .LBB9_3208
.LBB9_1158:
	s_or_b64 exec, exec, s[6:7]
	s_and_saveexec_b64 s[6:7], s[4:5]
	s_cbranch_execz .LBB9_1160
.LBB9_1159:
	v_and_b32_e32 v13, 7, v2
	v_ffbh_u32_e32 v15, v13
	v_min_u32_e32 v15, 32, v15
	v_lshrrev_b16_e32 v14, 3, v2
	v_subrev_u32_e32 v16, 28, v15
	v_and_b32_e32 v14, 15, v14
	v_lshlrev_b32_e32 v16, v16, v2
	v_sub_u32_e32 v15, 29, v15
	v_and_b32_e32 v16, 7, v16
	v_cmp_eq_u16_e32 vcc, 0, v14
	v_cndmask_b32_e32 v13, v13, v16, vcc
	v_cndmask_b32_e32 v14, v14, v15, vcc
	v_lshlrev_b32_e32 v15, 24, v2
	v_mov_b32_e32 v16, 0x3b800000
	v_lshlrev_b32_e32 v13, 20, v13
	v_and_b32_e32 v15, 0x80000000, v15
	v_lshl_add_u32 v14, v14, 23, v16
	v_or3_b32 v13, v15, v14, v13
.LBB9_1160:
	s_or_b64 exec, exec, s[6:7]
	flat_load_dwordx4 a[0:3], v[10:11] offset:144
	s_movk_i32 s4, 0x7f
                                        ; implicit-def: $sgpr10
	s_waitcnt vmcnt(0) lgkmcnt(0)
	v_mfma_f32_16x16x4f32 a[0:3], v12, v13, a[0:3]
	v_lshrrev_b32_e32 v13, 8, v6
	v_cmp_gt_i16_sdwa s[6:7], v13, s4 src0_sel:BYTE_0 src1_sel:DWORD
	s_mov_b64 s[4:5], 0
	s_and_saveexec_b64 s[8:9], s[6:7]
	s_xor_b64 s[6:7], exec, s[8:9]
	s_cbranch_execnz .LBB9_3209
; %bb.1161:
	s_or_saveexec_b64 s[6:7], s[6:7]
	v_mov_b32_e32 v12, s10
	s_xor_b64 exec, exec, s[6:7]
	s_cbranch_execnz .LBB9_3212
.LBB9_1162:
	s_or_b64 exec, exec, s[6:7]
	s_and_saveexec_b64 s[6:7], s[4:5]
	s_cbranch_execz .LBB9_1164
.LBB9_1163:
	v_bfe_u32 v12, v6, 8, 3
	v_ffbh_u32_e32 v15, v12
	v_min_u32_e32 v15, 32, v15
	v_lshrrev_b16_e32 v14, 3, v13
	v_subrev_u32_e32 v16, 28, v15
	v_and_b32_e32 v14, 15, v14
	v_lshlrev_b32_e32 v13, v16, v13
	v_sub_u32_e32 v15, 29, v15
	v_and_b32_e32 v13, 7, v13
	v_cmp_eq_u16_e32 vcc, 0, v14
	v_cndmask_b32_e32 v12, v12, v13, vcc
	v_cndmask_b32_e32 v13, v14, v15, vcc
	v_lshlrev_b32_e32 v14, 16, v6
	v_mov_b32_e32 v15, 0x3b800000
	v_lshlrev_b32_e32 v12, 20, v12
	v_and_b32_e32 v14, 0x80000000, v14
	v_lshl_add_u32 v13, v13, 23, v15
	v_or3_b32 v12, v14, v13, v12
.LBB9_1164:
	s_or_b64 exec, exec, s[6:7]
	v_lshrrev_b32_e32 v13, 8, v2
	s_movk_i32 s4, 0x7f
	v_cmp_gt_i16_sdwa s[6:7], v13, s4 src0_sel:BYTE_0 src1_sel:DWORD
	s_mov_b64 s[4:5], 0
                                        ; implicit-def: $sgpr10
	s_and_saveexec_b64 s[8:9], s[6:7]
	s_xor_b64 s[6:7], exec, s[8:9]
	s_cbranch_execnz .LBB9_3213
; %bb.1165:
	s_or_saveexec_b64 s[6:7], s[6:7]
	v_mov_b32_e32 v14, s10
	s_xor_b64 exec, exec, s[6:7]
	s_cbranch_execnz .LBB9_3216
.LBB9_1166:
	s_or_b64 exec, exec, s[6:7]
	s_and_saveexec_b64 s[6:7], s[4:5]
	s_cbranch_execz .LBB9_1168
.LBB9_1167:
	v_bfe_u32 v14, v2, 8, 3
	v_ffbh_u32_e32 v16, v14
	v_min_u32_e32 v16, 32, v16
	v_lshrrev_b16_e32 v15, 3, v13
	v_subrev_u32_e32 v17, 28, v16
	v_and_b32_e32 v15, 15, v15
	v_lshlrev_b32_e32 v13, v17, v13
	v_sub_u32_e32 v16, 29, v16
	v_and_b32_e32 v13, 7, v13
	v_cmp_eq_u16_e32 vcc, 0, v15
	v_cndmask_b32_e32 v13, v14, v13, vcc
	v_cndmask_b32_e32 v14, v15, v16, vcc
	v_lshlrev_b32_e32 v15, 16, v2
	v_mov_b32_e32 v16, 0x3b800000
	v_lshlrev_b32_e32 v13, 20, v13
	v_and_b32_e32 v15, 0x80000000, v15
	v_lshl_add_u32 v14, v14, 23, v16
	v_or3_b32 v14, v15, v14, v13
.LBB9_1168:
	s_or_b64 exec, exec, s[6:7]
	s_nop 0
	v_mfma_f32_16x16x4f32 a[0:3], v12, v14, a[0:3]
	s_movk_i32 s4, 0xff
	v_and_b32_sdwa v13, v6, s4 dst_sel:DWORD dst_unused:UNUSED_PAD src0_sel:WORD_1 src1_sel:DWORD
	s_movk_i32 s4, 0x7f
	v_cmp_lt_i16_e32 vcc, s4, v13
	s_mov_b64 s[4:5], 0
                                        ; implicit-def: $sgpr10
	s_and_saveexec_b64 s[6:7], vcc
	s_xor_b64 s[6:7], exec, s[6:7]
	s_cbranch_execnz .LBB9_3217
; %bb.1169:
	s_or_saveexec_b64 s[6:7], s[6:7]
	v_mov_b32_e32 v12, s10
	s_xor_b64 exec, exec, s[6:7]
	s_cbranch_execnz .LBB9_3220
.LBB9_1170:
	s_or_b64 exec, exec, s[6:7]
	s_and_saveexec_b64 s[6:7], s[4:5]
	s_cbranch_execz .LBB9_1172
.LBB9_1171:
	v_bfe_u32 v12, v6, 16, 3
	v_ffbh_u32_e32 v15, v12
	v_min_u32_e32 v15, 32, v15
	v_lshrrev_b32_e32 v13, 19, v6
	v_subrev_u32_e32 v16, 28, v15
	v_and_b32_e32 v13, 15, v13
	v_lshlrev_b32_sdwa v16, v16, v6 dst_sel:DWORD dst_unused:UNUSED_PAD src0_sel:DWORD src1_sel:WORD_1
	v_bfe_u32 v14, v6, 19, 4
	v_sub_u32_e32 v15, 29, v15
	v_and_b32_e32 v16, 7, v16
	v_cmp_eq_u16_e32 vcc, 0, v13
	v_cndmask_b32_e32 v12, v12, v16, vcc
	v_cndmask_b32_e32 v13, v14, v15, vcc
	v_lshlrev_b32_e32 v14, 8, v6
	v_mov_b32_e32 v15, 0x3b800000
	v_lshlrev_b32_e32 v12, 20, v12
	v_and_b32_e32 v14, 0x80000000, v14
	v_lshl_add_u32 v13, v13, 23, v15
	v_or3_b32 v12, v14, v13, v12
.LBB9_1172:
	s_or_b64 exec, exec, s[6:7]
	s_movk_i32 s4, 0xff
	v_and_b32_sdwa v13, v2, s4 dst_sel:DWORD dst_unused:UNUSED_PAD src0_sel:WORD_1 src1_sel:DWORD
	s_movk_i32 s4, 0x7f
	v_cmp_lt_i16_e32 vcc, s4, v13
	s_mov_b64 s[4:5], 0
                                        ; implicit-def: $sgpr10
	s_and_saveexec_b64 s[6:7], vcc
	s_xor_b64 s[6:7], exec, s[6:7]
	s_cbranch_execnz .LBB9_3221
; %bb.1173:
	s_or_saveexec_b64 s[6:7], s[6:7]
	v_mov_b32_e32 v14, s10
	s_xor_b64 exec, exec, s[6:7]
	s_cbranch_execnz .LBB9_3224
.LBB9_1174:
	s_or_b64 exec, exec, s[6:7]
	s_and_saveexec_b64 s[6:7], s[4:5]
	s_cbranch_execz .LBB9_1176
.LBB9_1175:
	v_bfe_u32 v13, v2, 16, 3
	v_ffbh_u32_e32 v16, v13
	v_min_u32_e32 v16, 32, v16
	v_lshrrev_b32_e32 v14, 19, v2
	v_subrev_u32_e32 v17, 28, v16
	v_and_b32_e32 v14, 15, v14
	v_lshlrev_b32_sdwa v17, v17, v2 dst_sel:DWORD dst_unused:UNUSED_PAD src0_sel:DWORD src1_sel:WORD_1
	v_bfe_u32 v15, v2, 19, 4
	v_sub_u32_e32 v16, 29, v16
	v_and_b32_e32 v17, 7, v17
	v_cmp_eq_u16_e32 vcc, 0, v14
	v_cndmask_b32_e32 v13, v13, v17, vcc
	v_cndmask_b32_e32 v14, v15, v16, vcc
	v_lshlrev_b32_e32 v15, 8, v2
	v_mov_b32_e32 v16, 0x3b800000
	v_lshlrev_b32_e32 v13, 20, v13
	v_and_b32_e32 v15, 0x80000000, v15
	v_lshl_add_u32 v14, v14, 23, v16
	v_or3_b32 v14, v15, v14, v13
.LBB9_1176:
	s_or_b64 exec, exec, s[6:7]
	s_nop 0
	v_mfma_f32_16x16x4f32 a[0:3], v12, v14, a[0:3]
	s_movk_i32 s4, 0x7f
	v_cmp_gt_i16_sdwa s[6:7], v6, s4 src0_sel:BYTE_3 src1_sel:DWORD
	s_mov_b64 s[4:5], 0
                                        ; implicit-def: $sgpr10
	s_and_saveexec_b64 s[8:9], s[6:7]
	s_xor_b64 s[6:7], exec, s[8:9]
	s_cbranch_execnz .LBB9_3225
; %bb.1177:
	s_or_saveexec_b64 s[6:7], s[6:7]
	v_mov_b32_e32 v12, s10
	s_xor_b64 exec, exec, s[6:7]
	s_cbranch_execnz .LBB9_3228
.LBB9_1178:
	s_or_b64 exec, exec, s[6:7]
	s_and_saveexec_b64 s[6:7], s[4:5]
	s_cbranch_execz .LBB9_1180
.LBB9_1179:
	v_bfe_u32 v12, v6, 24, 3
	v_ffbh_u32_e32 v16, v12
	v_min_u32_e32 v16, 32, v16
	v_lshrrev_b32_e32 v14, 27, v6
	v_subrev_u32_e32 v17, 28, v16
	v_and_b32_e32 v13, 0x80000000, v6
	v_and_b32_e32 v14, 15, v14
	v_bfe_u32 v15, v6, 27, 4
	v_lshlrev_b32_sdwa v6, v17, v6 dst_sel:DWORD dst_unused:UNUSED_PAD src0_sel:DWORD src1_sel:BYTE_3
	v_sub_u32_e32 v16, 29, v16
	v_and_b32_e32 v6, 7, v6
	v_cmp_eq_u16_e32 vcc, 0, v14
	v_cndmask_b32_e32 v6, v12, v6, vcc
	v_cndmask_b32_e32 v12, v15, v16, vcc
	v_mov_b32_e32 v14, 0x3b800000
	v_lshlrev_b32_e32 v6, 20, v6
	v_lshl_add_u32 v12, v12, 23, v14
	v_or3_b32 v12, v13, v12, v6
.LBB9_1180:
	s_or_b64 exec, exec, s[6:7]
	s_movk_i32 s4, 0x7f
	v_cmp_gt_i16_sdwa s[6:7], v2, s4 src0_sel:BYTE_3 src1_sel:DWORD
	s_mov_b64 s[4:5], 0
                                        ; implicit-def: $sgpr10
	s_and_saveexec_b64 s[8:9], s[6:7]
	s_xor_b64 s[6:7], exec, s[8:9]
	s_cbranch_execnz .LBB9_3229
; %bb.1181:
	s_or_saveexec_b64 s[6:7], s[6:7]
	v_mov_b32_e32 v6, s10
	s_xor_b64 exec, exec, s[6:7]
	s_cbranch_execnz .LBB9_3232
.LBB9_1182:
	s_or_b64 exec, exec, s[6:7]
	s_and_saveexec_b64 s[6:7], s[4:5]
	s_cbranch_execz .LBB9_1184
.LBB9_1183:
	v_bfe_u32 v6, v2, 24, 3
	v_ffbh_u32_e32 v16, v6
	v_min_u32_e32 v16, 32, v16
	v_lshrrev_b32_e32 v14, 27, v2
	v_subrev_u32_e32 v17, 28, v16
	v_and_b32_e32 v13, 0x80000000, v2
	v_and_b32_e32 v14, 15, v14
	v_bfe_u32 v15, v2, 27, 4
	v_lshlrev_b32_sdwa v2, v17, v2 dst_sel:DWORD dst_unused:UNUSED_PAD src0_sel:DWORD src1_sel:BYTE_3
	v_sub_u32_e32 v16, 29, v16
	v_and_b32_e32 v2, 7, v2
	v_cmp_eq_u16_e32 vcc, 0, v14
	v_cndmask_b32_e32 v2, v6, v2, vcc
	v_cndmask_b32_e32 v6, v15, v16, vcc
	v_mov_b32_e32 v14, 0x3b800000
	v_lshlrev_b32_e32 v2, 20, v2
	v_lshl_add_u32 v6, v6, 23, v14
	v_or3_b32 v6, v13, v6, v2
.LBB9_1184:
	s_or_b64 exec, exec, s[6:7]
	s_nop 0
	v_mfma_f32_16x16x4f32 a[0:3], v12, v6, a[0:3]
	s_movk_i32 s4, 0x7f
	v_cmp_gt_i16_sdwa s[6:7], v7, s4 src0_sel:BYTE_0 src1_sel:DWORD
	s_mov_b64 s[4:5], 0
                                        ; implicit-def: $sgpr10
	s_and_saveexec_b64 s[8:9], s[6:7]
	s_xor_b64 s[6:7], exec, s[8:9]
	s_cbranch_execnz .LBB9_3233
; %bb.1185:
	s_or_saveexec_b64 s[6:7], s[6:7]
	v_mov_b32_e32 v2, s10
	s_xor_b64 exec, exec, s[6:7]
	s_cbranch_execnz .LBB9_3236
.LBB9_1186:
	s_or_b64 exec, exec, s[6:7]
	s_and_saveexec_b64 s[6:7], s[4:5]
	s_cbranch_execz .LBB9_1188
.LBB9_1187:
	v_and_b32_e32 v2, 7, v7
	v_ffbh_u32_e32 v12, v2
	v_min_u32_e32 v12, 32, v12
	v_lshrrev_b16_e32 v6, 3, v7
	v_subrev_u32_e32 v13, 28, v12
	v_and_b32_e32 v6, 15, v6
	v_lshlrev_b32_e32 v13, v13, v7
	v_sub_u32_e32 v12, 29, v12
	v_and_b32_e32 v13, 7, v13
	v_cmp_eq_u16_e32 vcc, 0, v6
	v_cndmask_b32_e32 v2, v2, v13, vcc
	v_cndmask_b32_e32 v6, v6, v12, vcc
	v_lshlrev_b32_e32 v12, 24, v7
	v_mov_b32_e32 v13, 0x3b800000
	v_lshlrev_b32_e32 v2, 20, v2
	v_and_b32_e32 v12, 0x80000000, v12
	v_lshl_add_u32 v6, v6, 23, v13
	v_or3_b32 v2, v12, v6, v2
.LBB9_1188:
	s_or_b64 exec, exec, s[6:7]
	s_movk_i32 s4, 0x7f
	v_cmp_gt_i16_sdwa s[6:7], v3, s4 src0_sel:BYTE_0 src1_sel:DWORD
	s_mov_b64 s[4:5], 0
                                        ; implicit-def: $sgpr10
	s_and_saveexec_b64 s[8:9], s[6:7]
	s_xor_b64 s[6:7], exec, s[8:9]
	s_cbranch_execnz .LBB9_3237
; %bb.1189:
	s_or_saveexec_b64 s[6:7], s[6:7]
	v_mov_b32_e32 v6, s10
	s_xor_b64 exec, exec, s[6:7]
	s_cbranch_execnz .LBB9_3240
.LBB9_1190:
	s_or_b64 exec, exec, s[6:7]
	s_and_saveexec_b64 s[6:7], s[4:5]
	s_cbranch_execz .LBB9_1192
.LBB9_1191:
	v_and_b32_e32 v6, 7, v3
	v_ffbh_u32_e32 v13, v6
	v_min_u32_e32 v13, 32, v13
	v_lshrrev_b16_e32 v12, 3, v3
	v_subrev_u32_e32 v14, 28, v13
	v_and_b32_e32 v12, 15, v12
	v_lshlrev_b32_e32 v14, v14, v3
	v_sub_u32_e32 v13, 29, v13
	v_and_b32_e32 v14, 7, v14
	v_cmp_eq_u16_e32 vcc, 0, v12
	v_cndmask_b32_e32 v6, v6, v14, vcc
	v_cndmask_b32_e32 v12, v12, v13, vcc
	v_lshlrev_b32_e32 v13, 24, v3
	v_mov_b32_e32 v14, 0x3b800000
	v_lshlrev_b32_e32 v6, 20, v6
	v_and_b32_e32 v13, 0x80000000, v13
	v_lshl_add_u32 v12, v12, 23, v14
	v_or3_b32 v6, v13, v12, v6
.LBB9_1192:
	s_or_b64 exec, exec, s[6:7]
	s_nop 0
	v_mfma_f32_16x16x4f32 a[0:3], v2, v6, a[0:3]
	v_lshrrev_b32_e32 v6, 8, v7
	s_movk_i32 s4, 0x7f
	v_cmp_gt_i16_sdwa s[6:7], v6, s4 src0_sel:BYTE_0 src1_sel:DWORD
	s_mov_b64 s[4:5], 0
                                        ; implicit-def: $sgpr10
	s_and_saveexec_b64 s[8:9], s[6:7]
	s_xor_b64 s[6:7], exec, s[8:9]
	s_cbranch_execnz .LBB9_3241
; %bb.1193:
	s_or_saveexec_b64 s[6:7], s[6:7]
	v_mov_b32_e32 v2, s10
	s_xor_b64 exec, exec, s[6:7]
	s_cbranch_execnz .LBB9_3244
.LBB9_1194:
	s_or_b64 exec, exec, s[6:7]
	s_and_saveexec_b64 s[6:7], s[4:5]
	s_cbranch_execz .LBB9_1196
.LBB9_1195:
	v_bfe_u32 v2, v7, 8, 3
	v_ffbh_u32_e32 v13, v2
	v_min_u32_e32 v13, 32, v13
	v_lshrrev_b16_e32 v12, 3, v6
	v_subrev_u32_e32 v14, 28, v13
	v_and_b32_e32 v12, 15, v12
	v_lshlrev_b32_e32 v6, v14, v6
	v_sub_u32_e32 v13, 29, v13
	v_and_b32_e32 v6, 7, v6
	v_cmp_eq_u16_e32 vcc, 0, v12
	v_cndmask_b32_e32 v2, v2, v6, vcc
	v_cndmask_b32_e32 v6, v12, v13, vcc
	v_lshlrev_b32_e32 v12, 16, v7
	v_mov_b32_e32 v13, 0x3b800000
	v_lshlrev_b32_e32 v2, 20, v2
	v_and_b32_e32 v12, 0x80000000, v12
	v_lshl_add_u32 v6, v6, 23, v13
	v_or3_b32 v2, v12, v6, v2
.LBB9_1196:
	s_or_b64 exec, exec, s[6:7]
	v_lshrrev_b32_e32 v6, 8, v3
	s_movk_i32 s4, 0x7f
	v_cmp_gt_i16_sdwa s[6:7], v6, s4 src0_sel:BYTE_0 src1_sel:DWORD
	s_mov_b64 s[4:5], 0
                                        ; implicit-def: $sgpr10
	s_and_saveexec_b64 s[8:9], s[6:7]
	s_xor_b64 s[6:7], exec, s[8:9]
	s_cbranch_execnz .LBB9_3245
; %bb.1197:
	s_or_saveexec_b64 s[6:7], s[6:7]
	v_mov_b32_e32 v12, s10
	s_xor_b64 exec, exec, s[6:7]
	s_cbranch_execnz .LBB9_3248
.LBB9_1198:
	s_or_b64 exec, exec, s[6:7]
	s_and_saveexec_b64 s[6:7], s[4:5]
	s_cbranch_execz .LBB9_1200
.LBB9_1199:
	v_bfe_u32 v12, v3, 8, 3
	v_ffbh_u32_e32 v14, v12
	v_min_u32_e32 v14, 32, v14
	v_lshrrev_b16_e32 v13, 3, v6
	v_subrev_u32_e32 v15, 28, v14
	v_and_b32_e32 v13, 15, v13
	v_lshlrev_b32_e32 v6, v15, v6
	v_sub_u32_e32 v14, 29, v14
	v_and_b32_e32 v6, 7, v6
	v_cmp_eq_u16_e32 vcc, 0, v13
	v_cndmask_b32_e32 v6, v12, v6, vcc
	v_cndmask_b32_e32 v12, v13, v14, vcc
	v_lshlrev_b32_e32 v13, 16, v3
	v_mov_b32_e32 v14, 0x3b800000
	v_lshlrev_b32_e32 v6, 20, v6
	v_and_b32_e32 v13, 0x80000000, v13
	v_lshl_add_u32 v12, v12, 23, v14
	v_or3_b32 v12, v13, v12, v6
.LBB9_1200:
	s_or_b64 exec, exec, s[6:7]
	s_nop 0
	v_mfma_f32_16x16x4f32 a[0:3], v2, v12, a[0:3]
	s_movk_i32 s4, 0xff
	v_and_b32_sdwa v6, v7, s4 dst_sel:DWORD dst_unused:UNUSED_PAD src0_sel:WORD_1 src1_sel:DWORD
	s_movk_i32 s4, 0x7f
	v_cmp_lt_i16_e32 vcc, s4, v6
	s_mov_b64 s[4:5], 0
                                        ; implicit-def: $sgpr10
	s_and_saveexec_b64 s[6:7], vcc
	s_xor_b64 s[6:7], exec, s[6:7]
	s_cbranch_execnz .LBB9_3249
; %bb.1201:
	s_or_saveexec_b64 s[6:7], s[6:7]
	v_mov_b32_e32 v2, s10
	s_xor_b64 exec, exec, s[6:7]
	s_cbranch_execnz .LBB9_3252
.LBB9_1202:
	s_or_b64 exec, exec, s[6:7]
	s_and_saveexec_b64 s[6:7], s[4:5]
	s_cbranch_execz .LBB9_1204
.LBB9_1203:
	v_bfe_u32 v2, v7, 16, 3
	v_ffbh_u32_e32 v13, v2
	v_min_u32_e32 v13, 32, v13
	v_lshrrev_b32_e32 v6, 19, v7
	v_subrev_u32_e32 v14, 28, v13
	v_and_b32_e32 v6, 15, v6
	v_lshlrev_b32_sdwa v14, v14, v7 dst_sel:DWORD dst_unused:UNUSED_PAD src0_sel:DWORD src1_sel:WORD_1
	v_bfe_u32 v12, v7, 19, 4
	v_sub_u32_e32 v13, 29, v13
	v_and_b32_e32 v14, 7, v14
	v_cmp_eq_u16_e32 vcc, 0, v6
	v_cndmask_b32_e32 v2, v2, v14, vcc
	v_cndmask_b32_e32 v6, v12, v13, vcc
	v_lshlrev_b32_e32 v12, 8, v7
	v_mov_b32_e32 v13, 0x3b800000
	v_lshlrev_b32_e32 v2, 20, v2
	v_and_b32_e32 v12, 0x80000000, v12
	v_lshl_add_u32 v6, v6, 23, v13
	v_or3_b32 v2, v12, v6, v2
.LBB9_1204:
	s_or_b64 exec, exec, s[6:7]
	s_movk_i32 s4, 0xff
	v_and_b32_sdwa v6, v3, s4 dst_sel:DWORD dst_unused:UNUSED_PAD src0_sel:WORD_1 src1_sel:DWORD
	s_movk_i32 s4, 0x7f
	v_cmp_lt_i16_e32 vcc, s4, v6
	s_mov_b64 s[4:5], 0
                                        ; implicit-def: $sgpr10
	s_and_saveexec_b64 s[6:7], vcc
	s_xor_b64 s[6:7], exec, s[6:7]
	s_cbranch_execnz .LBB9_3253
; %bb.1205:
	s_or_saveexec_b64 s[6:7], s[6:7]
	v_mov_b32_e32 v12, s10
	s_xor_b64 exec, exec, s[6:7]
	s_cbranch_execnz .LBB9_3256
.LBB9_1206:
	s_or_b64 exec, exec, s[6:7]
	s_and_saveexec_b64 s[6:7], s[4:5]
	s_cbranch_execz .LBB9_1208
.LBB9_1207:
	v_bfe_u32 v6, v3, 16, 3
	v_ffbh_u32_e32 v14, v6
	v_min_u32_e32 v14, 32, v14
	v_lshrrev_b32_e32 v12, 19, v3
	v_subrev_u32_e32 v15, 28, v14
	v_and_b32_e32 v12, 15, v12
	v_lshlrev_b32_sdwa v15, v15, v3 dst_sel:DWORD dst_unused:UNUSED_PAD src0_sel:DWORD src1_sel:WORD_1
	v_bfe_u32 v13, v3, 19, 4
	v_sub_u32_e32 v14, 29, v14
	v_and_b32_e32 v15, 7, v15
	v_cmp_eq_u16_e32 vcc, 0, v12
	v_cndmask_b32_e32 v6, v6, v15, vcc
	v_cndmask_b32_e32 v12, v13, v14, vcc
	v_lshlrev_b32_e32 v13, 8, v3
	v_mov_b32_e32 v14, 0x3b800000
	v_lshlrev_b32_e32 v6, 20, v6
	v_and_b32_e32 v13, 0x80000000, v13
	v_lshl_add_u32 v12, v12, 23, v14
	v_or3_b32 v12, v13, v12, v6
.LBB9_1208:
	s_or_b64 exec, exec, s[6:7]
	s_nop 0
	v_mfma_f32_16x16x4f32 a[0:3], v2, v12, a[0:3]
	s_movk_i32 s4, 0x7f
	v_cmp_gt_i16_sdwa s[6:7], v7, s4 src0_sel:BYTE_3 src1_sel:DWORD
	s_mov_b64 s[4:5], 0
                                        ; implicit-def: $sgpr10
	s_and_saveexec_b64 s[8:9], s[6:7]
	s_xor_b64 s[6:7], exec, s[8:9]
	s_cbranch_execnz .LBB9_3257
; %bb.1209:
	s_or_saveexec_b64 s[6:7], s[6:7]
	v_mov_b32_e32 v2, s10
	s_xor_b64 exec, exec, s[6:7]
	s_cbranch_execnz .LBB9_3260
.LBB9_1210:
	s_or_b64 exec, exec, s[6:7]
	s_and_saveexec_b64 s[6:7], s[4:5]
	s_cbranch_execz .LBB9_1212
.LBB9_1211:
	v_bfe_u32 v2, v7, 24, 3
	v_ffbh_u32_e32 v14, v2
	v_min_u32_e32 v14, 32, v14
	v_lshrrev_b32_e32 v12, 27, v7
	v_subrev_u32_e32 v15, 28, v14
	v_and_b32_e32 v6, 0x80000000, v7
	v_and_b32_e32 v12, 15, v12
	v_bfe_u32 v13, v7, 27, 4
	v_lshlrev_b32_sdwa v7, v15, v7 dst_sel:DWORD dst_unused:UNUSED_PAD src0_sel:DWORD src1_sel:BYTE_3
	v_sub_u32_e32 v14, 29, v14
	v_and_b32_e32 v7, 7, v7
	v_cmp_eq_u16_e32 vcc, 0, v12
	v_cndmask_b32_e32 v2, v2, v7, vcc
	v_cndmask_b32_e32 v7, v13, v14, vcc
	v_mov_b32_e32 v12, 0x3b800000
	v_lshlrev_b32_e32 v2, 20, v2
	v_lshl_add_u32 v7, v7, 23, v12
	v_or3_b32 v2, v6, v7, v2
.LBB9_1212:
	s_or_b64 exec, exec, s[6:7]
	s_movk_i32 s4, 0x7f
	v_cmp_gt_i16_sdwa s[6:7], v3, s4 src0_sel:BYTE_3 src1_sel:DWORD
	s_mov_b64 s[4:5], 0
                                        ; implicit-def: $sgpr10
	s_and_saveexec_b64 s[8:9], s[6:7]
	s_xor_b64 s[6:7], exec, s[8:9]
	s_cbranch_execnz .LBB9_3261
; %bb.1213:
	s_or_saveexec_b64 s[6:7], s[6:7]
	v_mov_b32_e32 v6, s10
	s_xor_b64 exec, exec, s[6:7]
	s_cbranch_execnz .LBB9_3264
.LBB9_1214:
	s_or_b64 exec, exec, s[6:7]
	s_and_saveexec_b64 s[6:7], s[4:5]
	s_cbranch_execz .LBB9_1216
.LBB9_1215:
	v_bfe_u32 v6, v3, 24, 3
	v_ffbh_u32_e32 v14, v6
	v_min_u32_e32 v14, 32, v14
	v_lshrrev_b32_e32 v12, 27, v3
	v_subrev_u32_e32 v15, 28, v14
	v_and_b32_e32 v7, 0x80000000, v3
	v_and_b32_e32 v12, 15, v12
	v_bfe_u32 v13, v3, 27, 4
	v_lshlrev_b32_sdwa v3, v15, v3 dst_sel:DWORD dst_unused:UNUSED_PAD src0_sel:DWORD src1_sel:BYTE_3
	v_sub_u32_e32 v14, 29, v14
	v_and_b32_e32 v3, 7, v3
	v_cmp_eq_u16_e32 vcc, 0, v12
	v_cndmask_b32_e32 v3, v6, v3, vcc
	v_cndmask_b32_e32 v6, v13, v14, vcc
	v_mov_b32_e32 v12, 0x3b800000
	v_lshlrev_b32_e32 v3, 20, v3
	v_lshl_add_u32 v6, v6, 23, v12
	v_or3_b32 v6, v7, v6, v3
.LBB9_1216:
	s_or_b64 exec, exec, s[6:7]
	s_nop 0
	v_mfma_f32_16x16x4f32 a[0:3], v2, v6, a[0:3]
	s_movk_i32 s4, 0x7f
	v_cmp_gt_i16_sdwa s[6:7], v8, s4 src0_sel:BYTE_0 src1_sel:DWORD
	s_mov_b64 s[4:5], 0
                                        ; implicit-def: $sgpr10
	s_and_saveexec_b64 s[8:9], s[6:7]
	s_xor_b64 s[6:7], exec, s[8:9]
	s_cbranch_execnz .LBB9_3265
; %bb.1217:
	s_or_saveexec_b64 s[6:7], s[6:7]
	v_mov_b32_e32 v2, s10
	s_xor_b64 exec, exec, s[6:7]
	s_cbranch_execnz .LBB9_3268
.LBB9_1218:
	s_or_b64 exec, exec, s[6:7]
	s_and_saveexec_b64 s[6:7], s[4:5]
	s_cbranch_execz .LBB9_1220
.LBB9_1219:
	v_and_b32_e32 v2, 7, v8
	v_ffbh_u32_e32 v6, v2
	v_min_u32_e32 v6, 32, v6
	v_lshrrev_b16_e32 v3, 3, v8
	v_subrev_u32_e32 v7, 28, v6
	v_and_b32_e32 v3, 15, v3
	v_lshlrev_b32_e32 v7, v7, v8
	v_sub_u32_e32 v6, 29, v6
	v_and_b32_e32 v7, 7, v7
	v_cmp_eq_u16_e32 vcc, 0, v3
	v_cndmask_b32_e32 v2, v2, v7, vcc
	v_cndmask_b32_e32 v3, v3, v6, vcc
	v_lshlrev_b32_e32 v6, 24, v8
	v_mov_b32_e32 v7, 0x3b800000
	v_lshlrev_b32_e32 v2, 20, v2
	v_and_b32_e32 v6, 0x80000000, v6
	v_lshl_add_u32 v3, v3, 23, v7
	v_or3_b32 v2, v6, v3, v2
.LBB9_1220:
	s_or_b64 exec, exec, s[6:7]
	s_movk_i32 s4, 0x7f
	v_cmp_gt_i16_sdwa s[6:7], v4, s4 src0_sel:BYTE_0 src1_sel:DWORD
	s_mov_b64 s[4:5], 0
                                        ; implicit-def: $sgpr10
	s_and_saveexec_b64 s[8:9], s[6:7]
	s_xor_b64 s[6:7], exec, s[8:9]
	s_cbranch_execnz .LBB9_3269
; %bb.1221:
	s_or_saveexec_b64 s[6:7], s[6:7]
	v_mov_b32_e32 v3, s10
	s_xor_b64 exec, exec, s[6:7]
	s_cbranch_execnz .LBB9_3272
.LBB9_1222:
	s_or_b64 exec, exec, s[6:7]
	s_and_saveexec_b64 s[6:7], s[4:5]
	s_cbranch_execz .LBB9_1224
.LBB9_1223:
	v_and_b32_e32 v3, 7, v4
	v_ffbh_u32_e32 v7, v3
	v_min_u32_e32 v7, 32, v7
	v_lshrrev_b16_e32 v6, 3, v4
	v_subrev_u32_e32 v12, 28, v7
	v_and_b32_e32 v6, 15, v6
	v_lshlrev_b32_e32 v12, v12, v4
	v_sub_u32_e32 v7, 29, v7
	v_and_b32_e32 v12, 7, v12
	v_cmp_eq_u16_e32 vcc, 0, v6
	v_cndmask_b32_e32 v3, v3, v12, vcc
	v_cndmask_b32_e32 v6, v6, v7, vcc
	v_lshlrev_b32_e32 v7, 24, v4
	v_mov_b32_e32 v12, 0x3b800000
	v_lshlrev_b32_e32 v3, 20, v3
	v_and_b32_e32 v7, 0x80000000, v7
	v_lshl_add_u32 v6, v6, 23, v12
	v_or3_b32 v3, v7, v6, v3
.LBB9_1224:
	s_or_b64 exec, exec, s[6:7]
	s_nop 0
	v_mfma_f32_16x16x4f32 a[0:3], v2, v3, a[0:3]
	v_lshrrev_b32_e32 v3, 8, v8
	s_movk_i32 s4, 0x7f
	v_cmp_gt_i16_sdwa s[6:7], v3, s4 src0_sel:BYTE_0 src1_sel:DWORD
	s_mov_b64 s[4:5], 0
                                        ; implicit-def: $sgpr10
	s_and_saveexec_b64 s[8:9], s[6:7]
	s_xor_b64 s[6:7], exec, s[8:9]
	s_cbranch_execnz .LBB9_3273
; %bb.1225:
	s_or_saveexec_b64 s[6:7], s[6:7]
	v_mov_b32_e32 v2, s10
	s_xor_b64 exec, exec, s[6:7]
	s_cbranch_execnz .LBB9_3276
.LBB9_1226:
	s_or_b64 exec, exec, s[6:7]
	s_and_saveexec_b64 s[6:7], s[4:5]
	s_cbranch_execz .LBB9_1228
.LBB9_1227:
	v_bfe_u32 v2, v8, 8, 3
	v_ffbh_u32_e32 v7, v2
	v_min_u32_e32 v7, 32, v7
	v_lshrrev_b16_e32 v6, 3, v3
	v_subrev_u32_e32 v12, 28, v7
	v_and_b32_e32 v6, 15, v6
	v_lshlrev_b32_e32 v3, v12, v3
	v_sub_u32_e32 v7, 29, v7
	v_and_b32_e32 v3, 7, v3
	v_cmp_eq_u16_e32 vcc, 0, v6
	v_cndmask_b32_e32 v2, v2, v3, vcc
	v_cndmask_b32_e32 v3, v6, v7, vcc
	v_lshlrev_b32_e32 v6, 16, v8
	v_mov_b32_e32 v7, 0x3b800000
	v_lshlrev_b32_e32 v2, 20, v2
	v_and_b32_e32 v6, 0x80000000, v6
	v_lshl_add_u32 v3, v3, 23, v7
	v_or3_b32 v2, v6, v3, v2
.LBB9_1228:
	s_or_b64 exec, exec, s[6:7]
	v_lshrrev_b32_e32 v3, 8, v4
	s_movk_i32 s4, 0x7f
	v_cmp_gt_i16_sdwa s[6:7], v3, s4 src0_sel:BYTE_0 src1_sel:DWORD
	s_mov_b64 s[4:5], 0
                                        ; implicit-def: $sgpr10
	s_and_saveexec_b64 s[8:9], s[6:7]
	s_xor_b64 s[6:7], exec, s[8:9]
	s_cbranch_execnz .LBB9_3277
; %bb.1229:
	s_or_saveexec_b64 s[6:7], s[6:7]
	v_mov_b32_e32 v6, s10
	s_xor_b64 exec, exec, s[6:7]
	s_cbranch_execnz .LBB9_3280
.LBB9_1230:
	s_or_b64 exec, exec, s[6:7]
	s_and_saveexec_b64 s[6:7], s[4:5]
	s_cbranch_execz .LBB9_1232
.LBB9_1231:
	v_bfe_u32 v6, v4, 8, 3
	v_ffbh_u32_e32 v12, v6
	v_min_u32_e32 v12, 32, v12
	v_lshrrev_b16_e32 v7, 3, v3
	v_subrev_u32_e32 v13, 28, v12
	v_and_b32_e32 v7, 15, v7
	v_lshlrev_b32_e32 v3, v13, v3
	v_sub_u32_e32 v12, 29, v12
	v_and_b32_e32 v3, 7, v3
	v_cmp_eq_u16_e32 vcc, 0, v7
	v_cndmask_b32_e32 v3, v6, v3, vcc
	v_cndmask_b32_e32 v6, v7, v12, vcc
	v_lshlrev_b32_e32 v7, 16, v4
	v_mov_b32_e32 v12, 0x3b800000
	v_lshlrev_b32_e32 v3, 20, v3
	v_and_b32_e32 v7, 0x80000000, v7
	v_lshl_add_u32 v6, v6, 23, v12
	v_or3_b32 v6, v7, v6, v3
.LBB9_1232:
	s_or_b64 exec, exec, s[6:7]
	s_nop 0
	v_mfma_f32_16x16x4f32 a[0:3], v2, v6, a[0:3]
	s_movk_i32 s4, 0xff
	v_and_b32_sdwa v3, v8, s4 dst_sel:DWORD dst_unused:UNUSED_PAD src0_sel:WORD_1 src1_sel:DWORD
	s_movk_i32 s4, 0x7f
	v_cmp_lt_i16_e32 vcc, s4, v3
	s_mov_b64 s[4:5], 0
                                        ; implicit-def: $sgpr10
	s_and_saveexec_b64 s[6:7], vcc
	s_xor_b64 s[6:7], exec, s[6:7]
	s_cbranch_execnz .LBB9_3281
; %bb.1233:
	s_or_saveexec_b64 s[6:7], s[6:7]
	v_mov_b32_e32 v2, s10
	s_xor_b64 exec, exec, s[6:7]
	s_cbranch_execnz .LBB9_3284
.LBB9_1234:
	s_or_b64 exec, exec, s[6:7]
	s_and_saveexec_b64 s[6:7], s[4:5]
	s_cbranch_execz .LBB9_1236
.LBB9_1235:
	v_bfe_u32 v2, v8, 16, 3
	v_ffbh_u32_e32 v7, v2
	v_min_u32_e32 v7, 32, v7
	v_lshrrev_b32_e32 v3, 19, v8
	v_subrev_u32_e32 v12, 28, v7
	v_and_b32_e32 v3, 15, v3
	v_lshlrev_b32_sdwa v12, v12, v8 dst_sel:DWORD dst_unused:UNUSED_PAD src0_sel:DWORD src1_sel:WORD_1
	v_bfe_u32 v6, v8, 19, 4
	v_sub_u32_e32 v7, 29, v7
	v_and_b32_e32 v12, 7, v12
	v_cmp_eq_u16_e32 vcc, 0, v3
	v_cndmask_b32_e32 v2, v2, v12, vcc
	v_cndmask_b32_e32 v3, v6, v7, vcc
	v_lshlrev_b32_e32 v6, 8, v8
	v_mov_b32_e32 v7, 0x3b800000
	v_lshlrev_b32_e32 v2, 20, v2
	v_and_b32_e32 v6, 0x80000000, v6
	v_lshl_add_u32 v3, v3, 23, v7
	v_or3_b32 v2, v6, v3, v2
.LBB9_1236:
	s_or_b64 exec, exec, s[6:7]
	s_movk_i32 s4, 0xff
	v_and_b32_sdwa v3, v4, s4 dst_sel:DWORD dst_unused:UNUSED_PAD src0_sel:WORD_1 src1_sel:DWORD
	s_movk_i32 s4, 0x7f
	v_cmp_lt_i16_e32 vcc, s4, v3
	s_mov_b64 s[4:5], 0
                                        ; implicit-def: $sgpr10
	s_and_saveexec_b64 s[6:7], vcc
	s_xor_b64 s[6:7], exec, s[6:7]
	s_cbranch_execnz .LBB9_3285
; %bb.1237:
	s_or_saveexec_b64 s[6:7], s[6:7]
	v_mov_b32_e32 v6, s10
	s_xor_b64 exec, exec, s[6:7]
	s_cbranch_execnz .LBB9_3288
.LBB9_1238:
	s_or_b64 exec, exec, s[6:7]
	s_and_saveexec_b64 s[6:7], s[4:5]
	s_cbranch_execz .LBB9_1240
.LBB9_1239:
	v_bfe_u32 v3, v4, 16, 3
	v_ffbh_u32_e32 v12, v3
	v_min_u32_e32 v12, 32, v12
	v_lshrrev_b32_e32 v6, 19, v4
	v_subrev_u32_e32 v13, 28, v12
	v_and_b32_e32 v6, 15, v6
	v_lshlrev_b32_sdwa v13, v13, v4 dst_sel:DWORD dst_unused:UNUSED_PAD src0_sel:DWORD src1_sel:WORD_1
	v_bfe_u32 v7, v4, 19, 4
	v_sub_u32_e32 v12, 29, v12
	v_and_b32_e32 v13, 7, v13
	v_cmp_eq_u16_e32 vcc, 0, v6
	v_cndmask_b32_e32 v3, v3, v13, vcc
	v_cndmask_b32_e32 v6, v7, v12, vcc
	v_lshlrev_b32_e32 v7, 8, v4
	v_mov_b32_e32 v12, 0x3b800000
	v_lshlrev_b32_e32 v3, 20, v3
	v_and_b32_e32 v7, 0x80000000, v7
	v_lshl_add_u32 v6, v6, 23, v12
	v_or3_b32 v6, v7, v6, v3
.LBB9_1240:
	s_or_b64 exec, exec, s[6:7]
	s_nop 0
	v_mfma_f32_16x16x4f32 a[0:3], v2, v6, a[0:3]
	s_movk_i32 s4, 0x7f
	v_cmp_gt_i16_sdwa s[6:7], v8, s4 src0_sel:BYTE_3 src1_sel:DWORD
	s_mov_b64 s[4:5], 0
                                        ; implicit-def: $sgpr10
	s_and_saveexec_b64 s[8:9], s[6:7]
	s_xor_b64 s[6:7], exec, s[8:9]
	s_cbranch_execnz .LBB9_3289
; %bb.1241:
	s_or_saveexec_b64 s[6:7], s[6:7]
	v_mov_b32_e32 v2, s10
	s_xor_b64 exec, exec, s[6:7]
	s_cbranch_execnz .LBB9_3292
.LBB9_1242:
	s_or_b64 exec, exec, s[6:7]
	s_and_saveexec_b64 s[6:7], s[4:5]
	s_cbranch_execz .LBB9_1244
.LBB9_1243:
	v_bfe_u32 v2, v8, 24, 3
	v_ffbh_u32_e32 v12, v2
	v_min_u32_e32 v12, 32, v12
	v_lshrrev_b32_e32 v6, 27, v8
	v_subrev_u32_e32 v13, 28, v12
	v_and_b32_e32 v3, 0x80000000, v8
	v_and_b32_e32 v6, 15, v6
	v_bfe_u32 v7, v8, 27, 4
	v_lshlrev_b32_sdwa v8, v13, v8 dst_sel:DWORD dst_unused:UNUSED_PAD src0_sel:DWORD src1_sel:BYTE_3
	v_sub_u32_e32 v12, 29, v12
	v_and_b32_e32 v8, 7, v8
	v_cmp_eq_u16_e32 vcc, 0, v6
	v_cndmask_b32_e32 v2, v2, v8, vcc
	v_cndmask_b32_e32 v6, v7, v12, vcc
	v_mov_b32_e32 v7, 0x3b800000
	v_lshlrev_b32_e32 v2, 20, v2
	v_lshl_add_u32 v6, v6, 23, v7
	v_or3_b32 v2, v3, v6, v2
.LBB9_1244:
	s_or_b64 exec, exec, s[6:7]
	s_movk_i32 s4, 0x7f
	v_cmp_gt_i16_sdwa s[6:7], v4, s4 src0_sel:BYTE_3 src1_sel:DWORD
	s_mov_b64 s[4:5], 0
                                        ; implicit-def: $sgpr10
	s_and_saveexec_b64 s[8:9], s[6:7]
	s_xor_b64 s[6:7], exec, s[8:9]
	s_cbranch_execnz .LBB9_3293
; %bb.1245:
	s_or_saveexec_b64 s[6:7], s[6:7]
	v_mov_b32_e32 v3, s10
	s_xor_b64 exec, exec, s[6:7]
	s_cbranch_execnz .LBB9_3296
.LBB9_1246:
	s_or_b64 exec, exec, s[6:7]
	s_and_saveexec_b64 s[6:7], s[4:5]
	s_cbranch_execz .LBB9_1248
.LBB9_1247:
	v_bfe_u32 v3, v4, 24, 3
	v_ffbh_u32_e32 v12, v3
	v_min_u32_e32 v12, 32, v12
	v_lshrrev_b32_e32 v7, 27, v4
	v_subrev_u32_e32 v13, 28, v12
	v_and_b32_e32 v6, 0x80000000, v4
	v_and_b32_e32 v7, 15, v7
	v_bfe_u32 v8, v4, 27, 4
	v_lshlrev_b32_sdwa v4, v13, v4 dst_sel:DWORD dst_unused:UNUSED_PAD src0_sel:DWORD src1_sel:BYTE_3
	v_sub_u32_e32 v12, 29, v12
	v_and_b32_e32 v4, 7, v4
	v_cmp_eq_u16_e32 vcc, 0, v7
	v_cndmask_b32_e32 v3, v3, v4, vcc
	v_cndmask_b32_e32 v4, v8, v12, vcc
	v_mov_b32_e32 v7, 0x3b800000
	v_lshlrev_b32_e32 v3, 20, v3
	v_lshl_add_u32 v4, v4, 23, v7
	v_or3_b32 v3, v6, v4, v3
.LBB9_1248:
	s_or_b64 exec, exec, s[6:7]
	s_nop 0
	v_mfma_f32_16x16x4f32 a[0:3], v2, v3, a[0:3]
	s_movk_i32 s4, 0x7f
	v_cmp_gt_i16_sdwa s[6:7], v9, s4 src0_sel:BYTE_0 src1_sel:DWORD
	s_mov_b64 s[4:5], 0
                                        ; implicit-def: $sgpr10
	s_and_saveexec_b64 s[8:9], s[6:7]
	s_xor_b64 s[6:7], exec, s[8:9]
	s_cbranch_execnz .LBB9_3297
; %bb.1249:
	s_or_saveexec_b64 s[6:7], s[6:7]
	v_mov_b32_e32 v2, s10
	s_xor_b64 exec, exec, s[6:7]
	s_cbranch_execnz .LBB9_3300
.LBB9_1250:
	s_or_b64 exec, exec, s[6:7]
	s_and_saveexec_b64 s[6:7], s[4:5]
	s_cbranch_execz .LBB9_1252
.LBB9_1251:
	v_mov_b32_e32 v2, 8
	v_and_b32_e32 v3, 7, v9
	v_lshrrev_b32_sdwa v2, v2, v9 dst_sel:BYTE_1 dst_unused:UNUSED_PAD src0_sel:DWORD src1_sel:DWORD
	v_ffbh_u32_e32 v4, v3
	v_or_b32_sdwa v2, v9, v2 dst_sel:DWORD dst_unused:UNUSED_PAD src0_sel:BYTE_0 src1_sel:DWORD
	v_min_u32_e32 v4, 32, v4
	v_lshrrev_b16_e32 v2, 3, v2
	v_subrev_u32_e32 v6, 28, v4
	v_and_b32_e32 v2, 15, v2
	v_lshlrev_b32_e32 v6, v6, v9
	v_sub_u32_e32 v4, 29, v4
	v_and_b32_e32 v6, 7, v6
	v_cmp_eq_u16_e32 vcc, 0, v2
	v_cndmask_b32_e32 v3, v3, v6, vcc
	v_cndmask_b32_e32 v2, v2, v4, vcc
	v_lshlrev_b32_e32 v4, 24, v9
	v_mov_b32_e32 v6, 0x3b800000
	v_lshlrev_b32_e32 v3, 20, v3
	v_and_b32_e32 v4, 0x80000000, v4
	v_lshl_add_u32 v2, v2, 23, v6
	v_or3_b32 v2, v4, v2, v3
.LBB9_1252:
	s_or_b64 exec, exec, s[6:7]
	s_movk_i32 s4, 0x7f
	v_cmp_gt_i16_sdwa s[6:7], v5, s4 src0_sel:BYTE_0 src1_sel:DWORD
	s_mov_b64 s[4:5], 0
                                        ; implicit-def: $sgpr10
	s_and_saveexec_b64 s[8:9], s[6:7]
	s_xor_b64 s[6:7], exec, s[8:9]
	s_cbranch_execnz .LBB9_3301
; %bb.1253:
	s_or_saveexec_b64 s[6:7], s[6:7]
	v_mov_b32_e32 v3, s10
	s_xor_b64 exec, exec, s[6:7]
	s_cbranch_execnz .LBB9_3304
.LBB9_1254:
	s_or_b64 exec, exec, s[6:7]
	s_and_saveexec_b64 s[6:7], s[4:5]
	s_cbranch_execz .LBB9_1256
.LBB9_1255:
	v_mov_b32_e32 v3, 8
	v_and_b32_e32 v4, 7, v5
	v_lshrrev_b32_sdwa v3, v3, v5 dst_sel:BYTE_1 dst_unused:UNUSED_PAD src0_sel:DWORD src1_sel:DWORD
	v_ffbh_u32_e32 v6, v4
	v_or_b32_sdwa v3, v5, v3 dst_sel:DWORD dst_unused:UNUSED_PAD src0_sel:BYTE_0 src1_sel:DWORD
	v_min_u32_e32 v6, 32, v6
	v_lshrrev_b16_e32 v3, 3, v3
	v_subrev_u32_e32 v7, 28, v6
	v_and_b32_e32 v3, 15, v3
	v_lshlrev_b32_e32 v7, v7, v5
	v_sub_u32_e32 v6, 29, v6
	v_and_b32_e32 v7, 7, v7
	v_cmp_eq_u16_e32 vcc, 0, v3
	v_cndmask_b32_e32 v4, v4, v7, vcc
	v_cndmask_b32_e32 v3, v3, v6, vcc
	v_lshlrev_b32_e32 v6, 24, v5
	v_mov_b32_e32 v7, 0x3b800000
	v_lshlrev_b32_e32 v4, 20, v4
	v_and_b32_e32 v6, 0x80000000, v6
	v_lshl_add_u32 v3, v3, 23, v7
	v_or3_b32 v3, v6, v3, v4
.LBB9_1256:
	s_or_b64 exec, exec, s[6:7]
	s_nop 0
	v_mfma_f32_16x16x4f32 a[0:3], v2, v3, a[0:3]
	v_lshrrev_b32_e32 v3, 8, v9
	s_movk_i32 s4, 0x7f
	v_cmp_gt_i16_sdwa s[6:7], v3, s4 src0_sel:BYTE_0 src1_sel:DWORD
	s_mov_b64 s[4:5], 0
                                        ; implicit-def: $sgpr10
	s_and_saveexec_b64 s[8:9], s[6:7]
	s_xor_b64 s[6:7], exec, s[8:9]
	s_cbranch_execnz .LBB9_3305
; %bb.1257:
	s_or_saveexec_b64 s[6:7], s[6:7]
	v_mov_b32_e32 v2, s10
	s_xor_b64 exec, exec, s[6:7]
	s_cbranch_execnz .LBB9_3308
.LBB9_1258:
	s_or_b64 exec, exec, s[6:7]
	s_and_saveexec_b64 s[6:7], s[4:5]
	s_cbranch_execz .LBB9_1260
.LBB9_1259:
	v_bfe_u32 v2, v9, 8, 3
	v_ffbh_u32_e32 v6, v2
	v_min_u32_e32 v6, 32, v6
	v_lshrrev_b16_e32 v4, 3, v3
	v_subrev_u32_e32 v7, 28, v6
	v_and_b32_e32 v4, 15, v4
	v_lshlrev_b32_e32 v3, v7, v3
	v_sub_u32_e32 v6, 29, v6
	v_and_b32_e32 v3, 7, v3
	v_cmp_eq_u16_e32 vcc, 0, v4
	v_cndmask_b32_e32 v2, v2, v3, vcc
	v_cndmask_b32_e32 v3, v4, v6, vcc
	v_lshlrev_b32_e32 v4, 16, v9
	v_mov_b32_e32 v6, 0x3b800000
	v_lshlrev_b32_e32 v2, 20, v2
	v_and_b32_e32 v4, 0x80000000, v4
	v_lshl_add_u32 v3, v3, 23, v6
	v_or3_b32 v2, v4, v3, v2
.LBB9_1260:
	s_or_b64 exec, exec, s[6:7]
	v_lshrrev_b32_e32 v3, 8, v5
	s_movk_i32 s4, 0x7f
	v_cmp_gt_i16_sdwa s[6:7], v3, s4 src0_sel:BYTE_0 src1_sel:DWORD
	s_mov_b64 s[4:5], 0
                                        ; implicit-def: $sgpr10
	s_and_saveexec_b64 s[8:9], s[6:7]
	s_xor_b64 s[6:7], exec, s[8:9]
	s_cbranch_execnz .LBB9_3309
; %bb.1261:
	s_or_saveexec_b64 s[6:7], s[6:7]
	v_mov_b32_e32 v4, s10
	s_xor_b64 exec, exec, s[6:7]
	s_cbranch_execnz .LBB9_3312
.LBB9_1262:
	s_or_b64 exec, exec, s[6:7]
	s_and_saveexec_b64 s[6:7], s[4:5]
	s_cbranch_execz .LBB9_1264
.LBB9_1263:
	v_bfe_u32 v4, v5, 8, 3
	v_ffbh_u32_e32 v7, v4
	v_min_u32_e32 v7, 32, v7
	v_lshrrev_b16_e32 v6, 3, v3
	v_subrev_u32_e32 v8, 28, v7
	v_and_b32_e32 v6, 15, v6
	v_lshlrev_b32_e32 v3, v8, v3
	v_sub_u32_e32 v7, 29, v7
	v_and_b32_e32 v3, 7, v3
	v_cmp_eq_u16_e32 vcc, 0, v6
	v_cndmask_b32_e32 v3, v4, v3, vcc
	v_cndmask_b32_e32 v4, v6, v7, vcc
	v_lshlrev_b32_e32 v6, 16, v5
	v_mov_b32_e32 v7, 0x3b800000
	v_lshlrev_b32_e32 v3, 20, v3
	v_and_b32_e32 v6, 0x80000000, v6
	v_lshl_add_u32 v4, v4, 23, v7
	v_or3_b32 v4, v6, v4, v3
.LBB9_1264:
	s_or_b64 exec, exec, s[6:7]
	s_nop 0
	v_mfma_f32_16x16x4f32 a[0:3], v2, v4, a[0:3]
	s_movk_i32 s4, 0xff
	v_and_b32_sdwa v3, v9, s4 dst_sel:DWORD dst_unused:UNUSED_PAD src0_sel:WORD_1 src1_sel:DWORD
	s_movk_i32 s4, 0x7f
	v_cmp_lt_i16_e32 vcc, s4, v3
	s_mov_b64 s[4:5], 0
                                        ; implicit-def: $sgpr10
	s_and_saveexec_b64 s[6:7], vcc
	s_xor_b64 s[6:7], exec, s[6:7]
	s_cbranch_execnz .LBB9_3313
; %bb.1265:
	s_or_saveexec_b64 s[6:7], s[6:7]
	v_mov_b32_e32 v2, s10
	s_xor_b64 exec, exec, s[6:7]
	s_cbranch_execnz .LBB9_3316
.LBB9_1266:
	s_or_b64 exec, exec, s[6:7]
	s_and_saveexec_b64 s[6:7], s[4:5]
	s_cbranch_execz .LBB9_1268
.LBB9_1267:
	v_bfe_u32 v2, v9, 16, 3
	v_ffbh_u32_e32 v6, v2
	v_min_u32_e32 v6, 32, v6
	v_lshrrev_b32_e32 v3, 19, v9
	v_subrev_u32_e32 v7, 28, v6
	v_and_b32_e32 v3, 15, v3
	v_lshlrev_b32_sdwa v7, v7, v9 dst_sel:DWORD dst_unused:UNUSED_PAD src0_sel:DWORD src1_sel:WORD_1
	v_bfe_u32 v4, v9, 19, 4
	v_sub_u32_e32 v6, 29, v6
	v_and_b32_e32 v7, 7, v7
	v_cmp_eq_u16_e32 vcc, 0, v3
	v_cndmask_b32_e32 v2, v2, v7, vcc
	v_cndmask_b32_e32 v3, v4, v6, vcc
	v_lshlrev_b32_e32 v4, 8, v9
	v_mov_b32_e32 v6, 0x3b800000
	v_lshlrev_b32_e32 v2, 20, v2
	v_and_b32_e32 v4, 0x80000000, v4
	v_lshl_add_u32 v3, v3, 23, v6
	v_or3_b32 v2, v4, v3, v2
.LBB9_1268:
	s_or_b64 exec, exec, s[6:7]
	s_movk_i32 s4, 0xff
	v_and_b32_sdwa v3, v5, s4 dst_sel:DWORD dst_unused:UNUSED_PAD src0_sel:WORD_1 src1_sel:DWORD
	s_movk_i32 s4, 0x7f
	v_cmp_lt_i16_e32 vcc, s4, v3
	s_mov_b64 s[4:5], 0
                                        ; implicit-def: $sgpr10
	s_and_saveexec_b64 s[6:7], vcc
	s_xor_b64 s[6:7], exec, s[6:7]
	s_cbranch_execnz .LBB9_3317
; %bb.1269:
	s_or_saveexec_b64 s[6:7], s[6:7]
	v_mov_b32_e32 v4, s10
	s_xor_b64 exec, exec, s[6:7]
	s_cbranch_execnz .LBB9_3320
.LBB9_1270:
	s_or_b64 exec, exec, s[6:7]
	s_and_saveexec_b64 s[6:7], s[4:5]
	s_cbranch_execz .LBB9_1272
.LBB9_1271:
	v_bfe_u32 v3, v5, 16, 3
	v_ffbh_u32_e32 v7, v3
	v_min_u32_e32 v7, 32, v7
	v_lshrrev_b32_e32 v4, 19, v5
	v_subrev_u32_e32 v8, 28, v7
	v_and_b32_e32 v4, 15, v4
	v_lshlrev_b32_sdwa v8, v8, v5 dst_sel:DWORD dst_unused:UNUSED_PAD src0_sel:DWORD src1_sel:WORD_1
	v_bfe_u32 v6, v5, 19, 4
	v_sub_u32_e32 v7, 29, v7
	v_and_b32_e32 v8, 7, v8
	v_cmp_eq_u16_e32 vcc, 0, v4
	v_cndmask_b32_e32 v3, v3, v8, vcc
	v_cndmask_b32_e32 v4, v6, v7, vcc
	v_lshlrev_b32_e32 v6, 8, v5
	v_mov_b32_e32 v7, 0x3b800000
	v_lshlrev_b32_e32 v3, 20, v3
	v_and_b32_e32 v6, 0x80000000, v6
	v_lshl_add_u32 v4, v4, 23, v7
	v_or3_b32 v4, v6, v4, v3
.LBB9_1272:
	s_or_b64 exec, exec, s[6:7]
	s_nop 0
	v_mfma_f32_16x16x4f32 a[0:3], v2, v4, a[0:3]
	s_movk_i32 s4, 0x7f
	v_cmp_gt_i16_sdwa s[6:7], v9, s4 src0_sel:BYTE_3 src1_sel:DWORD
	s_mov_b64 s[4:5], 0
                                        ; implicit-def: $sgpr10
	s_and_saveexec_b64 s[8:9], s[6:7]
	s_xor_b64 s[6:7], exec, s[8:9]
	s_cbranch_execnz .LBB9_3321
; %bb.1273:
	s_or_saveexec_b64 s[6:7], s[6:7]
	v_mov_b32_e32 v2, s10
	s_xor_b64 exec, exec, s[6:7]
	s_cbranch_execnz .LBB9_3324
.LBB9_1274:
	s_or_b64 exec, exec, s[6:7]
	s_and_saveexec_b64 s[6:7], s[4:5]
	s_cbranch_execz .LBB9_1276
.LBB9_1275:
	v_bfe_u32 v2, v9, 24, 3
	v_ffbh_u32_e32 v7, v2
	v_min_u32_e32 v7, 32, v7
	v_lshrrev_b32_e32 v4, 27, v9
	v_subrev_u32_e32 v8, 28, v7
	v_and_b32_e32 v4, 15, v4
	v_lshlrev_b32_sdwa v8, v8, v9 dst_sel:DWORD dst_unused:UNUSED_PAD src0_sel:DWORD src1_sel:BYTE_3
	v_bfe_u32 v6, v9, 27, 4
	v_sub_u32_e32 v7, 29, v7
	v_and_b32_e32 v8, 7, v8
	v_cmp_eq_u16_e32 vcc, 0, v4
	v_cndmask_b32_e32 v2, v2, v8, vcc
	v_cndmask_b32_e32 v4, v6, v7, vcc
	v_mov_b32_e32 v6, 0x3b800000
	v_and_b32_e32 v3, 0x80000000, v9
	v_lshlrev_b32_e32 v2, 20, v2
	v_lshl_add_u32 v4, v4, 23, v6
	v_or3_b32 v2, v3, v4, v2
.LBB9_1276:
	s_or_b64 exec, exec, s[6:7]
	s_movk_i32 s4, 0x7f
	v_cmp_gt_i16_sdwa s[6:7], v5, s4 src0_sel:BYTE_3 src1_sel:DWORD
	s_mov_b64 s[4:5], 0
                                        ; implicit-def: $sgpr10
	s_and_saveexec_b64 s[8:9], s[6:7]
	s_xor_b64 s[6:7], exec, s[8:9]
	s_cbranch_execnz .LBB9_3325
; %bb.1277:
	s_or_saveexec_b64 s[6:7], s[6:7]
	v_mov_b32_e32 v3, s10
	s_xor_b64 exec, exec, s[6:7]
	s_cbranch_execnz .LBB9_3328
.LBB9_1278:
	s_or_b64 exec, exec, s[6:7]
	s_and_saveexec_b64 s[6:7], s[4:5]
	s_cbranch_execz .LBB9_1280
.LBB9_1279:
	v_bfe_u32 v3, v5, 24, 3
	v_ffbh_u32_e32 v8, v3
	v_min_u32_e32 v8, 32, v8
	v_lshrrev_b32_e32 v6, 27, v5
	v_subrev_u32_e32 v9, 28, v8
	v_and_b32_e32 v4, 0x80000000, v5
	v_and_b32_e32 v6, 15, v6
	v_bfe_u32 v7, v5, 27, 4
	v_lshlrev_b32_sdwa v5, v9, v5 dst_sel:DWORD dst_unused:UNUSED_PAD src0_sel:DWORD src1_sel:BYTE_3
	v_sub_u32_e32 v8, 29, v8
	v_and_b32_e32 v5, 7, v5
	v_cmp_eq_u16_e32 vcc, 0, v6
	v_cndmask_b32_e32 v3, v3, v5, vcc
	v_cndmask_b32_e32 v5, v7, v8, vcc
	v_mov_b32_e32 v6, 0x3b800000
	v_lshlrev_b32_e32 v3, 20, v3
	v_lshl_add_u32 v5, v5, 23, v6
	v_or3_b32 v3, v4, v5, v3
.LBB9_1280:
	s_or_b64 exec, exec, s[6:7]
	s_nop 0
	v_mfma_f32_16x16x4f32 a[0:3], v2, v3, a[0:3]
	s_movk_i32 s4, 0x7f
                                        ; implicit-def: $sgpr10
	s_nop 7
	s_nop 1
	flat_store_dwordx4 v[10:11], a[0:3] offset:144
	flat_load_dwordx4 v[12:15], v[0:1] offset:8
	s_nop 0
	flat_load_dwordx2 v[10:11], v[0:1] offset:32
	s_waitcnt vmcnt(0) lgkmcnt(0)
	flat_load_dwordx4 v[6:9], v[12:13] offset:80
	flat_load_dwordx4 v[2:5], v[14:15] offset:80
	s_waitcnt vmcnt(0) lgkmcnt(0)
	v_cmp_gt_i16_sdwa s[6:7], v6, s4 src0_sel:BYTE_0 src1_sel:DWORD
	s_mov_b64 s[4:5], 0
	s_and_saveexec_b64 s[8:9], s[6:7]
	s_xor_b64 s[6:7], exec, s[8:9]
	s_cbranch_execnz .LBB9_3329
; %bb.1281:
	s_or_saveexec_b64 s[6:7], s[6:7]
	v_mov_b32_e32 v12, s10
	s_xor_b64 exec, exec, s[6:7]
	s_cbranch_execnz .LBB9_3332
.LBB9_1282:
	s_or_b64 exec, exec, s[6:7]
	s_and_saveexec_b64 s[6:7], s[4:5]
	s_cbranch_execz .LBB9_1284
.LBB9_1283:
	v_and_b32_e32 v12, 7, v6
	v_ffbh_u32_e32 v14, v12
	v_min_u32_e32 v14, 32, v14
	v_lshrrev_b16_e32 v13, 3, v6
	v_subrev_u32_e32 v15, 28, v14
	v_and_b32_e32 v13, 15, v13
	v_lshlrev_b32_e32 v15, v15, v6
	v_sub_u32_e32 v14, 29, v14
	v_and_b32_e32 v15, 7, v15
	v_cmp_eq_u16_e32 vcc, 0, v13
	v_cndmask_b32_e32 v12, v12, v15, vcc
	v_cndmask_b32_e32 v13, v13, v14, vcc
	v_lshlrev_b32_e32 v14, 24, v6
	v_mov_b32_e32 v15, 0x3b800000
	v_lshlrev_b32_e32 v12, 20, v12
	v_and_b32_e32 v14, 0x80000000, v14
	v_lshl_add_u32 v13, v13, 23, v15
	v_or3_b32 v12, v14, v13, v12
.LBB9_1284:
	s_or_b64 exec, exec, s[6:7]
	s_movk_i32 s4, 0x7f
	v_cmp_gt_i16_sdwa s[6:7], v2, s4 src0_sel:BYTE_0 src1_sel:DWORD
	s_mov_b64 s[4:5], 0
                                        ; implicit-def: $sgpr10
	s_and_saveexec_b64 s[8:9], s[6:7]
	s_xor_b64 s[6:7], exec, s[8:9]
	s_cbranch_execnz .LBB9_3333
; %bb.1285:
	s_or_saveexec_b64 s[6:7], s[6:7]
	v_mov_b32_e32 v13, s10
	s_xor_b64 exec, exec, s[6:7]
	s_cbranch_execnz .LBB9_3336
.LBB9_1286:
	s_or_b64 exec, exec, s[6:7]
	s_and_saveexec_b64 s[6:7], s[4:5]
	s_cbranch_execz .LBB9_1288
.LBB9_1287:
	v_and_b32_e32 v13, 7, v2
	v_ffbh_u32_e32 v15, v13
	v_min_u32_e32 v15, 32, v15
	v_lshrrev_b16_e32 v14, 3, v2
	v_subrev_u32_e32 v16, 28, v15
	v_and_b32_e32 v14, 15, v14
	v_lshlrev_b32_e32 v16, v16, v2
	v_sub_u32_e32 v15, 29, v15
	v_and_b32_e32 v16, 7, v16
	v_cmp_eq_u16_e32 vcc, 0, v14
	v_cndmask_b32_e32 v13, v13, v16, vcc
	v_cndmask_b32_e32 v14, v14, v15, vcc
	v_lshlrev_b32_e32 v15, 24, v2
	v_mov_b32_e32 v16, 0x3b800000
	v_lshlrev_b32_e32 v13, 20, v13
	v_and_b32_e32 v15, 0x80000000, v15
	v_lshl_add_u32 v14, v14, 23, v16
	v_or3_b32 v13, v15, v14, v13
.LBB9_1288:
	s_or_b64 exec, exec, s[6:7]
	flat_load_dwordx4 a[0:3], v[10:11] offset:160
	s_movk_i32 s4, 0x7f
                                        ; implicit-def: $sgpr10
	s_waitcnt vmcnt(0) lgkmcnt(0)
	v_mfma_f32_16x16x4f32 a[0:3], v12, v13, a[0:3]
	v_lshrrev_b32_e32 v13, 8, v6
	v_cmp_gt_i16_sdwa s[6:7], v13, s4 src0_sel:BYTE_0 src1_sel:DWORD
	s_mov_b64 s[4:5], 0
	s_and_saveexec_b64 s[8:9], s[6:7]
	s_xor_b64 s[6:7], exec, s[8:9]
	s_cbranch_execnz .LBB9_3337
; %bb.1289:
	s_or_saveexec_b64 s[6:7], s[6:7]
	v_mov_b32_e32 v12, s10
	s_xor_b64 exec, exec, s[6:7]
	s_cbranch_execnz .LBB9_3340
.LBB9_1290:
	s_or_b64 exec, exec, s[6:7]
	s_and_saveexec_b64 s[6:7], s[4:5]
	s_cbranch_execz .LBB9_1292
.LBB9_1291:
	v_bfe_u32 v12, v6, 8, 3
	v_ffbh_u32_e32 v15, v12
	v_min_u32_e32 v15, 32, v15
	v_lshrrev_b16_e32 v14, 3, v13
	v_subrev_u32_e32 v16, 28, v15
	v_and_b32_e32 v14, 15, v14
	v_lshlrev_b32_e32 v13, v16, v13
	v_sub_u32_e32 v15, 29, v15
	v_and_b32_e32 v13, 7, v13
	v_cmp_eq_u16_e32 vcc, 0, v14
	v_cndmask_b32_e32 v12, v12, v13, vcc
	v_cndmask_b32_e32 v13, v14, v15, vcc
	v_lshlrev_b32_e32 v14, 16, v6
	v_mov_b32_e32 v15, 0x3b800000
	v_lshlrev_b32_e32 v12, 20, v12
	v_and_b32_e32 v14, 0x80000000, v14
	v_lshl_add_u32 v13, v13, 23, v15
	v_or3_b32 v12, v14, v13, v12
.LBB9_1292:
	s_or_b64 exec, exec, s[6:7]
	v_lshrrev_b32_e32 v13, 8, v2
	s_movk_i32 s4, 0x7f
	v_cmp_gt_i16_sdwa s[6:7], v13, s4 src0_sel:BYTE_0 src1_sel:DWORD
	s_mov_b64 s[4:5], 0
                                        ; implicit-def: $sgpr10
	s_and_saveexec_b64 s[8:9], s[6:7]
	s_xor_b64 s[6:7], exec, s[8:9]
	s_cbranch_execnz .LBB9_3341
; %bb.1293:
	s_or_saveexec_b64 s[6:7], s[6:7]
	v_mov_b32_e32 v14, s10
	s_xor_b64 exec, exec, s[6:7]
	s_cbranch_execnz .LBB9_3344
.LBB9_1294:
	s_or_b64 exec, exec, s[6:7]
	s_and_saveexec_b64 s[6:7], s[4:5]
	s_cbranch_execz .LBB9_1296
.LBB9_1295:
	v_bfe_u32 v14, v2, 8, 3
	v_ffbh_u32_e32 v16, v14
	v_min_u32_e32 v16, 32, v16
	v_lshrrev_b16_e32 v15, 3, v13
	v_subrev_u32_e32 v17, 28, v16
	v_and_b32_e32 v15, 15, v15
	v_lshlrev_b32_e32 v13, v17, v13
	v_sub_u32_e32 v16, 29, v16
	v_and_b32_e32 v13, 7, v13
	v_cmp_eq_u16_e32 vcc, 0, v15
	v_cndmask_b32_e32 v13, v14, v13, vcc
	v_cndmask_b32_e32 v14, v15, v16, vcc
	v_lshlrev_b32_e32 v15, 16, v2
	v_mov_b32_e32 v16, 0x3b800000
	v_lshlrev_b32_e32 v13, 20, v13
	v_and_b32_e32 v15, 0x80000000, v15
	v_lshl_add_u32 v14, v14, 23, v16
	v_or3_b32 v14, v15, v14, v13
.LBB9_1296:
	s_or_b64 exec, exec, s[6:7]
	s_nop 0
	v_mfma_f32_16x16x4f32 a[0:3], v12, v14, a[0:3]
	s_movk_i32 s4, 0xff
	v_and_b32_sdwa v13, v6, s4 dst_sel:DWORD dst_unused:UNUSED_PAD src0_sel:WORD_1 src1_sel:DWORD
	s_movk_i32 s4, 0x7f
	v_cmp_lt_i16_e32 vcc, s4, v13
	s_mov_b64 s[4:5], 0
                                        ; implicit-def: $sgpr10
	s_and_saveexec_b64 s[6:7], vcc
	s_xor_b64 s[6:7], exec, s[6:7]
	s_cbranch_execnz .LBB9_3345
; %bb.1297:
	s_or_saveexec_b64 s[6:7], s[6:7]
	v_mov_b32_e32 v12, s10
	s_xor_b64 exec, exec, s[6:7]
	s_cbranch_execnz .LBB9_3348
.LBB9_1298:
	s_or_b64 exec, exec, s[6:7]
	s_and_saveexec_b64 s[6:7], s[4:5]
	s_cbranch_execz .LBB9_1300
.LBB9_1299:
	v_bfe_u32 v12, v6, 16, 3
	v_ffbh_u32_e32 v15, v12
	v_min_u32_e32 v15, 32, v15
	v_lshrrev_b32_e32 v13, 19, v6
	v_subrev_u32_e32 v16, 28, v15
	v_and_b32_e32 v13, 15, v13
	v_lshlrev_b32_sdwa v16, v16, v6 dst_sel:DWORD dst_unused:UNUSED_PAD src0_sel:DWORD src1_sel:WORD_1
	v_bfe_u32 v14, v6, 19, 4
	v_sub_u32_e32 v15, 29, v15
	v_and_b32_e32 v16, 7, v16
	v_cmp_eq_u16_e32 vcc, 0, v13
	v_cndmask_b32_e32 v12, v12, v16, vcc
	v_cndmask_b32_e32 v13, v14, v15, vcc
	v_lshlrev_b32_e32 v14, 8, v6
	v_mov_b32_e32 v15, 0x3b800000
	v_lshlrev_b32_e32 v12, 20, v12
	v_and_b32_e32 v14, 0x80000000, v14
	v_lshl_add_u32 v13, v13, 23, v15
	v_or3_b32 v12, v14, v13, v12
.LBB9_1300:
	s_or_b64 exec, exec, s[6:7]
	s_movk_i32 s4, 0xff
	v_and_b32_sdwa v13, v2, s4 dst_sel:DWORD dst_unused:UNUSED_PAD src0_sel:WORD_1 src1_sel:DWORD
	s_movk_i32 s4, 0x7f
	v_cmp_lt_i16_e32 vcc, s4, v13
	s_mov_b64 s[4:5], 0
                                        ; implicit-def: $sgpr10
	s_and_saveexec_b64 s[6:7], vcc
	s_xor_b64 s[6:7], exec, s[6:7]
	s_cbranch_execnz .LBB9_3349
; %bb.1301:
	s_or_saveexec_b64 s[6:7], s[6:7]
	v_mov_b32_e32 v14, s10
	s_xor_b64 exec, exec, s[6:7]
	s_cbranch_execnz .LBB9_3352
.LBB9_1302:
	s_or_b64 exec, exec, s[6:7]
	s_and_saveexec_b64 s[6:7], s[4:5]
	s_cbranch_execz .LBB9_1304
.LBB9_1303:
	v_bfe_u32 v13, v2, 16, 3
	v_ffbh_u32_e32 v16, v13
	v_min_u32_e32 v16, 32, v16
	v_lshrrev_b32_e32 v14, 19, v2
	v_subrev_u32_e32 v17, 28, v16
	v_and_b32_e32 v14, 15, v14
	v_lshlrev_b32_sdwa v17, v17, v2 dst_sel:DWORD dst_unused:UNUSED_PAD src0_sel:DWORD src1_sel:WORD_1
	v_bfe_u32 v15, v2, 19, 4
	v_sub_u32_e32 v16, 29, v16
	v_and_b32_e32 v17, 7, v17
	v_cmp_eq_u16_e32 vcc, 0, v14
	v_cndmask_b32_e32 v13, v13, v17, vcc
	v_cndmask_b32_e32 v14, v15, v16, vcc
	v_lshlrev_b32_e32 v15, 8, v2
	v_mov_b32_e32 v16, 0x3b800000
	v_lshlrev_b32_e32 v13, 20, v13
	v_and_b32_e32 v15, 0x80000000, v15
	v_lshl_add_u32 v14, v14, 23, v16
	v_or3_b32 v14, v15, v14, v13
.LBB9_1304:
	s_or_b64 exec, exec, s[6:7]
	s_nop 0
	v_mfma_f32_16x16x4f32 a[0:3], v12, v14, a[0:3]
	s_movk_i32 s4, 0x7f
	v_cmp_gt_i16_sdwa s[6:7], v6, s4 src0_sel:BYTE_3 src1_sel:DWORD
	s_mov_b64 s[4:5], 0
                                        ; implicit-def: $sgpr10
	s_and_saveexec_b64 s[8:9], s[6:7]
	s_xor_b64 s[6:7], exec, s[8:9]
	s_cbranch_execnz .LBB9_3353
; %bb.1305:
	s_or_saveexec_b64 s[6:7], s[6:7]
	v_mov_b32_e32 v12, s10
	s_xor_b64 exec, exec, s[6:7]
	s_cbranch_execnz .LBB9_3356
.LBB9_1306:
	s_or_b64 exec, exec, s[6:7]
	s_and_saveexec_b64 s[6:7], s[4:5]
	s_cbranch_execz .LBB9_1308
.LBB9_1307:
	v_bfe_u32 v12, v6, 24, 3
	v_ffbh_u32_e32 v16, v12
	v_min_u32_e32 v16, 32, v16
	v_lshrrev_b32_e32 v14, 27, v6
	v_subrev_u32_e32 v17, 28, v16
	v_and_b32_e32 v13, 0x80000000, v6
	v_and_b32_e32 v14, 15, v14
	v_bfe_u32 v15, v6, 27, 4
	v_lshlrev_b32_sdwa v6, v17, v6 dst_sel:DWORD dst_unused:UNUSED_PAD src0_sel:DWORD src1_sel:BYTE_3
	v_sub_u32_e32 v16, 29, v16
	v_and_b32_e32 v6, 7, v6
	v_cmp_eq_u16_e32 vcc, 0, v14
	v_cndmask_b32_e32 v6, v12, v6, vcc
	v_cndmask_b32_e32 v12, v15, v16, vcc
	v_mov_b32_e32 v14, 0x3b800000
	v_lshlrev_b32_e32 v6, 20, v6
	v_lshl_add_u32 v12, v12, 23, v14
	v_or3_b32 v12, v13, v12, v6
.LBB9_1308:
	s_or_b64 exec, exec, s[6:7]
	s_movk_i32 s4, 0x7f
	v_cmp_gt_i16_sdwa s[6:7], v2, s4 src0_sel:BYTE_3 src1_sel:DWORD
	s_mov_b64 s[4:5], 0
                                        ; implicit-def: $sgpr10
	s_and_saveexec_b64 s[8:9], s[6:7]
	s_xor_b64 s[6:7], exec, s[8:9]
	s_cbranch_execnz .LBB9_3357
; %bb.1309:
	s_or_saveexec_b64 s[6:7], s[6:7]
	v_mov_b32_e32 v6, s10
	s_xor_b64 exec, exec, s[6:7]
	s_cbranch_execnz .LBB9_3360
.LBB9_1310:
	s_or_b64 exec, exec, s[6:7]
	s_and_saveexec_b64 s[6:7], s[4:5]
	s_cbranch_execz .LBB9_1312
.LBB9_1311:
	v_bfe_u32 v6, v2, 24, 3
	v_ffbh_u32_e32 v16, v6
	v_min_u32_e32 v16, 32, v16
	v_lshrrev_b32_e32 v14, 27, v2
	v_subrev_u32_e32 v17, 28, v16
	v_and_b32_e32 v13, 0x80000000, v2
	v_and_b32_e32 v14, 15, v14
	v_bfe_u32 v15, v2, 27, 4
	v_lshlrev_b32_sdwa v2, v17, v2 dst_sel:DWORD dst_unused:UNUSED_PAD src0_sel:DWORD src1_sel:BYTE_3
	v_sub_u32_e32 v16, 29, v16
	v_and_b32_e32 v2, 7, v2
	v_cmp_eq_u16_e32 vcc, 0, v14
	v_cndmask_b32_e32 v2, v6, v2, vcc
	v_cndmask_b32_e32 v6, v15, v16, vcc
	v_mov_b32_e32 v14, 0x3b800000
	v_lshlrev_b32_e32 v2, 20, v2
	v_lshl_add_u32 v6, v6, 23, v14
	v_or3_b32 v6, v13, v6, v2
.LBB9_1312:
	s_or_b64 exec, exec, s[6:7]
	s_nop 0
	v_mfma_f32_16x16x4f32 a[0:3], v12, v6, a[0:3]
	s_movk_i32 s4, 0x7f
	v_cmp_gt_i16_sdwa s[6:7], v7, s4 src0_sel:BYTE_0 src1_sel:DWORD
	s_mov_b64 s[4:5], 0
                                        ; implicit-def: $sgpr10
	s_and_saveexec_b64 s[8:9], s[6:7]
	s_xor_b64 s[6:7], exec, s[8:9]
	s_cbranch_execnz .LBB9_3361
; %bb.1313:
	s_or_saveexec_b64 s[6:7], s[6:7]
	v_mov_b32_e32 v2, s10
	s_xor_b64 exec, exec, s[6:7]
	s_cbranch_execnz .LBB9_3364
.LBB9_1314:
	s_or_b64 exec, exec, s[6:7]
	s_and_saveexec_b64 s[6:7], s[4:5]
	s_cbranch_execz .LBB9_1316
.LBB9_1315:
	v_and_b32_e32 v2, 7, v7
	v_ffbh_u32_e32 v12, v2
	v_min_u32_e32 v12, 32, v12
	v_lshrrev_b16_e32 v6, 3, v7
	v_subrev_u32_e32 v13, 28, v12
	v_and_b32_e32 v6, 15, v6
	v_lshlrev_b32_e32 v13, v13, v7
	v_sub_u32_e32 v12, 29, v12
	v_and_b32_e32 v13, 7, v13
	v_cmp_eq_u16_e32 vcc, 0, v6
	v_cndmask_b32_e32 v2, v2, v13, vcc
	v_cndmask_b32_e32 v6, v6, v12, vcc
	v_lshlrev_b32_e32 v12, 24, v7
	v_mov_b32_e32 v13, 0x3b800000
	v_lshlrev_b32_e32 v2, 20, v2
	v_and_b32_e32 v12, 0x80000000, v12
	v_lshl_add_u32 v6, v6, 23, v13
	v_or3_b32 v2, v12, v6, v2
.LBB9_1316:
	s_or_b64 exec, exec, s[6:7]
	s_movk_i32 s4, 0x7f
	v_cmp_gt_i16_sdwa s[6:7], v3, s4 src0_sel:BYTE_0 src1_sel:DWORD
	s_mov_b64 s[4:5], 0
                                        ; implicit-def: $sgpr10
	s_and_saveexec_b64 s[8:9], s[6:7]
	s_xor_b64 s[6:7], exec, s[8:9]
	s_cbranch_execnz .LBB9_3365
; %bb.1317:
	s_or_saveexec_b64 s[6:7], s[6:7]
	v_mov_b32_e32 v6, s10
	s_xor_b64 exec, exec, s[6:7]
	s_cbranch_execnz .LBB9_3368
.LBB9_1318:
	s_or_b64 exec, exec, s[6:7]
	s_and_saveexec_b64 s[6:7], s[4:5]
	s_cbranch_execz .LBB9_1320
.LBB9_1319:
	v_and_b32_e32 v6, 7, v3
	v_ffbh_u32_e32 v13, v6
	v_min_u32_e32 v13, 32, v13
	v_lshrrev_b16_e32 v12, 3, v3
	v_subrev_u32_e32 v14, 28, v13
	v_and_b32_e32 v12, 15, v12
	v_lshlrev_b32_e32 v14, v14, v3
	v_sub_u32_e32 v13, 29, v13
	v_and_b32_e32 v14, 7, v14
	v_cmp_eq_u16_e32 vcc, 0, v12
	v_cndmask_b32_e32 v6, v6, v14, vcc
	v_cndmask_b32_e32 v12, v12, v13, vcc
	v_lshlrev_b32_e32 v13, 24, v3
	v_mov_b32_e32 v14, 0x3b800000
	v_lshlrev_b32_e32 v6, 20, v6
	v_and_b32_e32 v13, 0x80000000, v13
	v_lshl_add_u32 v12, v12, 23, v14
	v_or3_b32 v6, v13, v12, v6
.LBB9_1320:
	s_or_b64 exec, exec, s[6:7]
	s_nop 0
	v_mfma_f32_16x16x4f32 a[0:3], v2, v6, a[0:3]
	v_lshrrev_b32_e32 v6, 8, v7
	s_movk_i32 s4, 0x7f
	v_cmp_gt_i16_sdwa s[6:7], v6, s4 src0_sel:BYTE_0 src1_sel:DWORD
	s_mov_b64 s[4:5], 0
                                        ; implicit-def: $sgpr10
	s_and_saveexec_b64 s[8:9], s[6:7]
	s_xor_b64 s[6:7], exec, s[8:9]
	s_cbranch_execnz .LBB9_3369
; %bb.1321:
	s_or_saveexec_b64 s[6:7], s[6:7]
	v_mov_b32_e32 v2, s10
	s_xor_b64 exec, exec, s[6:7]
	s_cbranch_execnz .LBB9_3372
.LBB9_1322:
	s_or_b64 exec, exec, s[6:7]
	s_and_saveexec_b64 s[6:7], s[4:5]
	s_cbranch_execz .LBB9_1324
.LBB9_1323:
	v_bfe_u32 v2, v7, 8, 3
	v_ffbh_u32_e32 v13, v2
	v_min_u32_e32 v13, 32, v13
	v_lshrrev_b16_e32 v12, 3, v6
	v_subrev_u32_e32 v14, 28, v13
	v_and_b32_e32 v12, 15, v12
	v_lshlrev_b32_e32 v6, v14, v6
	v_sub_u32_e32 v13, 29, v13
	v_and_b32_e32 v6, 7, v6
	v_cmp_eq_u16_e32 vcc, 0, v12
	v_cndmask_b32_e32 v2, v2, v6, vcc
	v_cndmask_b32_e32 v6, v12, v13, vcc
	v_lshlrev_b32_e32 v12, 16, v7
	v_mov_b32_e32 v13, 0x3b800000
	v_lshlrev_b32_e32 v2, 20, v2
	v_and_b32_e32 v12, 0x80000000, v12
	v_lshl_add_u32 v6, v6, 23, v13
	v_or3_b32 v2, v12, v6, v2
.LBB9_1324:
	s_or_b64 exec, exec, s[6:7]
	v_lshrrev_b32_e32 v6, 8, v3
	s_movk_i32 s4, 0x7f
	v_cmp_gt_i16_sdwa s[6:7], v6, s4 src0_sel:BYTE_0 src1_sel:DWORD
	s_mov_b64 s[4:5], 0
                                        ; implicit-def: $sgpr10
	s_and_saveexec_b64 s[8:9], s[6:7]
	s_xor_b64 s[6:7], exec, s[8:9]
	s_cbranch_execnz .LBB9_3373
; %bb.1325:
	s_or_saveexec_b64 s[6:7], s[6:7]
	v_mov_b32_e32 v12, s10
	s_xor_b64 exec, exec, s[6:7]
	s_cbranch_execnz .LBB9_3376
.LBB9_1326:
	s_or_b64 exec, exec, s[6:7]
	s_and_saveexec_b64 s[6:7], s[4:5]
	s_cbranch_execz .LBB9_1328
.LBB9_1327:
	v_bfe_u32 v12, v3, 8, 3
	v_ffbh_u32_e32 v14, v12
	v_min_u32_e32 v14, 32, v14
	v_lshrrev_b16_e32 v13, 3, v6
	v_subrev_u32_e32 v15, 28, v14
	v_and_b32_e32 v13, 15, v13
	v_lshlrev_b32_e32 v6, v15, v6
	v_sub_u32_e32 v14, 29, v14
	v_and_b32_e32 v6, 7, v6
	v_cmp_eq_u16_e32 vcc, 0, v13
	v_cndmask_b32_e32 v6, v12, v6, vcc
	v_cndmask_b32_e32 v12, v13, v14, vcc
	v_lshlrev_b32_e32 v13, 16, v3
	v_mov_b32_e32 v14, 0x3b800000
	v_lshlrev_b32_e32 v6, 20, v6
	v_and_b32_e32 v13, 0x80000000, v13
	v_lshl_add_u32 v12, v12, 23, v14
	v_or3_b32 v12, v13, v12, v6
.LBB9_1328:
	s_or_b64 exec, exec, s[6:7]
	s_nop 0
	v_mfma_f32_16x16x4f32 a[0:3], v2, v12, a[0:3]
	s_movk_i32 s4, 0xff
	v_and_b32_sdwa v6, v7, s4 dst_sel:DWORD dst_unused:UNUSED_PAD src0_sel:WORD_1 src1_sel:DWORD
	s_movk_i32 s4, 0x7f
	v_cmp_lt_i16_e32 vcc, s4, v6
	s_mov_b64 s[4:5], 0
                                        ; implicit-def: $sgpr10
	s_and_saveexec_b64 s[6:7], vcc
	s_xor_b64 s[6:7], exec, s[6:7]
	s_cbranch_execnz .LBB9_3377
; %bb.1329:
	s_or_saveexec_b64 s[6:7], s[6:7]
	v_mov_b32_e32 v2, s10
	s_xor_b64 exec, exec, s[6:7]
	s_cbranch_execnz .LBB9_3380
.LBB9_1330:
	s_or_b64 exec, exec, s[6:7]
	s_and_saveexec_b64 s[6:7], s[4:5]
	s_cbranch_execz .LBB9_1332
.LBB9_1331:
	v_bfe_u32 v2, v7, 16, 3
	v_ffbh_u32_e32 v13, v2
	v_min_u32_e32 v13, 32, v13
	v_lshrrev_b32_e32 v6, 19, v7
	v_subrev_u32_e32 v14, 28, v13
	v_and_b32_e32 v6, 15, v6
	v_lshlrev_b32_sdwa v14, v14, v7 dst_sel:DWORD dst_unused:UNUSED_PAD src0_sel:DWORD src1_sel:WORD_1
	v_bfe_u32 v12, v7, 19, 4
	v_sub_u32_e32 v13, 29, v13
	v_and_b32_e32 v14, 7, v14
	v_cmp_eq_u16_e32 vcc, 0, v6
	v_cndmask_b32_e32 v2, v2, v14, vcc
	v_cndmask_b32_e32 v6, v12, v13, vcc
	v_lshlrev_b32_e32 v12, 8, v7
	v_mov_b32_e32 v13, 0x3b800000
	v_lshlrev_b32_e32 v2, 20, v2
	v_and_b32_e32 v12, 0x80000000, v12
	v_lshl_add_u32 v6, v6, 23, v13
	v_or3_b32 v2, v12, v6, v2
.LBB9_1332:
	s_or_b64 exec, exec, s[6:7]
	s_movk_i32 s4, 0xff
	v_and_b32_sdwa v6, v3, s4 dst_sel:DWORD dst_unused:UNUSED_PAD src0_sel:WORD_1 src1_sel:DWORD
	s_movk_i32 s4, 0x7f
	v_cmp_lt_i16_e32 vcc, s4, v6
	s_mov_b64 s[4:5], 0
                                        ; implicit-def: $sgpr10
	s_and_saveexec_b64 s[6:7], vcc
	s_xor_b64 s[6:7], exec, s[6:7]
	s_cbranch_execnz .LBB9_3381
; %bb.1333:
	s_or_saveexec_b64 s[6:7], s[6:7]
	v_mov_b32_e32 v12, s10
	s_xor_b64 exec, exec, s[6:7]
	s_cbranch_execnz .LBB9_3384
.LBB9_1334:
	s_or_b64 exec, exec, s[6:7]
	s_and_saveexec_b64 s[6:7], s[4:5]
	s_cbranch_execz .LBB9_1336
.LBB9_1335:
	v_bfe_u32 v6, v3, 16, 3
	v_ffbh_u32_e32 v14, v6
	v_min_u32_e32 v14, 32, v14
	v_lshrrev_b32_e32 v12, 19, v3
	v_subrev_u32_e32 v15, 28, v14
	v_and_b32_e32 v12, 15, v12
	v_lshlrev_b32_sdwa v15, v15, v3 dst_sel:DWORD dst_unused:UNUSED_PAD src0_sel:DWORD src1_sel:WORD_1
	v_bfe_u32 v13, v3, 19, 4
	v_sub_u32_e32 v14, 29, v14
	v_and_b32_e32 v15, 7, v15
	v_cmp_eq_u16_e32 vcc, 0, v12
	v_cndmask_b32_e32 v6, v6, v15, vcc
	v_cndmask_b32_e32 v12, v13, v14, vcc
	v_lshlrev_b32_e32 v13, 8, v3
	v_mov_b32_e32 v14, 0x3b800000
	v_lshlrev_b32_e32 v6, 20, v6
	v_and_b32_e32 v13, 0x80000000, v13
	v_lshl_add_u32 v12, v12, 23, v14
	v_or3_b32 v12, v13, v12, v6
.LBB9_1336:
	s_or_b64 exec, exec, s[6:7]
	s_nop 0
	v_mfma_f32_16x16x4f32 a[0:3], v2, v12, a[0:3]
	s_movk_i32 s4, 0x7f
	v_cmp_gt_i16_sdwa s[6:7], v7, s4 src0_sel:BYTE_3 src1_sel:DWORD
	s_mov_b64 s[4:5], 0
                                        ; implicit-def: $sgpr10
	s_and_saveexec_b64 s[8:9], s[6:7]
	s_xor_b64 s[6:7], exec, s[8:9]
	s_cbranch_execnz .LBB9_3385
; %bb.1337:
	s_or_saveexec_b64 s[6:7], s[6:7]
	v_mov_b32_e32 v2, s10
	s_xor_b64 exec, exec, s[6:7]
	s_cbranch_execnz .LBB9_3388
.LBB9_1338:
	s_or_b64 exec, exec, s[6:7]
	s_and_saveexec_b64 s[6:7], s[4:5]
	s_cbranch_execz .LBB9_1340
.LBB9_1339:
	v_bfe_u32 v2, v7, 24, 3
	v_ffbh_u32_e32 v14, v2
	v_min_u32_e32 v14, 32, v14
	v_lshrrev_b32_e32 v12, 27, v7
	v_subrev_u32_e32 v15, 28, v14
	v_and_b32_e32 v6, 0x80000000, v7
	v_and_b32_e32 v12, 15, v12
	v_bfe_u32 v13, v7, 27, 4
	v_lshlrev_b32_sdwa v7, v15, v7 dst_sel:DWORD dst_unused:UNUSED_PAD src0_sel:DWORD src1_sel:BYTE_3
	v_sub_u32_e32 v14, 29, v14
	v_and_b32_e32 v7, 7, v7
	v_cmp_eq_u16_e32 vcc, 0, v12
	v_cndmask_b32_e32 v2, v2, v7, vcc
	v_cndmask_b32_e32 v7, v13, v14, vcc
	v_mov_b32_e32 v12, 0x3b800000
	v_lshlrev_b32_e32 v2, 20, v2
	v_lshl_add_u32 v7, v7, 23, v12
	v_or3_b32 v2, v6, v7, v2
.LBB9_1340:
	s_or_b64 exec, exec, s[6:7]
	s_movk_i32 s4, 0x7f
	v_cmp_gt_i16_sdwa s[6:7], v3, s4 src0_sel:BYTE_3 src1_sel:DWORD
	s_mov_b64 s[4:5], 0
                                        ; implicit-def: $sgpr10
	s_and_saveexec_b64 s[8:9], s[6:7]
	s_xor_b64 s[6:7], exec, s[8:9]
	s_cbranch_execnz .LBB9_3389
; %bb.1341:
	s_or_saveexec_b64 s[6:7], s[6:7]
	v_mov_b32_e32 v6, s10
	s_xor_b64 exec, exec, s[6:7]
	s_cbranch_execnz .LBB9_3392
.LBB9_1342:
	s_or_b64 exec, exec, s[6:7]
	s_and_saveexec_b64 s[6:7], s[4:5]
	s_cbranch_execz .LBB9_1344
.LBB9_1343:
	v_bfe_u32 v6, v3, 24, 3
	v_ffbh_u32_e32 v14, v6
	v_min_u32_e32 v14, 32, v14
	v_lshrrev_b32_e32 v12, 27, v3
	v_subrev_u32_e32 v15, 28, v14
	v_and_b32_e32 v7, 0x80000000, v3
	v_and_b32_e32 v12, 15, v12
	v_bfe_u32 v13, v3, 27, 4
	v_lshlrev_b32_sdwa v3, v15, v3 dst_sel:DWORD dst_unused:UNUSED_PAD src0_sel:DWORD src1_sel:BYTE_3
	v_sub_u32_e32 v14, 29, v14
	v_and_b32_e32 v3, 7, v3
	v_cmp_eq_u16_e32 vcc, 0, v12
	v_cndmask_b32_e32 v3, v6, v3, vcc
	v_cndmask_b32_e32 v6, v13, v14, vcc
	v_mov_b32_e32 v12, 0x3b800000
	v_lshlrev_b32_e32 v3, 20, v3
	v_lshl_add_u32 v6, v6, 23, v12
	v_or3_b32 v6, v7, v6, v3
.LBB9_1344:
	s_or_b64 exec, exec, s[6:7]
	s_nop 0
	v_mfma_f32_16x16x4f32 a[0:3], v2, v6, a[0:3]
	s_movk_i32 s4, 0x7f
	v_cmp_gt_i16_sdwa s[6:7], v8, s4 src0_sel:BYTE_0 src1_sel:DWORD
	s_mov_b64 s[4:5], 0
                                        ; implicit-def: $sgpr10
	s_and_saveexec_b64 s[8:9], s[6:7]
	s_xor_b64 s[6:7], exec, s[8:9]
	s_cbranch_execnz .LBB9_3393
; %bb.1345:
	s_or_saveexec_b64 s[6:7], s[6:7]
	v_mov_b32_e32 v2, s10
	s_xor_b64 exec, exec, s[6:7]
	s_cbranch_execnz .LBB9_3396
.LBB9_1346:
	s_or_b64 exec, exec, s[6:7]
	s_and_saveexec_b64 s[6:7], s[4:5]
	s_cbranch_execz .LBB9_1348
.LBB9_1347:
	v_and_b32_e32 v2, 7, v8
	v_ffbh_u32_e32 v6, v2
	v_min_u32_e32 v6, 32, v6
	v_lshrrev_b16_e32 v3, 3, v8
	v_subrev_u32_e32 v7, 28, v6
	v_and_b32_e32 v3, 15, v3
	v_lshlrev_b32_e32 v7, v7, v8
	v_sub_u32_e32 v6, 29, v6
	v_and_b32_e32 v7, 7, v7
	v_cmp_eq_u16_e32 vcc, 0, v3
	v_cndmask_b32_e32 v2, v2, v7, vcc
	v_cndmask_b32_e32 v3, v3, v6, vcc
	v_lshlrev_b32_e32 v6, 24, v8
	v_mov_b32_e32 v7, 0x3b800000
	v_lshlrev_b32_e32 v2, 20, v2
	v_and_b32_e32 v6, 0x80000000, v6
	v_lshl_add_u32 v3, v3, 23, v7
	v_or3_b32 v2, v6, v3, v2
.LBB9_1348:
	s_or_b64 exec, exec, s[6:7]
	s_movk_i32 s4, 0x7f
	v_cmp_gt_i16_sdwa s[6:7], v4, s4 src0_sel:BYTE_0 src1_sel:DWORD
	s_mov_b64 s[4:5], 0
                                        ; implicit-def: $sgpr10
	s_and_saveexec_b64 s[8:9], s[6:7]
	s_xor_b64 s[6:7], exec, s[8:9]
	s_cbranch_execnz .LBB9_3397
; %bb.1349:
	s_or_saveexec_b64 s[6:7], s[6:7]
	v_mov_b32_e32 v3, s10
	s_xor_b64 exec, exec, s[6:7]
	s_cbranch_execnz .LBB9_3400
.LBB9_1350:
	s_or_b64 exec, exec, s[6:7]
	s_and_saveexec_b64 s[6:7], s[4:5]
	s_cbranch_execz .LBB9_1352
.LBB9_1351:
	v_and_b32_e32 v3, 7, v4
	v_ffbh_u32_e32 v7, v3
	v_min_u32_e32 v7, 32, v7
	v_lshrrev_b16_e32 v6, 3, v4
	v_subrev_u32_e32 v12, 28, v7
	v_and_b32_e32 v6, 15, v6
	v_lshlrev_b32_e32 v12, v12, v4
	v_sub_u32_e32 v7, 29, v7
	v_and_b32_e32 v12, 7, v12
	v_cmp_eq_u16_e32 vcc, 0, v6
	v_cndmask_b32_e32 v3, v3, v12, vcc
	v_cndmask_b32_e32 v6, v6, v7, vcc
	v_lshlrev_b32_e32 v7, 24, v4
	v_mov_b32_e32 v12, 0x3b800000
	v_lshlrev_b32_e32 v3, 20, v3
	v_and_b32_e32 v7, 0x80000000, v7
	v_lshl_add_u32 v6, v6, 23, v12
	v_or3_b32 v3, v7, v6, v3
.LBB9_1352:
	s_or_b64 exec, exec, s[6:7]
	s_nop 0
	v_mfma_f32_16x16x4f32 a[0:3], v2, v3, a[0:3]
	v_lshrrev_b32_e32 v3, 8, v8
	s_movk_i32 s4, 0x7f
	v_cmp_gt_i16_sdwa s[6:7], v3, s4 src0_sel:BYTE_0 src1_sel:DWORD
	s_mov_b64 s[4:5], 0
                                        ; implicit-def: $sgpr10
	s_and_saveexec_b64 s[8:9], s[6:7]
	s_xor_b64 s[6:7], exec, s[8:9]
	s_cbranch_execnz .LBB9_3401
; %bb.1353:
	s_or_saveexec_b64 s[6:7], s[6:7]
	v_mov_b32_e32 v2, s10
	s_xor_b64 exec, exec, s[6:7]
	s_cbranch_execnz .LBB9_3404
.LBB9_1354:
	s_or_b64 exec, exec, s[6:7]
	s_and_saveexec_b64 s[6:7], s[4:5]
	s_cbranch_execz .LBB9_1356
.LBB9_1355:
	v_bfe_u32 v2, v8, 8, 3
	v_ffbh_u32_e32 v7, v2
	v_min_u32_e32 v7, 32, v7
	v_lshrrev_b16_e32 v6, 3, v3
	v_subrev_u32_e32 v12, 28, v7
	v_and_b32_e32 v6, 15, v6
	v_lshlrev_b32_e32 v3, v12, v3
	v_sub_u32_e32 v7, 29, v7
	v_and_b32_e32 v3, 7, v3
	v_cmp_eq_u16_e32 vcc, 0, v6
	v_cndmask_b32_e32 v2, v2, v3, vcc
	v_cndmask_b32_e32 v3, v6, v7, vcc
	v_lshlrev_b32_e32 v6, 16, v8
	v_mov_b32_e32 v7, 0x3b800000
	v_lshlrev_b32_e32 v2, 20, v2
	v_and_b32_e32 v6, 0x80000000, v6
	v_lshl_add_u32 v3, v3, 23, v7
	v_or3_b32 v2, v6, v3, v2
.LBB9_1356:
	s_or_b64 exec, exec, s[6:7]
	v_lshrrev_b32_e32 v3, 8, v4
	s_movk_i32 s4, 0x7f
	v_cmp_gt_i16_sdwa s[6:7], v3, s4 src0_sel:BYTE_0 src1_sel:DWORD
	s_mov_b64 s[4:5], 0
                                        ; implicit-def: $sgpr10
	s_and_saveexec_b64 s[8:9], s[6:7]
	s_xor_b64 s[6:7], exec, s[8:9]
	s_cbranch_execnz .LBB9_3405
; %bb.1357:
	s_or_saveexec_b64 s[6:7], s[6:7]
	v_mov_b32_e32 v6, s10
	s_xor_b64 exec, exec, s[6:7]
	s_cbranch_execnz .LBB9_3408
.LBB9_1358:
	s_or_b64 exec, exec, s[6:7]
	s_and_saveexec_b64 s[6:7], s[4:5]
	s_cbranch_execz .LBB9_1360
.LBB9_1359:
	v_bfe_u32 v6, v4, 8, 3
	v_ffbh_u32_e32 v12, v6
	v_min_u32_e32 v12, 32, v12
	v_lshrrev_b16_e32 v7, 3, v3
	v_subrev_u32_e32 v13, 28, v12
	v_and_b32_e32 v7, 15, v7
	v_lshlrev_b32_e32 v3, v13, v3
	v_sub_u32_e32 v12, 29, v12
	v_and_b32_e32 v3, 7, v3
	v_cmp_eq_u16_e32 vcc, 0, v7
	v_cndmask_b32_e32 v3, v6, v3, vcc
	v_cndmask_b32_e32 v6, v7, v12, vcc
	v_lshlrev_b32_e32 v7, 16, v4
	v_mov_b32_e32 v12, 0x3b800000
	v_lshlrev_b32_e32 v3, 20, v3
	v_and_b32_e32 v7, 0x80000000, v7
	v_lshl_add_u32 v6, v6, 23, v12
	v_or3_b32 v6, v7, v6, v3
.LBB9_1360:
	s_or_b64 exec, exec, s[6:7]
	s_nop 0
	v_mfma_f32_16x16x4f32 a[0:3], v2, v6, a[0:3]
	s_movk_i32 s4, 0xff
	v_and_b32_sdwa v3, v8, s4 dst_sel:DWORD dst_unused:UNUSED_PAD src0_sel:WORD_1 src1_sel:DWORD
	s_movk_i32 s4, 0x7f
	v_cmp_lt_i16_e32 vcc, s4, v3
	s_mov_b64 s[4:5], 0
                                        ; implicit-def: $sgpr10
	s_and_saveexec_b64 s[6:7], vcc
	s_xor_b64 s[6:7], exec, s[6:7]
	s_cbranch_execnz .LBB9_3409
; %bb.1361:
	s_or_saveexec_b64 s[6:7], s[6:7]
	v_mov_b32_e32 v2, s10
	s_xor_b64 exec, exec, s[6:7]
	s_cbranch_execnz .LBB9_3412
.LBB9_1362:
	s_or_b64 exec, exec, s[6:7]
	s_and_saveexec_b64 s[6:7], s[4:5]
	s_cbranch_execz .LBB9_1364
.LBB9_1363:
	v_bfe_u32 v2, v8, 16, 3
	v_ffbh_u32_e32 v7, v2
	v_min_u32_e32 v7, 32, v7
	v_lshrrev_b32_e32 v3, 19, v8
	v_subrev_u32_e32 v12, 28, v7
	v_and_b32_e32 v3, 15, v3
	v_lshlrev_b32_sdwa v12, v12, v8 dst_sel:DWORD dst_unused:UNUSED_PAD src0_sel:DWORD src1_sel:WORD_1
	v_bfe_u32 v6, v8, 19, 4
	v_sub_u32_e32 v7, 29, v7
	v_and_b32_e32 v12, 7, v12
	v_cmp_eq_u16_e32 vcc, 0, v3
	v_cndmask_b32_e32 v2, v2, v12, vcc
	v_cndmask_b32_e32 v3, v6, v7, vcc
	v_lshlrev_b32_e32 v6, 8, v8
	v_mov_b32_e32 v7, 0x3b800000
	v_lshlrev_b32_e32 v2, 20, v2
	v_and_b32_e32 v6, 0x80000000, v6
	v_lshl_add_u32 v3, v3, 23, v7
	v_or3_b32 v2, v6, v3, v2
.LBB9_1364:
	s_or_b64 exec, exec, s[6:7]
	s_movk_i32 s4, 0xff
	v_and_b32_sdwa v3, v4, s4 dst_sel:DWORD dst_unused:UNUSED_PAD src0_sel:WORD_1 src1_sel:DWORD
	s_movk_i32 s4, 0x7f
	v_cmp_lt_i16_e32 vcc, s4, v3
	s_mov_b64 s[4:5], 0
                                        ; implicit-def: $sgpr10
	s_and_saveexec_b64 s[6:7], vcc
	s_xor_b64 s[6:7], exec, s[6:7]
	s_cbranch_execnz .LBB9_3413
; %bb.1365:
	s_or_saveexec_b64 s[6:7], s[6:7]
	v_mov_b32_e32 v6, s10
	s_xor_b64 exec, exec, s[6:7]
	s_cbranch_execnz .LBB9_3416
.LBB9_1366:
	s_or_b64 exec, exec, s[6:7]
	s_and_saveexec_b64 s[6:7], s[4:5]
	s_cbranch_execz .LBB9_1368
.LBB9_1367:
	v_bfe_u32 v3, v4, 16, 3
	v_ffbh_u32_e32 v12, v3
	v_min_u32_e32 v12, 32, v12
	v_lshrrev_b32_e32 v6, 19, v4
	v_subrev_u32_e32 v13, 28, v12
	v_and_b32_e32 v6, 15, v6
	v_lshlrev_b32_sdwa v13, v13, v4 dst_sel:DWORD dst_unused:UNUSED_PAD src0_sel:DWORD src1_sel:WORD_1
	v_bfe_u32 v7, v4, 19, 4
	v_sub_u32_e32 v12, 29, v12
	v_and_b32_e32 v13, 7, v13
	v_cmp_eq_u16_e32 vcc, 0, v6
	v_cndmask_b32_e32 v3, v3, v13, vcc
	v_cndmask_b32_e32 v6, v7, v12, vcc
	v_lshlrev_b32_e32 v7, 8, v4
	v_mov_b32_e32 v12, 0x3b800000
	v_lshlrev_b32_e32 v3, 20, v3
	v_and_b32_e32 v7, 0x80000000, v7
	v_lshl_add_u32 v6, v6, 23, v12
	v_or3_b32 v6, v7, v6, v3
.LBB9_1368:
	s_or_b64 exec, exec, s[6:7]
	s_nop 0
	v_mfma_f32_16x16x4f32 a[0:3], v2, v6, a[0:3]
	s_movk_i32 s4, 0x7f
	v_cmp_gt_i16_sdwa s[6:7], v8, s4 src0_sel:BYTE_3 src1_sel:DWORD
	s_mov_b64 s[4:5], 0
                                        ; implicit-def: $sgpr10
	s_and_saveexec_b64 s[8:9], s[6:7]
	s_xor_b64 s[6:7], exec, s[8:9]
	s_cbranch_execnz .LBB9_3417
; %bb.1369:
	s_or_saveexec_b64 s[6:7], s[6:7]
	v_mov_b32_e32 v2, s10
	s_xor_b64 exec, exec, s[6:7]
	s_cbranch_execnz .LBB9_3420
.LBB9_1370:
	s_or_b64 exec, exec, s[6:7]
	s_and_saveexec_b64 s[6:7], s[4:5]
	s_cbranch_execz .LBB9_1372
.LBB9_1371:
	v_bfe_u32 v2, v8, 24, 3
	v_ffbh_u32_e32 v12, v2
	v_min_u32_e32 v12, 32, v12
	v_lshrrev_b32_e32 v6, 27, v8
	v_subrev_u32_e32 v13, 28, v12
	v_and_b32_e32 v3, 0x80000000, v8
	v_and_b32_e32 v6, 15, v6
	v_bfe_u32 v7, v8, 27, 4
	v_lshlrev_b32_sdwa v8, v13, v8 dst_sel:DWORD dst_unused:UNUSED_PAD src0_sel:DWORD src1_sel:BYTE_3
	v_sub_u32_e32 v12, 29, v12
	v_and_b32_e32 v8, 7, v8
	v_cmp_eq_u16_e32 vcc, 0, v6
	v_cndmask_b32_e32 v2, v2, v8, vcc
	v_cndmask_b32_e32 v6, v7, v12, vcc
	v_mov_b32_e32 v7, 0x3b800000
	v_lshlrev_b32_e32 v2, 20, v2
	v_lshl_add_u32 v6, v6, 23, v7
	v_or3_b32 v2, v3, v6, v2
.LBB9_1372:
	s_or_b64 exec, exec, s[6:7]
	s_movk_i32 s4, 0x7f
	v_cmp_gt_i16_sdwa s[6:7], v4, s4 src0_sel:BYTE_3 src1_sel:DWORD
	s_mov_b64 s[4:5], 0
                                        ; implicit-def: $sgpr10
	s_and_saveexec_b64 s[8:9], s[6:7]
	s_xor_b64 s[6:7], exec, s[8:9]
	s_cbranch_execnz .LBB9_3421
; %bb.1373:
	s_or_saveexec_b64 s[6:7], s[6:7]
	v_mov_b32_e32 v3, s10
	s_xor_b64 exec, exec, s[6:7]
	s_cbranch_execnz .LBB9_3424
.LBB9_1374:
	s_or_b64 exec, exec, s[6:7]
	s_and_saveexec_b64 s[6:7], s[4:5]
	s_cbranch_execz .LBB9_1376
.LBB9_1375:
	v_bfe_u32 v3, v4, 24, 3
	v_ffbh_u32_e32 v12, v3
	v_min_u32_e32 v12, 32, v12
	v_lshrrev_b32_e32 v7, 27, v4
	v_subrev_u32_e32 v13, 28, v12
	v_and_b32_e32 v6, 0x80000000, v4
	v_and_b32_e32 v7, 15, v7
	v_bfe_u32 v8, v4, 27, 4
	v_lshlrev_b32_sdwa v4, v13, v4 dst_sel:DWORD dst_unused:UNUSED_PAD src0_sel:DWORD src1_sel:BYTE_3
	v_sub_u32_e32 v12, 29, v12
	v_and_b32_e32 v4, 7, v4
	v_cmp_eq_u16_e32 vcc, 0, v7
	v_cndmask_b32_e32 v3, v3, v4, vcc
	v_cndmask_b32_e32 v4, v8, v12, vcc
	v_mov_b32_e32 v7, 0x3b800000
	v_lshlrev_b32_e32 v3, 20, v3
	v_lshl_add_u32 v4, v4, 23, v7
	v_or3_b32 v3, v6, v4, v3
.LBB9_1376:
	s_or_b64 exec, exec, s[6:7]
	s_nop 0
	v_mfma_f32_16x16x4f32 a[0:3], v2, v3, a[0:3]
	s_movk_i32 s4, 0x7f
	v_cmp_gt_i16_sdwa s[6:7], v9, s4 src0_sel:BYTE_0 src1_sel:DWORD
	s_mov_b64 s[4:5], 0
                                        ; implicit-def: $sgpr10
	s_and_saveexec_b64 s[8:9], s[6:7]
	s_xor_b64 s[6:7], exec, s[8:9]
	s_cbranch_execnz .LBB9_3425
; %bb.1377:
	s_or_saveexec_b64 s[6:7], s[6:7]
	v_mov_b32_e32 v2, s10
	s_xor_b64 exec, exec, s[6:7]
	s_cbranch_execnz .LBB9_3428
.LBB9_1378:
	s_or_b64 exec, exec, s[6:7]
	s_and_saveexec_b64 s[6:7], s[4:5]
	s_cbranch_execz .LBB9_1380
.LBB9_1379:
	v_mov_b32_e32 v2, 8
	v_and_b32_e32 v3, 7, v9
	v_lshrrev_b32_sdwa v2, v2, v9 dst_sel:BYTE_1 dst_unused:UNUSED_PAD src0_sel:DWORD src1_sel:DWORD
	v_ffbh_u32_e32 v4, v3
	v_or_b32_sdwa v2, v9, v2 dst_sel:DWORD dst_unused:UNUSED_PAD src0_sel:BYTE_0 src1_sel:DWORD
	v_min_u32_e32 v4, 32, v4
	v_lshrrev_b16_e32 v2, 3, v2
	v_subrev_u32_e32 v6, 28, v4
	v_and_b32_e32 v2, 15, v2
	v_lshlrev_b32_e32 v6, v6, v9
	v_sub_u32_e32 v4, 29, v4
	v_and_b32_e32 v6, 7, v6
	v_cmp_eq_u16_e32 vcc, 0, v2
	v_cndmask_b32_e32 v3, v3, v6, vcc
	v_cndmask_b32_e32 v2, v2, v4, vcc
	v_lshlrev_b32_e32 v4, 24, v9
	v_mov_b32_e32 v6, 0x3b800000
	v_lshlrev_b32_e32 v3, 20, v3
	v_and_b32_e32 v4, 0x80000000, v4
	v_lshl_add_u32 v2, v2, 23, v6
	v_or3_b32 v2, v4, v2, v3
.LBB9_1380:
	s_or_b64 exec, exec, s[6:7]
	s_movk_i32 s4, 0x7f
	v_cmp_gt_i16_sdwa s[6:7], v5, s4 src0_sel:BYTE_0 src1_sel:DWORD
	s_mov_b64 s[4:5], 0
                                        ; implicit-def: $sgpr10
	s_and_saveexec_b64 s[8:9], s[6:7]
	s_xor_b64 s[6:7], exec, s[8:9]
	s_cbranch_execnz .LBB9_3429
; %bb.1381:
	s_or_saveexec_b64 s[6:7], s[6:7]
	v_mov_b32_e32 v3, s10
	s_xor_b64 exec, exec, s[6:7]
	s_cbranch_execnz .LBB9_3432
.LBB9_1382:
	s_or_b64 exec, exec, s[6:7]
	s_and_saveexec_b64 s[6:7], s[4:5]
	s_cbranch_execz .LBB9_1384
.LBB9_1383:
	v_mov_b32_e32 v3, 8
	v_and_b32_e32 v4, 7, v5
	v_lshrrev_b32_sdwa v3, v3, v5 dst_sel:BYTE_1 dst_unused:UNUSED_PAD src0_sel:DWORD src1_sel:DWORD
	v_ffbh_u32_e32 v6, v4
	v_or_b32_sdwa v3, v5, v3 dst_sel:DWORD dst_unused:UNUSED_PAD src0_sel:BYTE_0 src1_sel:DWORD
	v_min_u32_e32 v6, 32, v6
	v_lshrrev_b16_e32 v3, 3, v3
	v_subrev_u32_e32 v7, 28, v6
	v_and_b32_e32 v3, 15, v3
	v_lshlrev_b32_e32 v7, v7, v5
	v_sub_u32_e32 v6, 29, v6
	v_and_b32_e32 v7, 7, v7
	v_cmp_eq_u16_e32 vcc, 0, v3
	v_cndmask_b32_e32 v4, v4, v7, vcc
	v_cndmask_b32_e32 v3, v3, v6, vcc
	v_lshlrev_b32_e32 v6, 24, v5
	v_mov_b32_e32 v7, 0x3b800000
	v_lshlrev_b32_e32 v4, 20, v4
	v_and_b32_e32 v6, 0x80000000, v6
	v_lshl_add_u32 v3, v3, 23, v7
	v_or3_b32 v3, v6, v3, v4
.LBB9_1384:
	s_or_b64 exec, exec, s[6:7]
	s_nop 0
	v_mfma_f32_16x16x4f32 a[0:3], v2, v3, a[0:3]
	v_lshrrev_b32_e32 v3, 8, v9
	s_movk_i32 s4, 0x7f
	v_cmp_gt_i16_sdwa s[6:7], v3, s4 src0_sel:BYTE_0 src1_sel:DWORD
	s_mov_b64 s[4:5], 0
                                        ; implicit-def: $sgpr10
	s_and_saveexec_b64 s[8:9], s[6:7]
	s_xor_b64 s[6:7], exec, s[8:9]
	s_cbranch_execnz .LBB9_3433
; %bb.1385:
	s_or_saveexec_b64 s[6:7], s[6:7]
	v_mov_b32_e32 v2, s10
	s_xor_b64 exec, exec, s[6:7]
	s_cbranch_execnz .LBB9_3436
.LBB9_1386:
	s_or_b64 exec, exec, s[6:7]
	s_and_saveexec_b64 s[6:7], s[4:5]
	s_cbranch_execz .LBB9_1388
.LBB9_1387:
	v_bfe_u32 v2, v9, 8, 3
	v_ffbh_u32_e32 v6, v2
	v_min_u32_e32 v6, 32, v6
	v_lshrrev_b16_e32 v4, 3, v3
	v_subrev_u32_e32 v7, 28, v6
	v_and_b32_e32 v4, 15, v4
	v_lshlrev_b32_e32 v3, v7, v3
	v_sub_u32_e32 v6, 29, v6
	v_and_b32_e32 v3, 7, v3
	v_cmp_eq_u16_e32 vcc, 0, v4
	v_cndmask_b32_e32 v2, v2, v3, vcc
	v_cndmask_b32_e32 v3, v4, v6, vcc
	v_lshlrev_b32_e32 v4, 16, v9
	v_mov_b32_e32 v6, 0x3b800000
	v_lshlrev_b32_e32 v2, 20, v2
	v_and_b32_e32 v4, 0x80000000, v4
	v_lshl_add_u32 v3, v3, 23, v6
	v_or3_b32 v2, v4, v3, v2
.LBB9_1388:
	s_or_b64 exec, exec, s[6:7]
	v_lshrrev_b32_e32 v3, 8, v5
	s_movk_i32 s4, 0x7f
	v_cmp_gt_i16_sdwa s[6:7], v3, s4 src0_sel:BYTE_0 src1_sel:DWORD
	s_mov_b64 s[4:5], 0
                                        ; implicit-def: $sgpr10
	s_and_saveexec_b64 s[8:9], s[6:7]
	s_xor_b64 s[6:7], exec, s[8:9]
	s_cbranch_execnz .LBB9_3437
; %bb.1389:
	s_or_saveexec_b64 s[6:7], s[6:7]
	v_mov_b32_e32 v4, s10
	s_xor_b64 exec, exec, s[6:7]
	s_cbranch_execnz .LBB9_3440
.LBB9_1390:
	s_or_b64 exec, exec, s[6:7]
	s_and_saveexec_b64 s[6:7], s[4:5]
	s_cbranch_execz .LBB9_1392
.LBB9_1391:
	v_bfe_u32 v4, v5, 8, 3
	v_ffbh_u32_e32 v7, v4
	v_min_u32_e32 v7, 32, v7
	v_lshrrev_b16_e32 v6, 3, v3
	v_subrev_u32_e32 v8, 28, v7
	v_and_b32_e32 v6, 15, v6
	v_lshlrev_b32_e32 v3, v8, v3
	v_sub_u32_e32 v7, 29, v7
	v_and_b32_e32 v3, 7, v3
	v_cmp_eq_u16_e32 vcc, 0, v6
	v_cndmask_b32_e32 v3, v4, v3, vcc
	v_cndmask_b32_e32 v4, v6, v7, vcc
	v_lshlrev_b32_e32 v6, 16, v5
	v_mov_b32_e32 v7, 0x3b800000
	v_lshlrev_b32_e32 v3, 20, v3
	v_and_b32_e32 v6, 0x80000000, v6
	v_lshl_add_u32 v4, v4, 23, v7
	v_or3_b32 v4, v6, v4, v3
.LBB9_1392:
	s_or_b64 exec, exec, s[6:7]
	s_nop 0
	v_mfma_f32_16x16x4f32 a[0:3], v2, v4, a[0:3]
	s_movk_i32 s4, 0xff
	v_and_b32_sdwa v3, v9, s4 dst_sel:DWORD dst_unused:UNUSED_PAD src0_sel:WORD_1 src1_sel:DWORD
	s_movk_i32 s4, 0x7f
	v_cmp_lt_i16_e32 vcc, s4, v3
	s_mov_b64 s[4:5], 0
                                        ; implicit-def: $sgpr10
	s_and_saveexec_b64 s[6:7], vcc
	s_xor_b64 s[6:7], exec, s[6:7]
	s_cbranch_execnz .LBB9_3441
; %bb.1393:
	s_or_saveexec_b64 s[6:7], s[6:7]
	v_mov_b32_e32 v2, s10
	s_xor_b64 exec, exec, s[6:7]
	s_cbranch_execnz .LBB9_3444
.LBB9_1394:
	s_or_b64 exec, exec, s[6:7]
	s_and_saveexec_b64 s[6:7], s[4:5]
	s_cbranch_execz .LBB9_1396
.LBB9_1395:
	v_bfe_u32 v2, v9, 16, 3
	v_ffbh_u32_e32 v6, v2
	v_min_u32_e32 v6, 32, v6
	v_lshrrev_b32_e32 v3, 19, v9
	v_subrev_u32_e32 v7, 28, v6
	v_and_b32_e32 v3, 15, v3
	v_lshlrev_b32_sdwa v7, v7, v9 dst_sel:DWORD dst_unused:UNUSED_PAD src0_sel:DWORD src1_sel:WORD_1
	v_bfe_u32 v4, v9, 19, 4
	v_sub_u32_e32 v6, 29, v6
	v_and_b32_e32 v7, 7, v7
	v_cmp_eq_u16_e32 vcc, 0, v3
	v_cndmask_b32_e32 v2, v2, v7, vcc
	v_cndmask_b32_e32 v3, v4, v6, vcc
	v_lshlrev_b32_e32 v4, 8, v9
	v_mov_b32_e32 v6, 0x3b800000
	v_lshlrev_b32_e32 v2, 20, v2
	v_and_b32_e32 v4, 0x80000000, v4
	v_lshl_add_u32 v3, v3, 23, v6
	v_or3_b32 v2, v4, v3, v2
.LBB9_1396:
	s_or_b64 exec, exec, s[6:7]
	s_movk_i32 s4, 0xff
	v_and_b32_sdwa v3, v5, s4 dst_sel:DWORD dst_unused:UNUSED_PAD src0_sel:WORD_1 src1_sel:DWORD
	s_movk_i32 s4, 0x7f
	v_cmp_lt_i16_e32 vcc, s4, v3
	s_mov_b64 s[4:5], 0
                                        ; implicit-def: $sgpr10
	s_and_saveexec_b64 s[6:7], vcc
	s_xor_b64 s[6:7], exec, s[6:7]
	s_cbranch_execnz .LBB9_3445
; %bb.1397:
	s_or_saveexec_b64 s[6:7], s[6:7]
	v_mov_b32_e32 v4, s10
	s_xor_b64 exec, exec, s[6:7]
	s_cbranch_execnz .LBB9_3448
.LBB9_1398:
	s_or_b64 exec, exec, s[6:7]
	s_and_saveexec_b64 s[6:7], s[4:5]
	s_cbranch_execz .LBB9_1400
.LBB9_1399:
	v_bfe_u32 v3, v5, 16, 3
	v_ffbh_u32_e32 v7, v3
	v_min_u32_e32 v7, 32, v7
	v_lshrrev_b32_e32 v4, 19, v5
	v_subrev_u32_e32 v8, 28, v7
	v_and_b32_e32 v4, 15, v4
	v_lshlrev_b32_sdwa v8, v8, v5 dst_sel:DWORD dst_unused:UNUSED_PAD src0_sel:DWORD src1_sel:WORD_1
	v_bfe_u32 v6, v5, 19, 4
	v_sub_u32_e32 v7, 29, v7
	v_and_b32_e32 v8, 7, v8
	v_cmp_eq_u16_e32 vcc, 0, v4
	v_cndmask_b32_e32 v3, v3, v8, vcc
	v_cndmask_b32_e32 v4, v6, v7, vcc
	v_lshlrev_b32_e32 v6, 8, v5
	v_mov_b32_e32 v7, 0x3b800000
	v_lshlrev_b32_e32 v3, 20, v3
	v_and_b32_e32 v6, 0x80000000, v6
	v_lshl_add_u32 v4, v4, 23, v7
	v_or3_b32 v4, v6, v4, v3
.LBB9_1400:
	s_or_b64 exec, exec, s[6:7]
	s_nop 0
	v_mfma_f32_16x16x4f32 a[0:3], v2, v4, a[0:3]
	s_movk_i32 s4, 0x7f
	v_cmp_gt_i16_sdwa s[6:7], v9, s4 src0_sel:BYTE_3 src1_sel:DWORD
	s_mov_b64 s[4:5], 0
                                        ; implicit-def: $sgpr10
	s_and_saveexec_b64 s[8:9], s[6:7]
	s_xor_b64 s[6:7], exec, s[8:9]
	s_cbranch_execnz .LBB9_3449
; %bb.1401:
	s_or_saveexec_b64 s[6:7], s[6:7]
	v_mov_b32_e32 v2, s10
	s_xor_b64 exec, exec, s[6:7]
	s_cbranch_execnz .LBB9_3452
.LBB9_1402:
	s_or_b64 exec, exec, s[6:7]
	s_and_saveexec_b64 s[6:7], s[4:5]
	s_cbranch_execz .LBB9_1404
.LBB9_1403:
	v_bfe_u32 v2, v9, 24, 3
	v_ffbh_u32_e32 v7, v2
	v_min_u32_e32 v7, 32, v7
	v_lshrrev_b32_e32 v4, 27, v9
	v_subrev_u32_e32 v8, 28, v7
	v_and_b32_e32 v4, 15, v4
	v_lshlrev_b32_sdwa v8, v8, v9 dst_sel:DWORD dst_unused:UNUSED_PAD src0_sel:DWORD src1_sel:BYTE_3
	v_bfe_u32 v6, v9, 27, 4
	v_sub_u32_e32 v7, 29, v7
	v_and_b32_e32 v8, 7, v8
	v_cmp_eq_u16_e32 vcc, 0, v4
	v_cndmask_b32_e32 v2, v2, v8, vcc
	v_cndmask_b32_e32 v4, v6, v7, vcc
	v_mov_b32_e32 v6, 0x3b800000
	v_and_b32_e32 v3, 0x80000000, v9
	v_lshlrev_b32_e32 v2, 20, v2
	v_lshl_add_u32 v4, v4, 23, v6
	v_or3_b32 v2, v3, v4, v2
.LBB9_1404:
	s_or_b64 exec, exec, s[6:7]
	s_movk_i32 s4, 0x7f
	v_cmp_gt_i16_sdwa s[6:7], v5, s4 src0_sel:BYTE_3 src1_sel:DWORD
	s_mov_b64 s[4:5], 0
                                        ; implicit-def: $sgpr10
	s_and_saveexec_b64 s[8:9], s[6:7]
	s_xor_b64 s[6:7], exec, s[8:9]
	s_cbranch_execnz .LBB9_3453
; %bb.1405:
	s_or_saveexec_b64 s[6:7], s[6:7]
	v_mov_b32_e32 v3, s10
	s_xor_b64 exec, exec, s[6:7]
	s_cbranch_execnz .LBB9_3456
.LBB9_1406:
	s_or_b64 exec, exec, s[6:7]
	s_and_saveexec_b64 s[6:7], s[4:5]
	s_cbranch_execz .LBB9_1408
.LBB9_1407:
	v_bfe_u32 v3, v5, 24, 3
	v_ffbh_u32_e32 v8, v3
	v_min_u32_e32 v8, 32, v8
	v_lshrrev_b32_e32 v6, 27, v5
	v_subrev_u32_e32 v9, 28, v8
	v_and_b32_e32 v4, 0x80000000, v5
	v_and_b32_e32 v6, 15, v6
	v_bfe_u32 v7, v5, 27, 4
	v_lshlrev_b32_sdwa v5, v9, v5 dst_sel:DWORD dst_unused:UNUSED_PAD src0_sel:DWORD src1_sel:BYTE_3
	v_sub_u32_e32 v8, 29, v8
	v_and_b32_e32 v5, 7, v5
	v_cmp_eq_u16_e32 vcc, 0, v6
	v_cndmask_b32_e32 v3, v3, v5, vcc
	v_cndmask_b32_e32 v5, v7, v8, vcc
	v_mov_b32_e32 v6, 0x3b800000
	v_lshlrev_b32_e32 v3, 20, v3
	v_lshl_add_u32 v5, v5, 23, v6
	v_or3_b32 v3, v4, v5, v3
.LBB9_1408:
	s_or_b64 exec, exec, s[6:7]
	s_nop 0
	v_mfma_f32_16x16x4f32 a[0:3], v2, v3, a[0:3]
	s_movk_i32 s4, 0x7f
                                        ; implicit-def: $sgpr10
	s_nop 7
	s_nop 1
	flat_store_dwordx4 v[10:11], a[0:3] offset:160
	flat_load_dwordx4 v[12:15], v[0:1] offset:8
	s_nop 0
	flat_load_dwordx2 v[10:11], v[0:1] offset:32
	s_waitcnt vmcnt(0) lgkmcnt(0)
	flat_load_dwordx4 v[6:9], v[12:13] offset:80
	flat_load_dwordx4 v[2:5], v[14:15] offset:112
	s_waitcnt vmcnt(0) lgkmcnt(0)
	v_cmp_gt_i16_sdwa s[6:7], v6, s4 src0_sel:BYTE_0 src1_sel:DWORD
	s_mov_b64 s[4:5], 0
	s_and_saveexec_b64 s[8:9], s[6:7]
	s_xor_b64 s[6:7], exec, s[8:9]
	s_cbranch_execnz .LBB9_3457
; %bb.1409:
	s_or_saveexec_b64 s[6:7], s[6:7]
	v_mov_b32_e32 v12, s10
	s_xor_b64 exec, exec, s[6:7]
	s_cbranch_execnz .LBB9_3460
.LBB9_1410:
	s_or_b64 exec, exec, s[6:7]
	s_and_saveexec_b64 s[6:7], s[4:5]
	s_cbranch_execz .LBB9_1412
.LBB9_1411:
	v_and_b32_e32 v12, 7, v6
	v_ffbh_u32_e32 v14, v12
	v_min_u32_e32 v14, 32, v14
	v_lshrrev_b16_e32 v13, 3, v6
	v_subrev_u32_e32 v15, 28, v14
	v_and_b32_e32 v13, 15, v13
	v_lshlrev_b32_e32 v15, v15, v6
	v_sub_u32_e32 v14, 29, v14
	v_and_b32_e32 v15, 7, v15
	v_cmp_eq_u16_e32 vcc, 0, v13
	v_cndmask_b32_e32 v12, v12, v15, vcc
	v_cndmask_b32_e32 v13, v13, v14, vcc
	v_lshlrev_b32_e32 v14, 24, v6
	v_mov_b32_e32 v15, 0x3b800000
	v_lshlrev_b32_e32 v12, 20, v12
	v_and_b32_e32 v14, 0x80000000, v14
	v_lshl_add_u32 v13, v13, 23, v15
	v_or3_b32 v12, v14, v13, v12
.LBB9_1412:
	s_or_b64 exec, exec, s[6:7]
	s_movk_i32 s4, 0x7f
	v_cmp_gt_i16_sdwa s[6:7], v2, s4 src0_sel:BYTE_0 src1_sel:DWORD
	s_mov_b64 s[4:5], 0
                                        ; implicit-def: $sgpr10
	s_and_saveexec_b64 s[8:9], s[6:7]
	s_xor_b64 s[6:7], exec, s[8:9]
	s_cbranch_execnz .LBB9_3461
; %bb.1413:
	s_or_saveexec_b64 s[6:7], s[6:7]
	v_mov_b32_e32 v13, s10
	s_xor_b64 exec, exec, s[6:7]
	s_cbranch_execnz .LBB9_3464
.LBB9_1414:
	s_or_b64 exec, exec, s[6:7]
	s_and_saveexec_b64 s[6:7], s[4:5]
	s_cbranch_execz .LBB9_1416
.LBB9_1415:
	v_and_b32_e32 v13, 7, v2
	v_ffbh_u32_e32 v15, v13
	v_min_u32_e32 v15, 32, v15
	v_lshrrev_b16_e32 v14, 3, v2
	v_subrev_u32_e32 v16, 28, v15
	v_and_b32_e32 v14, 15, v14
	v_lshlrev_b32_e32 v16, v16, v2
	v_sub_u32_e32 v15, 29, v15
	v_and_b32_e32 v16, 7, v16
	v_cmp_eq_u16_e32 vcc, 0, v14
	v_cndmask_b32_e32 v13, v13, v16, vcc
	v_cndmask_b32_e32 v14, v14, v15, vcc
	v_lshlrev_b32_e32 v15, 24, v2
	v_mov_b32_e32 v16, 0x3b800000
	v_lshlrev_b32_e32 v13, 20, v13
	v_and_b32_e32 v15, 0x80000000, v15
	v_lshl_add_u32 v14, v14, 23, v16
	v_or3_b32 v13, v15, v14, v13
.LBB9_1416:
	s_or_b64 exec, exec, s[6:7]
	flat_load_dwordx4 a[0:3], v[10:11] offset:176
	s_movk_i32 s4, 0x7f
                                        ; implicit-def: $sgpr10
	s_waitcnt vmcnt(0) lgkmcnt(0)
	v_mfma_f32_16x16x4f32 a[0:3], v12, v13, a[0:3]
	v_lshrrev_b32_e32 v13, 8, v6
	v_cmp_gt_i16_sdwa s[6:7], v13, s4 src0_sel:BYTE_0 src1_sel:DWORD
	s_mov_b64 s[4:5], 0
	s_and_saveexec_b64 s[8:9], s[6:7]
	s_xor_b64 s[6:7], exec, s[8:9]
	s_cbranch_execnz .LBB9_3465
; %bb.1417:
	s_or_saveexec_b64 s[6:7], s[6:7]
	v_mov_b32_e32 v12, s10
	s_xor_b64 exec, exec, s[6:7]
	s_cbranch_execnz .LBB9_3468
.LBB9_1418:
	s_or_b64 exec, exec, s[6:7]
	s_and_saveexec_b64 s[6:7], s[4:5]
	s_cbranch_execz .LBB9_1420
.LBB9_1419:
	v_bfe_u32 v12, v6, 8, 3
	v_ffbh_u32_e32 v15, v12
	v_min_u32_e32 v15, 32, v15
	v_lshrrev_b16_e32 v14, 3, v13
	v_subrev_u32_e32 v16, 28, v15
	v_and_b32_e32 v14, 15, v14
	v_lshlrev_b32_e32 v13, v16, v13
	v_sub_u32_e32 v15, 29, v15
	v_and_b32_e32 v13, 7, v13
	v_cmp_eq_u16_e32 vcc, 0, v14
	v_cndmask_b32_e32 v12, v12, v13, vcc
	v_cndmask_b32_e32 v13, v14, v15, vcc
	v_lshlrev_b32_e32 v14, 16, v6
	v_mov_b32_e32 v15, 0x3b800000
	v_lshlrev_b32_e32 v12, 20, v12
	v_and_b32_e32 v14, 0x80000000, v14
	v_lshl_add_u32 v13, v13, 23, v15
	v_or3_b32 v12, v14, v13, v12
.LBB9_1420:
	s_or_b64 exec, exec, s[6:7]
	v_lshrrev_b32_e32 v13, 8, v2
	s_movk_i32 s4, 0x7f
	v_cmp_gt_i16_sdwa s[6:7], v13, s4 src0_sel:BYTE_0 src1_sel:DWORD
	s_mov_b64 s[4:5], 0
                                        ; implicit-def: $sgpr10
	s_and_saveexec_b64 s[8:9], s[6:7]
	s_xor_b64 s[6:7], exec, s[8:9]
	s_cbranch_execnz .LBB9_3469
; %bb.1421:
	s_or_saveexec_b64 s[6:7], s[6:7]
	v_mov_b32_e32 v14, s10
	s_xor_b64 exec, exec, s[6:7]
	s_cbranch_execnz .LBB9_3472
.LBB9_1422:
	s_or_b64 exec, exec, s[6:7]
	s_and_saveexec_b64 s[6:7], s[4:5]
	s_cbranch_execz .LBB9_1424
.LBB9_1423:
	v_bfe_u32 v14, v2, 8, 3
	v_ffbh_u32_e32 v16, v14
	v_min_u32_e32 v16, 32, v16
	v_lshrrev_b16_e32 v15, 3, v13
	v_subrev_u32_e32 v17, 28, v16
	v_and_b32_e32 v15, 15, v15
	v_lshlrev_b32_e32 v13, v17, v13
	v_sub_u32_e32 v16, 29, v16
	v_and_b32_e32 v13, 7, v13
	v_cmp_eq_u16_e32 vcc, 0, v15
	v_cndmask_b32_e32 v13, v14, v13, vcc
	v_cndmask_b32_e32 v14, v15, v16, vcc
	v_lshlrev_b32_e32 v15, 16, v2
	v_mov_b32_e32 v16, 0x3b800000
	v_lshlrev_b32_e32 v13, 20, v13
	v_and_b32_e32 v15, 0x80000000, v15
	v_lshl_add_u32 v14, v14, 23, v16
	v_or3_b32 v14, v15, v14, v13
.LBB9_1424:
	s_or_b64 exec, exec, s[6:7]
	s_nop 0
	v_mfma_f32_16x16x4f32 a[0:3], v12, v14, a[0:3]
	s_movk_i32 s4, 0xff
	v_and_b32_sdwa v13, v6, s4 dst_sel:DWORD dst_unused:UNUSED_PAD src0_sel:WORD_1 src1_sel:DWORD
	s_movk_i32 s4, 0x7f
	v_cmp_lt_i16_e32 vcc, s4, v13
	s_mov_b64 s[4:5], 0
                                        ; implicit-def: $sgpr10
	s_and_saveexec_b64 s[6:7], vcc
	s_xor_b64 s[6:7], exec, s[6:7]
	s_cbranch_execnz .LBB9_3473
; %bb.1425:
	s_or_saveexec_b64 s[6:7], s[6:7]
	v_mov_b32_e32 v12, s10
	s_xor_b64 exec, exec, s[6:7]
	s_cbranch_execnz .LBB9_3476
.LBB9_1426:
	s_or_b64 exec, exec, s[6:7]
	s_and_saveexec_b64 s[6:7], s[4:5]
	s_cbranch_execz .LBB9_1428
.LBB9_1427:
	v_bfe_u32 v12, v6, 16, 3
	v_ffbh_u32_e32 v15, v12
	v_min_u32_e32 v15, 32, v15
	v_lshrrev_b32_e32 v13, 19, v6
	v_subrev_u32_e32 v16, 28, v15
	v_and_b32_e32 v13, 15, v13
	v_lshlrev_b32_sdwa v16, v16, v6 dst_sel:DWORD dst_unused:UNUSED_PAD src0_sel:DWORD src1_sel:WORD_1
	v_bfe_u32 v14, v6, 19, 4
	v_sub_u32_e32 v15, 29, v15
	v_and_b32_e32 v16, 7, v16
	v_cmp_eq_u16_e32 vcc, 0, v13
	v_cndmask_b32_e32 v12, v12, v16, vcc
	v_cndmask_b32_e32 v13, v14, v15, vcc
	v_lshlrev_b32_e32 v14, 8, v6
	v_mov_b32_e32 v15, 0x3b800000
	v_lshlrev_b32_e32 v12, 20, v12
	v_and_b32_e32 v14, 0x80000000, v14
	v_lshl_add_u32 v13, v13, 23, v15
	v_or3_b32 v12, v14, v13, v12
.LBB9_1428:
	s_or_b64 exec, exec, s[6:7]
	s_movk_i32 s4, 0xff
	v_and_b32_sdwa v13, v2, s4 dst_sel:DWORD dst_unused:UNUSED_PAD src0_sel:WORD_1 src1_sel:DWORD
	s_movk_i32 s4, 0x7f
	v_cmp_lt_i16_e32 vcc, s4, v13
	s_mov_b64 s[4:5], 0
                                        ; implicit-def: $sgpr10
	s_and_saveexec_b64 s[6:7], vcc
	s_xor_b64 s[6:7], exec, s[6:7]
	s_cbranch_execnz .LBB9_3477
; %bb.1429:
	s_or_saveexec_b64 s[6:7], s[6:7]
	v_mov_b32_e32 v14, s10
	s_xor_b64 exec, exec, s[6:7]
	s_cbranch_execnz .LBB9_3480
.LBB9_1430:
	s_or_b64 exec, exec, s[6:7]
	s_and_saveexec_b64 s[6:7], s[4:5]
	s_cbranch_execz .LBB9_1432
.LBB9_1431:
	v_bfe_u32 v13, v2, 16, 3
	v_ffbh_u32_e32 v16, v13
	v_min_u32_e32 v16, 32, v16
	v_lshrrev_b32_e32 v14, 19, v2
	v_subrev_u32_e32 v17, 28, v16
	v_and_b32_e32 v14, 15, v14
	v_lshlrev_b32_sdwa v17, v17, v2 dst_sel:DWORD dst_unused:UNUSED_PAD src0_sel:DWORD src1_sel:WORD_1
	v_bfe_u32 v15, v2, 19, 4
	v_sub_u32_e32 v16, 29, v16
	v_and_b32_e32 v17, 7, v17
	v_cmp_eq_u16_e32 vcc, 0, v14
	v_cndmask_b32_e32 v13, v13, v17, vcc
	v_cndmask_b32_e32 v14, v15, v16, vcc
	v_lshlrev_b32_e32 v15, 8, v2
	v_mov_b32_e32 v16, 0x3b800000
	v_lshlrev_b32_e32 v13, 20, v13
	v_and_b32_e32 v15, 0x80000000, v15
	v_lshl_add_u32 v14, v14, 23, v16
	v_or3_b32 v14, v15, v14, v13
.LBB9_1432:
	s_or_b64 exec, exec, s[6:7]
	s_nop 0
	v_mfma_f32_16x16x4f32 a[0:3], v12, v14, a[0:3]
	s_movk_i32 s4, 0x7f
	v_cmp_gt_i16_sdwa s[6:7], v6, s4 src0_sel:BYTE_3 src1_sel:DWORD
	s_mov_b64 s[4:5], 0
                                        ; implicit-def: $sgpr10
	s_and_saveexec_b64 s[8:9], s[6:7]
	s_xor_b64 s[6:7], exec, s[8:9]
	s_cbranch_execnz .LBB9_3481
; %bb.1433:
	s_or_saveexec_b64 s[6:7], s[6:7]
	v_mov_b32_e32 v12, s10
	s_xor_b64 exec, exec, s[6:7]
	s_cbranch_execnz .LBB9_3484
.LBB9_1434:
	s_or_b64 exec, exec, s[6:7]
	s_and_saveexec_b64 s[6:7], s[4:5]
	s_cbranch_execz .LBB9_1436
.LBB9_1435:
	v_bfe_u32 v12, v6, 24, 3
	v_ffbh_u32_e32 v16, v12
	v_min_u32_e32 v16, 32, v16
	v_lshrrev_b32_e32 v14, 27, v6
	v_subrev_u32_e32 v17, 28, v16
	v_and_b32_e32 v13, 0x80000000, v6
	v_and_b32_e32 v14, 15, v14
	v_bfe_u32 v15, v6, 27, 4
	v_lshlrev_b32_sdwa v6, v17, v6 dst_sel:DWORD dst_unused:UNUSED_PAD src0_sel:DWORD src1_sel:BYTE_3
	v_sub_u32_e32 v16, 29, v16
	v_and_b32_e32 v6, 7, v6
	v_cmp_eq_u16_e32 vcc, 0, v14
	v_cndmask_b32_e32 v6, v12, v6, vcc
	v_cndmask_b32_e32 v12, v15, v16, vcc
	v_mov_b32_e32 v14, 0x3b800000
	v_lshlrev_b32_e32 v6, 20, v6
	v_lshl_add_u32 v12, v12, 23, v14
	v_or3_b32 v12, v13, v12, v6
.LBB9_1436:
	s_or_b64 exec, exec, s[6:7]
	s_movk_i32 s4, 0x7f
	v_cmp_gt_i16_sdwa s[6:7], v2, s4 src0_sel:BYTE_3 src1_sel:DWORD
	s_mov_b64 s[4:5], 0
                                        ; implicit-def: $sgpr10
	s_and_saveexec_b64 s[8:9], s[6:7]
	s_xor_b64 s[6:7], exec, s[8:9]
	s_cbranch_execnz .LBB9_3485
; %bb.1437:
	s_or_saveexec_b64 s[6:7], s[6:7]
	v_mov_b32_e32 v6, s10
	s_xor_b64 exec, exec, s[6:7]
	s_cbranch_execnz .LBB9_3488
.LBB9_1438:
	s_or_b64 exec, exec, s[6:7]
	s_and_saveexec_b64 s[6:7], s[4:5]
	s_cbranch_execz .LBB9_1440
.LBB9_1439:
	v_bfe_u32 v6, v2, 24, 3
	v_ffbh_u32_e32 v16, v6
	v_min_u32_e32 v16, 32, v16
	v_lshrrev_b32_e32 v14, 27, v2
	v_subrev_u32_e32 v17, 28, v16
	v_and_b32_e32 v13, 0x80000000, v2
	v_and_b32_e32 v14, 15, v14
	v_bfe_u32 v15, v2, 27, 4
	v_lshlrev_b32_sdwa v2, v17, v2 dst_sel:DWORD dst_unused:UNUSED_PAD src0_sel:DWORD src1_sel:BYTE_3
	v_sub_u32_e32 v16, 29, v16
	v_and_b32_e32 v2, 7, v2
	v_cmp_eq_u16_e32 vcc, 0, v14
	v_cndmask_b32_e32 v2, v6, v2, vcc
	v_cndmask_b32_e32 v6, v15, v16, vcc
	v_mov_b32_e32 v14, 0x3b800000
	v_lshlrev_b32_e32 v2, 20, v2
	v_lshl_add_u32 v6, v6, 23, v14
	v_or3_b32 v6, v13, v6, v2
.LBB9_1440:
	s_or_b64 exec, exec, s[6:7]
	s_nop 0
	v_mfma_f32_16x16x4f32 a[0:3], v12, v6, a[0:3]
	s_movk_i32 s4, 0x7f
	v_cmp_gt_i16_sdwa s[6:7], v7, s4 src0_sel:BYTE_0 src1_sel:DWORD
	s_mov_b64 s[4:5], 0
                                        ; implicit-def: $sgpr10
	s_and_saveexec_b64 s[8:9], s[6:7]
	s_xor_b64 s[6:7], exec, s[8:9]
	s_cbranch_execnz .LBB9_3489
; %bb.1441:
	s_or_saveexec_b64 s[6:7], s[6:7]
	v_mov_b32_e32 v2, s10
	s_xor_b64 exec, exec, s[6:7]
	s_cbranch_execnz .LBB9_3492
.LBB9_1442:
	s_or_b64 exec, exec, s[6:7]
	s_and_saveexec_b64 s[6:7], s[4:5]
	s_cbranch_execz .LBB9_1444
.LBB9_1443:
	v_and_b32_e32 v2, 7, v7
	v_ffbh_u32_e32 v12, v2
	v_min_u32_e32 v12, 32, v12
	v_lshrrev_b16_e32 v6, 3, v7
	v_subrev_u32_e32 v13, 28, v12
	v_and_b32_e32 v6, 15, v6
	v_lshlrev_b32_e32 v13, v13, v7
	v_sub_u32_e32 v12, 29, v12
	v_and_b32_e32 v13, 7, v13
	v_cmp_eq_u16_e32 vcc, 0, v6
	v_cndmask_b32_e32 v2, v2, v13, vcc
	v_cndmask_b32_e32 v6, v6, v12, vcc
	v_lshlrev_b32_e32 v12, 24, v7
	v_mov_b32_e32 v13, 0x3b800000
	v_lshlrev_b32_e32 v2, 20, v2
	v_and_b32_e32 v12, 0x80000000, v12
	v_lshl_add_u32 v6, v6, 23, v13
	v_or3_b32 v2, v12, v6, v2
.LBB9_1444:
	s_or_b64 exec, exec, s[6:7]
	s_movk_i32 s4, 0x7f
	v_cmp_gt_i16_sdwa s[6:7], v3, s4 src0_sel:BYTE_0 src1_sel:DWORD
	s_mov_b64 s[4:5], 0
                                        ; implicit-def: $sgpr10
	s_and_saveexec_b64 s[8:9], s[6:7]
	s_xor_b64 s[6:7], exec, s[8:9]
	s_cbranch_execnz .LBB9_3493
; %bb.1445:
	s_or_saveexec_b64 s[6:7], s[6:7]
	v_mov_b32_e32 v6, s10
	s_xor_b64 exec, exec, s[6:7]
	s_cbranch_execnz .LBB9_3496
.LBB9_1446:
	s_or_b64 exec, exec, s[6:7]
	s_and_saveexec_b64 s[6:7], s[4:5]
	s_cbranch_execz .LBB9_1448
.LBB9_1447:
	v_and_b32_e32 v6, 7, v3
	v_ffbh_u32_e32 v13, v6
	v_min_u32_e32 v13, 32, v13
	v_lshrrev_b16_e32 v12, 3, v3
	v_subrev_u32_e32 v14, 28, v13
	v_and_b32_e32 v12, 15, v12
	v_lshlrev_b32_e32 v14, v14, v3
	v_sub_u32_e32 v13, 29, v13
	v_and_b32_e32 v14, 7, v14
	v_cmp_eq_u16_e32 vcc, 0, v12
	v_cndmask_b32_e32 v6, v6, v14, vcc
	v_cndmask_b32_e32 v12, v12, v13, vcc
	v_lshlrev_b32_e32 v13, 24, v3
	v_mov_b32_e32 v14, 0x3b800000
	v_lshlrev_b32_e32 v6, 20, v6
	v_and_b32_e32 v13, 0x80000000, v13
	v_lshl_add_u32 v12, v12, 23, v14
	v_or3_b32 v6, v13, v12, v6
.LBB9_1448:
	s_or_b64 exec, exec, s[6:7]
	s_nop 0
	v_mfma_f32_16x16x4f32 a[0:3], v2, v6, a[0:3]
	v_lshrrev_b32_e32 v6, 8, v7
	s_movk_i32 s4, 0x7f
	v_cmp_gt_i16_sdwa s[6:7], v6, s4 src0_sel:BYTE_0 src1_sel:DWORD
	s_mov_b64 s[4:5], 0
                                        ; implicit-def: $sgpr10
	s_and_saveexec_b64 s[8:9], s[6:7]
	s_xor_b64 s[6:7], exec, s[8:9]
	s_cbranch_execnz .LBB9_3497
; %bb.1449:
	s_or_saveexec_b64 s[6:7], s[6:7]
	v_mov_b32_e32 v2, s10
	s_xor_b64 exec, exec, s[6:7]
	s_cbranch_execnz .LBB9_3500
.LBB9_1450:
	s_or_b64 exec, exec, s[6:7]
	s_and_saveexec_b64 s[6:7], s[4:5]
	s_cbranch_execz .LBB9_1452
.LBB9_1451:
	v_bfe_u32 v2, v7, 8, 3
	v_ffbh_u32_e32 v13, v2
	v_min_u32_e32 v13, 32, v13
	v_lshrrev_b16_e32 v12, 3, v6
	v_subrev_u32_e32 v14, 28, v13
	v_and_b32_e32 v12, 15, v12
	v_lshlrev_b32_e32 v6, v14, v6
	v_sub_u32_e32 v13, 29, v13
	v_and_b32_e32 v6, 7, v6
	v_cmp_eq_u16_e32 vcc, 0, v12
	v_cndmask_b32_e32 v2, v2, v6, vcc
	v_cndmask_b32_e32 v6, v12, v13, vcc
	v_lshlrev_b32_e32 v12, 16, v7
	v_mov_b32_e32 v13, 0x3b800000
	v_lshlrev_b32_e32 v2, 20, v2
	v_and_b32_e32 v12, 0x80000000, v12
	v_lshl_add_u32 v6, v6, 23, v13
	v_or3_b32 v2, v12, v6, v2
.LBB9_1452:
	s_or_b64 exec, exec, s[6:7]
	v_lshrrev_b32_e32 v6, 8, v3
	s_movk_i32 s4, 0x7f
	v_cmp_gt_i16_sdwa s[6:7], v6, s4 src0_sel:BYTE_0 src1_sel:DWORD
	s_mov_b64 s[4:5], 0
                                        ; implicit-def: $sgpr10
	s_and_saveexec_b64 s[8:9], s[6:7]
	s_xor_b64 s[6:7], exec, s[8:9]
	s_cbranch_execnz .LBB9_3501
; %bb.1453:
	s_or_saveexec_b64 s[6:7], s[6:7]
	v_mov_b32_e32 v12, s10
	s_xor_b64 exec, exec, s[6:7]
	s_cbranch_execnz .LBB9_3504
.LBB9_1454:
	s_or_b64 exec, exec, s[6:7]
	s_and_saveexec_b64 s[6:7], s[4:5]
	s_cbranch_execz .LBB9_1456
.LBB9_1455:
	v_bfe_u32 v12, v3, 8, 3
	v_ffbh_u32_e32 v14, v12
	v_min_u32_e32 v14, 32, v14
	v_lshrrev_b16_e32 v13, 3, v6
	v_subrev_u32_e32 v15, 28, v14
	v_and_b32_e32 v13, 15, v13
	v_lshlrev_b32_e32 v6, v15, v6
	v_sub_u32_e32 v14, 29, v14
	v_and_b32_e32 v6, 7, v6
	v_cmp_eq_u16_e32 vcc, 0, v13
	v_cndmask_b32_e32 v6, v12, v6, vcc
	v_cndmask_b32_e32 v12, v13, v14, vcc
	v_lshlrev_b32_e32 v13, 16, v3
	v_mov_b32_e32 v14, 0x3b800000
	v_lshlrev_b32_e32 v6, 20, v6
	v_and_b32_e32 v13, 0x80000000, v13
	v_lshl_add_u32 v12, v12, 23, v14
	v_or3_b32 v12, v13, v12, v6
.LBB9_1456:
	s_or_b64 exec, exec, s[6:7]
	s_nop 0
	v_mfma_f32_16x16x4f32 a[0:3], v2, v12, a[0:3]
	s_movk_i32 s4, 0xff
	v_and_b32_sdwa v6, v7, s4 dst_sel:DWORD dst_unused:UNUSED_PAD src0_sel:WORD_1 src1_sel:DWORD
	s_movk_i32 s4, 0x7f
	v_cmp_lt_i16_e32 vcc, s4, v6
	s_mov_b64 s[4:5], 0
                                        ; implicit-def: $sgpr10
	s_and_saveexec_b64 s[6:7], vcc
	s_xor_b64 s[6:7], exec, s[6:7]
	s_cbranch_execnz .LBB9_3505
; %bb.1457:
	s_or_saveexec_b64 s[6:7], s[6:7]
	v_mov_b32_e32 v2, s10
	s_xor_b64 exec, exec, s[6:7]
	s_cbranch_execnz .LBB9_3508
.LBB9_1458:
	s_or_b64 exec, exec, s[6:7]
	s_and_saveexec_b64 s[6:7], s[4:5]
	s_cbranch_execz .LBB9_1460
.LBB9_1459:
	v_bfe_u32 v2, v7, 16, 3
	v_ffbh_u32_e32 v13, v2
	v_min_u32_e32 v13, 32, v13
	v_lshrrev_b32_e32 v6, 19, v7
	v_subrev_u32_e32 v14, 28, v13
	v_and_b32_e32 v6, 15, v6
	v_lshlrev_b32_sdwa v14, v14, v7 dst_sel:DWORD dst_unused:UNUSED_PAD src0_sel:DWORD src1_sel:WORD_1
	v_bfe_u32 v12, v7, 19, 4
	v_sub_u32_e32 v13, 29, v13
	v_and_b32_e32 v14, 7, v14
	v_cmp_eq_u16_e32 vcc, 0, v6
	v_cndmask_b32_e32 v2, v2, v14, vcc
	v_cndmask_b32_e32 v6, v12, v13, vcc
	v_lshlrev_b32_e32 v12, 8, v7
	v_mov_b32_e32 v13, 0x3b800000
	v_lshlrev_b32_e32 v2, 20, v2
	v_and_b32_e32 v12, 0x80000000, v12
	v_lshl_add_u32 v6, v6, 23, v13
	v_or3_b32 v2, v12, v6, v2
.LBB9_1460:
	s_or_b64 exec, exec, s[6:7]
	s_movk_i32 s4, 0xff
	v_and_b32_sdwa v6, v3, s4 dst_sel:DWORD dst_unused:UNUSED_PAD src0_sel:WORD_1 src1_sel:DWORD
	s_movk_i32 s4, 0x7f
	v_cmp_lt_i16_e32 vcc, s4, v6
	s_mov_b64 s[4:5], 0
                                        ; implicit-def: $sgpr10
	s_and_saveexec_b64 s[6:7], vcc
	s_xor_b64 s[6:7], exec, s[6:7]
	s_cbranch_execnz .LBB9_3509
; %bb.1461:
	s_or_saveexec_b64 s[6:7], s[6:7]
	v_mov_b32_e32 v12, s10
	s_xor_b64 exec, exec, s[6:7]
	s_cbranch_execnz .LBB9_3512
.LBB9_1462:
	s_or_b64 exec, exec, s[6:7]
	s_and_saveexec_b64 s[6:7], s[4:5]
	s_cbranch_execz .LBB9_1464
.LBB9_1463:
	v_bfe_u32 v6, v3, 16, 3
	v_ffbh_u32_e32 v14, v6
	v_min_u32_e32 v14, 32, v14
	v_lshrrev_b32_e32 v12, 19, v3
	v_subrev_u32_e32 v15, 28, v14
	v_and_b32_e32 v12, 15, v12
	v_lshlrev_b32_sdwa v15, v15, v3 dst_sel:DWORD dst_unused:UNUSED_PAD src0_sel:DWORD src1_sel:WORD_1
	v_bfe_u32 v13, v3, 19, 4
	v_sub_u32_e32 v14, 29, v14
	v_and_b32_e32 v15, 7, v15
	v_cmp_eq_u16_e32 vcc, 0, v12
	v_cndmask_b32_e32 v6, v6, v15, vcc
	v_cndmask_b32_e32 v12, v13, v14, vcc
	v_lshlrev_b32_e32 v13, 8, v3
	v_mov_b32_e32 v14, 0x3b800000
	v_lshlrev_b32_e32 v6, 20, v6
	v_and_b32_e32 v13, 0x80000000, v13
	v_lshl_add_u32 v12, v12, 23, v14
	v_or3_b32 v12, v13, v12, v6
.LBB9_1464:
	s_or_b64 exec, exec, s[6:7]
	s_nop 0
	v_mfma_f32_16x16x4f32 a[0:3], v2, v12, a[0:3]
	s_movk_i32 s4, 0x7f
	v_cmp_gt_i16_sdwa s[6:7], v7, s4 src0_sel:BYTE_3 src1_sel:DWORD
	s_mov_b64 s[4:5], 0
                                        ; implicit-def: $sgpr10
	s_and_saveexec_b64 s[8:9], s[6:7]
	s_xor_b64 s[6:7], exec, s[8:9]
	s_cbranch_execnz .LBB9_3513
; %bb.1465:
	s_or_saveexec_b64 s[6:7], s[6:7]
	v_mov_b32_e32 v2, s10
	s_xor_b64 exec, exec, s[6:7]
	s_cbranch_execnz .LBB9_3516
.LBB9_1466:
	s_or_b64 exec, exec, s[6:7]
	s_and_saveexec_b64 s[6:7], s[4:5]
	s_cbranch_execz .LBB9_1468
.LBB9_1467:
	v_bfe_u32 v2, v7, 24, 3
	v_ffbh_u32_e32 v14, v2
	v_min_u32_e32 v14, 32, v14
	v_lshrrev_b32_e32 v12, 27, v7
	v_subrev_u32_e32 v15, 28, v14
	v_and_b32_e32 v6, 0x80000000, v7
	v_and_b32_e32 v12, 15, v12
	v_bfe_u32 v13, v7, 27, 4
	v_lshlrev_b32_sdwa v7, v15, v7 dst_sel:DWORD dst_unused:UNUSED_PAD src0_sel:DWORD src1_sel:BYTE_3
	v_sub_u32_e32 v14, 29, v14
	v_and_b32_e32 v7, 7, v7
	v_cmp_eq_u16_e32 vcc, 0, v12
	v_cndmask_b32_e32 v2, v2, v7, vcc
	v_cndmask_b32_e32 v7, v13, v14, vcc
	v_mov_b32_e32 v12, 0x3b800000
	v_lshlrev_b32_e32 v2, 20, v2
	v_lshl_add_u32 v7, v7, 23, v12
	v_or3_b32 v2, v6, v7, v2
.LBB9_1468:
	s_or_b64 exec, exec, s[6:7]
	s_movk_i32 s4, 0x7f
	v_cmp_gt_i16_sdwa s[6:7], v3, s4 src0_sel:BYTE_3 src1_sel:DWORD
	s_mov_b64 s[4:5], 0
                                        ; implicit-def: $sgpr10
	s_and_saveexec_b64 s[8:9], s[6:7]
	s_xor_b64 s[6:7], exec, s[8:9]
	s_cbranch_execnz .LBB9_3517
; %bb.1469:
	s_or_saveexec_b64 s[6:7], s[6:7]
	v_mov_b32_e32 v6, s10
	s_xor_b64 exec, exec, s[6:7]
	s_cbranch_execnz .LBB9_3520
.LBB9_1470:
	s_or_b64 exec, exec, s[6:7]
	s_and_saveexec_b64 s[6:7], s[4:5]
	s_cbranch_execz .LBB9_1472
.LBB9_1471:
	v_bfe_u32 v6, v3, 24, 3
	v_ffbh_u32_e32 v14, v6
	v_min_u32_e32 v14, 32, v14
	v_lshrrev_b32_e32 v12, 27, v3
	v_subrev_u32_e32 v15, 28, v14
	v_and_b32_e32 v7, 0x80000000, v3
	v_and_b32_e32 v12, 15, v12
	v_bfe_u32 v13, v3, 27, 4
	v_lshlrev_b32_sdwa v3, v15, v3 dst_sel:DWORD dst_unused:UNUSED_PAD src0_sel:DWORD src1_sel:BYTE_3
	v_sub_u32_e32 v14, 29, v14
	v_and_b32_e32 v3, 7, v3
	v_cmp_eq_u16_e32 vcc, 0, v12
	v_cndmask_b32_e32 v3, v6, v3, vcc
	v_cndmask_b32_e32 v6, v13, v14, vcc
	v_mov_b32_e32 v12, 0x3b800000
	v_lshlrev_b32_e32 v3, 20, v3
	v_lshl_add_u32 v6, v6, 23, v12
	v_or3_b32 v6, v7, v6, v3
.LBB9_1472:
	s_or_b64 exec, exec, s[6:7]
	s_nop 0
	v_mfma_f32_16x16x4f32 a[0:3], v2, v6, a[0:3]
	s_movk_i32 s4, 0x7f
	v_cmp_gt_i16_sdwa s[6:7], v8, s4 src0_sel:BYTE_0 src1_sel:DWORD
	s_mov_b64 s[4:5], 0
                                        ; implicit-def: $sgpr10
	s_and_saveexec_b64 s[8:9], s[6:7]
	s_xor_b64 s[6:7], exec, s[8:9]
	s_cbranch_execnz .LBB9_3521
; %bb.1473:
	s_or_saveexec_b64 s[6:7], s[6:7]
	v_mov_b32_e32 v2, s10
	s_xor_b64 exec, exec, s[6:7]
	s_cbranch_execnz .LBB9_3524
.LBB9_1474:
	s_or_b64 exec, exec, s[6:7]
	s_and_saveexec_b64 s[6:7], s[4:5]
	s_cbranch_execz .LBB9_1476
.LBB9_1475:
	v_and_b32_e32 v2, 7, v8
	v_ffbh_u32_e32 v6, v2
	v_min_u32_e32 v6, 32, v6
	v_lshrrev_b16_e32 v3, 3, v8
	v_subrev_u32_e32 v7, 28, v6
	v_and_b32_e32 v3, 15, v3
	v_lshlrev_b32_e32 v7, v7, v8
	v_sub_u32_e32 v6, 29, v6
	v_and_b32_e32 v7, 7, v7
	v_cmp_eq_u16_e32 vcc, 0, v3
	v_cndmask_b32_e32 v2, v2, v7, vcc
	v_cndmask_b32_e32 v3, v3, v6, vcc
	v_lshlrev_b32_e32 v6, 24, v8
	v_mov_b32_e32 v7, 0x3b800000
	v_lshlrev_b32_e32 v2, 20, v2
	v_and_b32_e32 v6, 0x80000000, v6
	v_lshl_add_u32 v3, v3, 23, v7
	v_or3_b32 v2, v6, v3, v2
.LBB9_1476:
	s_or_b64 exec, exec, s[6:7]
	s_movk_i32 s4, 0x7f
	v_cmp_gt_i16_sdwa s[6:7], v4, s4 src0_sel:BYTE_0 src1_sel:DWORD
	s_mov_b64 s[4:5], 0
                                        ; implicit-def: $sgpr10
	s_and_saveexec_b64 s[8:9], s[6:7]
	s_xor_b64 s[6:7], exec, s[8:9]
	s_cbranch_execnz .LBB9_3525
; %bb.1477:
	s_or_saveexec_b64 s[6:7], s[6:7]
	v_mov_b32_e32 v3, s10
	s_xor_b64 exec, exec, s[6:7]
	s_cbranch_execnz .LBB9_3528
.LBB9_1478:
	s_or_b64 exec, exec, s[6:7]
	s_and_saveexec_b64 s[6:7], s[4:5]
	s_cbranch_execz .LBB9_1480
.LBB9_1479:
	v_and_b32_e32 v3, 7, v4
	v_ffbh_u32_e32 v7, v3
	v_min_u32_e32 v7, 32, v7
	v_lshrrev_b16_e32 v6, 3, v4
	v_subrev_u32_e32 v12, 28, v7
	v_and_b32_e32 v6, 15, v6
	v_lshlrev_b32_e32 v12, v12, v4
	v_sub_u32_e32 v7, 29, v7
	v_and_b32_e32 v12, 7, v12
	v_cmp_eq_u16_e32 vcc, 0, v6
	v_cndmask_b32_e32 v3, v3, v12, vcc
	v_cndmask_b32_e32 v6, v6, v7, vcc
	v_lshlrev_b32_e32 v7, 24, v4
	v_mov_b32_e32 v12, 0x3b800000
	v_lshlrev_b32_e32 v3, 20, v3
	v_and_b32_e32 v7, 0x80000000, v7
	v_lshl_add_u32 v6, v6, 23, v12
	v_or3_b32 v3, v7, v6, v3
.LBB9_1480:
	s_or_b64 exec, exec, s[6:7]
	s_nop 0
	v_mfma_f32_16x16x4f32 a[0:3], v2, v3, a[0:3]
	v_lshrrev_b32_e32 v3, 8, v8
	s_movk_i32 s4, 0x7f
	v_cmp_gt_i16_sdwa s[6:7], v3, s4 src0_sel:BYTE_0 src1_sel:DWORD
	s_mov_b64 s[4:5], 0
                                        ; implicit-def: $sgpr10
	s_and_saveexec_b64 s[8:9], s[6:7]
	s_xor_b64 s[6:7], exec, s[8:9]
	s_cbranch_execnz .LBB9_3529
; %bb.1481:
	s_or_saveexec_b64 s[6:7], s[6:7]
	v_mov_b32_e32 v2, s10
	s_xor_b64 exec, exec, s[6:7]
	s_cbranch_execnz .LBB9_3532
.LBB9_1482:
	s_or_b64 exec, exec, s[6:7]
	s_and_saveexec_b64 s[6:7], s[4:5]
	s_cbranch_execz .LBB9_1484
.LBB9_1483:
	v_bfe_u32 v2, v8, 8, 3
	v_ffbh_u32_e32 v7, v2
	v_min_u32_e32 v7, 32, v7
	v_lshrrev_b16_e32 v6, 3, v3
	v_subrev_u32_e32 v12, 28, v7
	v_and_b32_e32 v6, 15, v6
	v_lshlrev_b32_e32 v3, v12, v3
	v_sub_u32_e32 v7, 29, v7
	v_and_b32_e32 v3, 7, v3
	v_cmp_eq_u16_e32 vcc, 0, v6
	v_cndmask_b32_e32 v2, v2, v3, vcc
	v_cndmask_b32_e32 v3, v6, v7, vcc
	v_lshlrev_b32_e32 v6, 16, v8
	v_mov_b32_e32 v7, 0x3b800000
	v_lshlrev_b32_e32 v2, 20, v2
	v_and_b32_e32 v6, 0x80000000, v6
	v_lshl_add_u32 v3, v3, 23, v7
	v_or3_b32 v2, v6, v3, v2
.LBB9_1484:
	s_or_b64 exec, exec, s[6:7]
	v_lshrrev_b32_e32 v3, 8, v4
	s_movk_i32 s4, 0x7f
	v_cmp_gt_i16_sdwa s[6:7], v3, s4 src0_sel:BYTE_0 src1_sel:DWORD
	s_mov_b64 s[4:5], 0
                                        ; implicit-def: $sgpr10
	s_and_saveexec_b64 s[8:9], s[6:7]
	s_xor_b64 s[6:7], exec, s[8:9]
	s_cbranch_execnz .LBB9_3533
; %bb.1485:
	s_or_saveexec_b64 s[6:7], s[6:7]
	v_mov_b32_e32 v6, s10
	s_xor_b64 exec, exec, s[6:7]
	s_cbranch_execnz .LBB9_3536
.LBB9_1486:
	s_or_b64 exec, exec, s[6:7]
	s_and_saveexec_b64 s[6:7], s[4:5]
	s_cbranch_execz .LBB9_1488
.LBB9_1487:
	v_bfe_u32 v6, v4, 8, 3
	v_ffbh_u32_e32 v12, v6
	v_min_u32_e32 v12, 32, v12
	v_lshrrev_b16_e32 v7, 3, v3
	v_subrev_u32_e32 v13, 28, v12
	v_and_b32_e32 v7, 15, v7
	v_lshlrev_b32_e32 v3, v13, v3
	v_sub_u32_e32 v12, 29, v12
	v_and_b32_e32 v3, 7, v3
	v_cmp_eq_u16_e32 vcc, 0, v7
	v_cndmask_b32_e32 v3, v6, v3, vcc
	v_cndmask_b32_e32 v6, v7, v12, vcc
	v_lshlrev_b32_e32 v7, 16, v4
	v_mov_b32_e32 v12, 0x3b800000
	v_lshlrev_b32_e32 v3, 20, v3
	v_and_b32_e32 v7, 0x80000000, v7
	v_lshl_add_u32 v6, v6, 23, v12
	v_or3_b32 v6, v7, v6, v3
.LBB9_1488:
	s_or_b64 exec, exec, s[6:7]
	s_nop 0
	v_mfma_f32_16x16x4f32 a[0:3], v2, v6, a[0:3]
	s_movk_i32 s4, 0xff
	v_and_b32_sdwa v3, v8, s4 dst_sel:DWORD dst_unused:UNUSED_PAD src0_sel:WORD_1 src1_sel:DWORD
	s_movk_i32 s4, 0x7f
	v_cmp_lt_i16_e32 vcc, s4, v3
	s_mov_b64 s[4:5], 0
                                        ; implicit-def: $sgpr10
	s_and_saveexec_b64 s[6:7], vcc
	s_xor_b64 s[6:7], exec, s[6:7]
	s_cbranch_execnz .LBB9_3537
; %bb.1489:
	s_or_saveexec_b64 s[6:7], s[6:7]
	v_mov_b32_e32 v2, s10
	s_xor_b64 exec, exec, s[6:7]
	s_cbranch_execnz .LBB9_3540
.LBB9_1490:
	s_or_b64 exec, exec, s[6:7]
	s_and_saveexec_b64 s[6:7], s[4:5]
	s_cbranch_execz .LBB9_1492
.LBB9_1491:
	v_bfe_u32 v2, v8, 16, 3
	v_ffbh_u32_e32 v7, v2
	v_min_u32_e32 v7, 32, v7
	v_lshrrev_b32_e32 v3, 19, v8
	v_subrev_u32_e32 v12, 28, v7
	v_and_b32_e32 v3, 15, v3
	v_lshlrev_b32_sdwa v12, v12, v8 dst_sel:DWORD dst_unused:UNUSED_PAD src0_sel:DWORD src1_sel:WORD_1
	v_bfe_u32 v6, v8, 19, 4
	v_sub_u32_e32 v7, 29, v7
	v_and_b32_e32 v12, 7, v12
	v_cmp_eq_u16_e32 vcc, 0, v3
	v_cndmask_b32_e32 v2, v2, v12, vcc
	v_cndmask_b32_e32 v3, v6, v7, vcc
	v_lshlrev_b32_e32 v6, 8, v8
	v_mov_b32_e32 v7, 0x3b800000
	v_lshlrev_b32_e32 v2, 20, v2
	v_and_b32_e32 v6, 0x80000000, v6
	v_lshl_add_u32 v3, v3, 23, v7
	v_or3_b32 v2, v6, v3, v2
.LBB9_1492:
	s_or_b64 exec, exec, s[6:7]
	s_movk_i32 s4, 0xff
	v_and_b32_sdwa v3, v4, s4 dst_sel:DWORD dst_unused:UNUSED_PAD src0_sel:WORD_1 src1_sel:DWORD
	s_movk_i32 s4, 0x7f
	v_cmp_lt_i16_e32 vcc, s4, v3
	s_mov_b64 s[4:5], 0
                                        ; implicit-def: $sgpr10
	s_and_saveexec_b64 s[6:7], vcc
	s_xor_b64 s[6:7], exec, s[6:7]
	s_cbranch_execnz .LBB9_3541
; %bb.1493:
	s_or_saveexec_b64 s[6:7], s[6:7]
	v_mov_b32_e32 v6, s10
	s_xor_b64 exec, exec, s[6:7]
	s_cbranch_execnz .LBB9_3544
.LBB9_1494:
	s_or_b64 exec, exec, s[6:7]
	s_and_saveexec_b64 s[6:7], s[4:5]
	s_cbranch_execz .LBB9_1496
.LBB9_1495:
	v_bfe_u32 v3, v4, 16, 3
	v_ffbh_u32_e32 v12, v3
	v_min_u32_e32 v12, 32, v12
	v_lshrrev_b32_e32 v6, 19, v4
	v_subrev_u32_e32 v13, 28, v12
	v_and_b32_e32 v6, 15, v6
	v_lshlrev_b32_sdwa v13, v13, v4 dst_sel:DWORD dst_unused:UNUSED_PAD src0_sel:DWORD src1_sel:WORD_1
	v_bfe_u32 v7, v4, 19, 4
	v_sub_u32_e32 v12, 29, v12
	v_and_b32_e32 v13, 7, v13
	v_cmp_eq_u16_e32 vcc, 0, v6
	v_cndmask_b32_e32 v3, v3, v13, vcc
	v_cndmask_b32_e32 v6, v7, v12, vcc
	v_lshlrev_b32_e32 v7, 8, v4
	v_mov_b32_e32 v12, 0x3b800000
	v_lshlrev_b32_e32 v3, 20, v3
	v_and_b32_e32 v7, 0x80000000, v7
	v_lshl_add_u32 v6, v6, 23, v12
	v_or3_b32 v6, v7, v6, v3
.LBB9_1496:
	s_or_b64 exec, exec, s[6:7]
	s_nop 0
	v_mfma_f32_16x16x4f32 a[0:3], v2, v6, a[0:3]
	s_movk_i32 s4, 0x7f
	v_cmp_gt_i16_sdwa s[6:7], v8, s4 src0_sel:BYTE_3 src1_sel:DWORD
	s_mov_b64 s[4:5], 0
                                        ; implicit-def: $sgpr10
	s_and_saveexec_b64 s[8:9], s[6:7]
	s_xor_b64 s[6:7], exec, s[8:9]
	s_cbranch_execnz .LBB9_3545
; %bb.1497:
	s_or_saveexec_b64 s[6:7], s[6:7]
	v_mov_b32_e32 v2, s10
	s_xor_b64 exec, exec, s[6:7]
	s_cbranch_execnz .LBB9_3548
.LBB9_1498:
	s_or_b64 exec, exec, s[6:7]
	s_and_saveexec_b64 s[6:7], s[4:5]
	s_cbranch_execz .LBB9_1500
.LBB9_1499:
	v_bfe_u32 v2, v8, 24, 3
	v_ffbh_u32_e32 v12, v2
	v_min_u32_e32 v12, 32, v12
	v_lshrrev_b32_e32 v6, 27, v8
	v_subrev_u32_e32 v13, 28, v12
	v_and_b32_e32 v3, 0x80000000, v8
	v_and_b32_e32 v6, 15, v6
	v_bfe_u32 v7, v8, 27, 4
	v_lshlrev_b32_sdwa v8, v13, v8 dst_sel:DWORD dst_unused:UNUSED_PAD src0_sel:DWORD src1_sel:BYTE_3
	v_sub_u32_e32 v12, 29, v12
	v_and_b32_e32 v8, 7, v8
	v_cmp_eq_u16_e32 vcc, 0, v6
	v_cndmask_b32_e32 v2, v2, v8, vcc
	v_cndmask_b32_e32 v6, v7, v12, vcc
	v_mov_b32_e32 v7, 0x3b800000
	v_lshlrev_b32_e32 v2, 20, v2
	v_lshl_add_u32 v6, v6, 23, v7
	v_or3_b32 v2, v3, v6, v2
.LBB9_1500:
	s_or_b64 exec, exec, s[6:7]
	s_movk_i32 s4, 0x7f
	v_cmp_gt_i16_sdwa s[6:7], v4, s4 src0_sel:BYTE_3 src1_sel:DWORD
	s_mov_b64 s[4:5], 0
                                        ; implicit-def: $sgpr10
	s_and_saveexec_b64 s[8:9], s[6:7]
	s_xor_b64 s[6:7], exec, s[8:9]
	s_cbranch_execnz .LBB9_3549
; %bb.1501:
	s_or_saveexec_b64 s[6:7], s[6:7]
	v_mov_b32_e32 v3, s10
	s_xor_b64 exec, exec, s[6:7]
	s_cbranch_execnz .LBB9_3552
.LBB9_1502:
	s_or_b64 exec, exec, s[6:7]
	s_and_saveexec_b64 s[6:7], s[4:5]
	s_cbranch_execz .LBB9_1504
.LBB9_1503:
	v_bfe_u32 v3, v4, 24, 3
	v_ffbh_u32_e32 v12, v3
	v_min_u32_e32 v12, 32, v12
	v_lshrrev_b32_e32 v7, 27, v4
	v_subrev_u32_e32 v13, 28, v12
	v_and_b32_e32 v6, 0x80000000, v4
	v_and_b32_e32 v7, 15, v7
	v_bfe_u32 v8, v4, 27, 4
	v_lshlrev_b32_sdwa v4, v13, v4 dst_sel:DWORD dst_unused:UNUSED_PAD src0_sel:DWORD src1_sel:BYTE_3
	v_sub_u32_e32 v12, 29, v12
	v_and_b32_e32 v4, 7, v4
	v_cmp_eq_u16_e32 vcc, 0, v7
	v_cndmask_b32_e32 v3, v3, v4, vcc
	v_cndmask_b32_e32 v4, v8, v12, vcc
	v_mov_b32_e32 v7, 0x3b800000
	v_lshlrev_b32_e32 v3, 20, v3
	v_lshl_add_u32 v4, v4, 23, v7
	v_or3_b32 v3, v6, v4, v3
.LBB9_1504:
	s_or_b64 exec, exec, s[6:7]
	s_nop 0
	v_mfma_f32_16x16x4f32 a[0:3], v2, v3, a[0:3]
	s_movk_i32 s4, 0x7f
	v_cmp_gt_i16_sdwa s[6:7], v9, s4 src0_sel:BYTE_0 src1_sel:DWORD
	s_mov_b64 s[4:5], 0
                                        ; implicit-def: $sgpr10
	s_and_saveexec_b64 s[8:9], s[6:7]
	s_xor_b64 s[6:7], exec, s[8:9]
	s_cbranch_execnz .LBB9_3553
; %bb.1505:
	s_or_saveexec_b64 s[6:7], s[6:7]
	v_mov_b32_e32 v2, s10
	s_xor_b64 exec, exec, s[6:7]
	s_cbranch_execnz .LBB9_3556
.LBB9_1506:
	s_or_b64 exec, exec, s[6:7]
	s_and_saveexec_b64 s[6:7], s[4:5]
	s_cbranch_execz .LBB9_1508
.LBB9_1507:
	v_mov_b32_e32 v2, 8
	v_and_b32_e32 v3, 7, v9
	v_lshrrev_b32_sdwa v2, v2, v9 dst_sel:BYTE_1 dst_unused:UNUSED_PAD src0_sel:DWORD src1_sel:DWORD
	v_ffbh_u32_e32 v4, v3
	v_or_b32_sdwa v2, v9, v2 dst_sel:DWORD dst_unused:UNUSED_PAD src0_sel:BYTE_0 src1_sel:DWORD
	v_min_u32_e32 v4, 32, v4
	v_lshrrev_b16_e32 v2, 3, v2
	v_subrev_u32_e32 v6, 28, v4
	v_and_b32_e32 v2, 15, v2
	v_lshlrev_b32_e32 v6, v6, v9
	v_sub_u32_e32 v4, 29, v4
	v_and_b32_e32 v6, 7, v6
	v_cmp_eq_u16_e32 vcc, 0, v2
	v_cndmask_b32_e32 v3, v3, v6, vcc
	v_cndmask_b32_e32 v2, v2, v4, vcc
	v_lshlrev_b32_e32 v4, 24, v9
	v_mov_b32_e32 v6, 0x3b800000
	v_lshlrev_b32_e32 v3, 20, v3
	v_and_b32_e32 v4, 0x80000000, v4
	v_lshl_add_u32 v2, v2, 23, v6
	v_or3_b32 v2, v4, v2, v3
.LBB9_1508:
	s_or_b64 exec, exec, s[6:7]
	s_movk_i32 s4, 0x7f
	v_cmp_gt_i16_sdwa s[6:7], v5, s4 src0_sel:BYTE_0 src1_sel:DWORD
	s_mov_b64 s[4:5], 0
                                        ; implicit-def: $sgpr10
	s_and_saveexec_b64 s[8:9], s[6:7]
	s_xor_b64 s[6:7], exec, s[8:9]
	s_cbranch_execnz .LBB9_3557
; %bb.1509:
	s_or_saveexec_b64 s[6:7], s[6:7]
	v_mov_b32_e32 v3, s10
	s_xor_b64 exec, exec, s[6:7]
	s_cbranch_execnz .LBB9_3560
.LBB9_1510:
	s_or_b64 exec, exec, s[6:7]
	s_and_saveexec_b64 s[6:7], s[4:5]
	s_cbranch_execz .LBB9_1512
.LBB9_1511:
	v_mov_b32_e32 v3, 8
	v_and_b32_e32 v4, 7, v5
	v_lshrrev_b32_sdwa v3, v3, v5 dst_sel:BYTE_1 dst_unused:UNUSED_PAD src0_sel:DWORD src1_sel:DWORD
	v_ffbh_u32_e32 v6, v4
	v_or_b32_sdwa v3, v5, v3 dst_sel:DWORD dst_unused:UNUSED_PAD src0_sel:BYTE_0 src1_sel:DWORD
	v_min_u32_e32 v6, 32, v6
	v_lshrrev_b16_e32 v3, 3, v3
	v_subrev_u32_e32 v7, 28, v6
	v_and_b32_e32 v3, 15, v3
	v_lshlrev_b32_e32 v7, v7, v5
	v_sub_u32_e32 v6, 29, v6
	v_and_b32_e32 v7, 7, v7
	v_cmp_eq_u16_e32 vcc, 0, v3
	v_cndmask_b32_e32 v4, v4, v7, vcc
	v_cndmask_b32_e32 v3, v3, v6, vcc
	v_lshlrev_b32_e32 v6, 24, v5
	v_mov_b32_e32 v7, 0x3b800000
	v_lshlrev_b32_e32 v4, 20, v4
	v_and_b32_e32 v6, 0x80000000, v6
	v_lshl_add_u32 v3, v3, 23, v7
	v_or3_b32 v3, v6, v3, v4
.LBB9_1512:
	s_or_b64 exec, exec, s[6:7]
	s_nop 0
	v_mfma_f32_16x16x4f32 a[0:3], v2, v3, a[0:3]
	v_lshrrev_b32_e32 v3, 8, v9
	s_movk_i32 s4, 0x7f
	v_cmp_gt_i16_sdwa s[6:7], v3, s4 src0_sel:BYTE_0 src1_sel:DWORD
	s_mov_b64 s[4:5], 0
                                        ; implicit-def: $sgpr10
	s_and_saveexec_b64 s[8:9], s[6:7]
	s_xor_b64 s[6:7], exec, s[8:9]
	s_cbranch_execnz .LBB9_3561
; %bb.1513:
	s_or_saveexec_b64 s[6:7], s[6:7]
	v_mov_b32_e32 v2, s10
	s_xor_b64 exec, exec, s[6:7]
	s_cbranch_execnz .LBB9_3564
.LBB9_1514:
	s_or_b64 exec, exec, s[6:7]
	s_and_saveexec_b64 s[6:7], s[4:5]
	s_cbranch_execz .LBB9_1516
.LBB9_1515:
	v_bfe_u32 v2, v9, 8, 3
	v_ffbh_u32_e32 v6, v2
	v_min_u32_e32 v6, 32, v6
	v_lshrrev_b16_e32 v4, 3, v3
	v_subrev_u32_e32 v7, 28, v6
	v_and_b32_e32 v4, 15, v4
	v_lshlrev_b32_e32 v3, v7, v3
	v_sub_u32_e32 v6, 29, v6
	v_and_b32_e32 v3, 7, v3
	v_cmp_eq_u16_e32 vcc, 0, v4
	v_cndmask_b32_e32 v2, v2, v3, vcc
	v_cndmask_b32_e32 v3, v4, v6, vcc
	v_lshlrev_b32_e32 v4, 16, v9
	v_mov_b32_e32 v6, 0x3b800000
	v_lshlrev_b32_e32 v2, 20, v2
	v_and_b32_e32 v4, 0x80000000, v4
	v_lshl_add_u32 v3, v3, 23, v6
	v_or3_b32 v2, v4, v3, v2
.LBB9_1516:
	s_or_b64 exec, exec, s[6:7]
	v_lshrrev_b32_e32 v3, 8, v5
	s_movk_i32 s4, 0x7f
	v_cmp_gt_i16_sdwa s[6:7], v3, s4 src0_sel:BYTE_0 src1_sel:DWORD
	s_mov_b64 s[4:5], 0
                                        ; implicit-def: $sgpr10
	s_and_saveexec_b64 s[8:9], s[6:7]
	s_xor_b64 s[6:7], exec, s[8:9]
	s_cbranch_execnz .LBB9_3565
; %bb.1517:
	s_or_saveexec_b64 s[6:7], s[6:7]
	v_mov_b32_e32 v4, s10
	s_xor_b64 exec, exec, s[6:7]
	s_cbranch_execnz .LBB9_3568
.LBB9_1518:
	s_or_b64 exec, exec, s[6:7]
	s_and_saveexec_b64 s[6:7], s[4:5]
	s_cbranch_execz .LBB9_1520
.LBB9_1519:
	v_bfe_u32 v4, v5, 8, 3
	v_ffbh_u32_e32 v7, v4
	v_min_u32_e32 v7, 32, v7
	v_lshrrev_b16_e32 v6, 3, v3
	v_subrev_u32_e32 v8, 28, v7
	v_and_b32_e32 v6, 15, v6
	v_lshlrev_b32_e32 v3, v8, v3
	v_sub_u32_e32 v7, 29, v7
	v_and_b32_e32 v3, 7, v3
	v_cmp_eq_u16_e32 vcc, 0, v6
	v_cndmask_b32_e32 v3, v4, v3, vcc
	v_cndmask_b32_e32 v4, v6, v7, vcc
	v_lshlrev_b32_e32 v6, 16, v5
	v_mov_b32_e32 v7, 0x3b800000
	v_lshlrev_b32_e32 v3, 20, v3
	v_and_b32_e32 v6, 0x80000000, v6
	v_lshl_add_u32 v4, v4, 23, v7
	v_or3_b32 v4, v6, v4, v3
.LBB9_1520:
	s_or_b64 exec, exec, s[6:7]
	s_nop 0
	v_mfma_f32_16x16x4f32 a[0:3], v2, v4, a[0:3]
	s_movk_i32 s4, 0xff
	v_and_b32_sdwa v3, v9, s4 dst_sel:DWORD dst_unused:UNUSED_PAD src0_sel:WORD_1 src1_sel:DWORD
	s_movk_i32 s4, 0x7f
	v_cmp_lt_i16_e32 vcc, s4, v3
	s_mov_b64 s[4:5], 0
                                        ; implicit-def: $sgpr10
	s_and_saveexec_b64 s[6:7], vcc
	s_xor_b64 s[6:7], exec, s[6:7]
	s_cbranch_execnz .LBB9_3569
; %bb.1521:
	s_or_saveexec_b64 s[6:7], s[6:7]
	v_mov_b32_e32 v2, s10
	s_xor_b64 exec, exec, s[6:7]
	s_cbranch_execnz .LBB9_3572
.LBB9_1522:
	s_or_b64 exec, exec, s[6:7]
	s_and_saveexec_b64 s[6:7], s[4:5]
	s_cbranch_execz .LBB9_1524
.LBB9_1523:
	v_bfe_u32 v2, v9, 16, 3
	v_ffbh_u32_e32 v6, v2
	v_min_u32_e32 v6, 32, v6
	v_lshrrev_b32_e32 v3, 19, v9
	v_subrev_u32_e32 v7, 28, v6
	v_and_b32_e32 v3, 15, v3
	v_lshlrev_b32_sdwa v7, v7, v9 dst_sel:DWORD dst_unused:UNUSED_PAD src0_sel:DWORD src1_sel:WORD_1
	v_bfe_u32 v4, v9, 19, 4
	v_sub_u32_e32 v6, 29, v6
	v_and_b32_e32 v7, 7, v7
	v_cmp_eq_u16_e32 vcc, 0, v3
	v_cndmask_b32_e32 v2, v2, v7, vcc
	v_cndmask_b32_e32 v3, v4, v6, vcc
	v_lshlrev_b32_e32 v4, 8, v9
	v_mov_b32_e32 v6, 0x3b800000
	v_lshlrev_b32_e32 v2, 20, v2
	v_and_b32_e32 v4, 0x80000000, v4
	v_lshl_add_u32 v3, v3, 23, v6
	v_or3_b32 v2, v4, v3, v2
.LBB9_1524:
	s_or_b64 exec, exec, s[6:7]
	s_movk_i32 s4, 0xff
	v_and_b32_sdwa v3, v5, s4 dst_sel:DWORD dst_unused:UNUSED_PAD src0_sel:WORD_1 src1_sel:DWORD
	s_movk_i32 s4, 0x7f
	v_cmp_lt_i16_e32 vcc, s4, v3
	s_mov_b64 s[4:5], 0
                                        ; implicit-def: $sgpr10
	s_and_saveexec_b64 s[6:7], vcc
	s_xor_b64 s[6:7], exec, s[6:7]
	s_cbranch_execnz .LBB9_3573
; %bb.1525:
	s_or_saveexec_b64 s[6:7], s[6:7]
	v_mov_b32_e32 v4, s10
	s_xor_b64 exec, exec, s[6:7]
	s_cbranch_execnz .LBB9_3576
.LBB9_1526:
	s_or_b64 exec, exec, s[6:7]
	s_and_saveexec_b64 s[6:7], s[4:5]
	s_cbranch_execz .LBB9_1528
.LBB9_1527:
	v_bfe_u32 v3, v5, 16, 3
	v_ffbh_u32_e32 v7, v3
	v_min_u32_e32 v7, 32, v7
	v_lshrrev_b32_e32 v4, 19, v5
	v_subrev_u32_e32 v8, 28, v7
	v_and_b32_e32 v4, 15, v4
	v_lshlrev_b32_sdwa v8, v8, v5 dst_sel:DWORD dst_unused:UNUSED_PAD src0_sel:DWORD src1_sel:WORD_1
	v_bfe_u32 v6, v5, 19, 4
	v_sub_u32_e32 v7, 29, v7
	v_and_b32_e32 v8, 7, v8
	v_cmp_eq_u16_e32 vcc, 0, v4
	v_cndmask_b32_e32 v3, v3, v8, vcc
	v_cndmask_b32_e32 v4, v6, v7, vcc
	v_lshlrev_b32_e32 v6, 8, v5
	v_mov_b32_e32 v7, 0x3b800000
	v_lshlrev_b32_e32 v3, 20, v3
	v_and_b32_e32 v6, 0x80000000, v6
	v_lshl_add_u32 v4, v4, 23, v7
	v_or3_b32 v4, v6, v4, v3
.LBB9_1528:
	s_or_b64 exec, exec, s[6:7]
	s_nop 0
	v_mfma_f32_16x16x4f32 a[0:3], v2, v4, a[0:3]
	s_movk_i32 s4, 0x7f
	v_cmp_gt_i16_sdwa s[6:7], v9, s4 src0_sel:BYTE_3 src1_sel:DWORD
	s_mov_b64 s[4:5], 0
                                        ; implicit-def: $sgpr10
	s_and_saveexec_b64 s[8:9], s[6:7]
	s_xor_b64 s[6:7], exec, s[8:9]
	s_cbranch_execnz .LBB9_3577
; %bb.1529:
	s_or_saveexec_b64 s[6:7], s[6:7]
	v_mov_b32_e32 v2, s10
	s_xor_b64 exec, exec, s[6:7]
	s_cbranch_execnz .LBB9_3580
.LBB9_1530:
	s_or_b64 exec, exec, s[6:7]
	s_and_saveexec_b64 s[6:7], s[4:5]
	s_cbranch_execz .LBB9_1532
.LBB9_1531:
	v_bfe_u32 v2, v9, 24, 3
	v_ffbh_u32_e32 v7, v2
	v_min_u32_e32 v7, 32, v7
	v_lshrrev_b32_e32 v4, 27, v9
	v_subrev_u32_e32 v8, 28, v7
	v_and_b32_e32 v4, 15, v4
	v_lshlrev_b32_sdwa v8, v8, v9 dst_sel:DWORD dst_unused:UNUSED_PAD src0_sel:DWORD src1_sel:BYTE_3
	v_bfe_u32 v6, v9, 27, 4
	v_sub_u32_e32 v7, 29, v7
	v_and_b32_e32 v8, 7, v8
	v_cmp_eq_u16_e32 vcc, 0, v4
	v_cndmask_b32_e32 v2, v2, v8, vcc
	v_cndmask_b32_e32 v4, v6, v7, vcc
	v_mov_b32_e32 v6, 0x3b800000
	v_and_b32_e32 v3, 0x80000000, v9
	v_lshlrev_b32_e32 v2, 20, v2
	v_lshl_add_u32 v4, v4, 23, v6
	v_or3_b32 v2, v3, v4, v2
.LBB9_1532:
	s_or_b64 exec, exec, s[6:7]
	s_movk_i32 s4, 0x7f
	v_cmp_gt_i16_sdwa s[6:7], v5, s4 src0_sel:BYTE_3 src1_sel:DWORD
	s_mov_b64 s[4:5], 0
                                        ; implicit-def: $sgpr10
	s_and_saveexec_b64 s[8:9], s[6:7]
	s_xor_b64 s[6:7], exec, s[8:9]
	s_cbranch_execnz .LBB9_3581
; %bb.1533:
	s_or_saveexec_b64 s[6:7], s[6:7]
	v_mov_b32_e32 v3, s10
	s_xor_b64 exec, exec, s[6:7]
	s_cbranch_execnz .LBB9_3584
.LBB9_1534:
	s_or_b64 exec, exec, s[6:7]
	s_and_saveexec_b64 s[6:7], s[4:5]
	s_cbranch_execz .LBB9_1536
.LBB9_1535:
	v_bfe_u32 v3, v5, 24, 3
	v_ffbh_u32_e32 v8, v3
	v_min_u32_e32 v8, 32, v8
	v_lshrrev_b32_e32 v6, 27, v5
	v_subrev_u32_e32 v9, 28, v8
	v_and_b32_e32 v4, 0x80000000, v5
	v_and_b32_e32 v6, 15, v6
	v_bfe_u32 v7, v5, 27, 4
	v_lshlrev_b32_sdwa v5, v9, v5 dst_sel:DWORD dst_unused:UNUSED_PAD src0_sel:DWORD src1_sel:BYTE_3
	v_sub_u32_e32 v8, 29, v8
	v_and_b32_e32 v5, 7, v5
	v_cmp_eq_u16_e32 vcc, 0, v6
	v_cndmask_b32_e32 v3, v3, v5, vcc
	v_cndmask_b32_e32 v5, v7, v8, vcc
	v_mov_b32_e32 v6, 0x3b800000
	v_lshlrev_b32_e32 v3, 20, v3
	v_lshl_add_u32 v5, v5, 23, v6
	v_or3_b32 v3, v4, v5, v3
.LBB9_1536:
	s_or_b64 exec, exec, s[6:7]
	s_nop 0
	v_mfma_f32_16x16x4f32 a[0:3], v2, v3, a[0:3]
	s_movk_i32 s4, 0x7f
                                        ; implicit-def: $sgpr10
	s_nop 7
	s_nop 1
	flat_store_dwordx4 v[10:11], a[0:3] offset:176
	flat_load_dwordx4 v[12:15], v[0:1] offset:8
	s_nop 0
	flat_load_dwordx2 v[10:11], v[0:1] offset:32
	s_waitcnt vmcnt(0) lgkmcnt(0)
	flat_load_dwordx4 v[6:9], v[12:13] offset:112
	flat_load_dwordx4 v[2:5], v[14:15] offset:16
	s_waitcnt vmcnt(0) lgkmcnt(0)
	v_cmp_gt_i16_sdwa s[6:7], v6, s4 src0_sel:BYTE_0 src1_sel:DWORD
	s_mov_b64 s[4:5], 0
	s_and_saveexec_b64 s[8:9], s[6:7]
	s_xor_b64 s[6:7], exec, s[8:9]
	s_cbranch_execnz .LBB9_3585
; %bb.1537:
	s_or_saveexec_b64 s[6:7], s[6:7]
	v_mov_b32_e32 v12, s10
	s_xor_b64 exec, exec, s[6:7]
	s_cbranch_execnz .LBB9_3588
.LBB9_1538:
	s_or_b64 exec, exec, s[6:7]
	s_and_saveexec_b64 s[6:7], s[4:5]
	s_cbranch_execz .LBB9_1540
.LBB9_1539:
	v_and_b32_e32 v12, 7, v6
	v_ffbh_u32_e32 v14, v12
	v_min_u32_e32 v14, 32, v14
	v_lshrrev_b16_e32 v13, 3, v6
	v_subrev_u32_e32 v15, 28, v14
	v_and_b32_e32 v13, 15, v13
	v_lshlrev_b32_e32 v15, v15, v6
	v_sub_u32_e32 v14, 29, v14
	v_and_b32_e32 v15, 7, v15
	v_cmp_eq_u16_e32 vcc, 0, v13
	v_cndmask_b32_e32 v12, v12, v15, vcc
	v_cndmask_b32_e32 v13, v13, v14, vcc
	v_lshlrev_b32_e32 v14, 24, v6
	v_mov_b32_e32 v15, 0x3b800000
	v_lshlrev_b32_e32 v12, 20, v12
	v_and_b32_e32 v14, 0x80000000, v14
	v_lshl_add_u32 v13, v13, 23, v15
	v_or3_b32 v12, v14, v13, v12
.LBB9_1540:
	s_or_b64 exec, exec, s[6:7]
	s_movk_i32 s4, 0x7f
	v_cmp_gt_i16_sdwa s[6:7], v2, s4 src0_sel:BYTE_0 src1_sel:DWORD
	s_mov_b64 s[4:5], 0
                                        ; implicit-def: $sgpr10
	s_and_saveexec_b64 s[8:9], s[6:7]
	s_xor_b64 s[6:7], exec, s[8:9]
	s_cbranch_execnz .LBB9_3589
; %bb.1541:
	s_or_saveexec_b64 s[6:7], s[6:7]
	v_mov_b32_e32 v13, s10
	s_xor_b64 exec, exec, s[6:7]
	s_cbranch_execnz .LBB9_3592
.LBB9_1542:
	s_or_b64 exec, exec, s[6:7]
	s_and_saveexec_b64 s[6:7], s[4:5]
	s_cbranch_execz .LBB9_1544
.LBB9_1543:
	v_and_b32_e32 v13, 7, v2
	v_ffbh_u32_e32 v15, v13
	v_min_u32_e32 v15, 32, v15
	v_lshrrev_b16_e32 v14, 3, v2
	v_subrev_u32_e32 v16, 28, v15
	v_and_b32_e32 v14, 15, v14
	v_lshlrev_b32_e32 v16, v16, v2
	v_sub_u32_e32 v15, 29, v15
	v_and_b32_e32 v16, 7, v16
	v_cmp_eq_u16_e32 vcc, 0, v14
	v_cndmask_b32_e32 v13, v13, v16, vcc
	v_cndmask_b32_e32 v14, v14, v15, vcc
	v_lshlrev_b32_e32 v15, 24, v2
	v_mov_b32_e32 v16, 0x3b800000
	v_lshlrev_b32_e32 v13, 20, v13
	v_and_b32_e32 v15, 0x80000000, v15
	v_lshl_add_u32 v14, v14, 23, v16
	v_or3_b32 v13, v15, v14, v13
.LBB9_1544:
	s_or_b64 exec, exec, s[6:7]
	flat_load_dwordx4 a[0:3], v[10:11] offset:192
	s_movk_i32 s4, 0x7f
                                        ; implicit-def: $sgpr10
	s_waitcnt vmcnt(0) lgkmcnt(0)
	v_mfma_f32_16x16x4f32 a[0:3], v12, v13, a[0:3]
	v_lshrrev_b32_e32 v13, 8, v6
	v_cmp_gt_i16_sdwa s[6:7], v13, s4 src0_sel:BYTE_0 src1_sel:DWORD
	s_mov_b64 s[4:5], 0
	s_and_saveexec_b64 s[8:9], s[6:7]
	s_xor_b64 s[6:7], exec, s[8:9]
	s_cbranch_execnz .LBB9_3593
; %bb.1545:
	s_or_saveexec_b64 s[6:7], s[6:7]
	v_mov_b32_e32 v12, s10
	s_xor_b64 exec, exec, s[6:7]
	s_cbranch_execnz .LBB9_3596
.LBB9_1546:
	s_or_b64 exec, exec, s[6:7]
	s_and_saveexec_b64 s[6:7], s[4:5]
	s_cbranch_execz .LBB9_1548
.LBB9_1547:
	v_bfe_u32 v12, v6, 8, 3
	v_ffbh_u32_e32 v15, v12
	v_min_u32_e32 v15, 32, v15
	v_lshrrev_b16_e32 v14, 3, v13
	v_subrev_u32_e32 v16, 28, v15
	v_and_b32_e32 v14, 15, v14
	v_lshlrev_b32_e32 v13, v16, v13
	v_sub_u32_e32 v15, 29, v15
	v_and_b32_e32 v13, 7, v13
	v_cmp_eq_u16_e32 vcc, 0, v14
	v_cndmask_b32_e32 v12, v12, v13, vcc
	v_cndmask_b32_e32 v13, v14, v15, vcc
	v_lshlrev_b32_e32 v14, 16, v6
	v_mov_b32_e32 v15, 0x3b800000
	v_lshlrev_b32_e32 v12, 20, v12
	v_and_b32_e32 v14, 0x80000000, v14
	v_lshl_add_u32 v13, v13, 23, v15
	v_or3_b32 v12, v14, v13, v12
.LBB9_1548:
	s_or_b64 exec, exec, s[6:7]
	v_lshrrev_b32_e32 v13, 8, v2
	s_movk_i32 s4, 0x7f
	v_cmp_gt_i16_sdwa s[6:7], v13, s4 src0_sel:BYTE_0 src1_sel:DWORD
	s_mov_b64 s[4:5], 0
                                        ; implicit-def: $sgpr10
	s_and_saveexec_b64 s[8:9], s[6:7]
	s_xor_b64 s[6:7], exec, s[8:9]
	s_cbranch_execnz .LBB9_3597
; %bb.1549:
	s_or_saveexec_b64 s[6:7], s[6:7]
	v_mov_b32_e32 v14, s10
	s_xor_b64 exec, exec, s[6:7]
	s_cbranch_execnz .LBB9_3600
.LBB9_1550:
	s_or_b64 exec, exec, s[6:7]
	s_and_saveexec_b64 s[6:7], s[4:5]
	s_cbranch_execz .LBB9_1552
.LBB9_1551:
	v_bfe_u32 v14, v2, 8, 3
	v_ffbh_u32_e32 v16, v14
	v_min_u32_e32 v16, 32, v16
	v_lshrrev_b16_e32 v15, 3, v13
	v_subrev_u32_e32 v17, 28, v16
	v_and_b32_e32 v15, 15, v15
	v_lshlrev_b32_e32 v13, v17, v13
	v_sub_u32_e32 v16, 29, v16
	v_and_b32_e32 v13, 7, v13
	v_cmp_eq_u16_e32 vcc, 0, v15
	v_cndmask_b32_e32 v13, v14, v13, vcc
	v_cndmask_b32_e32 v14, v15, v16, vcc
	v_lshlrev_b32_e32 v15, 16, v2
	v_mov_b32_e32 v16, 0x3b800000
	v_lshlrev_b32_e32 v13, 20, v13
	v_and_b32_e32 v15, 0x80000000, v15
	v_lshl_add_u32 v14, v14, 23, v16
	v_or3_b32 v14, v15, v14, v13
.LBB9_1552:
	s_or_b64 exec, exec, s[6:7]
	s_nop 0
	v_mfma_f32_16x16x4f32 a[0:3], v12, v14, a[0:3]
	s_movk_i32 s4, 0xff
	v_and_b32_sdwa v13, v6, s4 dst_sel:DWORD dst_unused:UNUSED_PAD src0_sel:WORD_1 src1_sel:DWORD
	s_movk_i32 s4, 0x7f
	v_cmp_lt_i16_e32 vcc, s4, v13
	s_mov_b64 s[4:5], 0
                                        ; implicit-def: $sgpr10
	s_and_saveexec_b64 s[6:7], vcc
	s_xor_b64 s[6:7], exec, s[6:7]
	s_cbranch_execnz .LBB9_3601
; %bb.1553:
	s_or_saveexec_b64 s[6:7], s[6:7]
	v_mov_b32_e32 v12, s10
	s_xor_b64 exec, exec, s[6:7]
	s_cbranch_execnz .LBB9_3604
.LBB9_1554:
	s_or_b64 exec, exec, s[6:7]
	s_and_saveexec_b64 s[6:7], s[4:5]
	s_cbranch_execz .LBB9_1556
.LBB9_1555:
	v_bfe_u32 v12, v6, 16, 3
	v_ffbh_u32_e32 v15, v12
	v_min_u32_e32 v15, 32, v15
	v_lshrrev_b32_e32 v13, 19, v6
	v_subrev_u32_e32 v16, 28, v15
	v_and_b32_e32 v13, 15, v13
	v_lshlrev_b32_sdwa v16, v16, v6 dst_sel:DWORD dst_unused:UNUSED_PAD src0_sel:DWORD src1_sel:WORD_1
	v_bfe_u32 v14, v6, 19, 4
	v_sub_u32_e32 v15, 29, v15
	v_and_b32_e32 v16, 7, v16
	v_cmp_eq_u16_e32 vcc, 0, v13
	v_cndmask_b32_e32 v12, v12, v16, vcc
	v_cndmask_b32_e32 v13, v14, v15, vcc
	v_lshlrev_b32_e32 v14, 8, v6
	v_mov_b32_e32 v15, 0x3b800000
	v_lshlrev_b32_e32 v12, 20, v12
	v_and_b32_e32 v14, 0x80000000, v14
	v_lshl_add_u32 v13, v13, 23, v15
	v_or3_b32 v12, v14, v13, v12
.LBB9_1556:
	s_or_b64 exec, exec, s[6:7]
	s_movk_i32 s4, 0xff
	v_and_b32_sdwa v13, v2, s4 dst_sel:DWORD dst_unused:UNUSED_PAD src0_sel:WORD_1 src1_sel:DWORD
	s_movk_i32 s4, 0x7f
	v_cmp_lt_i16_e32 vcc, s4, v13
	s_mov_b64 s[4:5], 0
                                        ; implicit-def: $sgpr10
	s_and_saveexec_b64 s[6:7], vcc
	s_xor_b64 s[6:7], exec, s[6:7]
	s_cbranch_execnz .LBB9_3605
; %bb.1557:
	s_or_saveexec_b64 s[6:7], s[6:7]
	v_mov_b32_e32 v14, s10
	s_xor_b64 exec, exec, s[6:7]
	s_cbranch_execnz .LBB9_3608
.LBB9_1558:
	s_or_b64 exec, exec, s[6:7]
	s_and_saveexec_b64 s[6:7], s[4:5]
	s_cbranch_execz .LBB9_1560
.LBB9_1559:
	v_bfe_u32 v13, v2, 16, 3
	v_ffbh_u32_e32 v16, v13
	v_min_u32_e32 v16, 32, v16
	v_lshrrev_b32_e32 v14, 19, v2
	v_subrev_u32_e32 v17, 28, v16
	v_and_b32_e32 v14, 15, v14
	v_lshlrev_b32_sdwa v17, v17, v2 dst_sel:DWORD dst_unused:UNUSED_PAD src0_sel:DWORD src1_sel:WORD_1
	v_bfe_u32 v15, v2, 19, 4
	v_sub_u32_e32 v16, 29, v16
	v_and_b32_e32 v17, 7, v17
	v_cmp_eq_u16_e32 vcc, 0, v14
	v_cndmask_b32_e32 v13, v13, v17, vcc
	v_cndmask_b32_e32 v14, v15, v16, vcc
	v_lshlrev_b32_e32 v15, 8, v2
	v_mov_b32_e32 v16, 0x3b800000
	v_lshlrev_b32_e32 v13, 20, v13
	v_and_b32_e32 v15, 0x80000000, v15
	v_lshl_add_u32 v14, v14, 23, v16
	v_or3_b32 v14, v15, v14, v13
.LBB9_1560:
	s_or_b64 exec, exec, s[6:7]
	s_nop 0
	v_mfma_f32_16x16x4f32 a[0:3], v12, v14, a[0:3]
	s_movk_i32 s4, 0x7f
	v_cmp_gt_i16_sdwa s[6:7], v6, s4 src0_sel:BYTE_3 src1_sel:DWORD
	s_mov_b64 s[4:5], 0
                                        ; implicit-def: $sgpr10
	s_and_saveexec_b64 s[8:9], s[6:7]
	s_xor_b64 s[6:7], exec, s[8:9]
	s_cbranch_execnz .LBB9_3609
; %bb.1561:
	s_or_saveexec_b64 s[6:7], s[6:7]
	v_mov_b32_e32 v12, s10
	s_xor_b64 exec, exec, s[6:7]
	s_cbranch_execnz .LBB9_3612
.LBB9_1562:
	s_or_b64 exec, exec, s[6:7]
	s_and_saveexec_b64 s[6:7], s[4:5]
	s_cbranch_execz .LBB9_1564
.LBB9_1563:
	v_bfe_u32 v12, v6, 24, 3
	v_ffbh_u32_e32 v16, v12
	v_min_u32_e32 v16, 32, v16
	v_lshrrev_b32_e32 v14, 27, v6
	v_subrev_u32_e32 v17, 28, v16
	v_and_b32_e32 v13, 0x80000000, v6
	v_and_b32_e32 v14, 15, v14
	v_bfe_u32 v15, v6, 27, 4
	v_lshlrev_b32_sdwa v6, v17, v6 dst_sel:DWORD dst_unused:UNUSED_PAD src0_sel:DWORD src1_sel:BYTE_3
	v_sub_u32_e32 v16, 29, v16
	v_and_b32_e32 v6, 7, v6
	v_cmp_eq_u16_e32 vcc, 0, v14
	v_cndmask_b32_e32 v6, v12, v6, vcc
	v_cndmask_b32_e32 v12, v15, v16, vcc
	v_mov_b32_e32 v14, 0x3b800000
	v_lshlrev_b32_e32 v6, 20, v6
	v_lshl_add_u32 v12, v12, 23, v14
	v_or3_b32 v12, v13, v12, v6
.LBB9_1564:
	s_or_b64 exec, exec, s[6:7]
	s_movk_i32 s4, 0x7f
	v_cmp_gt_i16_sdwa s[6:7], v2, s4 src0_sel:BYTE_3 src1_sel:DWORD
	s_mov_b64 s[4:5], 0
                                        ; implicit-def: $sgpr10
	s_and_saveexec_b64 s[8:9], s[6:7]
	s_xor_b64 s[6:7], exec, s[8:9]
	s_cbranch_execnz .LBB9_3613
; %bb.1565:
	s_or_saveexec_b64 s[6:7], s[6:7]
	v_mov_b32_e32 v6, s10
	s_xor_b64 exec, exec, s[6:7]
	s_cbranch_execnz .LBB9_3616
.LBB9_1566:
	s_or_b64 exec, exec, s[6:7]
	s_and_saveexec_b64 s[6:7], s[4:5]
	s_cbranch_execz .LBB9_1568
.LBB9_1567:
	v_bfe_u32 v6, v2, 24, 3
	v_ffbh_u32_e32 v16, v6
	v_min_u32_e32 v16, 32, v16
	v_lshrrev_b32_e32 v14, 27, v2
	v_subrev_u32_e32 v17, 28, v16
	v_and_b32_e32 v13, 0x80000000, v2
	v_and_b32_e32 v14, 15, v14
	v_bfe_u32 v15, v2, 27, 4
	v_lshlrev_b32_sdwa v2, v17, v2 dst_sel:DWORD dst_unused:UNUSED_PAD src0_sel:DWORD src1_sel:BYTE_3
	v_sub_u32_e32 v16, 29, v16
	v_and_b32_e32 v2, 7, v2
	v_cmp_eq_u16_e32 vcc, 0, v14
	v_cndmask_b32_e32 v2, v6, v2, vcc
	v_cndmask_b32_e32 v6, v15, v16, vcc
	v_mov_b32_e32 v14, 0x3b800000
	v_lshlrev_b32_e32 v2, 20, v2
	v_lshl_add_u32 v6, v6, 23, v14
	v_or3_b32 v6, v13, v6, v2
.LBB9_1568:
	s_or_b64 exec, exec, s[6:7]
	s_nop 0
	v_mfma_f32_16x16x4f32 a[0:3], v12, v6, a[0:3]
	s_movk_i32 s4, 0x7f
	v_cmp_gt_i16_sdwa s[6:7], v7, s4 src0_sel:BYTE_0 src1_sel:DWORD
	s_mov_b64 s[4:5], 0
                                        ; implicit-def: $sgpr10
	s_and_saveexec_b64 s[8:9], s[6:7]
	s_xor_b64 s[6:7], exec, s[8:9]
	s_cbranch_execnz .LBB9_3617
; %bb.1569:
	s_or_saveexec_b64 s[6:7], s[6:7]
	v_mov_b32_e32 v2, s10
	s_xor_b64 exec, exec, s[6:7]
	s_cbranch_execnz .LBB9_3620
.LBB9_1570:
	s_or_b64 exec, exec, s[6:7]
	s_and_saveexec_b64 s[6:7], s[4:5]
	s_cbranch_execz .LBB9_1572
.LBB9_1571:
	v_and_b32_e32 v2, 7, v7
	v_ffbh_u32_e32 v12, v2
	v_min_u32_e32 v12, 32, v12
	v_lshrrev_b16_e32 v6, 3, v7
	v_subrev_u32_e32 v13, 28, v12
	v_and_b32_e32 v6, 15, v6
	v_lshlrev_b32_e32 v13, v13, v7
	v_sub_u32_e32 v12, 29, v12
	v_and_b32_e32 v13, 7, v13
	v_cmp_eq_u16_e32 vcc, 0, v6
	v_cndmask_b32_e32 v2, v2, v13, vcc
	v_cndmask_b32_e32 v6, v6, v12, vcc
	v_lshlrev_b32_e32 v12, 24, v7
	v_mov_b32_e32 v13, 0x3b800000
	v_lshlrev_b32_e32 v2, 20, v2
	v_and_b32_e32 v12, 0x80000000, v12
	v_lshl_add_u32 v6, v6, 23, v13
	v_or3_b32 v2, v12, v6, v2
.LBB9_1572:
	s_or_b64 exec, exec, s[6:7]
	s_movk_i32 s4, 0x7f
	v_cmp_gt_i16_sdwa s[6:7], v3, s4 src0_sel:BYTE_0 src1_sel:DWORD
	s_mov_b64 s[4:5], 0
                                        ; implicit-def: $sgpr10
	s_and_saveexec_b64 s[8:9], s[6:7]
	s_xor_b64 s[6:7], exec, s[8:9]
	s_cbranch_execnz .LBB9_3621
; %bb.1573:
	s_or_saveexec_b64 s[6:7], s[6:7]
	v_mov_b32_e32 v6, s10
	s_xor_b64 exec, exec, s[6:7]
	s_cbranch_execnz .LBB9_3624
.LBB9_1574:
	s_or_b64 exec, exec, s[6:7]
	s_and_saveexec_b64 s[6:7], s[4:5]
	s_cbranch_execz .LBB9_1576
.LBB9_1575:
	v_and_b32_e32 v6, 7, v3
	v_ffbh_u32_e32 v13, v6
	v_min_u32_e32 v13, 32, v13
	v_lshrrev_b16_e32 v12, 3, v3
	v_subrev_u32_e32 v14, 28, v13
	v_and_b32_e32 v12, 15, v12
	v_lshlrev_b32_e32 v14, v14, v3
	v_sub_u32_e32 v13, 29, v13
	v_and_b32_e32 v14, 7, v14
	v_cmp_eq_u16_e32 vcc, 0, v12
	v_cndmask_b32_e32 v6, v6, v14, vcc
	v_cndmask_b32_e32 v12, v12, v13, vcc
	v_lshlrev_b32_e32 v13, 24, v3
	v_mov_b32_e32 v14, 0x3b800000
	v_lshlrev_b32_e32 v6, 20, v6
	v_and_b32_e32 v13, 0x80000000, v13
	v_lshl_add_u32 v12, v12, 23, v14
	v_or3_b32 v6, v13, v12, v6
.LBB9_1576:
	s_or_b64 exec, exec, s[6:7]
	s_nop 0
	v_mfma_f32_16x16x4f32 a[0:3], v2, v6, a[0:3]
	v_lshrrev_b32_e32 v6, 8, v7
	s_movk_i32 s4, 0x7f
	v_cmp_gt_i16_sdwa s[6:7], v6, s4 src0_sel:BYTE_0 src1_sel:DWORD
	s_mov_b64 s[4:5], 0
                                        ; implicit-def: $sgpr10
	s_and_saveexec_b64 s[8:9], s[6:7]
	s_xor_b64 s[6:7], exec, s[8:9]
	s_cbranch_execnz .LBB9_3625
; %bb.1577:
	s_or_saveexec_b64 s[6:7], s[6:7]
	v_mov_b32_e32 v2, s10
	s_xor_b64 exec, exec, s[6:7]
	s_cbranch_execnz .LBB9_3628
.LBB9_1578:
	s_or_b64 exec, exec, s[6:7]
	s_and_saveexec_b64 s[6:7], s[4:5]
	s_cbranch_execz .LBB9_1580
.LBB9_1579:
	v_bfe_u32 v2, v7, 8, 3
	v_ffbh_u32_e32 v13, v2
	v_min_u32_e32 v13, 32, v13
	v_lshrrev_b16_e32 v12, 3, v6
	v_subrev_u32_e32 v14, 28, v13
	v_and_b32_e32 v12, 15, v12
	v_lshlrev_b32_e32 v6, v14, v6
	v_sub_u32_e32 v13, 29, v13
	v_and_b32_e32 v6, 7, v6
	v_cmp_eq_u16_e32 vcc, 0, v12
	v_cndmask_b32_e32 v2, v2, v6, vcc
	v_cndmask_b32_e32 v6, v12, v13, vcc
	v_lshlrev_b32_e32 v12, 16, v7
	v_mov_b32_e32 v13, 0x3b800000
	v_lshlrev_b32_e32 v2, 20, v2
	v_and_b32_e32 v12, 0x80000000, v12
	v_lshl_add_u32 v6, v6, 23, v13
	v_or3_b32 v2, v12, v6, v2
.LBB9_1580:
	s_or_b64 exec, exec, s[6:7]
	v_lshrrev_b32_e32 v6, 8, v3
	s_movk_i32 s4, 0x7f
	v_cmp_gt_i16_sdwa s[6:7], v6, s4 src0_sel:BYTE_0 src1_sel:DWORD
	s_mov_b64 s[4:5], 0
                                        ; implicit-def: $sgpr10
	s_and_saveexec_b64 s[8:9], s[6:7]
	s_xor_b64 s[6:7], exec, s[8:9]
	s_cbranch_execnz .LBB9_3629
; %bb.1581:
	s_or_saveexec_b64 s[6:7], s[6:7]
	v_mov_b32_e32 v12, s10
	s_xor_b64 exec, exec, s[6:7]
	s_cbranch_execnz .LBB9_3632
.LBB9_1582:
	s_or_b64 exec, exec, s[6:7]
	s_and_saveexec_b64 s[6:7], s[4:5]
	s_cbranch_execz .LBB9_1584
.LBB9_1583:
	v_bfe_u32 v12, v3, 8, 3
	v_ffbh_u32_e32 v14, v12
	v_min_u32_e32 v14, 32, v14
	v_lshrrev_b16_e32 v13, 3, v6
	v_subrev_u32_e32 v15, 28, v14
	v_and_b32_e32 v13, 15, v13
	v_lshlrev_b32_e32 v6, v15, v6
	v_sub_u32_e32 v14, 29, v14
	v_and_b32_e32 v6, 7, v6
	v_cmp_eq_u16_e32 vcc, 0, v13
	v_cndmask_b32_e32 v6, v12, v6, vcc
	v_cndmask_b32_e32 v12, v13, v14, vcc
	v_lshlrev_b32_e32 v13, 16, v3
	v_mov_b32_e32 v14, 0x3b800000
	v_lshlrev_b32_e32 v6, 20, v6
	v_and_b32_e32 v13, 0x80000000, v13
	v_lshl_add_u32 v12, v12, 23, v14
	v_or3_b32 v12, v13, v12, v6
.LBB9_1584:
	s_or_b64 exec, exec, s[6:7]
	s_nop 0
	v_mfma_f32_16x16x4f32 a[0:3], v2, v12, a[0:3]
	s_movk_i32 s4, 0xff
	v_and_b32_sdwa v6, v7, s4 dst_sel:DWORD dst_unused:UNUSED_PAD src0_sel:WORD_1 src1_sel:DWORD
	s_movk_i32 s4, 0x7f
	v_cmp_lt_i16_e32 vcc, s4, v6
	s_mov_b64 s[4:5], 0
                                        ; implicit-def: $sgpr10
	s_and_saveexec_b64 s[6:7], vcc
	s_xor_b64 s[6:7], exec, s[6:7]
	s_cbranch_execnz .LBB9_3633
; %bb.1585:
	s_or_saveexec_b64 s[6:7], s[6:7]
	v_mov_b32_e32 v2, s10
	s_xor_b64 exec, exec, s[6:7]
	s_cbranch_execnz .LBB9_3636
.LBB9_1586:
	s_or_b64 exec, exec, s[6:7]
	s_and_saveexec_b64 s[6:7], s[4:5]
	s_cbranch_execz .LBB9_1588
.LBB9_1587:
	v_bfe_u32 v2, v7, 16, 3
	v_ffbh_u32_e32 v13, v2
	v_min_u32_e32 v13, 32, v13
	v_lshrrev_b32_e32 v6, 19, v7
	v_subrev_u32_e32 v14, 28, v13
	v_and_b32_e32 v6, 15, v6
	v_lshlrev_b32_sdwa v14, v14, v7 dst_sel:DWORD dst_unused:UNUSED_PAD src0_sel:DWORD src1_sel:WORD_1
	v_bfe_u32 v12, v7, 19, 4
	v_sub_u32_e32 v13, 29, v13
	v_and_b32_e32 v14, 7, v14
	v_cmp_eq_u16_e32 vcc, 0, v6
	v_cndmask_b32_e32 v2, v2, v14, vcc
	v_cndmask_b32_e32 v6, v12, v13, vcc
	v_lshlrev_b32_e32 v12, 8, v7
	v_mov_b32_e32 v13, 0x3b800000
	v_lshlrev_b32_e32 v2, 20, v2
	v_and_b32_e32 v12, 0x80000000, v12
	v_lshl_add_u32 v6, v6, 23, v13
	v_or3_b32 v2, v12, v6, v2
.LBB9_1588:
	s_or_b64 exec, exec, s[6:7]
	s_movk_i32 s4, 0xff
	v_and_b32_sdwa v6, v3, s4 dst_sel:DWORD dst_unused:UNUSED_PAD src0_sel:WORD_1 src1_sel:DWORD
	s_movk_i32 s4, 0x7f
	v_cmp_lt_i16_e32 vcc, s4, v6
	s_mov_b64 s[4:5], 0
                                        ; implicit-def: $sgpr10
	s_and_saveexec_b64 s[6:7], vcc
	s_xor_b64 s[6:7], exec, s[6:7]
	s_cbranch_execnz .LBB9_3637
; %bb.1589:
	s_or_saveexec_b64 s[6:7], s[6:7]
	v_mov_b32_e32 v12, s10
	s_xor_b64 exec, exec, s[6:7]
	s_cbranch_execnz .LBB9_3640
.LBB9_1590:
	s_or_b64 exec, exec, s[6:7]
	s_and_saveexec_b64 s[6:7], s[4:5]
	s_cbranch_execz .LBB9_1592
.LBB9_1591:
	v_bfe_u32 v6, v3, 16, 3
	v_ffbh_u32_e32 v14, v6
	v_min_u32_e32 v14, 32, v14
	v_lshrrev_b32_e32 v12, 19, v3
	v_subrev_u32_e32 v15, 28, v14
	v_and_b32_e32 v12, 15, v12
	v_lshlrev_b32_sdwa v15, v15, v3 dst_sel:DWORD dst_unused:UNUSED_PAD src0_sel:DWORD src1_sel:WORD_1
	v_bfe_u32 v13, v3, 19, 4
	v_sub_u32_e32 v14, 29, v14
	v_and_b32_e32 v15, 7, v15
	v_cmp_eq_u16_e32 vcc, 0, v12
	v_cndmask_b32_e32 v6, v6, v15, vcc
	v_cndmask_b32_e32 v12, v13, v14, vcc
	v_lshlrev_b32_e32 v13, 8, v3
	v_mov_b32_e32 v14, 0x3b800000
	v_lshlrev_b32_e32 v6, 20, v6
	v_and_b32_e32 v13, 0x80000000, v13
	v_lshl_add_u32 v12, v12, 23, v14
	v_or3_b32 v12, v13, v12, v6
.LBB9_1592:
	s_or_b64 exec, exec, s[6:7]
	s_nop 0
	v_mfma_f32_16x16x4f32 a[0:3], v2, v12, a[0:3]
	s_movk_i32 s4, 0x7f
	v_cmp_gt_i16_sdwa s[6:7], v7, s4 src0_sel:BYTE_3 src1_sel:DWORD
	s_mov_b64 s[4:5], 0
                                        ; implicit-def: $sgpr10
	s_and_saveexec_b64 s[8:9], s[6:7]
	s_xor_b64 s[6:7], exec, s[8:9]
	s_cbranch_execnz .LBB9_3641
; %bb.1593:
	s_or_saveexec_b64 s[6:7], s[6:7]
	v_mov_b32_e32 v2, s10
	s_xor_b64 exec, exec, s[6:7]
	s_cbranch_execnz .LBB9_3644
.LBB9_1594:
	s_or_b64 exec, exec, s[6:7]
	s_and_saveexec_b64 s[6:7], s[4:5]
	s_cbranch_execz .LBB9_1596
.LBB9_1595:
	v_bfe_u32 v2, v7, 24, 3
	v_ffbh_u32_e32 v14, v2
	v_min_u32_e32 v14, 32, v14
	v_lshrrev_b32_e32 v12, 27, v7
	v_subrev_u32_e32 v15, 28, v14
	v_and_b32_e32 v6, 0x80000000, v7
	v_and_b32_e32 v12, 15, v12
	v_bfe_u32 v13, v7, 27, 4
	v_lshlrev_b32_sdwa v7, v15, v7 dst_sel:DWORD dst_unused:UNUSED_PAD src0_sel:DWORD src1_sel:BYTE_3
	v_sub_u32_e32 v14, 29, v14
	v_and_b32_e32 v7, 7, v7
	v_cmp_eq_u16_e32 vcc, 0, v12
	v_cndmask_b32_e32 v2, v2, v7, vcc
	v_cndmask_b32_e32 v7, v13, v14, vcc
	v_mov_b32_e32 v12, 0x3b800000
	v_lshlrev_b32_e32 v2, 20, v2
	v_lshl_add_u32 v7, v7, 23, v12
	v_or3_b32 v2, v6, v7, v2
.LBB9_1596:
	s_or_b64 exec, exec, s[6:7]
	s_movk_i32 s4, 0x7f
	v_cmp_gt_i16_sdwa s[6:7], v3, s4 src0_sel:BYTE_3 src1_sel:DWORD
	s_mov_b64 s[4:5], 0
                                        ; implicit-def: $sgpr10
	s_and_saveexec_b64 s[8:9], s[6:7]
	s_xor_b64 s[6:7], exec, s[8:9]
	s_cbranch_execnz .LBB9_3645
; %bb.1597:
	s_or_saveexec_b64 s[6:7], s[6:7]
	v_mov_b32_e32 v6, s10
	s_xor_b64 exec, exec, s[6:7]
	s_cbranch_execnz .LBB9_3648
.LBB9_1598:
	s_or_b64 exec, exec, s[6:7]
	s_and_saveexec_b64 s[6:7], s[4:5]
	s_cbranch_execz .LBB9_1600
.LBB9_1599:
	v_bfe_u32 v6, v3, 24, 3
	v_ffbh_u32_e32 v14, v6
	v_min_u32_e32 v14, 32, v14
	v_lshrrev_b32_e32 v12, 27, v3
	v_subrev_u32_e32 v15, 28, v14
	v_and_b32_e32 v7, 0x80000000, v3
	v_and_b32_e32 v12, 15, v12
	v_bfe_u32 v13, v3, 27, 4
	v_lshlrev_b32_sdwa v3, v15, v3 dst_sel:DWORD dst_unused:UNUSED_PAD src0_sel:DWORD src1_sel:BYTE_3
	v_sub_u32_e32 v14, 29, v14
	v_and_b32_e32 v3, 7, v3
	v_cmp_eq_u16_e32 vcc, 0, v12
	v_cndmask_b32_e32 v3, v6, v3, vcc
	v_cndmask_b32_e32 v6, v13, v14, vcc
	v_mov_b32_e32 v12, 0x3b800000
	v_lshlrev_b32_e32 v3, 20, v3
	v_lshl_add_u32 v6, v6, 23, v12
	v_or3_b32 v6, v7, v6, v3
.LBB9_1600:
	s_or_b64 exec, exec, s[6:7]
	s_nop 0
	v_mfma_f32_16x16x4f32 a[0:3], v2, v6, a[0:3]
	s_movk_i32 s4, 0x7f
	v_cmp_gt_i16_sdwa s[6:7], v8, s4 src0_sel:BYTE_0 src1_sel:DWORD
	s_mov_b64 s[4:5], 0
                                        ; implicit-def: $sgpr10
	s_and_saveexec_b64 s[8:9], s[6:7]
	s_xor_b64 s[6:7], exec, s[8:9]
	s_cbranch_execnz .LBB9_3649
; %bb.1601:
	s_or_saveexec_b64 s[6:7], s[6:7]
	v_mov_b32_e32 v2, s10
	s_xor_b64 exec, exec, s[6:7]
	s_cbranch_execnz .LBB9_3652
.LBB9_1602:
	s_or_b64 exec, exec, s[6:7]
	s_and_saveexec_b64 s[6:7], s[4:5]
	s_cbranch_execz .LBB9_1604
.LBB9_1603:
	v_and_b32_e32 v2, 7, v8
	v_ffbh_u32_e32 v6, v2
	v_min_u32_e32 v6, 32, v6
	v_lshrrev_b16_e32 v3, 3, v8
	v_subrev_u32_e32 v7, 28, v6
	v_and_b32_e32 v3, 15, v3
	v_lshlrev_b32_e32 v7, v7, v8
	v_sub_u32_e32 v6, 29, v6
	v_and_b32_e32 v7, 7, v7
	v_cmp_eq_u16_e32 vcc, 0, v3
	v_cndmask_b32_e32 v2, v2, v7, vcc
	v_cndmask_b32_e32 v3, v3, v6, vcc
	v_lshlrev_b32_e32 v6, 24, v8
	v_mov_b32_e32 v7, 0x3b800000
	v_lshlrev_b32_e32 v2, 20, v2
	v_and_b32_e32 v6, 0x80000000, v6
	v_lshl_add_u32 v3, v3, 23, v7
	v_or3_b32 v2, v6, v3, v2
.LBB9_1604:
	s_or_b64 exec, exec, s[6:7]
	s_movk_i32 s4, 0x7f
	v_cmp_gt_i16_sdwa s[6:7], v4, s4 src0_sel:BYTE_0 src1_sel:DWORD
	s_mov_b64 s[4:5], 0
                                        ; implicit-def: $sgpr10
	s_and_saveexec_b64 s[8:9], s[6:7]
	s_xor_b64 s[6:7], exec, s[8:9]
	s_cbranch_execnz .LBB9_3653
; %bb.1605:
	s_or_saveexec_b64 s[6:7], s[6:7]
	v_mov_b32_e32 v3, s10
	s_xor_b64 exec, exec, s[6:7]
	s_cbranch_execnz .LBB9_3656
.LBB9_1606:
	s_or_b64 exec, exec, s[6:7]
	s_and_saveexec_b64 s[6:7], s[4:5]
	s_cbranch_execz .LBB9_1608
.LBB9_1607:
	v_and_b32_e32 v3, 7, v4
	v_ffbh_u32_e32 v7, v3
	v_min_u32_e32 v7, 32, v7
	v_lshrrev_b16_e32 v6, 3, v4
	v_subrev_u32_e32 v12, 28, v7
	v_and_b32_e32 v6, 15, v6
	v_lshlrev_b32_e32 v12, v12, v4
	v_sub_u32_e32 v7, 29, v7
	v_and_b32_e32 v12, 7, v12
	v_cmp_eq_u16_e32 vcc, 0, v6
	v_cndmask_b32_e32 v3, v3, v12, vcc
	v_cndmask_b32_e32 v6, v6, v7, vcc
	v_lshlrev_b32_e32 v7, 24, v4
	v_mov_b32_e32 v12, 0x3b800000
	v_lshlrev_b32_e32 v3, 20, v3
	v_and_b32_e32 v7, 0x80000000, v7
	v_lshl_add_u32 v6, v6, 23, v12
	v_or3_b32 v3, v7, v6, v3
.LBB9_1608:
	s_or_b64 exec, exec, s[6:7]
	s_nop 0
	v_mfma_f32_16x16x4f32 a[0:3], v2, v3, a[0:3]
	v_lshrrev_b32_e32 v3, 8, v8
	s_movk_i32 s4, 0x7f
	v_cmp_gt_i16_sdwa s[6:7], v3, s4 src0_sel:BYTE_0 src1_sel:DWORD
	s_mov_b64 s[4:5], 0
                                        ; implicit-def: $sgpr10
	s_and_saveexec_b64 s[8:9], s[6:7]
	s_xor_b64 s[6:7], exec, s[8:9]
	s_cbranch_execnz .LBB9_3657
; %bb.1609:
	s_or_saveexec_b64 s[6:7], s[6:7]
	v_mov_b32_e32 v2, s10
	s_xor_b64 exec, exec, s[6:7]
	s_cbranch_execnz .LBB9_3660
.LBB9_1610:
	s_or_b64 exec, exec, s[6:7]
	s_and_saveexec_b64 s[6:7], s[4:5]
	s_cbranch_execz .LBB9_1612
.LBB9_1611:
	v_bfe_u32 v2, v8, 8, 3
	v_ffbh_u32_e32 v7, v2
	v_min_u32_e32 v7, 32, v7
	v_lshrrev_b16_e32 v6, 3, v3
	v_subrev_u32_e32 v12, 28, v7
	v_and_b32_e32 v6, 15, v6
	v_lshlrev_b32_e32 v3, v12, v3
	v_sub_u32_e32 v7, 29, v7
	v_and_b32_e32 v3, 7, v3
	v_cmp_eq_u16_e32 vcc, 0, v6
	v_cndmask_b32_e32 v2, v2, v3, vcc
	v_cndmask_b32_e32 v3, v6, v7, vcc
	v_lshlrev_b32_e32 v6, 16, v8
	v_mov_b32_e32 v7, 0x3b800000
	v_lshlrev_b32_e32 v2, 20, v2
	v_and_b32_e32 v6, 0x80000000, v6
	v_lshl_add_u32 v3, v3, 23, v7
	v_or3_b32 v2, v6, v3, v2
.LBB9_1612:
	s_or_b64 exec, exec, s[6:7]
	v_lshrrev_b32_e32 v3, 8, v4
	s_movk_i32 s4, 0x7f
	v_cmp_gt_i16_sdwa s[6:7], v3, s4 src0_sel:BYTE_0 src1_sel:DWORD
	s_mov_b64 s[4:5], 0
                                        ; implicit-def: $sgpr10
	s_and_saveexec_b64 s[8:9], s[6:7]
	s_xor_b64 s[6:7], exec, s[8:9]
	s_cbranch_execnz .LBB9_3661
; %bb.1613:
	s_or_saveexec_b64 s[6:7], s[6:7]
	v_mov_b32_e32 v6, s10
	s_xor_b64 exec, exec, s[6:7]
	s_cbranch_execnz .LBB9_3664
.LBB9_1614:
	s_or_b64 exec, exec, s[6:7]
	s_and_saveexec_b64 s[6:7], s[4:5]
	s_cbranch_execz .LBB9_1616
.LBB9_1615:
	v_bfe_u32 v6, v4, 8, 3
	v_ffbh_u32_e32 v12, v6
	v_min_u32_e32 v12, 32, v12
	v_lshrrev_b16_e32 v7, 3, v3
	v_subrev_u32_e32 v13, 28, v12
	v_and_b32_e32 v7, 15, v7
	v_lshlrev_b32_e32 v3, v13, v3
	v_sub_u32_e32 v12, 29, v12
	v_and_b32_e32 v3, 7, v3
	v_cmp_eq_u16_e32 vcc, 0, v7
	v_cndmask_b32_e32 v3, v6, v3, vcc
	v_cndmask_b32_e32 v6, v7, v12, vcc
	v_lshlrev_b32_e32 v7, 16, v4
	v_mov_b32_e32 v12, 0x3b800000
	v_lshlrev_b32_e32 v3, 20, v3
	v_and_b32_e32 v7, 0x80000000, v7
	v_lshl_add_u32 v6, v6, 23, v12
	v_or3_b32 v6, v7, v6, v3
.LBB9_1616:
	s_or_b64 exec, exec, s[6:7]
	s_nop 0
	v_mfma_f32_16x16x4f32 a[0:3], v2, v6, a[0:3]
	s_movk_i32 s4, 0xff
	v_and_b32_sdwa v3, v8, s4 dst_sel:DWORD dst_unused:UNUSED_PAD src0_sel:WORD_1 src1_sel:DWORD
	s_movk_i32 s4, 0x7f
	v_cmp_lt_i16_e32 vcc, s4, v3
	s_mov_b64 s[4:5], 0
                                        ; implicit-def: $sgpr10
	s_and_saveexec_b64 s[6:7], vcc
	s_xor_b64 s[6:7], exec, s[6:7]
	s_cbranch_execnz .LBB9_3665
; %bb.1617:
	s_or_saveexec_b64 s[6:7], s[6:7]
	v_mov_b32_e32 v2, s10
	s_xor_b64 exec, exec, s[6:7]
	s_cbranch_execnz .LBB9_3668
.LBB9_1618:
	s_or_b64 exec, exec, s[6:7]
	s_and_saveexec_b64 s[6:7], s[4:5]
	s_cbranch_execz .LBB9_1620
.LBB9_1619:
	v_bfe_u32 v2, v8, 16, 3
	v_ffbh_u32_e32 v7, v2
	v_min_u32_e32 v7, 32, v7
	v_lshrrev_b32_e32 v3, 19, v8
	v_subrev_u32_e32 v12, 28, v7
	v_and_b32_e32 v3, 15, v3
	v_lshlrev_b32_sdwa v12, v12, v8 dst_sel:DWORD dst_unused:UNUSED_PAD src0_sel:DWORD src1_sel:WORD_1
	v_bfe_u32 v6, v8, 19, 4
	v_sub_u32_e32 v7, 29, v7
	v_and_b32_e32 v12, 7, v12
	v_cmp_eq_u16_e32 vcc, 0, v3
	v_cndmask_b32_e32 v2, v2, v12, vcc
	v_cndmask_b32_e32 v3, v6, v7, vcc
	v_lshlrev_b32_e32 v6, 8, v8
	v_mov_b32_e32 v7, 0x3b800000
	v_lshlrev_b32_e32 v2, 20, v2
	v_and_b32_e32 v6, 0x80000000, v6
	v_lshl_add_u32 v3, v3, 23, v7
	v_or3_b32 v2, v6, v3, v2
.LBB9_1620:
	s_or_b64 exec, exec, s[6:7]
	s_movk_i32 s4, 0xff
	v_and_b32_sdwa v3, v4, s4 dst_sel:DWORD dst_unused:UNUSED_PAD src0_sel:WORD_1 src1_sel:DWORD
	s_movk_i32 s4, 0x7f
	v_cmp_lt_i16_e32 vcc, s4, v3
	s_mov_b64 s[4:5], 0
                                        ; implicit-def: $sgpr10
	s_and_saveexec_b64 s[6:7], vcc
	s_xor_b64 s[6:7], exec, s[6:7]
	s_cbranch_execnz .LBB9_3669
; %bb.1621:
	s_or_saveexec_b64 s[6:7], s[6:7]
	v_mov_b32_e32 v6, s10
	s_xor_b64 exec, exec, s[6:7]
	s_cbranch_execnz .LBB9_3672
.LBB9_1622:
	s_or_b64 exec, exec, s[6:7]
	s_and_saveexec_b64 s[6:7], s[4:5]
	s_cbranch_execz .LBB9_1624
.LBB9_1623:
	v_bfe_u32 v3, v4, 16, 3
	v_ffbh_u32_e32 v12, v3
	v_min_u32_e32 v12, 32, v12
	v_lshrrev_b32_e32 v6, 19, v4
	v_subrev_u32_e32 v13, 28, v12
	v_and_b32_e32 v6, 15, v6
	v_lshlrev_b32_sdwa v13, v13, v4 dst_sel:DWORD dst_unused:UNUSED_PAD src0_sel:DWORD src1_sel:WORD_1
	v_bfe_u32 v7, v4, 19, 4
	v_sub_u32_e32 v12, 29, v12
	v_and_b32_e32 v13, 7, v13
	v_cmp_eq_u16_e32 vcc, 0, v6
	v_cndmask_b32_e32 v3, v3, v13, vcc
	v_cndmask_b32_e32 v6, v7, v12, vcc
	v_lshlrev_b32_e32 v7, 8, v4
	v_mov_b32_e32 v12, 0x3b800000
	v_lshlrev_b32_e32 v3, 20, v3
	v_and_b32_e32 v7, 0x80000000, v7
	v_lshl_add_u32 v6, v6, 23, v12
	v_or3_b32 v6, v7, v6, v3
.LBB9_1624:
	s_or_b64 exec, exec, s[6:7]
	s_nop 0
	v_mfma_f32_16x16x4f32 a[0:3], v2, v6, a[0:3]
	s_movk_i32 s4, 0x7f
	v_cmp_gt_i16_sdwa s[6:7], v8, s4 src0_sel:BYTE_3 src1_sel:DWORD
	s_mov_b64 s[4:5], 0
                                        ; implicit-def: $sgpr10
	s_and_saveexec_b64 s[8:9], s[6:7]
	s_xor_b64 s[6:7], exec, s[8:9]
	s_cbranch_execnz .LBB9_3673
; %bb.1625:
	s_or_saveexec_b64 s[6:7], s[6:7]
	v_mov_b32_e32 v2, s10
	s_xor_b64 exec, exec, s[6:7]
	s_cbranch_execnz .LBB9_3676
.LBB9_1626:
	s_or_b64 exec, exec, s[6:7]
	s_and_saveexec_b64 s[6:7], s[4:5]
	s_cbranch_execz .LBB9_1628
.LBB9_1627:
	v_bfe_u32 v2, v8, 24, 3
	v_ffbh_u32_e32 v12, v2
	v_min_u32_e32 v12, 32, v12
	v_lshrrev_b32_e32 v6, 27, v8
	v_subrev_u32_e32 v13, 28, v12
	v_and_b32_e32 v3, 0x80000000, v8
	v_and_b32_e32 v6, 15, v6
	v_bfe_u32 v7, v8, 27, 4
	v_lshlrev_b32_sdwa v8, v13, v8 dst_sel:DWORD dst_unused:UNUSED_PAD src0_sel:DWORD src1_sel:BYTE_3
	v_sub_u32_e32 v12, 29, v12
	v_and_b32_e32 v8, 7, v8
	v_cmp_eq_u16_e32 vcc, 0, v6
	v_cndmask_b32_e32 v2, v2, v8, vcc
	v_cndmask_b32_e32 v6, v7, v12, vcc
	v_mov_b32_e32 v7, 0x3b800000
	v_lshlrev_b32_e32 v2, 20, v2
	v_lshl_add_u32 v6, v6, 23, v7
	v_or3_b32 v2, v3, v6, v2
.LBB9_1628:
	s_or_b64 exec, exec, s[6:7]
	s_movk_i32 s4, 0x7f
	v_cmp_gt_i16_sdwa s[6:7], v4, s4 src0_sel:BYTE_3 src1_sel:DWORD
	s_mov_b64 s[4:5], 0
                                        ; implicit-def: $sgpr10
	s_and_saveexec_b64 s[8:9], s[6:7]
	s_xor_b64 s[6:7], exec, s[8:9]
	s_cbranch_execnz .LBB9_3677
; %bb.1629:
	s_or_saveexec_b64 s[6:7], s[6:7]
	v_mov_b32_e32 v3, s10
	s_xor_b64 exec, exec, s[6:7]
	s_cbranch_execnz .LBB9_3680
.LBB9_1630:
	s_or_b64 exec, exec, s[6:7]
	s_and_saveexec_b64 s[6:7], s[4:5]
	s_cbranch_execz .LBB9_1632
.LBB9_1631:
	v_bfe_u32 v3, v4, 24, 3
	v_ffbh_u32_e32 v12, v3
	v_min_u32_e32 v12, 32, v12
	v_lshrrev_b32_e32 v7, 27, v4
	v_subrev_u32_e32 v13, 28, v12
	v_and_b32_e32 v6, 0x80000000, v4
	v_and_b32_e32 v7, 15, v7
	v_bfe_u32 v8, v4, 27, 4
	v_lshlrev_b32_sdwa v4, v13, v4 dst_sel:DWORD dst_unused:UNUSED_PAD src0_sel:DWORD src1_sel:BYTE_3
	v_sub_u32_e32 v12, 29, v12
	v_and_b32_e32 v4, 7, v4
	v_cmp_eq_u16_e32 vcc, 0, v7
	v_cndmask_b32_e32 v3, v3, v4, vcc
	v_cndmask_b32_e32 v4, v8, v12, vcc
	v_mov_b32_e32 v7, 0x3b800000
	v_lshlrev_b32_e32 v3, 20, v3
	v_lshl_add_u32 v4, v4, 23, v7
	v_or3_b32 v3, v6, v4, v3
.LBB9_1632:
	s_or_b64 exec, exec, s[6:7]
	s_nop 0
	v_mfma_f32_16x16x4f32 a[0:3], v2, v3, a[0:3]
	s_movk_i32 s4, 0x7f
	v_cmp_gt_i16_sdwa s[6:7], v9, s4 src0_sel:BYTE_0 src1_sel:DWORD
	s_mov_b64 s[4:5], 0
                                        ; implicit-def: $sgpr10
	s_and_saveexec_b64 s[8:9], s[6:7]
	s_xor_b64 s[6:7], exec, s[8:9]
	s_cbranch_execnz .LBB9_3681
; %bb.1633:
	s_or_saveexec_b64 s[6:7], s[6:7]
	v_mov_b32_e32 v2, s10
	s_xor_b64 exec, exec, s[6:7]
	s_cbranch_execnz .LBB9_3684
.LBB9_1634:
	s_or_b64 exec, exec, s[6:7]
	s_and_saveexec_b64 s[6:7], s[4:5]
	s_cbranch_execz .LBB9_1636
.LBB9_1635:
	v_mov_b32_e32 v2, 8
	v_and_b32_e32 v3, 7, v9
	v_lshrrev_b32_sdwa v2, v2, v9 dst_sel:BYTE_1 dst_unused:UNUSED_PAD src0_sel:DWORD src1_sel:DWORD
	v_ffbh_u32_e32 v4, v3
	v_or_b32_sdwa v2, v9, v2 dst_sel:DWORD dst_unused:UNUSED_PAD src0_sel:BYTE_0 src1_sel:DWORD
	v_min_u32_e32 v4, 32, v4
	v_lshrrev_b16_e32 v2, 3, v2
	v_subrev_u32_e32 v6, 28, v4
	v_and_b32_e32 v2, 15, v2
	v_lshlrev_b32_e32 v6, v6, v9
	v_sub_u32_e32 v4, 29, v4
	v_and_b32_e32 v6, 7, v6
	v_cmp_eq_u16_e32 vcc, 0, v2
	v_cndmask_b32_e32 v3, v3, v6, vcc
	v_cndmask_b32_e32 v2, v2, v4, vcc
	v_lshlrev_b32_e32 v4, 24, v9
	v_mov_b32_e32 v6, 0x3b800000
	v_lshlrev_b32_e32 v3, 20, v3
	v_and_b32_e32 v4, 0x80000000, v4
	v_lshl_add_u32 v2, v2, 23, v6
	v_or3_b32 v2, v4, v2, v3
.LBB9_1636:
	s_or_b64 exec, exec, s[6:7]
	s_movk_i32 s4, 0x7f
	v_cmp_gt_i16_sdwa s[6:7], v5, s4 src0_sel:BYTE_0 src1_sel:DWORD
	s_mov_b64 s[4:5], 0
                                        ; implicit-def: $sgpr10
	s_and_saveexec_b64 s[8:9], s[6:7]
	s_xor_b64 s[6:7], exec, s[8:9]
	s_cbranch_execnz .LBB9_3685
; %bb.1637:
	s_or_saveexec_b64 s[6:7], s[6:7]
	v_mov_b32_e32 v3, s10
	s_xor_b64 exec, exec, s[6:7]
	s_cbranch_execnz .LBB9_3688
.LBB9_1638:
	s_or_b64 exec, exec, s[6:7]
	s_and_saveexec_b64 s[6:7], s[4:5]
	s_cbranch_execz .LBB9_1640
.LBB9_1639:
	v_mov_b32_e32 v3, 8
	v_and_b32_e32 v4, 7, v5
	v_lshrrev_b32_sdwa v3, v3, v5 dst_sel:BYTE_1 dst_unused:UNUSED_PAD src0_sel:DWORD src1_sel:DWORD
	v_ffbh_u32_e32 v6, v4
	v_or_b32_sdwa v3, v5, v3 dst_sel:DWORD dst_unused:UNUSED_PAD src0_sel:BYTE_0 src1_sel:DWORD
	v_min_u32_e32 v6, 32, v6
	v_lshrrev_b16_e32 v3, 3, v3
	v_subrev_u32_e32 v7, 28, v6
	v_and_b32_e32 v3, 15, v3
	v_lshlrev_b32_e32 v7, v7, v5
	v_sub_u32_e32 v6, 29, v6
	v_and_b32_e32 v7, 7, v7
	v_cmp_eq_u16_e32 vcc, 0, v3
	v_cndmask_b32_e32 v4, v4, v7, vcc
	v_cndmask_b32_e32 v3, v3, v6, vcc
	v_lshlrev_b32_e32 v6, 24, v5
	v_mov_b32_e32 v7, 0x3b800000
	v_lshlrev_b32_e32 v4, 20, v4
	v_and_b32_e32 v6, 0x80000000, v6
	v_lshl_add_u32 v3, v3, 23, v7
	v_or3_b32 v3, v6, v3, v4
.LBB9_1640:
	s_or_b64 exec, exec, s[6:7]
	s_nop 0
	v_mfma_f32_16x16x4f32 a[0:3], v2, v3, a[0:3]
	v_lshrrev_b32_e32 v3, 8, v9
	s_movk_i32 s4, 0x7f
	v_cmp_gt_i16_sdwa s[6:7], v3, s4 src0_sel:BYTE_0 src1_sel:DWORD
	s_mov_b64 s[4:5], 0
                                        ; implicit-def: $sgpr10
	s_and_saveexec_b64 s[8:9], s[6:7]
	s_xor_b64 s[6:7], exec, s[8:9]
	s_cbranch_execnz .LBB9_3689
; %bb.1641:
	s_or_saveexec_b64 s[6:7], s[6:7]
	v_mov_b32_e32 v2, s10
	s_xor_b64 exec, exec, s[6:7]
	s_cbranch_execnz .LBB9_3692
.LBB9_1642:
	s_or_b64 exec, exec, s[6:7]
	s_and_saveexec_b64 s[6:7], s[4:5]
	s_cbranch_execz .LBB9_1644
.LBB9_1643:
	v_bfe_u32 v2, v9, 8, 3
	v_ffbh_u32_e32 v6, v2
	v_min_u32_e32 v6, 32, v6
	v_lshrrev_b16_e32 v4, 3, v3
	v_subrev_u32_e32 v7, 28, v6
	v_and_b32_e32 v4, 15, v4
	v_lshlrev_b32_e32 v3, v7, v3
	v_sub_u32_e32 v6, 29, v6
	v_and_b32_e32 v3, 7, v3
	v_cmp_eq_u16_e32 vcc, 0, v4
	v_cndmask_b32_e32 v2, v2, v3, vcc
	v_cndmask_b32_e32 v3, v4, v6, vcc
	v_lshlrev_b32_e32 v4, 16, v9
	v_mov_b32_e32 v6, 0x3b800000
	v_lshlrev_b32_e32 v2, 20, v2
	v_and_b32_e32 v4, 0x80000000, v4
	v_lshl_add_u32 v3, v3, 23, v6
	v_or3_b32 v2, v4, v3, v2
.LBB9_1644:
	s_or_b64 exec, exec, s[6:7]
	v_lshrrev_b32_e32 v3, 8, v5
	s_movk_i32 s4, 0x7f
	v_cmp_gt_i16_sdwa s[6:7], v3, s4 src0_sel:BYTE_0 src1_sel:DWORD
	s_mov_b64 s[4:5], 0
                                        ; implicit-def: $sgpr10
	s_and_saveexec_b64 s[8:9], s[6:7]
	s_xor_b64 s[6:7], exec, s[8:9]
	s_cbranch_execnz .LBB9_3693
; %bb.1645:
	s_or_saveexec_b64 s[6:7], s[6:7]
	v_mov_b32_e32 v4, s10
	s_xor_b64 exec, exec, s[6:7]
	s_cbranch_execnz .LBB9_3696
.LBB9_1646:
	s_or_b64 exec, exec, s[6:7]
	s_and_saveexec_b64 s[6:7], s[4:5]
	s_cbranch_execz .LBB9_1648
.LBB9_1647:
	v_bfe_u32 v4, v5, 8, 3
	v_ffbh_u32_e32 v7, v4
	v_min_u32_e32 v7, 32, v7
	v_lshrrev_b16_e32 v6, 3, v3
	v_subrev_u32_e32 v8, 28, v7
	v_and_b32_e32 v6, 15, v6
	v_lshlrev_b32_e32 v3, v8, v3
	v_sub_u32_e32 v7, 29, v7
	v_and_b32_e32 v3, 7, v3
	v_cmp_eq_u16_e32 vcc, 0, v6
	v_cndmask_b32_e32 v3, v4, v3, vcc
	v_cndmask_b32_e32 v4, v6, v7, vcc
	v_lshlrev_b32_e32 v6, 16, v5
	v_mov_b32_e32 v7, 0x3b800000
	v_lshlrev_b32_e32 v3, 20, v3
	v_and_b32_e32 v6, 0x80000000, v6
	v_lshl_add_u32 v4, v4, 23, v7
	v_or3_b32 v4, v6, v4, v3
.LBB9_1648:
	s_or_b64 exec, exec, s[6:7]
	s_nop 0
	v_mfma_f32_16x16x4f32 a[0:3], v2, v4, a[0:3]
	s_movk_i32 s4, 0xff
	v_and_b32_sdwa v3, v9, s4 dst_sel:DWORD dst_unused:UNUSED_PAD src0_sel:WORD_1 src1_sel:DWORD
	s_movk_i32 s4, 0x7f
	v_cmp_lt_i16_e32 vcc, s4, v3
	s_mov_b64 s[4:5], 0
                                        ; implicit-def: $sgpr10
	s_and_saveexec_b64 s[6:7], vcc
	s_xor_b64 s[6:7], exec, s[6:7]
	s_cbranch_execnz .LBB9_3697
; %bb.1649:
	s_or_saveexec_b64 s[6:7], s[6:7]
	v_mov_b32_e32 v2, s10
	s_xor_b64 exec, exec, s[6:7]
	s_cbranch_execnz .LBB9_3700
.LBB9_1650:
	s_or_b64 exec, exec, s[6:7]
	s_and_saveexec_b64 s[6:7], s[4:5]
	s_cbranch_execz .LBB9_1652
.LBB9_1651:
	v_bfe_u32 v2, v9, 16, 3
	v_ffbh_u32_e32 v6, v2
	v_min_u32_e32 v6, 32, v6
	v_lshrrev_b32_e32 v3, 19, v9
	v_subrev_u32_e32 v7, 28, v6
	v_and_b32_e32 v3, 15, v3
	v_lshlrev_b32_sdwa v7, v7, v9 dst_sel:DWORD dst_unused:UNUSED_PAD src0_sel:DWORD src1_sel:WORD_1
	v_bfe_u32 v4, v9, 19, 4
	v_sub_u32_e32 v6, 29, v6
	v_and_b32_e32 v7, 7, v7
	v_cmp_eq_u16_e32 vcc, 0, v3
	v_cndmask_b32_e32 v2, v2, v7, vcc
	v_cndmask_b32_e32 v3, v4, v6, vcc
	v_lshlrev_b32_e32 v4, 8, v9
	v_mov_b32_e32 v6, 0x3b800000
	v_lshlrev_b32_e32 v2, 20, v2
	v_and_b32_e32 v4, 0x80000000, v4
	v_lshl_add_u32 v3, v3, 23, v6
	v_or3_b32 v2, v4, v3, v2
.LBB9_1652:
	s_or_b64 exec, exec, s[6:7]
	s_movk_i32 s4, 0xff
	v_and_b32_sdwa v3, v5, s4 dst_sel:DWORD dst_unused:UNUSED_PAD src0_sel:WORD_1 src1_sel:DWORD
	s_movk_i32 s4, 0x7f
	v_cmp_lt_i16_e32 vcc, s4, v3
	s_mov_b64 s[4:5], 0
                                        ; implicit-def: $sgpr10
	s_and_saveexec_b64 s[6:7], vcc
	s_xor_b64 s[6:7], exec, s[6:7]
	s_cbranch_execnz .LBB9_3701
; %bb.1653:
	s_or_saveexec_b64 s[6:7], s[6:7]
	v_mov_b32_e32 v4, s10
	s_xor_b64 exec, exec, s[6:7]
	s_cbranch_execnz .LBB9_3704
.LBB9_1654:
	s_or_b64 exec, exec, s[6:7]
	s_and_saveexec_b64 s[6:7], s[4:5]
	s_cbranch_execz .LBB9_1656
.LBB9_1655:
	v_bfe_u32 v3, v5, 16, 3
	v_ffbh_u32_e32 v7, v3
	v_min_u32_e32 v7, 32, v7
	v_lshrrev_b32_e32 v4, 19, v5
	v_subrev_u32_e32 v8, 28, v7
	v_and_b32_e32 v4, 15, v4
	v_lshlrev_b32_sdwa v8, v8, v5 dst_sel:DWORD dst_unused:UNUSED_PAD src0_sel:DWORD src1_sel:WORD_1
	v_bfe_u32 v6, v5, 19, 4
	v_sub_u32_e32 v7, 29, v7
	v_and_b32_e32 v8, 7, v8
	v_cmp_eq_u16_e32 vcc, 0, v4
	v_cndmask_b32_e32 v3, v3, v8, vcc
	v_cndmask_b32_e32 v4, v6, v7, vcc
	v_lshlrev_b32_e32 v6, 8, v5
	v_mov_b32_e32 v7, 0x3b800000
	v_lshlrev_b32_e32 v3, 20, v3
	v_and_b32_e32 v6, 0x80000000, v6
	v_lshl_add_u32 v4, v4, 23, v7
	v_or3_b32 v4, v6, v4, v3
.LBB9_1656:
	s_or_b64 exec, exec, s[6:7]
	s_nop 0
	v_mfma_f32_16x16x4f32 a[0:3], v2, v4, a[0:3]
	s_movk_i32 s4, 0x7f
	v_cmp_gt_i16_sdwa s[6:7], v9, s4 src0_sel:BYTE_3 src1_sel:DWORD
	s_mov_b64 s[4:5], 0
                                        ; implicit-def: $sgpr10
	s_and_saveexec_b64 s[8:9], s[6:7]
	s_xor_b64 s[6:7], exec, s[8:9]
	s_cbranch_execnz .LBB9_3705
; %bb.1657:
	s_or_saveexec_b64 s[6:7], s[6:7]
	v_mov_b32_e32 v2, s10
	s_xor_b64 exec, exec, s[6:7]
	s_cbranch_execnz .LBB9_3708
.LBB9_1658:
	s_or_b64 exec, exec, s[6:7]
	s_and_saveexec_b64 s[6:7], s[4:5]
	s_cbranch_execz .LBB9_1660
.LBB9_1659:
	v_bfe_u32 v2, v9, 24, 3
	v_ffbh_u32_e32 v7, v2
	v_min_u32_e32 v7, 32, v7
	v_lshrrev_b32_e32 v4, 27, v9
	v_subrev_u32_e32 v8, 28, v7
	v_and_b32_e32 v4, 15, v4
	v_lshlrev_b32_sdwa v8, v8, v9 dst_sel:DWORD dst_unused:UNUSED_PAD src0_sel:DWORD src1_sel:BYTE_3
	v_bfe_u32 v6, v9, 27, 4
	v_sub_u32_e32 v7, 29, v7
	v_and_b32_e32 v8, 7, v8
	v_cmp_eq_u16_e32 vcc, 0, v4
	v_cndmask_b32_e32 v2, v2, v8, vcc
	v_cndmask_b32_e32 v4, v6, v7, vcc
	v_mov_b32_e32 v6, 0x3b800000
	v_and_b32_e32 v3, 0x80000000, v9
	v_lshlrev_b32_e32 v2, 20, v2
	v_lshl_add_u32 v4, v4, 23, v6
	v_or3_b32 v2, v3, v4, v2
.LBB9_1660:
	s_or_b64 exec, exec, s[6:7]
	s_movk_i32 s4, 0x7f
	v_cmp_gt_i16_sdwa s[6:7], v5, s4 src0_sel:BYTE_3 src1_sel:DWORD
	s_mov_b64 s[4:5], 0
                                        ; implicit-def: $sgpr10
	s_and_saveexec_b64 s[8:9], s[6:7]
	s_xor_b64 s[6:7], exec, s[8:9]
	s_cbranch_execnz .LBB9_3709
; %bb.1661:
	s_or_saveexec_b64 s[6:7], s[6:7]
	v_mov_b32_e32 v3, s10
	s_xor_b64 exec, exec, s[6:7]
	s_cbranch_execnz .LBB9_3712
.LBB9_1662:
	s_or_b64 exec, exec, s[6:7]
	s_and_saveexec_b64 s[6:7], s[4:5]
	s_cbranch_execz .LBB9_1664
.LBB9_1663:
	v_bfe_u32 v3, v5, 24, 3
	v_ffbh_u32_e32 v8, v3
	v_min_u32_e32 v8, 32, v8
	v_lshrrev_b32_e32 v6, 27, v5
	v_subrev_u32_e32 v9, 28, v8
	v_and_b32_e32 v4, 0x80000000, v5
	v_and_b32_e32 v6, 15, v6
	v_bfe_u32 v7, v5, 27, 4
	v_lshlrev_b32_sdwa v5, v9, v5 dst_sel:DWORD dst_unused:UNUSED_PAD src0_sel:DWORD src1_sel:BYTE_3
	v_sub_u32_e32 v8, 29, v8
	v_and_b32_e32 v5, 7, v5
	v_cmp_eq_u16_e32 vcc, 0, v6
	v_cndmask_b32_e32 v3, v3, v5, vcc
	v_cndmask_b32_e32 v5, v7, v8, vcc
	v_mov_b32_e32 v6, 0x3b800000
	v_lshlrev_b32_e32 v3, 20, v3
	v_lshl_add_u32 v5, v5, 23, v6
	v_or3_b32 v3, v4, v5, v3
.LBB9_1664:
	s_or_b64 exec, exec, s[6:7]
	s_nop 0
	v_mfma_f32_16x16x4f32 a[0:3], v2, v3, a[0:3]
	s_movk_i32 s4, 0x7f
                                        ; implicit-def: $sgpr10
	s_nop 7
	s_nop 1
	flat_store_dwordx4 v[10:11], a[0:3] offset:192
	flat_load_dwordx4 v[12:15], v[0:1] offset:8
	s_nop 0
	flat_load_dwordx2 v[10:11], v[0:1] offset:32
	s_waitcnt vmcnt(0) lgkmcnt(0)
	flat_load_dwordx4 v[6:9], v[12:13] offset:112
	flat_load_dwordx4 v[2:5], v[14:15] offset:48
	s_waitcnt vmcnt(0) lgkmcnt(0)
	v_cmp_gt_i16_sdwa s[6:7], v6, s4 src0_sel:BYTE_0 src1_sel:DWORD
	s_mov_b64 s[4:5], 0
	s_and_saveexec_b64 s[8:9], s[6:7]
	s_xor_b64 s[6:7], exec, s[8:9]
	s_cbranch_execnz .LBB9_3713
; %bb.1665:
	s_or_saveexec_b64 s[6:7], s[6:7]
	v_mov_b32_e32 v12, s10
	s_xor_b64 exec, exec, s[6:7]
	s_cbranch_execnz .LBB9_3716
.LBB9_1666:
	s_or_b64 exec, exec, s[6:7]
	s_and_saveexec_b64 s[6:7], s[4:5]
	s_cbranch_execz .LBB9_1668
.LBB9_1667:
	v_and_b32_e32 v12, 7, v6
	v_ffbh_u32_e32 v14, v12
	v_min_u32_e32 v14, 32, v14
	v_lshrrev_b16_e32 v13, 3, v6
	v_subrev_u32_e32 v15, 28, v14
	v_and_b32_e32 v13, 15, v13
	v_lshlrev_b32_e32 v15, v15, v6
	v_sub_u32_e32 v14, 29, v14
	v_and_b32_e32 v15, 7, v15
	v_cmp_eq_u16_e32 vcc, 0, v13
	v_cndmask_b32_e32 v12, v12, v15, vcc
	v_cndmask_b32_e32 v13, v13, v14, vcc
	v_lshlrev_b32_e32 v14, 24, v6
	v_mov_b32_e32 v15, 0x3b800000
	v_lshlrev_b32_e32 v12, 20, v12
	v_and_b32_e32 v14, 0x80000000, v14
	v_lshl_add_u32 v13, v13, 23, v15
	v_or3_b32 v12, v14, v13, v12
.LBB9_1668:
	s_or_b64 exec, exec, s[6:7]
	s_movk_i32 s4, 0x7f
	v_cmp_gt_i16_sdwa s[6:7], v2, s4 src0_sel:BYTE_0 src1_sel:DWORD
	s_mov_b64 s[4:5], 0
                                        ; implicit-def: $sgpr10
	s_and_saveexec_b64 s[8:9], s[6:7]
	s_xor_b64 s[6:7], exec, s[8:9]
	s_cbranch_execnz .LBB9_3717
; %bb.1669:
	s_or_saveexec_b64 s[6:7], s[6:7]
	v_mov_b32_e32 v13, s10
	s_xor_b64 exec, exec, s[6:7]
	s_cbranch_execnz .LBB9_3720
.LBB9_1670:
	s_or_b64 exec, exec, s[6:7]
	s_and_saveexec_b64 s[6:7], s[4:5]
	s_cbranch_execz .LBB9_1672
.LBB9_1671:
	v_and_b32_e32 v13, 7, v2
	v_ffbh_u32_e32 v15, v13
	v_min_u32_e32 v15, 32, v15
	v_lshrrev_b16_e32 v14, 3, v2
	v_subrev_u32_e32 v16, 28, v15
	v_and_b32_e32 v14, 15, v14
	v_lshlrev_b32_e32 v16, v16, v2
	v_sub_u32_e32 v15, 29, v15
	v_and_b32_e32 v16, 7, v16
	v_cmp_eq_u16_e32 vcc, 0, v14
	v_cndmask_b32_e32 v13, v13, v16, vcc
	v_cndmask_b32_e32 v14, v14, v15, vcc
	v_lshlrev_b32_e32 v15, 24, v2
	v_mov_b32_e32 v16, 0x3b800000
	v_lshlrev_b32_e32 v13, 20, v13
	v_and_b32_e32 v15, 0x80000000, v15
	v_lshl_add_u32 v14, v14, 23, v16
	v_or3_b32 v13, v15, v14, v13
.LBB9_1672:
	s_or_b64 exec, exec, s[6:7]
	flat_load_dwordx4 a[0:3], v[10:11] offset:208
	s_movk_i32 s4, 0x7f
                                        ; implicit-def: $sgpr10
	s_waitcnt vmcnt(0) lgkmcnt(0)
	v_mfma_f32_16x16x4f32 a[0:3], v12, v13, a[0:3]
	v_lshrrev_b32_e32 v13, 8, v6
	v_cmp_gt_i16_sdwa s[6:7], v13, s4 src0_sel:BYTE_0 src1_sel:DWORD
	s_mov_b64 s[4:5], 0
	s_and_saveexec_b64 s[8:9], s[6:7]
	s_xor_b64 s[6:7], exec, s[8:9]
	s_cbranch_execnz .LBB9_3721
; %bb.1673:
	s_or_saveexec_b64 s[6:7], s[6:7]
	v_mov_b32_e32 v12, s10
	s_xor_b64 exec, exec, s[6:7]
	s_cbranch_execnz .LBB9_3724
.LBB9_1674:
	s_or_b64 exec, exec, s[6:7]
	s_and_saveexec_b64 s[6:7], s[4:5]
	s_cbranch_execz .LBB9_1676
.LBB9_1675:
	v_bfe_u32 v12, v6, 8, 3
	v_ffbh_u32_e32 v15, v12
	v_min_u32_e32 v15, 32, v15
	v_lshrrev_b16_e32 v14, 3, v13
	v_subrev_u32_e32 v16, 28, v15
	v_and_b32_e32 v14, 15, v14
	v_lshlrev_b32_e32 v13, v16, v13
	v_sub_u32_e32 v15, 29, v15
	v_and_b32_e32 v13, 7, v13
	v_cmp_eq_u16_e32 vcc, 0, v14
	v_cndmask_b32_e32 v12, v12, v13, vcc
	v_cndmask_b32_e32 v13, v14, v15, vcc
	v_lshlrev_b32_e32 v14, 16, v6
	v_mov_b32_e32 v15, 0x3b800000
	v_lshlrev_b32_e32 v12, 20, v12
	v_and_b32_e32 v14, 0x80000000, v14
	v_lshl_add_u32 v13, v13, 23, v15
	v_or3_b32 v12, v14, v13, v12
.LBB9_1676:
	s_or_b64 exec, exec, s[6:7]
	v_lshrrev_b32_e32 v13, 8, v2
	s_movk_i32 s4, 0x7f
	v_cmp_gt_i16_sdwa s[6:7], v13, s4 src0_sel:BYTE_0 src1_sel:DWORD
	s_mov_b64 s[4:5], 0
                                        ; implicit-def: $sgpr10
	s_and_saveexec_b64 s[8:9], s[6:7]
	s_xor_b64 s[6:7], exec, s[8:9]
	s_cbranch_execnz .LBB9_3725
; %bb.1677:
	s_or_saveexec_b64 s[6:7], s[6:7]
	v_mov_b32_e32 v14, s10
	s_xor_b64 exec, exec, s[6:7]
	s_cbranch_execnz .LBB9_3728
.LBB9_1678:
	s_or_b64 exec, exec, s[6:7]
	s_and_saveexec_b64 s[6:7], s[4:5]
	s_cbranch_execz .LBB9_1680
.LBB9_1679:
	v_bfe_u32 v14, v2, 8, 3
	v_ffbh_u32_e32 v16, v14
	v_min_u32_e32 v16, 32, v16
	v_lshrrev_b16_e32 v15, 3, v13
	v_subrev_u32_e32 v17, 28, v16
	v_and_b32_e32 v15, 15, v15
	v_lshlrev_b32_e32 v13, v17, v13
	v_sub_u32_e32 v16, 29, v16
	v_and_b32_e32 v13, 7, v13
	v_cmp_eq_u16_e32 vcc, 0, v15
	v_cndmask_b32_e32 v13, v14, v13, vcc
	v_cndmask_b32_e32 v14, v15, v16, vcc
	v_lshlrev_b32_e32 v15, 16, v2
	v_mov_b32_e32 v16, 0x3b800000
	v_lshlrev_b32_e32 v13, 20, v13
	v_and_b32_e32 v15, 0x80000000, v15
	v_lshl_add_u32 v14, v14, 23, v16
	v_or3_b32 v14, v15, v14, v13
.LBB9_1680:
	s_or_b64 exec, exec, s[6:7]
	s_nop 0
	v_mfma_f32_16x16x4f32 a[0:3], v12, v14, a[0:3]
	s_movk_i32 s4, 0xff
	v_and_b32_sdwa v13, v6, s4 dst_sel:DWORD dst_unused:UNUSED_PAD src0_sel:WORD_1 src1_sel:DWORD
	s_movk_i32 s4, 0x7f
	v_cmp_lt_i16_e32 vcc, s4, v13
	s_mov_b64 s[4:5], 0
                                        ; implicit-def: $sgpr10
	s_and_saveexec_b64 s[6:7], vcc
	s_xor_b64 s[6:7], exec, s[6:7]
	s_cbranch_execnz .LBB9_3729
; %bb.1681:
	s_or_saveexec_b64 s[6:7], s[6:7]
	v_mov_b32_e32 v12, s10
	s_xor_b64 exec, exec, s[6:7]
	s_cbranch_execnz .LBB9_3732
.LBB9_1682:
	s_or_b64 exec, exec, s[6:7]
	s_and_saveexec_b64 s[6:7], s[4:5]
	s_cbranch_execz .LBB9_1684
.LBB9_1683:
	v_bfe_u32 v12, v6, 16, 3
	v_ffbh_u32_e32 v15, v12
	v_min_u32_e32 v15, 32, v15
	v_lshrrev_b32_e32 v13, 19, v6
	v_subrev_u32_e32 v16, 28, v15
	v_and_b32_e32 v13, 15, v13
	v_lshlrev_b32_sdwa v16, v16, v6 dst_sel:DWORD dst_unused:UNUSED_PAD src0_sel:DWORD src1_sel:WORD_1
	v_bfe_u32 v14, v6, 19, 4
	v_sub_u32_e32 v15, 29, v15
	v_and_b32_e32 v16, 7, v16
	v_cmp_eq_u16_e32 vcc, 0, v13
	v_cndmask_b32_e32 v12, v12, v16, vcc
	v_cndmask_b32_e32 v13, v14, v15, vcc
	v_lshlrev_b32_e32 v14, 8, v6
	v_mov_b32_e32 v15, 0x3b800000
	v_lshlrev_b32_e32 v12, 20, v12
	v_and_b32_e32 v14, 0x80000000, v14
	v_lshl_add_u32 v13, v13, 23, v15
	v_or3_b32 v12, v14, v13, v12
.LBB9_1684:
	s_or_b64 exec, exec, s[6:7]
	s_movk_i32 s4, 0xff
	v_and_b32_sdwa v13, v2, s4 dst_sel:DWORD dst_unused:UNUSED_PAD src0_sel:WORD_1 src1_sel:DWORD
	s_movk_i32 s4, 0x7f
	v_cmp_lt_i16_e32 vcc, s4, v13
	s_mov_b64 s[4:5], 0
                                        ; implicit-def: $sgpr10
	s_and_saveexec_b64 s[6:7], vcc
	s_xor_b64 s[6:7], exec, s[6:7]
	s_cbranch_execnz .LBB9_3733
; %bb.1685:
	s_or_saveexec_b64 s[6:7], s[6:7]
	v_mov_b32_e32 v14, s10
	s_xor_b64 exec, exec, s[6:7]
	s_cbranch_execnz .LBB9_3736
.LBB9_1686:
	s_or_b64 exec, exec, s[6:7]
	s_and_saveexec_b64 s[6:7], s[4:5]
	s_cbranch_execz .LBB9_1688
.LBB9_1687:
	v_bfe_u32 v13, v2, 16, 3
	v_ffbh_u32_e32 v16, v13
	v_min_u32_e32 v16, 32, v16
	v_lshrrev_b32_e32 v14, 19, v2
	v_subrev_u32_e32 v17, 28, v16
	v_and_b32_e32 v14, 15, v14
	v_lshlrev_b32_sdwa v17, v17, v2 dst_sel:DWORD dst_unused:UNUSED_PAD src0_sel:DWORD src1_sel:WORD_1
	v_bfe_u32 v15, v2, 19, 4
	v_sub_u32_e32 v16, 29, v16
	v_and_b32_e32 v17, 7, v17
	v_cmp_eq_u16_e32 vcc, 0, v14
	v_cndmask_b32_e32 v13, v13, v17, vcc
	v_cndmask_b32_e32 v14, v15, v16, vcc
	v_lshlrev_b32_e32 v15, 8, v2
	v_mov_b32_e32 v16, 0x3b800000
	v_lshlrev_b32_e32 v13, 20, v13
	v_and_b32_e32 v15, 0x80000000, v15
	v_lshl_add_u32 v14, v14, 23, v16
	v_or3_b32 v14, v15, v14, v13
.LBB9_1688:
	s_or_b64 exec, exec, s[6:7]
	s_nop 0
	v_mfma_f32_16x16x4f32 a[0:3], v12, v14, a[0:3]
	s_movk_i32 s4, 0x7f
	v_cmp_gt_i16_sdwa s[6:7], v6, s4 src0_sel:BYTE_3 src1_sel:DWORD
	s_mov_b64 s[4:5], 0
                                        ; implicit-def: $sgpr10
	s_and_saveexec_b64 s[8:9], s[6:7]
	s_xor_b64 s[6:7], exec, s[8:9]
	s_cbranch_execnz .LBB9_3737
; %bb.1689:
	s_or_saveexec_b64 s[6:7], s[6:7]
	v_mov_b32_e32 v12, s10
	s_xor_b64 exec, exec, s[6:7]
	s_cbranch_execnz .LBB9_3740
.LBB9_1690:
	s_or_b64 exec, exec, s[6:7]
	s_and_saveexec_b64 s[6:7], s[4:5]
	s_cbranch_execz .LBB9_1692
.LBB9_1691:
	v_bfe_u32 v12, v6, 24, 3
	v_ffbh_u32_e32 v16, v12
	v_min_u32_e32 v16, 32, v16
	v_lshrrev_b32_e32 v14, 27, v6
	v_subrev_u32_e32 v17, 28, v16
	v_and_b32_e32 v13, 0x80000000, v6
	v_and_b32_e32 v14, 15, v14
	v_bfe_u32 v15, v6, 27, 4
	v_lshlrev_b32_sdwa v6, v17, v6 dst_sel:DWORD dst_unused:UNUSED_PAD src0_sel:DWORD src1_sel:BYTE_3
	v_sub_u32_e32 v16, 29, v16
	v_and_b32_e32 v6, 7, v6
	v_cmp_eq_u16_e32 vcc, 0, v14
	v_cndmask_b32_e32 v6, v12, v6, vcc
	v_cndmask_b32_e32 v12, v15, v16, vcc
	v_mov_b32_e32 v14, 0x3b800000
	v_lshlrev_b32_e32 v6, 20, v6
	v_lshl_add_u32 v12, v12, 23, v14
	v_or3_b32 v12, v13, v12, v6
.LBB9_1692:
	s_or_b64 exec, exec, s[6:7]
	s_movk_i32 s4, 0x7f
	v_cmp_gt_i16_sdwa s[6:7], v2, s4 src0_sel:BYTE_3 src1_sel:DWORD
	s_mov_b64 s[4:5], 0
                                        ; implicit-def: $sgpr10
	s_and_saveexec_b64 s[8:9], s[6:7]
	s_xor_b64 s[6:7], exec, s[8:9]
	s_cbranch_execnz .LBB9_3741
; %bb.1693:
	s_or_saveexec_b64 s[6:7], s[6:7]
	v_mov_b32_e32 v6, s10
	s_xor_b64 exec, exec, s[6:7]
	s_cbranch_execnz .LBB9_3744
.LBB9_1694:
	s_or_b64 exec, exec, s[6:7]
	s_and_saveexec_b64 s[6:7], s[4:5]
	s_cbranch_execz .LBB9_1696
.LBB9_1695:
	v_bfe_u32 v6, v2, 24, 3
	v_ffbh_u32_e32 v16, v6
	v_min_u32_e32 v16, 32, v16
	v_lshrrev_b32_e32 v14, 27, v2
	v_subrev_u32_e32 v17, 28, v16
	v_and_b32_e32 v13, 0x80000000, v2
	v_and_b32_e32 v14, 15, v14
	v_bfe_u32 v15, v2, 27, 4
	v_lshlrev_b32_sdwa v2, v17, v2 dst_sel:DWORD dst_unused:UNUSED_PAD src0_sel:DWORD src1_sel:BYTE_3
	v_sub_u32_e32 v16, 29, v16
	v_and_b32_e32 v2, 7, v2
	v_cmp_eq_u16_e32 vcc, 0, v14
	v_cndmask_b32_e32 v2, v6, v2, vcc
	v_cndmask_b32_e32 v6, v15, v16, vcc
	v_mov_b32_e32 v14, 0x3b800000
	v_lshlrev_b32_e32 v2, 20, v2
	v_lshl_add_u32 v6, v6, 23, v14
	v_or3_b32 v6, v13, v6, v2
.LBB9_1696:
	s_or_b64 exec, exec, s[6:7]
	s_nop 0
	v_mfma_f32_16x16x4f32 a[0:3], v12, v6, a[0:3]
	s_movk_i32 s4, 0x7f
	v_cmp_gt_i16_sdwa s[6:7], v7, s4 src0_sel:BYTE_0 src1_sel:DWORD
	s_mov_b64 s[4:5], 0
                                        ; implicit-def: $sgpr10
	s_and_saveexec_b64 s[8:9], s[6:7]
	s_xor_b64 s[6:7], exec, s[8:9]
	s_cbranch_execnz .LBB9_3745
; %bb.1697:
	s_or_saveexec_b64 s[6:7], s[6:7]
	v_mov_b32_e32 v2, s10
	s_xor_b64 exec, exec, s[6:7]
	s_cbranch_execnz .LBB9_3748
.LBB9_1698:
	s_or_b64 exec, exec, s[6:7]
	s_and_saveexec_b64 s[6:7], s[4:5]
	s_cbranch_execz .LBB9_1700
.LBB9_1699:
	v_and_b32_e32 v2, 7, v7
	v_ffbh_u32_e32 v12, v2
	v_min_u32_e32 v12, 32, v12
	v_lshrrev_b16_e32 v6, 3, v7
	v_subrev_u32_e32 v13, 28, v12
	v_and_b32_e32 v6, 15, v6
	v_lshlrev_b32_e32 v13, v13, v7
	v_sub_u32_e32 v12, 29, v12
	v_and_b32_e32 v13, 7, v13
	v_cmp_eq_u16_e32 vcc, 0, v6
	v_cndmask_b32_e32 v2, v2, v13, vcc
	v_cndmask_b32_e32 v6, v6, v12, vcc
	v_lshlrev_b32_e32 v12, 24, v7
	v_mov_b32_e32 v13, 0x3b800000
	v_lshlrev_b32_e32 v2, 20, v2
	v_and_b32_e32 v12, 0x80000000, v12
	v_lshl_add_u32 v6, v6, 23, v13
	v_or3_b32 v2, v12, v6, v2
.LBB9_1700:
	s_or_b64 exec, exec, s[6:7]
	s_movk_i32 s4, 0x7f
	v_cmp_gt_i16_sdwa s[6:7], v3, s4 src0_sel:BYTE_0 src1_sel:DWORD
	s_mov_b64 s[4:5], 0
                                        ; implicit-def: $sgpr10
	s_and_saveexec_b64 s[8:9], s[6:7]
	s_xor_b64 s[6:7], exec, s[8:9]
	s_cbranch_execnz .LBB9_3749
; %bb.1701:
	s_or_saveexec_b64 s[6:7], s[6:7]
	v_mov_b32_e32 v6, s10
	s_xor_b64 exec, exec, s[6:7]
	s_cbranch_execnz .LBB9_3752
.LBB9_1702:
	s_or_b64 exec, exec, s[6:7]
	s_and_saveexec_b64 s[6:7], s[4:5]
	s_cbranch_execz .LBB9_1704
.LBB9_1703:
	v_and_b32_e32 v6, 7, v3
	v_ffbh_u32_e32 v13, v6
	v_min_u32_e32 v13, 32, v13
	v_lshrrev_b16_e32 v12, 3, v3
	v_subrev_u32_e32 v14, 28, v13
	v_and_b32_e32 v12, 15, v12
	v_lshlrev_b32_e32 v14, v14, v3
	v_sub_u32_e32 v13, 29, v13
	v_and_b32_e32 v14, 7, v14
	v_cmp_eq_u16_e32 vcc, 0, v12
	v_cndmask_b32_e32 v6, v6, v14, vcc
	v_cndmask_b32_e32 v12, v12, v13, vcc
	v_lshlrev_b32_e32 v13, 24, v3
	v_mov_b32_e32 v14, 0x3b800000
	v_lshlrev_b32_e32 v6, 20, v6
	v_and_b32_e32 v13, 0x80000000, v13
	v_lshl_add_u32 v12, v12, 23, v14
	v_or3_b32 v6, v13, v12, v6
.LBB9_1704:
	s_or_b64 exec, exec, s[6:7]
	s_nop 0
	v_mfma_f32_16x16x4f32 a[0:3], v2, v6, a[0:3]
	v_lshrrev_b32_e32 v6, 8, v7
	s_movk_i32 s4, 0x7f
	v_cmp_gt_i16_sdwa s[6:7], v6, s4 src0_sel:BYTE_0 src1_sel:DWORD
	s_mov_b64 s[4:5], 0
                                        ; implicit-def: $sgpr10
	s_and_saveexec_b64 s[8:9], s[6:7]
	s_xor_b64 s[6:7], exec, s[8:9]
	s_cbranch_execnz .LBB9_3753
; %bb.1705:
	s_or_saveexec_b64 s[6:7], s[6:7]
	v_mov_b32_e32 v2, s10
	s_xor_b64 exec, exec, s[6:7]
	s_cbranch_execnz .LBB9_3756
.LBB9_1706:
	s_or_b64 exec, exec, s[6:7]
	s_and_saveexec_b64 s[6:7], s[4:5]
	s_cbranch_execz .LBB9_1708
.LBB9_1707:
	v_bfe_u32 v2, v7, 8, 3
	v_ffbh_u32_e32 v13, v2
	v_min_u32_e32 v13, 32, v13
	v_lshrrev_b16_e32 v12, 3, v6
	v_subrev_u32_e32 v14, 28, v13
	v_and_b32_e32 v12, 15, v12
	v_lshlrev_b32_e32 v6, v14, v6
	v_sub_u32_e32 v13, 29, v13
	v_and_b32_e32 v6, 7, v6
	v_cmp_eq_u16_e32 vcc, 0, v12
	v_cndmask_b32_e32 v2, v2, v6, vcc
	v_cndmask_b32_e32 v6, v12, v13, vcc
	v_lshlrev_b32_e32 v12, 16, v7
	v_mov_b32_e32 v13, 0x3b800000
	v_lshlrev_b32_e32 v2, 20, v2
	v_and_b32_e32 v12, 0x80000000, v12
	v_lshl_add_u32 v6, v6, 23, v13
	v_or3_b32 v2, v12, v6, v2
.LBB9_1708:
	s_or_b64 exec, exec, s[6:7]
	v_lshrrev_b32_e32 v6, 8, v3
	s_movk_i32 s4, 0x7f
	v_cmp_gt_i16_sdwa s[6:7], v6, s4 src0_sel:BYTE_0 src1_sel:DWORD
	s_mov_b64 s[4:5], 0
                                        ; implicit-def: $sgpr10
	s_and_saveexec_b64 s[8:9], s[6:7]
	s_xor_b64 s[6:7], exec, s[8:9]
	s_cbranch_execnz .LBB9_3757
; %bb.1709:
	s_or_saveexec_b64 s[6:7], s[6:7]
	v_mov_b32_e32 v12, s10
	s_xor_b64 exec, exec, s[6:7]
	s_cbranch_execnz .LBB9_3760
.LBB9_1710:
	s_or_b64 exec, exec, s[6:7]
	s_and_saveexec_b64 s[6:7], s[4:5]
	s_cbranch_execz .LBB9_1712
.LBB9_1711:
	v_bfe_u32 v12, v3, 8, 3
	v_ffbh_u32_e32 v14, v12
	v_min_u32_e32 v14, 32, v14
	v_lshrrev_b16_e32 v13, 3, v6
	v_subrev_u32_e32 v15, 28, v14
	v_and_b32_e32 v13, 15, v13
	v_lshlrev_b32_e32 v6, v15, v6
	v_sub_u32_e32 v14, 29, v14
	v_and_b32_e32 v6, 7, v6
	v_cmp_eq_u16_e32 vcc, 0, v13
	v_cndmask_b32_e32 v6, v12, v6, vcc
	v_cndmask_b32_e32 v12, v13, v14, vcc
	v_lshlrev_b32_e32 v13, 16, v3
	v_mov_b32_e32 v14, 0x3b800000
	v_lshlrev_b32_e32 v6, 20, v6
	v_and_b32_e32 v13, 0x80000000, v13
	v_lshl_add_u32 v12, v12, 23, v14
	v_or3_b32 v12, v13, v12, v6
.LBB9_1712:
	s_or_b64 exec, exec, s[6:7]
	s_nop 0
	v_mfma_f32_16x16x4f32 a[0:3], v2, v12, a[0:3]
	s_movk_i32 s4, 0xff
	v_and_b32_sdwa v6, v7, s4 dst_sel:DWORD dst_unused:UNUSED_PAD src0_sel:WORD_1 src1_sel:DWORD
	s_movk_i32 s4, 0x7f
	v_cmp_lt_i16_e32 vcc, s4, v6
	s_mov_b64 s[4:5], 0
                                        ; implicit-def: $sgpr10
	s_and_saveexec_b64 s[6:7], vcc
	s_xor_b64 s[6:7], exec, s[6:7]
	s_cbranch_execnz .LBB9_3761
; %bb.1713:
	s_or_saveexec_b64 s[6:7], s[6:7]
	v_mov_b32_e32 v2, s10
	s_xor_b64 exec, exec, s[6:7]
	s_cbranch_execnz .LBB9_3764
.LBB9_1714:
	s_or_b64 exec, exec, s[6:7]
	s_and_saveexec_b64 s[6:7], s[4:5]
	s_cbranch_execz .LBB9_1716
.LBB9_1715:
	v_bfe_u32 v2, v7, 16, 3
	v_ffbh_u32_e32 v13, v2
	v_min_u32_e32 v13, 32, v13
	v_lshrrev_b32_e32 v6, 19, v7
	v_subrev_u32_e32 v14, 28, v13
	v_and_b32_e32 v6, 15, v6
	v_lshlrev_b32_sdwa v14, v14, v7 dst_sel:DWORD dst_unused:UNUSED_PAD src0_sel:DWORD src1_sel:WORD_1
	v_bfe_u32 v12, v7, 19, 4
	v_sub_u32_e32 v13, 29, v13
	v_and_b32_e32 v14, 7, v14
	v_cmp_eq_u16_e32 vcc, 0, v6
	v_cndmask_b32_e32 v2, v2, v14, vcc
	v_cndmask_b32_e32 v6, v12, v13, vcc
	v_lshlrev_b32_e32 v12, 8, v7
	v_mov_b32_e32 v13, 0x3b800000
	v_lshlrev_b32_e32 v2, 20, v2
	v_and_b32_e32 v12, 0x80000000, v12
	v_lshl_add_u32 v6, v6, 23, v13
	v_or3_b32 v2, v12, v6, v2
.LBB9_1716:
	s_or_b64 exec, exec, s[6:7]
	s_movk_i32 s4, 0xff
	v_and_b32_sdwa v6, v3, s4 dst_sel:DWORD dst_unused:UNUSED_PAD src0_sel:WORD_1 src1_sel:DWORD
	s_movk_i32 s4, 0x7f
	v_cmp_lt_i16_e32 vcc, s4, v6
	s_mov_b64 s[4:5], 0
                                        ; implicit-def: $sgpr10
	s_and_saveexec_b64 s[6:7], vcc
	s_xor_b64 s[6:7], exec, s[6:7]
	s_cbranch_execnz .LBB9_3765
; %bb.1717:
	s_or_saveexec_b64 s[6:7], s[6:7]
	v_mov_b32_e32 v12, s10
	s_xor_b64 exec, exec, s[6:7]
	s_cbranch_execnz .LBB9_3768
.LBB9_1718:
	s_or_b64 exec, exec, s[6:7]
	s_and_saveexec_b64 s[6:7], s[4:5]
	s_cbranch_execz .LBB9_1720
.LBB9_1719:
	v_bfe_u32 v6, v3, 16, 3
	v_ffbh_u32_e32 v14, v6
	v_min_u32_e32 v14, 32, v14
	v_lshrrev_b32_e32 v12, 19, v3
	v_subrev_u32_e32 v15, 28, v14
	v_and_b32_e32 v12, 15, v12
	v_lshlrev_b32_sdwa v15, v15, v3 dst_sel:DWORD dst_unused:UNUSED_PAD src0_sel:DWORD src1_sel:WORD_1
	v_bfe_u32 v13, v3, 19, 4
	v_sub_u32_e32 v14, 29, v14
	v_and_b32_e32 v15, 7, v15
	v_cmp_eq_u16_e32 vcc, 0, v12
	v_cndmask_b32_e32 v6, v6, v15, vcc
	v_cndmask_b32_e32 v12, v13, v14, vcc
	v_lshlrev_b32_e32 v13, 8, v3
	v_mov_b32_e32 v14, 0x3b800000
	v_lshlrev_b32_e32 v6, 20, v6
	v_and_b32_e32 v13, 0x80000000, v13
	v_lshl_add_u32 v12, v12, 23, v14
	v_or3_b32 v12, v13, v12, v6
.LBB9_1720:
	s_or_b64 exec, exec, s[6:7]
	s_nop 0
	v_mfma_f32_16x16x4f32 a[0:3], v2, v12, a[0:3]
	s_movk_i32 s4, 0x7f
	v_cmp_gt_i16_sdwa s[6:7], v7, s4 src0_sel:BYTE_3 src1_sel:DWORD
	s_mov_b64 s[4:5], 0
                                        ; implicit-def: $sgpr10
	s_and_saveexec_b64 s[8:9], s[6:7]
	s_xor_b64 s[6:7], exec, s[8:9]
	s_cbranch_execnz .LBB9_3769
; %bb.1721:
	s_or_saveexec_b64 s[6:7], s[6:7]
	v_mov_b32_e32 v2, s10
	s_xor_b64 exec, exec, s[6:7]
	s_cbranch_execnz .LBB9_3772
.LBB9_1722:
	s_or_b64 exec, exec, s[6:7]
	s_and_saveexec_b64 s[6:7], s[4:5]
	s_cbranch_execz .LBB9_1724
.LBB9_1723:
	v_bfe_u32 v2, v7, 24, 3
	v_ffbh_u32_e32 v14, v2
	v_min_u32_e32 v14, 32, v14
	v_lshrrev_b32_e32 v12, 27, v7
	v_subrev_u32_e32 v15, 28, v14
	v_and_b32_e32 v6, 0x80000000, v7
	v_and_b32_e32 v12, 15, v12
	v_bfe_u32 v13, v7, 27, 4
	v_lshlrev_b32_sdwa v7, v15, v7 dst_sel:DWORD dst_unused:UNUSED_PAD src0_sel:DWORD src1_sel:BYTE_3
	v_sub_u32_e32 v14, 29, v14
	v_and_b32_e32 v7, 7, v7
	v_cmp_eq_u16_e32 vcc, 0, v12
	v_cndmask_b32_e32 v2, v2, v7, vcc
	v_cndmask_b32_e32 v7, v13, v14, vcc
	v_mov_b32_e32 v12, 0x3b800000
	v_lshlrev_b32_e32 v2, 20, v2
	v_lshl_add_u32 v7, v7, 23, v12
	v_or3_b32 v2, v6, v7, v2
.LBB9_1724:
	s_or_b64 exec, exec, s[6:7]
	s_movk_i32 s4, 0x7f
	v_cmp_gt_i16_sdwa s[6:7], v3, s4 src0_sel:BYTE_3 src1_sel:DWORD
	s_mov_b64 s[4:5], 0
                                        ; implicit-def: $sgpr10
	s_and_saveexec_b64 s[8:9], s[6:7]
	s_xor_b64 s[6:7], exec, s[8:9]
	s_cbranch_execnz .LBB9_3773
; %bb.1725:
	s_or_saveexec_b64 s[6:7], s[6:7]
	v_mov_b32_e32 v6, s10
	s_xor_b64 exec, exec, s[6:7]
	s_cbranch_execnz .LBB9_3776
.LBB9_1726:
	s_or_b64 exec, exec, s[6:7]
	s_and_saveexec_b64 s[6:7], s[4:5]
	s_cbranch_execz .LBB9_1728
.LBB9_1727:
	v_bfe_u32 v6, v3, 24, 3
	v_ffbh_u32_e32 v14, v6
	v_min_u32_e32 v14, 32, v14
	v_lshrrev_b32_e32 v12, 27, v3
	v_subrev_u32_e32 v15, 28, v14
	v_and_b32_e32 v7, 0x80000000, v3
	v_and_b32_e32 v12, 15, v12
	v_bfe_u32 v13, v3, 27, 4
	v_lshlrev_b32_sdwa v3, v15, v3 dst_sel:DWORD dst_unused:UNUSED_PAD src0_sel:DWORD src1_sel:BYTE_3
	v_sub_u32_e32 v14, 29, v14
	v_and_b32_e32 v3, 7, v3
	v_cmp_eq_u16_e32 vcc, 0, v12
	v_cndmask_b32_e32 v3, v6, v3, vcc
	v_cndmask_b32_e32 v6, v13, v14, vcc
	v_mov_b32_e32 v12, 0x3b800000
	v_lshlrev_b32_e32 v3, 20, v3
	v_lshl_add_u32 v6, v6, 23, v12
	v_or3_b32 v6, v7, v6, v3
.LBB9_1728:
	s_or_b64 exec, exec, s[6:7]
	s_nop 0
	v_mfma_f32_16x16x4f32 a[0:3], v2, v6, a[0:3]
	s_movk_i32 s4, 0x7f
	v_cmp_gt_i16_sdwa s[6:7], v8, s4 src0_sel:BYTE_0 src1_sel:DWORD
	s_mov_b64 s[4:5], 0
                                        ; implicit-def: $sgpr10
	s_and_saveexec_b64 s[8:9], s[6:7]
	s_xor_b64 s[6:7], exec, s[8:9]
	s_cbranch_execnz .LBB9_3777
; %bb.1729:
	s_or_saveexec_b64 s[6:7], s[6:7]
	v_mov_b32_e32 v2, s10
	s_xor_b64 exec, exec, s[6:7]
	s_cbranch_execnz .LBB9_3780
.LBB9_1730:
	s_or_b64 exec, exec, s[6:7]
	s_and_saveexec_b64 s[6:7], s[4:5]
	s_cbranch_execz .LBB9_1732
.LBB9_1731:
	v_and_b32_e32 v2, 7, v8
	v_ffbh_u32_e32 v6, v2
	v_min_u32_e32 v6, 32, v6
	v_lshrrev_b16_e32 v3, 3, v8
	v_subrev_u32_e32 v7, 28, v6
	v_and_b32_e32 v3, 15, v3
	v_lshlrev_b32_e32 v7, v7, v8
	v_sub_u32_e32 v6, 29, v6
	v_and_b32_e32 v7, 7, v7
	v_cmp_eq_u16_e32 vcc, 0, v3
	v_cndmask_b32_e32 v2, v2, v7, vcc
	v_cndmask_b32_e32 v3, v3, v6, vcc
	v_lshlrev_b32_e32 v6, 24, v8
	v_mov_b32_e32 v7, 0x3b800000
	v_lshlrev_b32_e32 v2, 20, v2
	v_and_b32_e32 v6, 0x80000000, v6
	v_lshl_add_u32 v3, v3, 23, v7
	v_or3_b32 v2, v6, v3, v2
.LBB9_1732:
	s_or_b64 exec, exec, s[6:7]
	s_movk_i32 s4, 0x7f
	v_cmp_gt_i16_sdwa s[6:7], v4, s4 src0_sel:BYTE_0 src1_sel:DWORD
	s_mov_b64 s[4:5], 0
                                        ; implicit-def: $sgpr10
	s_and_saveexec_b64 s[8:9], s[6:7]
	s_xor_b64 s[6:7], exec, s[8:9]
	s_cbranch_execnz .LBB9_3781
; %bb.1733:
	s_or_saveexec_b64 s[6:7], s[6:7]
	v_mov_b32_e32 v3, s10
	s_xor_b64 exec, exec, s[6:7]
	s_cbranch_execnz .LBB9_3784
.LBB9_1734:
	s_or_b64 exec, exec, s[6:7]
	s_and_saveexec_b64 s[6:7], s[4:5]
	s_cbranch_execz .LBB9_1736
.LBB9_1735:
	v_and_b32_e32 v3, 7, v4
	v_ffbh_u32_e32 v7, v3
	v_min_u32_e32 v7, 32, v7
	v_lshrrev_b16_e32 v6, 3, v4
	v_subrev_u32_e32 v12, 28, v7
	v_and_b32_e32 v6, 15, v6
	v_lshlrev_b32_e32 v12, v12, v4
	v_sub_u32_e32 v7, 29, v7
	v_and_b32_e32 v12, 7, v12
	v_cmp_eq_u16_e32 vcc, 0, v6
	v_cndmask_b32_e32 v3, v3, v12, vcc
	v_cndmask_b32_e32 v6, v6, v7, vcc
	v_lshlrev_b32_e32 v7, 24, v4
	v_mov_b32_e32 v12, 0x3b800000
	v_lshlrev_b32_e32 v3, 20, v3
	v_and_b32_e32 v7, 0x80000000, v7
	v_lshl_add_u32 v6, v6, 23, v12
	v_or3_b32 v3, v7, v6, v3
.LBB9_1736:
	s_or_b64 exec, exec, s[6:7]
	s_nop 0
	v_mfma_f32_16x16x4f32 a[0:3], v2, v3, a[0:3]
	v_lshrrev_b32_e32 v3, 8, v8
	s_movk_i32 s4, 0x7f
	v_cmp_gt_i16_sdwa s[6:7], v3, s4 src0_sel:BYTE_0 src1_sel:DWORD
	s_mov_b64 s[4:5], 0
                                        ; implicit-def: $sgpr10
	s_and_saveexec_b64 s[8:9], s[6:7]
	s_xor_b64 s[6:7], exec, s[8:9]
	s_cbranch_execnz .LBB9_3785
; %bb.1737:
	s_or_saveexec_b64 s[6:7], s[6:7]
	v_mov_b32_e32 v2, s10
	s_xor_b64 exec, exec, s[6:7]
	s_cbranch_execnz .LBB9_3788
.LBB9_1738:
	s_or_b64 exec, exec, s[6:7]
	s_and_saveexec_b64 s[6:7], s[4:5]
	s_cbranch_execz .LBB9_1740
.LBB9_1739:
	v_bfe_u32 v2, v8, 8, 3
	v_ffbh_u32_e32 v7, v2
	v_min_u32_e32 v7, 32, v7
	v_lshrrev_b16_e32 v6, 3, v3
	v_subrev_u32_e32 v12, 28, v7
	v_and_b32_e32 v6, 15, v6
	v_lshlrev_b32_e32 v3, v12, v3
	v_sub_u32_e32 v7, 29, v7
	v_and_b32_e32 v3, 7, v3
	v_cmp_eq_u16_e32 vcc, 0, v6
	v_cndmask_b32_e32 v2, v2, v3, vcc
	v_cndmask_b32_e32 v3, v6, v7, vcc
	v_lshlrev_b32_e32 v6, 16, v8
	v_mov_b32_e32 v7, 0x3b800000
	v_lshlrev_b32_e32 v2, 20, v2
	v_and_b32_e32 v6, 0x80000000, v6
	v_lshl_add_u32 v3, v3, 23, v7
	v_or3_b32 v2, v6, v3, v2
.LBB9_1740:
	s_or_b64 exec, exec, s[6:7]
	v_lshrrev_b32_e32 v3, 8, v4
	s_movk_i32 s4, 0x7f
	v_cmp_gt_i16_sdwa s[6:7], v3, s4 src0_sel:BYTE_0 src1_sel:DWORD
	s_mov_b64 s[4:5], 0
                                        ; implicit-def: $sgpr10
	s_and_saveexec_b64 s[8:9], s[6:7]
	s_xor_b64 s[6:7], exec, s[8:9]
	s_cbranch_execnz .LBB9_3789
; %bb.1741:
	s_or_saveexec_b64 s[6:7], s[6:7]
	v_mov_b32_e32 v6, s10
	s_xor_b64 exec, exec, s[6:7]
	s_cbranch_execnz .LBB9_3792
.LBB9_1742:
	s_or_b64 exec, exec, s[6:7]
	s_and_saveexec_b64 s[6:7], s[4:5]
	s_cbranch_execz .LBB9_1744
.LBB9_1743:
	v_bfe_u32 v6, v4, 8, 3
	v_ffbh_u32_e32 v12, v6
	v_min_u32_e32 v12, 32, v12
	v_lshrrev_b16_e32 v7, 3, v3
	v_subrev_u32_e32 v13, 28, v12
	v_and_b32_e32 v7, 15, v7
	v_lshlrev_b32_e32 v3, v13, v3
	v_sub_u32_e32 v12, 29, v12
	v_and_b32_e32 v3, 7, v3
	v_cmp_eq_u16_e32 vcc, 0, v7
	v_cndmask_b32_e32 v3, v6, v3, vcc
	v_cndmask_b32_e32 v6, v7, v12, vcc
	v_lshlrev_b32_e32 v7, 16, v4
	v_mov_b32_e32 v12, 0x3b800000
	v_lshlrev_b32_e32 v3, 20, v3
	v_and_b32_e32 v7, 0x80000000, v7
	v_lshl_add_u32 v6, v6, 23, v12
	v_or3_b32 v6, v7, v6, v3
.LBB9_1744:
	s_or_b64 exec, exec, s[6:7]
	s_nop 0
	v_mfma_f32_16x16x4f32 a[0:3], v2, v6, a[0:3]
	s_movk_i32 s4, 0xff
	v_and_b32_sdwa v3, v8, s4 dst_sel:DWORD dst_unused:UNUSED_PAD src0_sel:WORD_1 src1_sel:DWORD
	s_movk_i32 s4, 0x7f
	v_cmp_lt_i16_e32 vcc, s4, v3
	s_mov_b64 s[4:5], 0
                                        ; implicit-def: $sgpr10
	s_and_saveexec_b64 s[6:7], vcc
	s_xor_b64 s[6:7], exec, s[6:7]
	s_cbranch_execnz .LBB9_3793
; %bb.1745:
	s_or_saveexec_b64 s[6:7], s[6:7]
	v_mov_b32_e32 v2, s10
	s_xor_b64 exec, exec, s[6:7]
	s_cbranch_execnz .LBB9_3796
.LBB9_1746:
	s_or_b64 exec, exec, s[6:7]
	s_and_saveexec_b64 s[6:7], s[4:5]
	s_cbranch_execz .LBB9_1748
.LBB9_1747:
	v_bfe_u32 v2, v8, 16, 3
	v_ffbh_u32_e32 v7, v2
	v_min_u32_e32 v7, 32, v7
	v_lshrrev_b32_e32 v3, 19, v8
	v_subrev_u32_e32 v12, 28, v7
	v_and_b32_e32 v3, 15, v3
	v_lshlrev_b32_sdwa v12, v12, v8 dst_sel:DWORD dst_unused:UNUSED_PAD src0_sel:DWORD src1_sel:WORD_1
	v_bfe_u32 v6, v8, 19, 4
	v_sub_u32_e32 v7, 29, v7
	v_and_b32_e32 v12, 7, v12
	v_cmp_eq_u16_e32 vcc, 0, v3
	v_cndmask_b32_e32 v2, v2, v12, vcc
	v_cndmask_b32_e32 v3, v6, v7, vcc
	v_lshlrev_b32_e32 v6, 8, v8
	v_mov_b32_e32 v7, 0x3b800000
	v_lshlrev_b32_e32 v2, 20, v2
	v_and_b32_e32 v6, 0x80000000, v6
	v_lshl_add_u32 v3, v3, 23, v7
	v_or3_b32 v2, v6, v3, v2
.LBB9_1748:
	s_or_b64 exec, exec, s[6:7]
	s_movk_i32 s4, 0xff
	v_and_b32_sdwa v3, v4, s4 dst_sel:DWORD dst_unused:UNUSED_PAD src0_sel:WORD_1 src1_sel:DWORD
	s_movk_i32 s4, 0x7f
	v_cmp_lt_i16_e32 vcc, s4, v3
	s_mov_b64 s[4:5], 0
                                        ; implicit-def: $sgpr10
	s_and_saveexec_b64 s[6:7], vcc
	s_xor_b64 s[6:7], exec, s[6:7]
	s_cbranch_execnz .LBB9_3797
; %bb.1749:
	s_or_saveexec_b64 s[6:7], s[6:7]
	v_mov_b32_e32 v6, s10
	s_xor_b64 exec, exec, s[6:7]
	s_cbranch_execnz .LBB9_3800
.LBB9_1750:
	s_or_b64 exec, exec, s[6:7]
	s_and_saveexec_b64 s[6:7], s[4:5]
	s_cbranch_execz .LBB9_1752
.LBB9_1751:
	v_bfe_u32 v3, v4, 16, 3
	v_ffbh_u32_e32 v12, v3
	v_min_u32_e32 v12, 32, v12
	v_lshrrev_b32_e32 v6, 19, v4
	v_subrev_u32_e32 v13, 28, v12
	v_and_b32_e32 v6, 15, v6
	v_lshlrev_b32_sdwa v13, v13, v4 dst_sel:DWORD dst_unused:UNUSED_PAD src0_sel:DWORD src1_sel:WORD_1
	v_bfe_u32 v7, v4, 19, 4
	v_sub_u32_e32 v12, 29, v12
	v_and_b32_e32 v13, 7, v13
	v_cmp_eq_u16_e32 vcc, 0, v6
	v_cndmask_b32_e32 v3, v3, v13, vcc
	v_cndmask_b32_e32 v6, v7, v12, vcc
	v_lshlrev_b32_e32 v7, 8, v4
	v_mov_b32_e32 v12, 0x3b800000
	v_lshlrev_b32_e32 v3, 20, v3
	v_and_b32_e32 v7, 0x80000000, v7
	v_lshl_add_u32 v6, v6, 23, v12
	v_or3_b32 v6, v7, v6, v3
.LBB9_1752:
	s_or_b64 exec, exec, s[6:7]
	s_nop 0
	v_mfma_f32_16x16x4f32 a[0:3], v2, v6, a[0:3]
	s_movk_i32 s4, 0x7f
	v_cmp_gt_i16_sdwa s[6:7], v8, s4 src0_sel:BYTE_3 src1_sel:DWORD
	s_mov_b64 s[4:5], 0
                                        ; implicit-def: $sgpr10
	s_and_saveexec_b64 s[8:9], s[6:7]
	s_xor_b64 s[6:7], exec, s[8:9]
	s_cbranch_execnz .LBB9_3801
; %bb.1753:
	s_or_saveexec_b64 s[6:7], s[6:7]
	v_mov_b32_e32 v2, s10
	s_xor_b64 exec, exec, s[6:7]
	s_cbranch_execnz .LBB9_3804
.LBB9_1754:
	s_or_b64 exec, exec, s[6:7]
	s_and_saveexec_b64 s[6:7], s[4:5]
	s_cbranch_execz .LBB9_1756
.LBB9_1755:
	v_bfe_u32 v2, v8, 24, 3
	v_ffbh_u32_e32 v12, v2
	v_min_u32_e32 v12, 32, v12
	v_lshrrev_b32_e32 v6, 27, v8
	v_subrev_u32_e32 v13, 28, v12
	v_and_b32_e32 v3, 0x80000000, v8
	v_and_b32_e32 v6, 15, v6
	v_bfe_u32 v7, v8, 27, 4
	v_lshlrev_b32_sdwa v8, v13, v8 dst_sel:DWORD dst_unused:UNUSED_PAD src0_sel:DWORD src1_sel:BYTE_3
	v_sub_u32_e32 v12, 29, v12
	v_and_b32_e32 v8, 7, v8
	v_cmp_eq_u16_e32 vcc, 0, v6
	v_cndmask_b32_e32 v2, v2, v8, vcc
	v_cndmask_b32_e32 v6, v7, v12, vcc
	v_mov_b32_e32 v7, 0x3b800000
	v_lshlrev_b32_e32 v2, 20, v2
	v_lshl_add_u32 v6, v6, 23, v7
	v_or3_b32 v2, v3, v6, v2
.LBB9_1756:
	s_or_b64 exec, exec, s[6:7]
	s_movk_i32 s4, 0x7f
	v_cmp_gt_i16_sdwa s[6:7], v4, s4 src0_sel:BYTE_3 src1_sel:DWORD
	s_mov_b64 s[4:5], 0
                                        ; implicit-def: $sgpr10
	s_and_saveexec_b64 s[8:9], s[6:7]
	s_xor_b64 s[6:7], exec, s[8:9]
	s_cbranch_execnz .LBB9_3805
; %bb.1757:
	s_or_saveexec_b64 s[6:7], s[6:7]
	v_mov_b32_e32 v3, s10
	s_xor_b64 exec, exec, s[6:7]
	s_cbranch_execnz .LBB9_3808
.LBB9_1758:
	s_or_b64 exec, exec, s[6:7]
	s_and_saveexec_b64 s[6:7], s[4:5]
	s_cbranch_execz .LBB9_1760
.LBB9_1759:
	v_bfe_u32 v3, v4, 24, 3
	v_ffbh_u32_e32 v12, v3
	v_min_u32_e32 v12, 32, v12
	v_lshrrev_b32_e32 v7, 27, v4
	v_subrev_u32_e32 v13, 28, v12
	v_and_b32_e32 v6, 0x80000000, v4
	v_and_b32_e32 v7, 15, v7
	v_bfe_u32 v8, v4, 27, 4
	v_lshlrev_b32_sdwa v4, v13, v4 dst_sel:DWORD dst_unused:UNUSED_PAD src0_sel:DWORD src1_sel:BYTE_3
	v_sub_u32_e32 v12, 29, v12
	v_and_b32_e32 v4, 7, v4
	v_cmp_eq_u16_e32 vcc, 0, v7
	v_cndmask_b32_e32 v3, v3, v4, vcc
	v_cndmask_b32_e32 v4, v8, v12, vcc
	v_mov_b32_e32 v7, 0x3b800000
	v_lshlrev_b32_e32 v3, 20, v3
	v_lshl_add_u32 v4, v4, 23, v7
	v_or3_b32 v3, v6, v4, v3
.LBB9_1760:
	s_or_b64 exec, exec, s[6:7]
	s_nop 0
	v_mfma_f32_16x16x4f32 a[0:3], v2, v3, a[0:3]
	s_movk_i32 s4, 0x7f
	v_cmp_gt_i16_sdwa s[6:7], v9, s4 src0_sel:BYTE_0 src1_sel:DWORD
	s_mov_b64 s[4:5], 0
                                        ; implicit-def: $sgpr10
	s_and_saveexec_b64 s[8:9], s[6:7]
	s_xor_b64 s[6:7], exec, s[8:9]
	s_cbranch_execnz .LBB9_3809
; %bb.1761:
	s_or_saveexec_b64 s[6:7], s[6:7]
	v_mov_b32_e32 v2, s10
	s_xor_b64 exec, exec, s[6:7]
	s_cbranch_execnz .LBB9_3812
.LBB9_1762:
	s_or_b64 exec, exec, s[6:7]
	s_and_saveexec_b64 s[6:7], s[4:5]
	s_cbranch_execz .LBB9_1764
.LBB9_1763:
	v_mov_b32_e32 v2, 8
	v_and_b32_e32 v3, 7, v9
	v_lshrrev_b32_sdwa v2, v2, v9 dst_sel:BYTE_1 dst_unused:UNUSED_PAD src0_sel:DWORD src1_sel:DWORD
	v_ffbh_u32_e32 v4, v3
	v_or_b32_sdwa v2, v9, v2 dst_sel:DWORD dst_unused:UNUSED_PAD src0_sel:BYTE_0 src1_sel:DWORD
	v_min_u32_e32 v4, 32, v4
	v_lshrrev_b16_e32 v2, 3, v2
	v_subrev_u32_e32 v6, 28, v4
	v_and_b32_e32 v2, 15, v2
	v_lshlrev_b32_e32 v6, v6, v9
	v_sub_u32_e32 v4, 29, v4
	v_and_b32_e32 v6, 7, v6
	v_cmp_eq_u16_e32 vcc, 0, v2
	v_cndmask_b32_e32 v3, v3, v6, vcc
	v_cndmask_b32_e32 v2, v2, v4, vcc
	v_lshlrev_b32_e32 v4, 24, v9
	v_mov_b32_e32 v6, 0x3b800000
	v_lshlrev_b32_e32 v3, 20, v3
	v_and_b32_e32 v4, 0x80000000, v4
	v_lshl_add_u32 v2, v2, 23, v6
	v_or3_b32 v2, v4, v2, v3
.LBB9_1764:
	s_or_b64 exec, exec, s[6:7]
	s_movk_i32 s4, 0x7f
	v_cmp_gt_i16_sdwa s[6:7], v5, s4 src0_sel:BYTE_0 src1_sel:DWORD
	s_mov_b64 s[4:5], 0
                                        ; implicit-def: $sgpr10
	s_and_saveexec_b64 s[8:9], s[6:7]
	s_xor_b64 s[6:7], exec, s[8:9]
	s_cbranch_execnz .LBB9_3813
; %bb.1765:
	s_or_saveexec_b64 s[6:7], s[6:7]
	v_mov_b32_e32 v3, s10
	s_xor_b64 exec, exec, s[6:7]
	s_cbranch_execnz .LBB9_3816
.LBB9_1766:
	s_or_b64 exec, exec, s[6:7]
	s_and_saveexec_b64 s[6:7], s[4:5]
	s_cbranch_execz .LBB9_1768
.LBB9_1767:
	v_mov_b32_e32 v3, 8
	v_and_b32_e32 v4, 7, v5
	v_lshrrev_b32_sdwa v3, v3, v5 dst_sel:BYTE_1 dst_unused:UNUSED_PAD src0_sel:DWORD src1_sel:DWORD
	v_ffbh_u32_e32 v6, v4
	v_or_b32_sdwa v3, v5, v3 dst_sel:DWORD dst_unused:UNUSED_PAD src0_sel:BYTE_0 src1_sel:DWORD
	v_min_u32_e32 v6, 32, v6
	v_lshrrev_b16_e32 v3, 3, v3
	v_subrev_u32_e32 v7, 28, v6
	v_and_b32_e32 v3, 15, v3
	v_lshlrev_b32_e32 v7, v7, v5
	v_sub_u32_e32 v6, 29, v6
	v_and_b32_e32 v7, 7, v7
	v_cmp_eq_u16_e32 vcc, 0, v3
	v_cndmask_b32_e32 v4, v4, v7, vcc
	v_cndmask_b32_e32 v3, v3, v6, vcc
	v_lshlrev_b32_e32 v6, 24, v5
	v_mov_b32_e32 v7, 0x3b800000
	v_lshlrev_b32_e32 v4, 20, v4
	v_and_b32_e32 v6, 0x80000000, v6
	v_lshl_add_u32 v3, v3, 23, v7
	v_or3_b32 v3, v6, v3, v4
.LBB9_1768:
	s_or_b64 exec, exec, s[6:7]
	s_nop 0
	v_mfma_f32_16x16x4f32 a[0:3], v2, v3, a[0:3]
	v_lshrrev_b32_e32 v3, 8, v9
	s_movk_i32 s4, 0x7f
	v_cmp_gt_i16_sdwa s[6:7], v3, s4 src0_sel:BYTE_0 src1_sel:DWORD
	s_mov_b64 s[4:5], 0
                                        ; implicit-def: $sgpr10
	s_and_saveexec_b64 s[8:9], s[6:7]
	s_xor_b64 s[6:7], exec, s[8:9]
	s_cbranch_execnz .LBB9_3817
; %bb.1769:
	s_or_saveexec_b64 s[6:7], s[6:7]
	v_mov_b32_e32 v2, s10
	s_xor_b64 exec, exec, s[6:7]
	s_cbranch_execnz .LBB9_3820
.LBB9_1770:
	s_or_b64 exec, exec, s[6:7]
	s_and_saveexec_b64 s[6:7], s[4:5]
	s_cbranch_execz .LBB9_1772
.LBB9_1771:
	v_bfe_u32 v2, v9, 8, 3
	v_ffbh_u32_e32 v6, v2
	v_min_u32_e32 v6, 32, v6
	v_lshrrev_b16_e32 v4, 3, v3
	v_subrev_u32_e32 v7, 28, v6
	v_and_b32_e32 v4, 15, v4
	v_lshlrev_b32_e32 v3, v7, v3
	v_sub_u32_e32 v6, 29, v6
	v_and_b32_e32 v3, 7, v3
	v_cmp_eq_u16_e32 vcc, 0, v4
	v_cndmask_b32_e32 v2, v2, v3, vcc
	v_cndmask_b32_e32 v3, v4, v6, vcc
	v_lshlrev_b32_e32 v4, 16, v9
	v_mov_b32_e32 v6, 0x3b800000
	v_lshlrev_b32_e32 v2, 20, v2
	v_and_b32_e32 v4, 0x80000000, v4
	v_lshl_add_u32 v3, v3, 23, v6
	v_or3_b32 v2, v4, v3, v2
.LBB9_1772:
	s_or_b64 exec, exec, s[6:7]
	v_lshrrev_b32_e32 v3, 8, v5
	s_movk_i32 s4, 0x7f
	v_cmp_gt_i16_sdwa s[6:7], v3, s4 src0_sel:BYTE_0 src1_sel:DWORD
	s_mov_b64 s[4:5], 0
                                        ; implicit-def: $sgpr10
	s_and_saveexec_b64 s[8:9], s[6:7]
	s_xor_b64 s[6:7], exec, s[8:9]
	s_cbranch_execnz .LBB9_3821
; %bb.1773:
	s_or_saveexec_b64 s[6:7], s[6:7]
	v_mov_b32_e32 v4, s10
	s_xor_b64 exec, exec, s[6:7]
	s_cbranch_execnz .LBB9_3824
.LBB9_1774:
	s_or_b64 exec, exec, s[6:7]
	s_and_saveexec_b64 s[6:7], s[4:5]
	s_cbranch_execz .LBB9_1776
.LBB9_1775:
	v_bfe_u32 v4, v5, 8, 3
	v_ffbh_u32_e32 v7, v4
	v_min_u32_e32 v7, 32, v7
	v_lshrrev_b16_e32 v6, 3, v3
	v_subrev_u32_e32 v8, 28, v7
	v_and_b32_e32 v6, 15, v6
	v_lshlrev_b32_e32 v3, v8, v3
	v_sub_u32_e32 v7, 29, v7
	v_and_b32_e32 v3, 7, v3
	v_cmp_eq_u16_e32 vcc, 0, v6
	v_cndmask_b32_e32 v3, v4, v3, vcc
	v_cndmask_b32_e32 v4, v6, v7, vcc
	v_lshlrev_b32_e32 v6, 16, v5
	v_mov_b32_e32 v7, 0x3b800000
	v_lshlrev_b32_e32 v3, 20, v3
	v_and_b32_e32 v6, 0x80000000, v6
	v_lshl_add_u32 v4, v4, 23, v7
	v_or3_b32 v4, v6, v4, v3
.LBB9_1776:
	s_or_b64 exec, exec, s[6:7]
	s_nop 0
	v_mfma_f32_16x16x4f32 a[0:3], v2, v4, a[0:3]
	s_movk_i32 s4, 0xff
	v_and_b32_sdwa v3, v9, s4 dst_sel:DWORD dst_unused:UNUSED_PAD src0_sel:WORD_1 src1_sel:DWORD
	s_movk_i32 s4, 0x7f
	v_cmp_lt_i16_e32 vcc, s4, v3
	s_mov_b64 s[4:5], 0
                                        ; implicit-def: $sgpr10
	s_and_saveexec_b64 s[6:7], vcc
	s_xor_b64 s[6:7], exec, s[6:7]
	s_cbranch_execnz .LBB9_3825
; %bb.1777:
	s_or_saveexec_b64 s[6:7], s[6:7]
	v_mov_b32_e32 v2, s10
	s_xor_b64 exec, exec, s[6:7]
	s_cbranch_execnz .LBB9_3828
.LBB9_1778:
	s_or_b64 exec, exec, s[6:7]
	s_and_saveexec_b64 s[6:7], s[4:5]
	s_cbranch_execz .LBB9_1780
.LBB9_1779:
	v_bfe_u32 v2, v9, 16, 3
	v_ffbh_u32_e32 v6, v2
	v_min_u32_e32 v6, 32, v6
	v_lshrrev_b32_e32 v3, 19, v9
	v_subrev_u32_e32 v7, 28, v6
	v_and_b32_e32 v3, 15, v3
	v_lshlrev_b32_sdwa v7, v7, v9 dst_sel:DWORD dst_unused:UNUSED_PAD src0_sel:DWORD src1_sel:WORD_1
	v_bfe_u32 v4, v9, 19, 4
	v_sub_u32_e32 v6, 29, v6
	v_and_b32_e32 v7, 7, v7
	v_cmp_eq_u16_e32 vcc, 0, v3
	v_cndmask_b32_e32 v2, v2, v7, vcc
	v_cndmask_b32_e32 v3, v4, v6, vcc
	v_lshlrev_b32_e32 v4, 8, v9
	v_mov_b32_e32 v6, 0x3b800000
	v_lshlrev_b32_e32 v2, 20, v2
	v_and_b32_e32 v4, 0x80000000, v4
	v_lshl_add_u32 v3, v3, 23, v6
	v_or3_b32 v2, v4, v3, v2
.LBB9_1780:
	s_or_b64 exec, exec, s[6:7]
	s_movk_i32 s4, 0xff
	v_and_b32_sdwa v3, v5, s4 dst_sel:DWORD dst_unused:UNUSED_PAD src0_sel:WORD_1 src1_sel:DWORD
	s_movk_i32 s4, 0x7f
	v_cmp_lt_i16_e32 vcc, s4, v3
	s_mov_b64 s[4:5], 0
                                        ; implicit-def: $sgpr10
	s_and_saveexec_b64 s[6:7], vcc
	s_xor_b64 s[6:7], exec, s[6:7]
	s_cbranch_execnz .LBB9_3829
; %bb.1781:
	s_or_saveexec_b64 s[6:7], s[6:7]
	v_mov_b32_e32 v4, s10
	s_xor_b64 exec, exec, s[6:7]
	s_cbranch_execnz .LBB9_3832
.LBB9_1782:
	s_or_b64 exec, exec, s[6:7]
	s_and_saveexec_b64 s[6:7], s[4:5]
	s_cbranch_execz .LBB9_1784
.LBB9_1783:
	v_bfe_u32 v3, v5, 16, 3
	v_ffbh_u32_e32 v7, v3
	v_min_u32_e32 v7, 32, v7
	v_lshrrev_b32_e32 v4, 19, v5
	v_subrev_u32_e32 v8, 28, v7
	v_and_b32_e32 v4, 15, v4
	v_lshlrev_b32_sdwa v8, v8, v5 dst_sel:DWORD dst_unused:UNUSED_PAD src0_sel:DWORD src1_sel:WORD_1
	v_bfe_u32 v6, v5, 19, 4
	v_sub_u32_e32 v7, 29, v7
	v_and_b32_e32 v8, 7, v8
	v_cmp_eq_u16_e32 vcc, 0, v4
	v_cndmask_b32_e32 v3, v3, v8, vcc
	v_cndmask_b32_e32 v4, v6, v7, vcc
	v_lshlrev_b32_e32 v6, 8, v5
	v_mov_b32_e32 v7, 0x3b800000
	v_lshlrev_b32_e32 v3, 20, v3
	v_and_b32_e32 v6, 0x80000000, v6
	v_lshl_add_u32 v4, v4, 23, v7
	v_or3_b32 v4, v6, v4, v3
.LBB9_1784:
	s_or_b64 exec, exec, s[6:7]
	s_nop 0
	v_mfma_f32_16x16x4f32 a[0:3], v2, v4, a[0:3]
	s_movk_i32 s4, 0x7f
	v_cmp_gt_i16_sdwa s[6:7], v9, s4 src0_sel:BYTE_3 src1_sel:DWORD
	s_mov_b64 s[4:5], 0
                                        ; implicit-def: $sgpr10
	s_and_saveexec_b64 s[8:9], s[6:7]
	s_xor_b64 s[6:7], exec, s[8:9]
	s_cbranch_execnz .LBB9_3833
; %bb.1785:
	s_or_saveexec_b64 s[6:7], s[6:7]
	v_mov_b32_e32 v2, s10
	s_xor_b64 exec, exec, s[6:7]
	s_cbranch_execnz .LBB9_3836
.LBB9_1786:
	s_or_b64 exec, exec, s[6:7]
	s_and_saveexec_b64 s[6:7], s[4:5]
	s_cbranch_execz .LBB9_1788
.LBB9_1787:
	v_bfe_u32 v2, v9, 24, 3
	v_ffbh_u32_e32 v7, v2
	v_min_u32_e32 v7, 32, v7
	v_lshrrev_b32_e32 v4, 27, v9
	v_subrev_u32_e32 v8, 28, v7
	v_and_b32_e32 v4, 15, v4
	v_lshlrev_b32_sdwa v8, v8, v9 dst_sel:DWORD dst_unused:UNUSED_PAD src0_sel:DWORD src1_sel:BYTE_3
	v_bfe_u32 v6, v9, 27, 4
	v_sub_u32_e32 v7, 29, v7
	v_and_b32_e32 v8, 7, v8
	v_cmp_eq_u16_e32 vcc, 0, v4
	v_cndmask_b32_e32 v2, v2, v8, vcc
	v_cndmask_b32_e32 v4, v6, v7, vcc
	v_mov_b32_e32 v6, 0x3b800000
	v_and_b32_e32 v3, 0x80000000, v9
	v_lshlrev_b32_e32 v2, 20, v2
	v_lshl_add_u32 v4, v4, 23, v6
	v_or3_b32 v2, v3, v4, v2
.LBB9_1788:
	s_or_b64 exec, exec, s[6:7]
	s_movk_i32 s4, 0x7f
	v_cmp_gt_i16_sdwa s[6:7], v5, s4 src0_sel:BYTE_3 src1_sel:DWORD
	s_mov_b64 s[4:5], 0
                                        ; implicit-def: $sgpr10
	s_and_saveexec_b64 s[8:9], s[6:7]
	s_xor_b64 s[6:7], exec, s[8:9]
	s_cbranch_execnz .LBB9_3837
; %bb.1789:
	s_or_saveexec_b64 s[6:7], s[6:7]
	v_mov_b32_e32 v3, s10
	s_xor_b64 exec, exec, s[6:7]
	s_cbranch_execnz .LBB9_3840
.LBB9_1790:
	s_or_b64 exec, exec, s[6:7]
	s_and_saveexec_b64 s[6:7], s[4:5]
	s_cbranch_execz .LBB9_1792
.LBB9_1791:
	v_bfe_u32 v3, v5, 24, 3
	v_ffbh_u32_e32 v8, v3
	v_min_u32_e32 v8, 32, v8
	v_lshrrev_b32_e32 v6, 27, v5
	v_subrev_u32_e32 v9, 28, v8
	v_and_b32_e32 v4, 0x80000000, v5
	v_and_b32_e32 v6, 15, v6
	v_bfe_u32 v7, v5, 27, 4
	v_lshlrev_b32_sdwa v5, v9, v5 dst_sel:DWORD dst_unused:UNUSED_PAD src0_sel:DWORD src1_sel:BYTE_3
	v_sub_u32_e32 v8, 29, v8
	v_and_b32_e32 v5, 7, v5
	v_cmp_eq_u16_e32 vcc, 0, v6
	v_cndmask_b32_e32 v3, v3, v5, vcc
	v_cndmask_b32_e32 v5, v7, v8, vcc
	v_mov_b32_e32 v6, 0x3b800000
	v_lshlrev_b32_e32 v3, 20, v3
	v_lshl_add_u32 v5, v5, 23, v6
	v_or3_b32 v3, v4, v5, v3
.LBB9_1792:
	s_or_b64 exec, exec, s[6:7]
	s_nop 0
	v_mfma_f32_16x16x4f32 a[0:3], v2, v3, a[0:3]
	s_movk_i32 s4, 0x7f
                                        ; implicit-def: $sgpr10
	s_nop 7
	s_nop 1
	flat_store_dwordx4 v[10:11], a[0:3] offset:208
	flat_load_dwordx4 v[12:15], v[0:1] offset:8
	s_nop 0
	flat_load_dwordx2 v[10:11], v[0:1] offset:32
	s_waitcnt vmcnt(0) lgkmcnt(0)
	flat_load_dwordx4 v[6:9], v[12:13] offset:112
	flat_load_dwordx4 v[2:5], v[14:15] offset:80
	s_waitcnt vmcnt(0) lgkmcnt(0)
	v_cmp_gt_i16_sdwa s[6:7], v6, s4 src0_sel:BYTE_0 src1_sel:DWORD
	s_mov_b64 s[4:5], 0
	s_and_saveexec_b64 s[8:9], s[6:7]
	s_xor_b64 s[6:7], exec, s[8:9]
	s_cbranch_execnz .LBB9_3841
; %bb.1793:
	s_or_saveexec_b64 s[6:7], s[6:7]
	v_mov_b32_e32 v12, s10
	s_xor_b64 exec, exec, s[6:7]
	s_cbranch_execnz .LBB9_3844
.LBB9_1794:
	s_or_b64 exec, exec, s[6:7]
	s_and_saveexec_b64 s[6:7], s[4:5]
	s_cbranch_execz .LBB9_1796
.LBB9_1795:
	v_and_b32_e32 v12, 7, v6
	v_ffbh_u32_e32 v14, v12
	v_min_u32_e32 v14, 32, v14
	v_lshrrev_b16_e32 v13, 3, v6
	v_subrev_u32_e32 v15, 28, v14
	v_and_b32_e32 v13, 15, v13
	v_lshlrev_b32_e32 v15, v15, v6
	v_sub_u32_e32 v14, 29, v14
	v_and_b32_e32 v15, 7, v15
	v_cmp_eq_u16_e32 vcc, 0, v13
	v_cndmask_b32_e32 v12, v12, v15, vcc
	v_cndmask_b32_e32 v13, v13, v14, vcc
	v_lshlrev_b32_e32 v14, 24, v6
	v_mov_b32_e32 v15, 0x3b800000
	v_lshlrev_b32_e32 v12, 20, v12
	v_and_b32_e32 v14, 0x80000000, v14
	v_lshl_add_u32 v13, v13, 23, v15
	v_or3_b32 v12, v14, v13, v12
.LBB9_1796:
	s_or_b64 exec, exec, s[6:7]
	s_movk_i32 s4, 0x7f
	v_cmp_gt_i16_sdwa s[6:7], v2, s4 src0_sel:BYTE_0 src1_sel:DWORD
	s_mov_b64 s[4:5], 0
                                        ; implicit-def: $sgpr10
	s_and_saveexec_b64 s[8:9], s[6:7]
	s_xor_b64 s[6:7], exec, s[8:9]
	s_cbranch_execnz .LBB9_3845
; %bb.1797:
	s_or_saveexec_b64 s[6:7], s[6:7]
	v_mov_b32_e32 v13, s10
	s_xor_b64 exec, exec, s[6:7]
	s_cbranch_execnz .LBB9_3848
.LBB9_1798:
	s_or_b64 exec, exec, s[6:7]
	s_and_saveexec_b64 s[6:7], s[4:5]
	s_cbranch_execz .LBB9_1800
.LBB9_1799:
	v_and_b32_e32 v13, 7, v2
	v_ffbh_u32_e32 v15, v13
	v_min_u32_e32 v15, 32, v15
	v_lshrrev_b16_e32 v14, 3, v2
	v_subrev_u32_e32 v16, 28, v15
	v_and_b32_e32 v14, 15, v14
	v_lshlrev_b32_e32 v16, v16, v2
	v_sub_u32_e32 v15, 29, v15
	v_and_b32_e32 v16, 7, v16
	v_cmp_eq_u16_e32 vcc, 0, v14
	v_cndmask_b32_e32 v13, v13, v16, vcc
	v_cndmask_b32_e32 v14, v14, v15, vcc
	v_lshlrev_b32_e32 v15, 24, v2
	v_mov_b32_e32 v16, 0x3b800000
	v_lshlrev_b32_e32 v13, 20, v13
	v_and_b32_e32 v15, 0x80000000, v15
	v_lshl_add_u32 v14, v14, 23, v16
	v_or3_b32 v13, v15, v14, v13
.LBB9_1800:
	s_or_b64 exec, exec, s[6:7]
	flat_load_dwordx4 a[0:3], v[10:11] offset:224
	s_movk_i32 s4, 0x7f
                                        ; implicit-def: $sgpr10
	s_waitcnt vmcnt(0) lgkmcnt(0)
	v_mfma_f32_16x16x4f32 a[0:3], v12, v13, a[0:3]
	v_lshrrev_b32_e32 v13, 8, v6
	v_cmp_gt_i16_sdwa s[6:7], v13, s4 src0_sel:BYTE_0 src1_sel:DWORD
	s_mov_b64 s[4:5], 0
	s_and_saveexec_b64 s[8:9], s[6:7]
	s_xor_b64 s[6:7], exec, s[8:9]
	s_cbranch_execnz .LBB9_3849
; %bb.1801:
	s_or_saveexec_b64 s[6:7], s[6:7]
	v_mov_b32_e32 v12, s10
	s_xor_b64 exec, exec, s[6:7]
	s_cbranch_execnz .LBB9_3852
.LBB9_1802:
	s_or_b64 exec, exec, s[6:7]
	s_and_saveexec_b64 s[6:7], s[4:5]
	s_cbranch_execz .LBB9_1804
.LBB9_1803:
	v_bfe_u32 v12, v6, 8, 3
	v_ffbh_u32_e32 v15, v12
	v_min_u32_e32 v15, 32, v15
	v_lshrrev_b16_e32 v14, 3, v13
	v_subrev_u32_e32 v16, 28, v15
	v_and_b32_e32 v14, 15, v14
	v_lshlrev_b32_e32 v13, v16, v13
	v_sub_u32_e32 v15, 29, v15
	v_and_b32_e32 v13, 7, v13
	v_cmp_eq_u16_e32 vcc, 0, v14
	v_cndmask_b32_e32 v12, v12, v13, vcc
	v_cndmask_b32_e32 v13, v14, v15, vcc
	v_lshlrev_b32_e32 v14, 16, v6
	v_mov_b32_e32 v15, 0x3b800000
	v_lshlrev_b32_e32 v12, 20, v12
	v_and_b32_e32 v14, 0x80000000, v14
	v_lshl_add_u32 v13, v13, 23, v15
	v_or3_b32 v12, v14, v13, v12
.LBB9_1804:
	s_or_b64 exec, exec, s[6:7]
	v_lshrrev_b32_e32 v13, 8, v2
	s_movk_i32 s4, 0x7f
	v_cmp_gt_i16_sdwa s[6:7], v13, s4 src0_sel:BYTE_0 src1_sel:DWORD
	s_mov_b64 s[4:5], 0
                                        ; implicit-def: $sgpr10
	s_and_saveexec_b64 s[8:9], s[6:7]
	s_xor_b64 s[6:7], exec, s[8:9]
	s_cbranch_execnz .LBB9_3853
; %bb.1805:
	s_or_saveexec_b64 s[6:7], s[6:7]
	v_mov_b32_e32 v14, s10
	s_xor_b64 exec, exec, s[6:7]
	s_cbranch_execnz .LBB9_3856
.LBB9_1806:
	s_or_b64 exec, exec, s[6:7]
	s_and_saveexec_b64 s[6:7], s[4:5]
	s_cbranch_execz .LBB9_1808
.LBB9_1807:
	v_bfe_u32 v14, v2, 8, 3
	v_ffbh_u32_e32 v16, v14
	v_min_u32_e32 v16, 32, v16
	v_lshrrev_b16_e32 v15, 3, v13
	v_subrev_u32_e32 v17, 28, v16
	v_and_b32_e32 v15, 15, v15
	v_lshlrev_b32_e32 v13, v17, v13
	v_sub_u32_e32 v16, 29, v16
	v_and_b32_e32 v13, 7, v13
	v_cmp_eq_u16_e32 vcc, 0, v15
	v_cndmask_b32_e32 v13, v14, v13, vcc
	v_cndmask_b32_e32 v14, v15, v16, vcc
	v_lshlrev_b32_e32 v15, 16, v2
	v_mov_b32_e32 v16, 0x3b800000
	v_lshlrev_b32_e32 v13, 20, v13
	v_and_b32_e32 v15, 0x80000000, v15
	v_lshl_add_u32 v14, v14, 23, v16
	v_or3_b32 v14, v15, v14, v13
.LBB9_1808:
	s_or_b64 exec, exec, s[6:7]
	s_nop 0
	v_mfma_f32_16x16x4f32 a[0:3], v12, v14, a[0:3]
	s_movk_i32 s4, 0xff
	v_and_b32_sdwa v13, v6, s4 dst_sel:DWORD dst_unused:UNUSED_PAD src0_sel:WORD_1 src1_sel:DWORD
	s_movk_i32 s4, 0x7f
	v_cmp_lt_i16_e32 vcc, s4, v13
	s_mov_b64 s[4:5], 0
                                        ; implicit-def: $sgpr10
	s_and_saveexec_b64 s[6:7], vcc
	s_xor_b64 s[6:7], exec, s[6:7]
	s_cbranch_execnz .LBB9_3857
; %bb.1809:
	s_or_saveexec_b64 s[6:7], s[6:7]
	v_mov_b32_e32 v12, s10
	s_xor_b64 exec, exec, s[6:7]
	s_cbranch_execnz .LBB9_3860
.LBB9_1810:
	s_or_b64 exec, exec, s[6:7]
	s_and_saveexec_b64 s[6:7], s[4:5]
	s_cbranch_execz .LBB9_1812
.LBB9_1811:
	v_bfe_u32 v12, v6, 16, 3
	v_ffbh_u32_e32 v15, v12
	v_min_u32_e32 v15, 32, v15
	v_lshrrev_b32_e32 v13, 19, v6
	v_subrev_u32_e32 v16, 28, v15
	v_and_b32_e32 v13, 15, v13
	v_lshlrev_b32_sdwa v16, v16, v6 dst_sel:DWORD dst_unused:UNUSED_PAD src0_sel:DWORD src1_sel:WORD_1
	v_bfe_u32 v14, v6, 19, 4
	v_sub_u32_e32 v15, 29, v15
	v_and_b32_e32 v16, 7, v16
	v_cmp_eq_u16_e32 vcc, 0, v13
	v_cndmask_b32_e32 v12, v12, v16, vcc
	v_cndmask_b32_e32 v13, v14, v15, vcc
	v_lshlrev_b32_e32 v14, 8, v6
	v_mov_b32_e32 v15, 0x3b800000
	v_lshlrev_b32_e32 v12, 20, v12
	v_and_b32_e32 v14, 0x80000000, v14
	v_lshl_add_u32 v13, v13, 23, v15
	v_or3_b32 v12, v14, v13, v12
.LBB9_1812:
	s_or_b64 exec, exec, s[6:7]
	s_movk_i32 s4, 0xff
	v_and_b32_sdwa v13, v2, s4 dst_sel:DWORD dst_unused:UNUSED_PAD src0_sel:WORD_1 src1_sel:DWORD
	s_movk_i32 s4, 0x7f
	v_cmp_lt_i16_e32 vcc, s4, v13
	s_mov_b64 s[4:5], 0
                                        ; implicit-def: $sgpr10
	s_and_saveexec_b64 s[6:7], vcc
	s_xor_b64 s[6:7], exec, s[6:7]
	s_cbranch_execnz .LBB9_3861
; %bb.1813:
	s_or_saveexec_b64 s[6:7], s[6:7]
	v_mov_b32_e32 v14, s10
	s_xor_b64 exec, exec, s[6:7]
	s_cbranch_execnz .LBB9_3864
.LBB9_1814:
	s_or_b64 exec, exec, s[6:7]
	s_and_saveexec_b64 s[6:7], s[4:5]
	s_cbranch_execz .LBB9_1816
.LBB9_1815:
	v_bfe_u32 v13, v2, 16, 3
	v_ffbh_u32_e32 v16, v13
	v_min_u32_e32 v16, 32, v16
	v_lshrrev_b32_e32 v14, 19, v2
	v_subrev_u32_e32 v17, 28, v16
	v_and_b32_e32 v14, 15, v14
	v_lshlrev_b32_sdwa v17, v17, v2 dst_sel:DWORD dst_unused:UNUSED_PAD src0_sel:DWORD src1_sel:WORD_1
	v_bfe_u32 v15, v2, 19, 4
	v_sub_u32_e32 v16, 29, v16
	v_and_b32_e32 v17, 7, v17
	v_cmp_eq_u16_e32 vcc, 0, v14
	v_cndmask_b32_e32 v13, v13, v17, vcc
	v_cndmask_b32_e32 v14, v15, v16, vcc
	v_lshlrev_b32_e32 v15, 8, v2
	v_mov_b32_e32 v16, 0x3b800000
	v_lshlrev_b32_e32 v13, 20, v13
	v_and_b32_e32 v15, 0x80000000, v15
	v_lshl_add_u32 v14, v14, 23, v16
	v_or3_b32 v14, v15, v14, v13
.LBB9_1816:
	s_or_b64 exec, exec, s[6:7]
	s_nop 0
	v_mfma_f32_16x16x4f32 a[0:3], v12, v14, a[0:3]
	s_movk_i32 s4, 0x7f
	v_cmp_gt_i16_sdwa s[6:7], v6, s4 src0_sel:BYTE_3 src1_sel:DWORD
	s_mov_b64 s[4:5], 0
                                        ; implicit-def: $sgpr10
	s_and_saveexec_b64 s[8:9], s[6:7]
	s_xor_b64 s[6:7], exec, s[8:9]
	s_cbranch_execnz .LBB9_3865
; %bb.1817:
	s_or_saveexec_b64 s[6:7], s[6:7]
	v_mov_b32_e32 v12, s10
	s_xor_b64 exec, exec, s[6:7]
	s_cbranch_execnz .LBB9_3868
.LBB9_1818:
	s_or_b64 exec, exec, s[6:7]
	s_and_saveexec_b64 s[6:7], s[4:5]
	s_cbranch_execz .LBB9_1820
.LBB9_1819:
	v_bfe_u32 v12, v6, 24, 3
	v_ffbh_u32_e32 v16, v12
	v_min_u32_e32 v16, 32, v16
	v_lshrrev_b32_e32 v14, 27, v6
	v_subrev_u32_e32 v17, 28, v16
	v_and_b32_e32 v13, 0x80000000, v6
	v_and_b32_e32 v14, 15, v14
	v_bfe_u32 v15, v6, 27, 4
	v_lshlrev_b32_sdwa v6, v17, v6 dst_sel:DWORD dst_unused:UNUSED_PAD src0_sel:DWORD src1_sel:BYTE_3
	v_sub_u32_e32 v16, 29, v16
	v_and_b32_e32 v6, 7, v6
	v_cmp_eq_u16_e32 vcc, 0, v14
	v_cndmask_b32_e32 v6, v12, v6, vcc
	v_cndmask_b32_e32 v12, v15, v16, vcc
	v_mov_b32_e32 v14, 0x3b800000
	v_lshlrev_b32_e32 v6, 20, v6
	v_lshl_add_u32 v12, v12, 23, v14
	v_or3_b32 v12, v13, v12, v6
.LBB9_1820:
	s_or_b64 exec, exec, s[6:7]
	s_movk_i32 s4, 0x7f
	v_cmp_gt_i16_sdwa s[6:7], v2, s4 src0_sel:BYTE_3 src1_sel:DWORD
	s_mov_b64 s[4:5], 0
                                        ; implicit-def: $sgpr10
	s_and_saveexec_b64 s[8:9], s[6:7]
	s_xor_b64 s[6:7], exec, s[8:9]
	s_cbranch_execnz .LBB9_3869
; %bb.1821:
	s_or_saveexec_b64 s[6:7], s[6:7]
	v_mov_b32_e32 v6, s10
	s_xor_b64 exec, exec, s[6:7]
	s_cbranch_execnz .LBB9_3872
.LBB9_1822:
	s_or_b64 exec, exec, s[6:7]
	s_and_saveexec_b64 s[6:7], s[4:5]
	s_cbranch_execz .LBB9_1824
.LBB9_1823:
	v_bfe_u32 v6, v2, 24, 3
	v_ffbh_u32_e32 v16, v6
	v_min_u32_e32 v16, 32, v16
	v_lshrrev_b32_e32 v14, 27, v2
	v_subrev_u32_e32 v17, 28, v16
	v_and_b32_e32 v13, 0x80000000, v2
	v_and_b32_e32 v14, 15, v14
	v_bfe_u32 v15, v2, 27, 4
	v_lshlrev_b32_sdwa v2, v17, v2 dst_sel:DWORD dst_unused:UNUSED_PAD src0_sel:DWORD src1_sel:BYTE_3
	v_sub_u32_e32 v16, 29, v16
	v_and_b32_e32 v2, 7, v2
	v_cmp_eq_u16_e32 vcc, 0, v14
	v_cndmask_b32_e32 v2, v6, v2, vcc
	v_cndmask_b32_e32 v6, v15, v16, vcc
	v_mov_b32_e32 v14, 0x3b800000
	v_lshlrev_b32_e32 v2, 20, v2
	v_lshl_add_u32 v6, v6, 23, v14
	v_or3_b32 v6, v13, v6, v2
.LBB9_1824:
	s_or_b64 exec, exec, s[6:7]
	s_nop 0
	v_mfma_f32_16x16x4f32 a[0:3], v12, v6, a[0:3]
	s_movk_i32 s4, 0x7f
	v_cmp_gt_i16_sdwa s[6:7], v7, s4 src0_sel:BYTE_0 src1_sel:DWORD
	s_mov_b64 s[4:5], 0
                                        ; implicit-def: $sgpr10
	s_and_saveexec_b64 s[8:9], s[6:7]
	s_xor_b64 s[6:7], exec, s[8:9]
	s_cbranch_execnz .LBB9_3873
; %bb.1825:
	s_or_saveexec_b64 s[6:7], s[6:7]
	v_mov_b32_e32 v2, s10
	s_xor_b64 exec, exec, s[6:7]
	s_cbranch_execnz .LBB9_3876
.LBB9_1826:
	s_or_b64 exec, exec, s[6:7]
	s_and_saveexec_b64 s[6:7], s[4:5]
	s_cbranch_execz .LBB9_1828
.LBB9_1827:
	v_and_b32_e32 v2, 7, v7
	v_ffbh_u32_e32 v12, v2
	v_min_u32_e32 v12, 32, v12
	v_lshrrev_b16_e32 v6, 3, v7
	v_subrev_u32_e32 v13, 28, v12
	v_and_b32_e32 v6, 15, v6
	v_lshlrev_b32_e32 v13, v13, v7
	v_sub_u32_e32 v12, 29, v12
	v_and_b32_e32 v13, 7, v13
	v_cmp_eq_u16_e32 vcc, 0, v6
	v_cndmask_b32_e32 v2, v2, v13, vcc
	v_cndmask_b32_e32 v6, v6, v12, vcc
	v_lshlrev_b32_e32 v12, 24, v7
	v_mov_b32_e32 v13, 0x3b800000
	v_lshlrev_b32_e32 v2, 20, v2
	v_and_b32_e32 v12, 0x80000000, v12
	v_lshl_add_u32 v6, v6, 23, v13
	v_or3_b32 v2, v12, v6, v2
.LBB9_1828:
	s_or_b64 exec, exec, s[6:7]
	s_movk_i32 s4, 0x7f
	v_cmp_gt_i16_sdwa s[6:7], v3, s4 src0_sel:BYTE_0 src1_sel:DWORD
	s_mov_b64 s[4:5], 0
                                        ; implicit-def: $sgpr10
	s_and_saveexec_b64 s[8:9], s[6:7]
	s_xor_b64 s[6:7], exec, s[8:9]
	s_cbranch_execnz .LBB9_3877
; %bb.1829:
	s_or_saveexec_b64 s[6:7], s[6:7]
	v_mov_b32_e32 v6, s10
	s_xor_b64 exec, exec, s[6:7]
	s_cbranch_execnz .LBB9_3880
.LBB9_1830:
	s_or_b64 exec, exec, s[6:7]
	s_and_saveexec_b64 s[6:7], s[4:5]
	s_cbranch_execz .LBB9_1832
.LBB9_1831:
	v_and_b32_e32 v6, 7, v3
	v_ffbh_u32_e32 v13, v6
	v_min_u32_e32 v13, 32, v13
	v_lshrrev_b16_e32 v12, 3, v3
	v_subrev_u32_e32 v14, 28, v13
	v_and_b32_e32 v12, 15, v12
	v_lshlrev_b32_e32 v14, v14, v3
	v_sub_u32_e32 v13, 29, v13
	v_and_b32_e32 v14, 7, v14
	v_cmp_eq_u16_e32 vcc, 0, v12
	v_cndmask_b32_e32 v6, v6, v14, vcc
	v_cndmask_b32_e32 v12, v12, v13, vcc
	v_lshlrev_b32_e32 v13, 24, v3
	v_mov_b32_e32 v14, 0x3b800000
	v_lshlrev_b32_e32 v6, 20, v6
	v_and_b32_e32 v13, 0x80000000, v13
	v_lshl_add_u32 v12, v12, 23, v14
	v_or3_b32 v6, v13, v12, v6
.LBB9_1832:
	s_or_b64 exec, exec, s[6:7]
	s_nop 0
	v_mfma_f32_16x16x4f32 a[0:3], v2, v6, a[0:3]
	v_lshrrev_b32_e32 v6, 8, v7
	s_movk_i32 s4, 0x7f
	v_cmp_gt_i16_sdwa s[6:7], v6, s4 src0_sel:BYTE_0 src1_sel:DWORD
	s_mov_b64 s[4:5], 0
                                        ; implicit-def: $sgpr10
	s_and_saveexec_b64 s[8:9], s[6:7]
	s_xor_b64 s[6:7], exec, s[8:9]
	s_cbranch_execnz .LBB9_3881
; %bb.1833:
	s_or_saveexec_b64 s[6:7], s[6:7]
	v_mov_b32_e32 v2, s10
	s_xor_b64 exec, exec, s[6:7]
	s_cbranch_execnz .LBB9_3884
.LBB9_1834:
	s_or_b64 exec, exec, s[6:7]
	s_and_saveexec_b64 s[6:7], s[4:5]
	s_cbranch_execz .LBB9_1836
.LBB9_1835:
	v_bfe_u32 v2, v7, 8, 3
	v_ffbh_u32_e32 v13, v2
	v_min_u32_e32 v13, 32, v13
	v_lshrrev_b16_e32 v12, 3, v6
	v_subrev_u32_e32 v14, 28, v13
	v_and_b32_e32 v12, 15, v12
	v_lshlrev_b32_e32 v6, v14, v6
	v_sub_u32_e32 v13, 29, v13
	v_and_b32_e32 v6, 7, v6
	v_cmp_eq_u16_e32 vcc, 0, v12
	v_cndmask_b32_e32 v2, v2, v6, vcc
	v_cndmask_b32_e32 v6, v12, v13, vcc
	v_lshlrev_b32_e32 v12, 16, v7
	v_mov_b32_e32 v13, 0x3b800000
	v_lshlrev_b32_e32 v2, 20, v2
	v_and_b32_e32 v12, 0x80000000, v12
	v_lshl_add_u32 v6, v6, 23, v13
	v_or3_b32 v2, v12, v6, v2
.LBB9_1836:
	s_or_b64 exec, exec, s[6:7]
	v_lshrrev_b32_e32 v6, 8, v3
	s_movk_i32 s4, 0x7f
	v_cmp_gt_i16_sdwa s[6:7], v6, s4 src0_sel:BYTE_0 src1_sel:DWORD
	s_mov_b64 s[4:5], 0
                                        ; implicit-def: $sgpr10
	s_and_saveexec_b64 s[8:9], s[6:7]
	s_xor_b64 s[6:7], exec, s[8:9]
	s_cbranch_execnz .LBB9_3885
; %bb.1837:
	s_or_saveexec_b64 s[6:7], s[6:7]
	v_mov_b32_e32 v12, s10
	s_xor_b64 exec, exec, s[6:7]
	s_cbranch_execnz .LBB9_3888
.LBB9_1838:
	s_or_b64 exec, exec, s[6:7]
	s_and_saveexec_b64 s[6:7], s[4:5]
	s_cbranch_execz .LBB9_1840
.LBB9_1839:
	v_bfe_u32 v12, v3, 8, 3
	v_ffbh_u32_e32 v14, v12
	v_min_u32_e32 v14, 32, v14
	v_lshrrev_b16_e32 v13, 3, v6
	v_subrev_u32_e32 v15, 28, v14
	v_and_b32_e32 v13, 15, v13
	v_lshlrev_b32_e32 v6, v15, v6
	v_sub_u32_e32 v14, 29, v14
	v_and_b32_e32 v6, 7, v6
	v_cmp_eq_u16_e32 vcc, 0, v13
	v_cndmask_b32_e32 v6, v12, v6, vcc
	v_cndmask_b32_e32 v12, v13, v14, vcc
	v_lshlrev_b32_e32 v13, 16, v3
	v_mov_b32_e32 v14, 0x3b800000
	v_lshlrev_b32_e32 v6, 20, v6
	v_and_b32_e32 v13, 0x80000000, v13
	v_lshl_add_u32 v12, v12, 23, v14
	v_or3_b32 v12, v13, v12, v6
.LBB9_1840:
	s_or_b64 exec, exec, s[6:7]
	s_nop 0
	v_mfma_f32_16x16x4f32 a[0:3], v2, v12, a[0:3]
	s_movk_i32 s4, 0xff
	v_and_b32_sdwa v6, v7, s4 dst_sel:DWORD dst_unused:UNUSED_PAD src0_sel:WORD_1 src1_sel:DWORD
	s_movk_i32 s4, 0x7f
	v_cmp_lt_i16_e32 vcc, s4, v6
	s_mov_b64 s[4:5], 0
                                        ; implicit-def: $sgpr10
	s_and_saveexec_b64 s[6:7], vcc
	s_xor_b64 s[6:7], exec, s[6:7]
	s_cbranch_execnz .LBB9_3889
; %bb.1841:
	s_or_saveexec_b64 s[6:7], s[6:7]
	v_mov_b32_e32 v2, s10
	s_xor_b64 exec, exec, s[6:7]
	s_cbranch_execnz .LBB9_3892
.LBB9_1842:
	s_or_b64 exec, exec, s[6:7]
	s_and_saveexec_b64 s[6:7], s[4:5]
	s_cbranch_execz .LBB9_1844
.LBB9_1843:
	v_bfe_u32 v2, v7, 16, 3
	v_ffbh_u32_e32 v13, v2
	v_min_u32_e32 v13, 32, v13
	v_lshrrev_b32_e32 v6, 19, v7
	v_subrev_u32_e32 v14, 28, v13
	v_and_b32_e32 v6, 15, v6
	v_lshlrev_b32_sdwa v14, v14, v7 dst_sel:DWORD dst_unused:UNUSED_PAD src0_sel:DWORD src1_sel:WORD_1
	v_bfe_u32 v12, v7, 19, 4
	v_sub_u32_e32 v13, 29, v13
	v_and_b32_e32 v14, 7, v14
	v_cmp_eq_u16_e32 vcc, 0, v6
	v_cndmask_b32_e32 v2, v2, v14, vcc
	v_cndmask_b32_e32 v6, v12, v13, vcc
	v_lshlrev_b32_e32 v12, 8, v7
	v_mov_b32_e32 v13, 0x3b800000
	v_lshlrev_b32_e32 v2, 20, v2
	v_and_b32_e32 v12, 0x80000000, v12
	v_lshl_add_u32 v6, v6, 23, v13
	v_or3_b32 v2, v12, v6, v2
.LBB9_1844:
	s_or_b64 exec, exec, s[6:7]
	s_movk_i32 s4, 0xff
	v_and_b32_sdwa v6, v3, s4 dst_sel:DWORD dst_unused:UNUSED_PAD src0_sel:WORD_1 src1_sel:DWORD
	s_movk_i32 s4, 0x7f
	v_cmp_lt_i16_e32 vcc, s4, v6
	s_mov_b64 s[4:5], 0
                                        ; implicit-def: $sgpr10
	s_and_saveexec_b64 s[6:7], vcc
	s_xor_b64 s[6:7], exec, s[6:7]
	s_cbranch_execnz .LBB9_3893
; %bb.1845:
	s_or_saveexec_b64 s[6:7], s[6:7]
	v_mov_b32_e32 v12, s10
	s_xor_b64 exec, exec, s[6:7]
	s_cbranch_execnz .LBB9_3896
.LBB9_1846:
	s_or_b64 exec, exec, s[6:7]
	s_and_saveexec_b64 s[6:7], s[4:5]
	s_cbranch_execz .LBB9_1848
.LBB9_1847:
	v_bfe_u32 v6, v3, 16, 3
	v_ffbh_u32_e32 v14, v6
	v_min_u32_e32 v14, 32, v14
	v_lshrrev_b32_e32 v12, 19, v3
	v_subrev_u32_e32 v15, 28, v14
	v_and_b32_e32 v12, 15, v12
	v_lshlrev_b32_sdwa v15, v15, v3 dst_sel:DWORD dst_unused:UNUSED_PAD src0_sel:DWORD src1_sel:WORD_1
	v_bfe_u32 v13, v3, 19, 4
	v_sub_u32_e32 v14, 29, v14
	v_and_b32_e32 v15, 7, v15
	v_cmp_eq_u16_e32 vcc, 0, v12
	v_cndmask_b32_e32 v6, v6, v15, vcc
	v_cndmask_b32_e32 v12, v13, v14, vcc
	v_lshlrev_b32_e32 v13, 8, v3
	v_mov_b32_e32 v14, 0x3b800000
	v_lshlrev_b32_e32 v6, 20, v6
	v_and_b32_e32 v13, 0x80000000, v13
	v_lshl_add_u32 v12, v12, 23, v14
	v_or3_b32 v12, v13, v12, v6
.LBB9_1848:
	s_or_b64 exec, exec, s[6:7]
	s_nop 0
	v_mfma_f32_16x16x4f32 a[0:3], v2, v12, a[0:3]
	s_movk_i32 s4, 0x7f
	v_cmp_gt_i16_sdwa s[6:7], v7, s4 src0_sel:BYTE_3 src1_sel:DWORD
	s_mov_b64 s[4:5], 0
                                        ; implicit-def: $sgpr10
	s_and_saveexec_b64 s[8:9], s[6:7]
	s_xor_b64 s[6:7], exec, s[8:9]
	s_cbranch_execnz .LBB9_3897
; %bb.1849:
	s_or_saveexec_b64 s[6:7], s[6:7]
	v_mov_b32_e32 v2, s10
	s_xor_b64 exec, exec, s[6:7]
	s_cbranch_execnz .LBB9_3900
.LBB9_1850:
	s_or_b64 exec, exec, s[6:7]
	s_and_saveexec_b64 s[6:7], s[4:5]
	s_cbranch_execz .LBB9_1852
.LBB9_1851:
	v_bfe_u32 v2, v7, 24, 3
	v_ffbh_u32_e32 v14, v2
	v_min_u32_e32 v14, 32, v14
	v_lshrrev_b32_e32 v12, 27, v7
	v_subrev_u32_e32 v15, 28, v14
	v_and_b32_e32 v6, 0x80000000, v7
	v_and_b32_e32 v12, 15, v12
	v_bfe_u32 v13, v7, 27, 4
	v_lshlrev_b32_sdwa v7, v15, v7 dst_sel:DWORD dst_unused:UNUSED_PAD src0_sel:DWORD src1_sel:BYTE_3
	v_sub_u32_e32 v14, 29, v14
	v_and_b32_e32 v7, 7, v7
	v_cmp_eq_u16_e32 vcc, 0, v12
	v_cndmask_b32_e32 v2, v2, v7, vcc
	v_cndmask_b32_e32 v7, v13, v14, vcc
	v_mov_b32_e32 v12, 0x3b800000
	v_lshlrev_b32_e32 v2, 20, v2
	v_lshl_add_u32 v7, v7, 23, v12
	v_or3_b32 v2, v6, v7, v2
.LBB9_1852:
	s_or_b64 exec, exec, s[6:7]
	s_movk_i32 s4, 0x7f
	v_cmp_gt_i16_sdwa s[6:7], v3, s4 src0_sel:BYTE_3 src1_sel:DWORD
	s_mov_b64 s[4:5], 0
                                        ; implicit-def: $sgpr10
	s_and_saveexec_b64 s[8:9], s[6:7]
	s_xor_b64 s[6:7], exec, s[8:9]
	s_cbranch_execnz .LBB9_3901
; %bb.1853:
	s_or_saveexec_b64 s[6:7], s[6:7]
	v_mov_b32_e32 v6, s10
	s_xor_b64 exec, exec, s[6:7]
	s_cbranch_execnz .LBB9_3904
.LBB9_1854:
	s_or_b64 exec, exec, s[6:7]
	s_and_saveexec_b64 s[6:7], s[4:5]
	s_cbranch_execz .LBB9_1856
.LBB9_1855:
	v_bfe_u32 v6, v3, 24, 3
	v_ffbh_u32_e32 v14, v6
	v_min_u32_e32 v14, 32, v14
	v_lshrrev_b32_e32 v12, 27, v3
	v_subrev_u32_e32 v15, 28, v14
	v_and_b32_e32 v7, 0x80000000, v3
	v_and_b32_e32 v12, 15, v12
	v_bfe_u32 v13, v3, 27, 4
	v_lshlrev_b32_sdwa v3, v15, v3 dst_sel:DWORD dst_unused:UNUSED_PAD src0_sel:DWORD src1_sel:BYTE_3
	v_sub_u32_e32 v14, 29, v14
	v_and_b32_e32 v3, 7, v3
	v_cmp_eq_u16_e32 vcc, 0, v12
	v_cndmask_b32_e32 v3, v6, v3, vcc
	v_cndmask_b32_e32 v6, v13, v14, vcc
	v_mov_b32_e32 v12, 0x3b800000
	v_lshlrev_b32_e32 v3, 20, v3
	v_lshl_add_u32 v6, v6, 23, v12
	v_or3_b32 v6, v7, v6, v3
.LBB9_1856:
	s_or_b64 exec, exec, s[6:7]
	s_nop 0
	v_mfma_f32_16x16x4f32 a[0:3], v2, v6, a[0:3]
	s_movk_i32 s4, 0x7f
	v_cmp_gt_i16_sdwa s[6:7], v8, s4 src0_sel:BYTE_0 src1_sel:DWORD
	s_mov_b64 s[4:5], 0
                                        ; implicit-def: $sgpr10
	s_and_saveexec_b64 s[8:9], s[6:7]
	s_xor_b64 s[6:7], exec, s[8:9]
	s_cbranch_execnz .LBB9_3905
; %bb.1857:
	s_or_saveexec_b64 s[6:7], s[6:7]
	v_mov_b32_e32 v2, s10
	s_xor_b64 exec, exec, s[6:7]
	s_cbranch_execnz .LBB9_3908
.LBB9_1858:
	s_or_b64 exec, exec, s[6:7]
	s_and_saveexec_b64 s[6:7], s[4:5]
	s_cbranch_execz .LBB9_1860
.LBB9_1859:
	v_and_b32_e32 v2, 7, v8
	v_ffbh_u32_e32 v6, v2
	v_min_u32_e32 v6, 32, v6
	v_lshrrev_b16_e32 v3, 3, v8
	v_subrev_u32_e32 v7, 28, v6
	v_and_b32_e32 v3, 15, v3
	v_lshlrev_b32_e32 v7, v7, v8
	v_sub_u32_e32 v6, 29, v6
	v_and_b32_e32 v7, 7, v7
	v_cmp_eq_u16_e32 vcc, 0, v3
	v_cndmask_b32_e32 v2, v2, v7, vcc
	v_cndmask_b32_e32 v3, v3, v6, vcc
	v_lshlrev_b32_e32 v6, 24, v8
	v_mov_b32_e32 v7, 0x3b800000
	v_lshlrev_b32_e32 v2, 20, v2
	v_and_b32_e32 v6, 0x80000000, v6
	v_lshl_add_u32 v3, v3, 23, v7
	v_or3_b32 v2, v6, v3, v2
.LBB9_1860:
	s_or_b64 exec, exec, s[6:7]
	s_movk_i32 s4, 0x7f
	v_cmp_gt_i16_sdwa s[6:7], v4, s4 src0_sel:BYTE_0 src1_sel:DWORD
	s_mov_b64 s[4:5], 0
                                        ; implicit-def: $sgpr10
	s_and_saveexec_b64 s[8:9], s[6:7]
	s_xor_b64 s[6:7], exec, s[8:9]
	s_cbranch_execnz .LBB9_3909
; %bb.1861:
	s_or_saveexec_b64 s[6:7], s[6:7]
	v_mov_b32_e32 v3, s10
	s_xor_b64 exec, exec, s[6:7]
	s_cbranch_execnz .LBB9_3912
.LBB9_1862:
	s_or_b64 exec, exec, s[6:7]
	s_and_saveexec_b64 s[6:7], s[4:5]
	s_cbranch_execz .LBB9_1864
.LBB9_1863:
	v_and_b32_e32 v3, 7, v4
	v_ffbh_u32_e32 v7, v3
	v_min_u32_e32 v7, 32, v7
	v_lshrrev_b16_e32 v6, 3, v4
	v_subrev_u32_e32 v12, 28, v7
	v_and_b32_e32 v6, 15, v6
	v_lshlrev_b32_e32 v12, v12, v4
	v_sub_u32_e32 v7, 29, v7
	v_and_b32_e32 v12, 7, v12
	v_cmp_eq_u16_e32 vcc, 0, v6
	v_cndmask_b32_e32 v3, v3, v12, vcc
	v_cndmask_b32_e32 v6, v6, v7, vcc
	v_lshlrev_b32_e32 v7, 24, v4
	v_mov_b32_e32 v12, 0x3b800000
	v_lshlrev_b32_e32 v3, 20, v3
	v_and_b32_e32 v7, 0x80000000, v7
	v_lshl_add_u32 v6, v6, 23, v12
	v_or3_b32 v3, v7, v6, v3
.LBB9_1864:
	s_or_b64 exec, exec, s[6:7]
	s_nop 0
	v_mfma_f32_16x16x4f32 a[0:3], v2, v3, a[0:3]
	v_lshrrev_b32_e32 v3, 8, v8
	s_movk_i32 s4, 0x7f
	v_cmp_gt_i16_sdwa s[6:7], v3, s4 src0_sel:BYTE_0 src1_sel:DWORD
	s_mov_b64 s[4:5], 0
                                        ; implicit-def: $sgpr10
	s_and_saveexec_b64 s[8:9], s[6:7]
	s_xor_b64 s[6:7], exec, s[8:9]
	s_cbranch_execnz .LBB9_3913
; %bb.1865:
	s_or_saveexec_b64 s[6:7], s[6:7]
	v_mov_b32_e32 v2, s10
	s_xor_b64 exec, exec, s[6:7]
	s_cbranch_execnz .LBB9_3916
.LBB9_1866:
	s_or_b64 exec, exec, s[6:7]
	s_and_saveexec_b64 s[6:7], s[4:5]
	s_cbranch_execz .LBB9_1868
.LBB9_1867:
	v_bfe_u32 v2, v8, 8, 3
	v_ffbh_u32_e32 v7, v2
	v_min_u32_e32 v7, 32, v7
	v_lshrrev_b16_e32 v6, 3, v3
	v_subrev_u32_e32 v12, 28, v7
	v_and_b32_e32 v6, 15, v6
	v_lshlrev_b32_e32 v3, v12, v3
	v_sub_u32_e32 v7, 29, v7
	v_and_b32_e32 v3, 7, v3
	v_cmp_eq_u16_e32 vcc, 0, v6
	v_cndmask_b32_e32 v2, v2, v3, vcc
	v_cndmask_b32_e32 v3, v6, v7, vcc
	v_lshlrev_b32_e32 v6, 16, v8
	v_mov_b32_e32 v7, 0x3b800000
	v_lshlrev_b32_e32 v2, 20, v2
	v_and_b32_e32 v6, 0x80000000, v6
	v_lshl_add_u32 v3, v3, 23, v7
	v_or3_b32 v2, v6, v3, v2
.LBB9_1868:
	s_or_b64 exec, exec, s[6:7]
	v_lshrrev_b32_e32 v3, 8, v4
	s_movk_i32 s4, 0x7f
	v_cmp_gt_i16_sdwa s[6:7], v3, s4 src0_sel:BYTE_0 src1_sel:DWORD
	s_mov_b64 s[4:5], 0
                                        ; implicit-def: $sgpr10
	s_and_saveexec_b64 s[8:9], s[6:7]
	s_xor_b64 s[6:7], exec, s[8:9]
	s_cbranch_execnz .LBB9_3917
; %bb.1869:
	s_or_saveexec_b64 s[6:7], s[6:7]
	v_mov_b32_e32 v6, s10
	s_xor_b64 exec, exec, s[6:7]
	s_cbranch_execnz .LBB9_3920
.LBB9_1870:
	s_or_b64 exec, exec, s[6:7]
	s_and_saveexec_b64 s[6:7], s[4:5]
	s_cbranch_execz .LBB9_1872
.LBB9_1871:
	v_bfe_u32 v6, v4, 8, 3
	v_ffbh_u32_e32 v12, v6
	v_min_u32_e32 v12, 32, v12
	v_lshrrev_b16_e32 v7, 3, v3
	v_subrev_u32_e32 v13, 28, v12
	v_and_b32_e32 v7, 15, v7
	v_lshlrev_b32_e32 v3, v13, v3
	v_sub_u32_e32 v12, 29, v12
	v_and_b32_e32 v3, 7, v3
	v_cmp_eq_u16_e32 vcc, 0, v7
	v_cndmask_b32_e32 v3, v6, v3, vcc
	v_cndmask_b32_e32 v6, v7, v12, vcc
	v_lshlrev_b32_e32 v7, 16, v4
	v_mov_b32_e32 v12, 0x3b800000
	v_lshlrev_b32_e32 v3, 20, v3
	v_and_b32_e32 v7, 0x80000000, v7
	v_lshl_add_u32 v6, v6, 23, v12
	v_or3_b32 v6, v7, v6, v3
.LBB9_1872:
	s_or_b64 exec, exec, s[6:7]
	s_nop 0
	v_mfma_f32_16x16x4f32 a[0:3], v2, v6, a[0:3]
	s_movk_i32 s4, 0xff
	v_and_b32_sdwa v3, v8, s4 dst_sel:DWORD dst_unused:UNUSED_PAD src0_sel:WORD_1 src1_sel:DWORD
	s_movk_i32 s4, 0x7f
	v_cmp_lt_i16_e32 vcc, s4, v3
	s_mov_b64 s[4:5], 0
                                        ; implicit-def: $sgpr10
	s_and_saveexec_b64 s[6:7], vcc
	s_xor_b64 s[6:7], exec, s[6:7]
	s_cbranch_execnz .LBB9_3921
; %bb.1873:
	s_or_saveexec_b64 s[6:7], s[6:7]
	v_mov_b32_e32 v2, s10
	s_xor_b64 exec, exec, s[6:7]
	s_cbranch_execnz .LBB9_3924
.LBB9_1874:
	s_or_b64 exec, exec, s[6:7]
	s_and_saveexec_b64 s[6:7], s[4:5]
	s_cbranch_execz .LBB9_1876
.LBB9_1875:
	v_bfe_u32 v2, v8, 16, 3
	v_ffbh_u32_e32 v7, v2
	v_min_u32_e32 v7, 32, v7
	v_lshrrev_b32_e32 v3, 19, v8
	v_subrev_u32_e32 v12, 28, v7
	v_and_b32_e32 v3, 15, v3
	v_lshlrev_b32_sdwa v12, v12, v8 dst_sel:DWORD dst_unused:UNUSED_PAD src0_sel:DWORD src1_sel:WORD_1
	v_bfe_u32 v6, v8, 19, 4
	v_sub_u32_e32 v7, 29, v7
	v_and_b32_e32 v12, 7, v12
	v_cmp_eq_u16_e32 vcc, 0, v3
	v_cndmask_b32_e32 v2, v2, v12, vcc
	v_cndmask_b32_e32 v3, v6, v7, vcc
	v_lshlrev_b32_e32 v6, 8, v8
	v_mov_b32_e32 v7, 0x3b800000
	v_lshlrev_b32_e32 v2, 20, v2
	v_and_b32_e32 v6, 0x80000000, v6
	v_lshl_add_u32 v3, v3, 23, v7
	v_or3_b32 v2, v6, v3, v2
.LBB9_1876:
	s_or_b64 exec, exec, s[6:7]
	s_movk_i32 s4, 0xff
	v_and_b32_sdwa v3, v4, s4 dst_sel:DWORD dst_unused:UNUSED_PAD src0_sel:WORD_1 src1_sel:DWORD
	s_movk_i32 s4, 0x7f
	v_cmp_lt_i16_e32 vcc, s4, v3
	s_mov_b64 s[4:5], 0
                                        ; implicit-def: $sgpr10
	s_and_saveexec_b64 s[6:7], vcc
	s_xor_b64 s[6:7], exec, s[6:7]
	s_cbranch_execnz .LBB9_3925
; %bb.1877:
	s_or_saveexec_b64 s[6:7], s[6:7]
	v_mov_b32_e32 v6, s10
	s_xor_b64 exec, exec, s[6:7]
	s_cbranch_execnz .LBB9_3928
.LBB9_1878:
	s_or_b64 exec, exec, s[6:7]
	s_and_saveexec_b64 s[6:7], s[4:5]
	s_cbranch_execz .LBB9_1880
.LBB9_1879:
	v_bfe_u32 v3, v4, 16, 3
	v_ffbh_u32_e32 v12, v3
	v_min_u32_e32 v12, 32, v12
	v_lshrrev_b32_e32 v6, 19, v4
	v_subrev_u32_e32 v13, 28, v12
	v_and_b32_e32 v6, 15, v6
	v_lshlrev_b32_sdwa v13, v13, v4 dst_sel:DWORD dst_unused:UNUSED_PAD src0_sel:DWORD src1_sel:WORD_1
	v_bfe_u32 v7, v4, 19, 4
	v_sub_u32_e32 v12, 29, v12
	v_and_b32_e32 v13, 7, v13
	v_cmp_eq_u16_e32 vcc, 0, v6
	v_cndmask_b32_e32 v3, v3, v13, vcc
	v_cndmask_b32_e32 v6, v7, v12, vcc
	v_lshlrev_b32_e32 v7, 8, v4
	v_mov_b32_e32 v12, 0x3b800000
	v_lshlrev_b32_e32 v3, 20, v3
	v_and_b32_e32 v7, 0x80000000, v7
	v_lshl_add_u32 v6, v6, 23, v12
	v_or3_b32 v6, v7, v6, v3
.LBB9_1880:
	s_or_b64 exec, exec, s[6:7]
	s_nop 0
	v_mfma_f32_16x16x4f32 a[0:3], v2, v6, a[0:3]
	s_movk_i32 s4, 0x7f
	v_cmp_gt_i16_sdwa s[6:7], v8, s4 src0_sel:BYTE_3 src1_sel:DWORD
	s_mov_b64 s[4:5], 0
                                        ; implicit-def: $sgpr10
	s_and_saveexec_b64 s[8:9], s[6:7]
	s_xor_b64 s[6:7], exec, s[8:9]
	s_cbranch_execnz .LBB9_3929
; %bb.1881:
	s_or_saveexec_b64 s[6:7], s[6:7]
	v_mov_b32_e32 v2, s10
	s_xor_b64 exec, exec, s[6:7]
	s_cbranch_execnz .LBB9_3932
.LBB9_1882:
	s_or_b64 exec, exec, s[6:7]
	s_and_saveexec_b64 s[6:7], s[4:5]
	s_cbranch_execz .LBB9_1884
.LBB9_1883:
	v_bfe_u32 v2, v8, 24, 3
	v_ffbh_u32_e32 v12, v2
	v_min_u32_e32 v12, 32, v12
	v_lshrrev_b32_e32 v6, 27, v8
	v_subrev_u32_e32 v13, 28, v12
	v_and_b32_e32 v3, 0x80000000, v8
	v_and_b32_e32 v6, 15, v6
	v_bfe_u32 v7, v8, 27, 4
	v_lshlrev_b32_sdwa v8, v13, v8 dst_sel:DWORD dst_unused:UNUSED_PAD src0_sel:DWORD src1_sel:BYTE_3
	v_sub_u32_e32 v12, 29, v12
	v_and_b32_e32 v8, 7, v8
	v_cmp_eq_u16_e32 vcc, 0, v6
	v_cndmask_b32_e32 v2, v2, v8, vcc
	v_cndmask_b32_e32 v6, v7, v12, vcc
	v_mov_b32_e32 v7, 0x3b800000
	v_lshlrev_b32_e32 v2, 20, v2
	v_lshl_add_u32 v6, v6, 23, v7
	v_or3_b32 v2, v3, v6, v2
.LBB9_1884:
	s_or_b64 exec, exec, s[6:7]
	s_movk_i32 s4, 0x7f
	v_cmp_gt_i16_sdwa s[6:7], v4, s4 src0_sel:BYTE_3 src1_sel:DWORD
	s_mov_b64 s[4:5], 0
                                        ; implicit-def: $sgpr10
	s_and_saveexec_b64 s[8:9], s[6:7]
	s_xor_b64 s[6:7], exec, s[8:9]
	s_cbranch_execnz .LBB9_3933
; %bb.1885:
	s_or_saveexec_b64 s[6:7], s[6:7]
	v_mov_b32_e32 v3, s10
	s_xor_b64 exec, exec, s[6:7]
	s_cbranch_execnz .LBB9_3936
.LBB9_1886:
	s_or_b64 exec, exec, s[6:7]
	s_and_saveexec_b64 s[6:7], s[4:5]
	s_cbranch_execz .LBB9_1888
.LBB9_1887:
	v_bfe_u32 v3, v4, 24, 3
	v_ffbh_u32_e32 v12, v3
	v_min_u32_e32 v12, 32, v12
	v_lshrrev_b32_e32 v7, 27, v4
	v_subrev_u32_e32 v13, 28, v12
	v_and_b32_e32 v6, 0x80000000, v4
	v_and_b32_e32 v7, 15, v7
	v_bfe_u32 v8, v4, 27, 4
	v_lshlrev_b32_sdwa v4, v13, v4 dst_sel:DWORD dst_unused:UNUSED_PAD src0_sel:DWORD src1_sel:BYTE_3
	v_sub_u32_e32 v12, 29, v12
	v_and_b32_e32 v4, 7, v4
	v_cmp_eq_u16_e32 vcc, 0, v7
	v_cndmask_b32_e32 v3, v3, v4, vcc
	v_cndmask_b32_e32 v4, v8, v12, vcc
	v_mov_b32_e32 v7, 0x3b800000
	v_lshlrev_b32_e32 v3, 20, v3
	v_lshl_add_u32 v4, v4, 23, v7
	v_or3_b32 v3, v6, v4, v3
.LBB9_1888:
	s_or_b64 exec, exec, s[6:7]
	s_nop 0
	v_mfma_f32_16x16x4f32 a[0:3], v2, v3, a[0:3]
	s_movk_i32 s4, 0x7f
	v_cmp_gt_i16_sdwa s[6:7], v9, s4 src0_sel:BYTE_0 src1_sel:DWORD
	s_mov_b64 s[4:5], 0
                                        ; implicit-def: $sgpr10
	s_and_saveexec_b64 s[8:9], s[6:7]
	s_xor_b64 s[6:7], exec, s[8:9]
	s_cbranch_execnz .LBB9_3937
; %bb.1889:
	s_or_saveexec_b64 s[6:7], s[6:7]
	v_mov_b32_e32 v2, s10
	s_xor_b64 exec, exec, s[6:7]
	s_cbranch_execnz .LBB9_3940
.LBB9_1890:
	s_or_b64 exec, exec, s[6:7]
	s_and_saveexec_b64 s[6:7], s[4:5]
	s_cbranch_execz .LBB9_1892
.LBB9_1891:
	v_mov_b32_e32 v2, 8
	v_and_b32_e32 v3, 7, v9
	v_lshrrev_b32_sdwa v2, v2, v9 dst_sel:BYTE_1 dst_unused:UNUSED_PAD src0_sel:DWORD src1_sel:DWORD
	v_ffbh_u32_e32 v4, v3
	v_or_b32_sdwa v2, v9, v2 dst_sel:DWORD dst_unused:UNUSED_PAD src0_sel:BYTE_0 src1_sel:DWORD
	v_min_u32_e32 v4, 32, v4
	v_lshrrev_b16_e32 v2, 3, v2
	v_subrev_u32_e32 v6, 28, v4
	v_and_b32_e32 v2, 15, v2
	v_lshlrev_b32_e32 v6, v6, v9
	v_sub_u32_e32 v4, 29, v4
	v_and_b32_e32 v6, 7, v6
	v_cmp_eq_u16_e32 vcc, 0, v2
	v_cndmask_b32_e32 v3, v3, v6, vcc
	v_cndmask_b32_e32 v2, v2, v4, vcc
	v_lshlrev_b32_e32 v4, 24, v9
	v_mov_b32_e32 v6, 0x3b800000
	v_lshlrev_b32_e32 v3, 20, v3
	v_and_b32_e32 v4, 0x80000000, v4
	v_lshl_add_u32 v2, v2, 23, v6
	v_or3_b32 v2, v4, v2, v3
.LBB9_1892:
	s_or_b64 exec, exec, s[6:7]
	s_movk_i32 s4, 0x7f
	v_cmp_gt_i16_sdwa s[6:7], v5, s4 src0_sel:BYTE_0 src1_sel:DWORD
	s_mov_b64 s[4:5], 0
                                        ; implicit-def: $sgpr10
	s_and_saveexec_b64 s[8:9], s[6:7]
	s_xor_b64 s[6:7], exec, s[8:9]
	s_cbranch_execnz .LBB9_3941
; %bb.1893:
	s_or_saveexec_b64 s[6:7], s[6:7]
	v_mov_b32_e32 v3, s10
	s_xor_b64 exec, exec, s[6:7]
	s_cbranch_execnz .LBB9_3944
.LBB9_1894:
	s_or_b64 exec, exec, s[6:7]
	s_and_saveexec_b64 s[6:7], s[4:5]
	s_cbranch_execz .LBB9_1896
.LBB9_1895:
	v_mov_b32_e32 v3, 8
	v_and_b32_e32 v4, 7, v5
	v_lshrrev_b32_sdwa v3, v3, v5 dst_sel:BYTE_1 dst_unused:UNUSED_PAD src0_sel:DWORD src1_sel:DWORD
	v_ffbh_u32_e32 v6, v4
	v_or_b32_sdwa v3, v5, v3 dst_sel:DWORD dst_unused:UNUSED_PAD src0_sel:BYTE_0 src1_sel:DWORD
	v_min_u32_e32 v6, 32, v6
	v_lshrrev_b16_e32 v3, 3, v3
	v_subrev_u32_e32 v7, 28, v6
	v_and_b32_e32 v3, 15, v3
	v_lshlrev_b32_e32 v7, v7, v5
	v_sub_u32_e32 v6, 29, v6
	v_and_b32_e32 v7, 7, v7
	v_cmp_eq_u16_e32 vcc, 0, v3
	v_cndmask_b32_e32 v4, v4, v7, vcc
	v_cndmask_b32_e32 v3, v3, v6, vcc
	v_lshlrev_b32_e32 v6, 24, v5
	v_mov_b32_e32 v7, 0x3b800000
	v_lshlrev_b32_e32 v4, 20, v4
	v_and_b32_e32 v6, 0x80000000, v6
	v_lshl_add_u32 v3, v3, 23, v7
	v_or3_b32 v3, v6, v3, v4
.LBB9_1896:
	s_or_b64 exec, exec, s[6:7]
	s_nop 0
	v_mfma_f32_16x16x4f32 a[0:3], v2, v3, a[0:3]
	v_lshrrev_b32_e32 v3, 8, v9
	s_movk_i32 s4, 0x7f
	v_cmp_gt_i16_sdwa s[6:7], v3, s4 src0_sel:BYTE_0 src1_sel:DWORD
	s_mov_b64 s[4:5], 0
                                        ; implicit-def: $sgpr10
	s_and_saveexec_b64 s[8:9], s[6:7]
	s_xor_b64 s[6:7], exec, s[8:9]
	s_cbranch_execnz .LBB9_3945
; %bb.1897:
	s_or_saveexec_b64 s[6:7], s[6:7]
	v_mov_b32_e32 v2, s10
	s_xor_b64 exec, exec, s[6:7]
	s_cbranch_execnz .LBB9_3948
.LBB9_1898:
	s_or_b64 exec, exec, s[6:7]
	s_and_saveexec_b64 s[6:7], s[4:5]
	s_cbranch_execz .LBB9_1900
.LBB9_1899:
	v_bfe_u32 v2, v9, 8, 3
	v_ffbh_u32_e32 v6, v2
	v_min_u32_e32 v6, 32, v6
	v_lshrrev_b16_e32 v4, 3, v3
	v_subrev_u32_e32 v7, 28, v6
	v_and_b32_e32 v4, 15, v4
	v_lshlrev_b32_e32 v3, v7, v3
	v_sub_u32_e32 v6, 29, v6
	v_and_b32_e32 v3, 7, v3
	v_cmp_eq_u16_e32 vcc, 0, v4
	v_cndmask_b32_e32 v2, v2, v3, vcc
	v_cndmask_b32_e32 v3, v4, v6, vcc
	v_lshlrev_b32_e32 v4, 16, v9
	v_mov_b32_e32 v6, 0x3b800000
	v_lshlrev_b32_e32 v2, 20, v2
	v_and_b32_e32 v4, 0x80000000, v4
	v_lshl_add_u32 v3, v3, 23, v6
	v_or3_b32 v2, v4, v3, v2
.LBB9_1900:
	s_or_b64 exec, exec, s[6:7]
	v_lshrrev_b32_e32 v3, 8, v5
	s_movk_i32 s4, 0x7f
	v_cmp_gt_i16_sdwa s[6:7], v3, s4 src0_sel:BYTE_0 src1_sel:DWORD
	s_mov_b64 s[4:5], 0
                                        ; implicit-def: $sgpr10
	s_and_saveexec_b64 s[8:9], s[6:7]
	s_xor_b64 s[6:7], exec, s[8:9]
	s_cbranch_execnz .LBB9_3949
; %bb.1901:
	s_or_saveexec_b64 s[6:7], s[6:7]
	v_mov_b32_e32 v4, s10
	s_xor_b64 exec, exec, s[6:7]
	s_cbranch_execnz .LBB9_3952
.LBB9_1902:
	s_or_b64 exec, exec, s[6:7]
	s_and_saveexec_b64 s[6:7], s[4:5]
	s_cbranch_execz .LBB9_1904
.LBB9_1903:
	v_bfe_u32 v4, v5, 8, 3
	v_ffbh_u32_e32 v7, v4
	v_min_u32_e32 v7, 32, v7
	v_lshrrev_b16_e32 v6, 3, v3
	v_subrev_u32_e32 v8, 28, v7
	v_and_b32_e32 v6, 15, v6
	v_lshlrev_b32_e32 v3, v8, v3
	v_sub_u32_e32 v7, 29, v7
	v_and_b32_e32 v3, 7, v3
	v_cmp_eq_u16_e32 vcc, 0, v6
	v_cndmask_b32_e32 v3, v4, v3, vcc
	v_cndmask_b32_e32 v4, v6, v7, vcc
	v_lshlrev_b32_e32 v6, 16, v5
	v_mov_b32_e32 v7, 0x3b800000
	v_lshlrev_b32_e32 v3, 20, v3
	v_and_b32_e32 v6, 0x80000000, v6
	v_lshl_add_u32 v4, v4, 23, v7
	v_or3_b32 v4, v6, v4, v3
.LBB9_1904:
	s_or_b64 exec, exec, s[6:7]
	s_nop 0
	v_mfma_f32_16x16x4f32 a[0:3], v2, v4, a[0:3]
	s_movk_i32 s4, 0xff
	v_and_b32_sdwa v3, v9, s4 dst_sel:DWORD dst_unused:UNUSED_PAD src0_sel:WORD_1 src1_sel:DWORD
	s_movk_i32 s4, 0x7f
	v_cmp_lt_i16_e32 vcc, s4, v3
	s_mov_b64 s[4:5], 0
                                        ; implicit-def: $sgpr10
	s_and_saveexec_b64 s[6:7], vcc
	s_xor_b64 s[6:7], exec, s[6:7]
	s_cbranch_execnz .LBB9_3953
; %bb.1905:
	s_or_saveexec_b64 s[6:7], s[6:7]
	v_mov_b32_e32 v2, s10
	s_xor_b64 exec, exec, s[6:7]
	s_cbranch_execnz .LBB9_3956
.LBB9_1906:
	s_or_b64 exec, exec, s[6:7]
	s_and_saveexec_b64 s[6:7], s[4:5]
	s_cbranch_execz .LBB9_1908
.LBB9_1907:
	v_bfe_u32 v2, v9, 16, 3
	v_ffbh_u32_e32 v6, v2
	v_min_u32_e32 v6, 32, v6
	v_lshrrev_b32_e32 v3, 19, v9
	v_subrev_u32_e32 v7, 28, v6
	v_and_b32_e32 v3, 15, v3
	v_lshlrev_b32_sdwa v7, v7, v9 dst_sel:DWORD dst_unused:UNUSED_PAD src0_sel:DWORD src1_sel:WORD_1
	v_bfe_u32 v4, v9, 19, 4
	v_sub_u32_e32 v6, 29, v6
	v_and_b32_e32 v7, 7, v7
	v_cmp_eq_u16_e32 vcc, 0, v3
	v_cndmask_b32_e32 v2, v2, v7, vcc
	v_cndmask_b32_e32 v3, v4, v6, vcc
	v_lshlrev_b32_e32 v4, 8, v9
	v_mov_b32_e32 v6, 0x3b800000
	v_lshlrev_b32_e32 v2, 20, v2
	v_and_b32_e32 v4, 0x80000000, v4
	v_lshl_add_u32 v3, v3, 23, v6
	v_or3_b32 v2, v4, v3, v2
.LBB9_1908:
	s_or_b64 exec, exec, s[6:7]
	s_movk_i32 s4, 0xff
	v_and_b32_sdwa v3, v5, s4 dst_sel:DWORD dst_unused:UNUSED_PAD src0_sel:WORD_1 src1_sel:DWORD
	s_movk_i32 s4, 0x7f
	v_cmp_lt_i16_e32 vcc, s4, v3
	s_mov_b64 s[4:5], 0
                                        ; implicit-def: $sgpr10
	s_and_saveexec_b64 s[6:7], vcc
	s_xor_b64 s[6:7], exec, s[6:7]
	s_cbranch_execnz .LBB9_3957
; %bb.1909:
	s_or_saveexec_b64 s[6:7], s[6:7]
	v_mov_b32_e32 v4, s10
	s_xor_b64 exec, exec, s[6:7]
	s_cbranch_execnz .LBB9_3960
.LBB9_1910:
	s_or_b64 exec, exec, s[6:7]
	s_and_saveexec_b64 s[6:7], s[4:5]
	s_cbranch_execz .LBB9_1912
.LBB9_1911:
	v_bfe_u32 v3, v5, 16, 3
	v_ffbh_u32_e32 v7, v3
	v_min_u32_e32 v7, 32, v7
	v_lshrrev_b32_e32 v4, 19, v5
	v_subrev_u32_e32 v8, 28, v7
	v_and_b32_e32 v4, 15, v4
	v_lshlrev_b32_sdwa v8, v8, v5 dst_sel:DWORD dst_unused:UNUSED_PAD src0_sel:DWORD src1_sel:WORD_1
	v_bfe_u32 v6, v5, 19, 4
	v_sub_u32_e32 v7, 29, v7
	v_and_b32_e32 v8, 7, v8
	v_cmp_eq_u16_e32 vcc, 0, v4
	v_cndmask_b32_e32 v3, v3, v8, vcc
	v_cndmask_b32_e32 v4, v6, v7, vcc
	v_lshlrev_b32_e32 v6, 8, v5
	v_mov_b32_e32 v7, 0x3b800000
	v_lshlrev_b32_e32 v3, 20, v3
	v_and_b32_e32 v6, 0x80000000, v6
	v_lshl_add_u32 v4, v4, 23, v7
	v_or3_b32 v4, v6, v4, v3
.LBB9_1912:
	s_or_b64 exec, exec, s[6:7]
	s_nop 0
	v_mfma_f32_16x16x4f32 a[0:3], v2, v4, a[0:3]
	s_movk_i32 s4, 0x7f
	v_cmp_gt_i16_sdwa s[6:7], v9, s4 src0_sel:BYTE_3 src1_sel:DWORD
	s_mov_b64 s[4:5], 0
                                        ; implicit-def: $sgpr10
	s_and_saveexec_b64 s[8:9], s[6:7]
	s_xor_b64 s[6:7], exec, s[8:9]
	s_cbranch_execnz .LBB9_3961
; %bb.1913:
	s_or_saveexec_b64 s[6:7], s[6:7]
	v_mov_b32_e32 v2, s10
	s_xor_b64 exec, exec, s[6:7]
	s_cbranch_execnz .LBB9_3964
.LBB9_1914:
	s_or_b64 exec, exec, s[6:7]
	s_and_saveexec_b64 s[6:7], s[4:5]
	s_cbranch_execz .LBB9_1916
.LBB9_1915:
	v_bfe_u32 v2, v9, 24, 3
	v_ffbh_u32_e32 v7, v2
	v_min_u32_e32 v7, 32, v7
	v_lshrrev_b32_e32 v4, 27, v9
	v_subrev_u32_e32 v8, 28, v7
	v_and_b32_e32 v4, 15, v4
	v_lshlrev_b32_sdwa v8, v8, v9 dst_sel:DWORD dst_unused:UNUSED_PAD src0_sel:DWORD src1_sel:BYTE_3
	v_bfe_u32 v6, v9, 27, 4
	v_sub_u32_e32 v7, 29, v7
	v_and_b32_e32 v8, 7, v8
	v_cmp_eq_u16_e32 vcc, 0, v4
	v_cndmask_b32_e32 v2, v2, v8, vcc
	v_cndmask_b32_e32 v4, v6, v7, vcc
	v_mov_b32_e32 v6, 0x3b800000
	v_and_b32_e32 v3, 0x80000000, v9
	v_lshlrev_b32_e32 v2, 20, v2
	v_lshl_add_u32 v4, v4, 23, v6
	v_or3_b32 v2, v3, v4, v2
.LBB9_1916:
	s_or_b64 exec, exec, s[6:7]
	s_movk_i32 s4, 0x7f
	v_cmp_gt_i16_sdwa s[6:7], v5, s4 src0_sel:BYTE_3 src1_sel:DWORD
	s_mov_b64 s[4:5], 0
                                        ; implicit-def: $sgpr10
	s_and_saveexec_b64 s[8:9], s[6:7]
	s_xor_b64 s[6:7], exec, s[8:9]
	s_cbranch_execnz .LBB9_3965
; %bb.1917:
	s_or_saveexec_b64 s[6:7], s[6:7]
	v_mov_b32_e32 v3, s10
	s_xor_b64 exec, exec, s[6:7]
	s_cbranch_execnz .LBB9_3968
.LBB9_1918:
	s_or_b64 exec, exec, s[6:7]
	s_and_saveexec_b64 s[6:7], s[4:5]
	s_cbranch_execz .LBB9_1920
.LBB9_1919:
	v_bfe_u32 v3, v5, 24, 3
	v_ffbh_u32_e32 v8, v3
	v_min_u32_e32 v8, 32, v8
	v_lshrrev_b32_e32 v6, 27, v5
	v_subrev_u32_e32 v9, 28, v8
	v_and_b32_e32 v4, 0x80000000, v5
	v_and_b32_e32 v6, 15, v6
	v_bfe_u32 v7, v5, 27, 4
	v_lshlrev_b32_sdwa v5, v9, v5 dst_sel:DWORD dst_unused:UNUSED_PAD src0_sel:DWORD src1_sel:BYTE_3
	v_sub_u32_e32 v8, 29, v8
	v_and_b32_e32 v5, 7, v5
	v_cmp_eq_u16_e32 vcc, 0, v6
	v_cndmask_b32_e32 v3, v3, v5, vcc
	v_cndmask_b32_e32 v5, v7, v8, vcc
	v_mov_b32_e32 v6, 0x3b800000
	v_lshlrev_b32_e32 v3, 20, v3
	v_lshl_add_u32 v5, v5, 23, v6
	v_or3_b32 v3, v4, v5, v3
.LBB9_1920:
	s_or_b64 exec, exec, s[6:7]
	s_nop 0
	v_mfma_f32_16x16x4f32 a[0:3], v2, v3, a[0:3]
	s_nop 7
	s_nop 2
	flat_store_dwordx4 v[10:11], a[0:3] offset:224
	flat_load_dwordx4 v[10:13], v[0:1] offset:8
	s_waitcnt vmcnt(0) lgkmcnt(0)
	flat_load_dwordx4 v[6:9], v[10:11] offset:112
	flat_load_dwordx4 v[2:5], v[12:13] offset:112
	; sched_barrier mask(0x00000000)
	s_waitcnt lgkmcnt(0)
	s_barrier
	; sched_barrier mask(0x00000000)
	flat_load_dwordx2 v[0:1], v[0:1] offset:32
	s_movk_i32 s4, 0x7f
	s_waitcnt vmcnt(0)
	v_cmp_gt_i16_sdwa s[6:7], v6, s4 src0_sel:BYTE_0 src1_sel:DWORD
	s_mov_b64 s[4:5], 0
                                        ; implicit-def: $sgpr10
	s_and_saveexec_b64 s[8:9], s[6:7]
	s_xor_b64 s[6:7], exec, s[8:9]
	s_cbranch_execnz .LBB9_3969
; %bb.1921:
	s_or_saveexec_b64 s[6:7], s[6:7]
	v_mov_b32_e32 v10, s10
	s_xor_b64 exec, exec, s[6:7]
	s_cbranch_execnz .LBB9_3972
.LBB9_1922:
	s_or_b64 exec, exec, s[6:7]
	s_and_saveexec_b64 s[6:7], s[4:5]
	s_cbranch_execz .LBB9_1924
.LBB9_1923:
	v_and_b32_e32 v10, 7, v6
	v_ffbh_u32_e32 v12, v10
	v_min_u32_e32 v12, 32, v12
	v_lshrrev_b16_e32 v11, 3, v6
	v_subrev_u32_e32 v13, 28, v12
	v_and_b32_e32 v11, 15, v11
	v_lshlrev_b32_e32 v13, v13, v6
	v_sub_u32_e32 v12, 29, v12
	v_and_b32_e32 v13, 7, v13
	v_cmp_eq_u16_e32 vcc, 0, v11
	v_cndmask_b32_e32 v10, v10, v13, vcc
	v_cndmask_b32_e32 v11, v11, v12, vcc
	v_lshlrev_b32_e32 v12, 24, v6
	v_mov_b32_e32 v13, 0x3b800000
	v_lshlrev_b32_e32 v10, 20, v10
	v_and_b32_e32 v12, 0x80000000, v12
	v_lshl_add_u32 v11, v11, 23, v13
	v_or3_b32 v10, v12, v11, v10
.LBB9_1924:
	s_or_b64 exec, exec, s[6:7]
	s_movk_i32 s4, 0x7f
	v_cmp_gt_i16_sdwa s[6:7], v2, s4 src0_sel:BYTE_0 src1_sel:DWORD
	s_mov_b64 s[4:5], 0
                                        ; implicit-def: $sgpr10
	s_and_saveexec_b64 s[8:9], s[6:7]
	s_xor_b64 s[6:7], exec, s[8:9]
	s_cbranch_execnz .LBB9_3973
; %bb.1925:
	s_or_saveexec_b64 s[6:7], s[6:7]
	v_mov_b32_e32 v11, s10
	s_xor_b64 exec, exec, s[6:7]
	s_cbranch_execnz .LBB9_3976
.LBB9_1926:
	s_or_b64 exec, exec, s[6:7]
	s_and_saveexec_b64 s[6:7], s[4:5]
	s_cbranch_execz .LBB9_1928
.LBB9_1927:
	v_and_b32_e32 v11, 7, v2
	v_ffbh_u32_e32 v13, v11
	v_min_u32_e32 v13, 32, v13
	v_lshrrev_b16_e32 v12, 3, v2
	v_subrev_u32_e32 v14, 28, v13
	v_and_b32_e32 v12, 15, v12
	v_lshlrev_b32_e32 v14, v14, v2
	v_sub_u32_e32 v13, 29, v13
	v_and_b32_e32 v14, 7, v14
	v_cmp_eq_u16_e32 vcc, 0, v12
	v_cndmask_b32_e32 v11, v11, v14, vcc
	v_cndmask_b32_e32 v12, v12, v13, vcc
	v_lshlrev_b32_e32 v13, 24, v2
	v_mov_b32_e32 v14, 0x3b800000
	v_lshlrev_b32_e32 v11, 20, v11
	v_and_b32_e32 v13, 0x80000000, v13
	v_lshl_add_u32 v12, v12, 23, v14
	v_or3_b32 v11, v13, v12, v11
.LBB9_1928:
	s_or_b64 exec, exec, s[6:7]
	s_waitcnt lgkmcnt(0)
	flat_load_dwordx4 a[0:3], v[0:1] offset:240
	s_movk_i32 s4, 0x7f
                                        ; implicit-def: $sgpr10
	s_waitcnt vmcnt(0) lgkmcnt(0)
	v_mfma_f32_16x16x4f32 a[0:3], v10, v11, a[0:3]
	v_lshrrev_b32_e32 v11, 8, v6
	v_cmp_gt_i16_sdwa s[6:7], v11, s4 src0_sel:BYTE_0 src1_sel:DWORD
	s_mov_b64 s[4:5], 0
	s_and_saveexec_b64 s[8:9], s[6:7]
	s_xor_b64 s[6:7], exec, s[8:9]
	s_cbranch_execnz .LBB9_3977
; %bb.1929:
	s_or_saveexec_b64 s[6:7], s[6:7]
	v_mov_b32_e32 v10, s10
	s_xor_b64 exec, exec, s[6:7]
	s_cbranch_execnz .LBB9_3980
.LBB9_1930:
	s_or_b64 exec, exec, s[6:7]
	s_and_saveexec_b64 s[6:7], s[4:5]
	s_cbranch_execz .LBB9_1932
.LBB9_1931:
	v_bfe_u32 v10, v6, 8, 3
	v_ffbh_u32_e32 v13, v10
	v_min_u32_e32 v13, 32, v13
	v_lshrrev_b16_e32 v12, 3, v11
	v_subrev_u32_e32 v14, 28, v13
	v_and_b32_e32 v12, 15, v12
	v_lshlrev_b32_e32 v11, v14, v11
	v_sub_u32_e32 v13, 29, v13
	v_and_b32_e32 v11, 7, v11
	v_cmp_eq_u16_e32 vcc, 0, v12
	v_cndmask_b32_e32 v10, v10, v11, vcc
	v_cndmask_b32_e32 v11, v12, v13, vcc
	v_lshlrev_b32_e32 v12, 16, v6
	v_mov_b32_e32 v13, 0x3b800000
	v_lshlrev_b32_e32 v10, 20, v10
	v_and_b32_e32 v12, 0x80000000, v12
	v_lshl_add_u32 v11, v11, 23, v13
	v_or3_b32 v10, v12, v11, v10
.LBB9_1932:
	s_or_b64 exec, exec, s[6:7]
	v_lshrrev_b32_e32 v11, 8, v2
	s_movk_i32 s4, 0x7f
	v_cmp_gt_i16_sdwa s[6:7], v11, s4 src0_sel:BYTE_0 src1_sel:DWORD
	s_mov_b64 s[4:5], 0
                                        ; implicit-def: $sgpr10
	s_and_saveexec_b64 s[8:9], s[6:7]
	s_xor_b64 s[6:7], exec, s[8:9]
	s_cbranch_execnz .LBB9_3981
; %bb.1933:
	s_or_saveexec_b64 s[6:7], s[6:7]
	v_mov_b32_e32 v12, s10
	s_xor_b64 exec, exec, s[6:7]
	s_cbranch_execnz .LBB9_3984
.LBB9_1934:
	s_or_b64 exec, exec, s[6:7]
	s_and_saveexec_b64 s[6:7], s[4:5]
	s_cbranch_execz .LBB9_1936
.LBB9_1935:
	v_bfe_u32 v12, v2, 8, 3
	v_ffbh_u32_e32 v14, v12
	v_min_u32_e32 v14, 32, v14
	v_lshrrev_b16_e32 v13, 3, v11
	v_subrev_u32_e32 v15, 28, v14
	v_and_b32_e32 v13, 15, v13
	v_lshlrev_b32_e32 v11, v15, v11
	v_sub_u32_e32 v14, 29, v14
	v_and_b32_e32 v11, 7, v11
	v_cmp_eq_u16_e32 vcc, 0, v13
	v_cndmask_b32_e32 v11, v12, v11, vcc
	v_cndmask_b32_e32 v12, v13, v14, vcc
	v_lshlrev_b32_e32 v13, 16, v2
	v_mov_b32_e32 v14, 0x3b800000
	v_lshlrev_b32_e32 v11, 20, v11
	v_and_b32_e32 v13, 0x80000000, v13
	v_lshl_add_u32 v12, v12, 23, v14
	v_or3_b32 v12, v13, v12, v11
.LBB9_1936:
	s_or_b64 exec, exec, s[6:7]
	s_nop 0
	v_mfma_f32_16x16x4f32 a[0:3], v10, v12, a[0:3]
	s_movk_i32 s4, 0xff
	v_and_b32_sdwa v11, v6, s4 dst_sel:DWORD dst_unused:UNUSED_PAD src0_sel:WORD_1 src1_sel:DWORD
	s_movk_i32 s4, 0x7f
	v_cmp_lt_i16_e32 vcc, s4, v11
	s_mov_b64 s[4:5], 0
                                        ; implicit-def: $sgpr10
	s_and_saveexec_b64 s[6:7], vcc
	s_xor_b64 s[6:7], exec, s[6:7]
	s_cbranch_execnz .LBB9_3985
; %bb.1937:
	s_or_saveexec_b64 s[6:7], s[6:7]
	v_mov_b32_e32 v10, s10
	s_xor_b64 exec, exec, s[6:7]
	s_cbranch_execnz .LBB9_3988
.LBB9_1938:
	s_or_b64 exec, exec, s[6:7]
	s_and_saveexec_b64 s[6:7], s[4:5]
	s_cbranch_execz .LBB9_1940
.LBB9_1939:
	v_bfe_u32 v10, v6, 16, 3
	v_ffbh_u32_e32 v13, v10
	v_min_u32_e32 v13, 32, v13
	v_lshrrev_b32_e32 v11, 19, v6
	v_subrev_u32_e32 v14, 28, v13
	v_and_b32_e32 v11, 15, v11
	v_lshlrev_b32_sdwa v14, v14, v6 dst_sel:DWORD dst_unused:UNUSED_PAD src0_sel:DWORD src1_sel:WORD_1
	v_bfe_u32 v12, v6, 19, 4
	v_sub_u32_e32 v13, 29, v13
	v_and_b32_e32 v14, 7, v14
	v_cmp_eq_u16_e32 vcc, 0, v11
	v_cndmask_b32_e32 v10, v10, v14, vcc
	v_cndmask_b32_e32 v11, v12, v13, vcc
	v_lshlrev_b32_e32 v12, 8, v6
	v_mov_b32_e32 v13, 0x3b800000
	v_lshlrev_b32_e32 v10, 20, v10
	v_and_b32_e32 v12, 0x80000000, v12
	v_lshl_add_u32 v11, v11, 23, v13
	v_or3_b32 v10, v12, v11, v10
.LBB9_1940:
	s_or_b64 exec, exec, s[6:7]
	s_movk_i32 s4, 0xff
	v_and_b32_sdwa v11, v2, s4 dst_sel:DWORD dst_unused:UNUSED_PAD src0_sel:WORD_1 src1_sel:DWORD
	s_movk_i32 s4, 0x7f
	v_cmp_lt_i16_e32 vcc, s4, v11
	s_mov_b64 s[4:5], 0
                                        ; implicit-def: $sgpr10
	s_and_saveexec_b64 s[6:7], vcc
	s_xor_b64 s[6:7], exec, s[6:7]
	s_cbranch_execnz .LBB9_3989
; %bb.1941:
	s_or_saveexec_b64 s[6:7], s[6:7]
	v_mov_b32_e32 v12, s10
	s_xor_b64 exec, exec, s[6:7]
	s_cbranch_execnz .LBB9_3992
.LBB9_1942:
	s_or_b64 exec, exec, s[6:7]
	s_and_saveexec_b64 s[6:7], s[4:5]
	s_cbranch_execz .LBB9_1944
.LBB9_1943:
	v_bfe_u32 v11, v2, 16, 3
	v_ffbh_u32_e32 v14, v11
	v_min_u32_e32 v14, 32, v14
	v_lshrrev_b32_e32 v12, 19, v2
	v_subrev_u32_e32 v15, 28, v14
	v_and_b32_e32 v12, 15, v12
	v_lshlrev_b32_sdwa v15, v15, v2 dst_sel:DWORD dst_unused:UNUSED_PAD src0_sel:DWORD src1_sel:WORD_1
	v_bfe_u32 v13, v2, 19, 4
	v_sub_u32_e32 v14, 29, v14
	v_and_b32_e32 v15, 7, v15
	v_cmp_eq_u16_e32 vcc, 0, v12
	v_cndmask_b32_e32 v11, v11, v15, vcc
	v_cndmask_b32_e32 v12, v13, v14, vcc
	v_lshlrev_b32_e32 v13, 8, v2
	v_mov_b32_e32 v14, 0x3b800000
	v_lshlrev_b32_e32 v11, 20, v11
	v_and_b32_e32 v13, 0x80000000, v13
	v_lshl_add_u32 v12, v12, 23, v14
	v_or3_b32 v12, v13, v12, v11
.LBB9_1944:
	s_or_b64 exec, exec, s[6:7]
	s_nop 0
	v_mfma_f32_16x16x4f32 a[0:3], v10, v12, a[0:3]
	s_movk_i32 s4, 0x7f
	v_cmp_gt_i16_sdwa s[6:7], v6, s4 src0_sel:BYTE_3 src1_sel:DWORD
	s_mov_b64 s[4:5], 0
                                        ; implicit-def: $sgpr10
	s_and_saveexec_b64 s[8:9], s[6:7]
	s_xor_b64 s[6:7], exec, s[8:9]
	s_cbranch_execnz .LBB9_3993
; %bb.1945:
	s_or_saveexec_b64 s[6:7], s[6:7]
	v_mov_b32_e32 v10, s10
	s_xor_b64 exec, exec, s[6:7]
	s_cbranch_execnz .LBB9_3996
.LBB9_1946:
	s_or_b64 exec, exec, s[6:7]
	s_and_saveexec_b64 s[6:7], s[4:5]
	s_cbranch_execz .LBB9_1948
.LBB9_1947:
	v_bfe_u32 v10, v6, 24, 3
	v_ffbh_u32_e32 v14, v10
	v_min_u32_e32 v14, 32, v14
	v_lshrrev_b32_e32 v12, 27, v6
	v_subrev_u32_e32 v15, 28, v14
	v_and_b32_e32 v11, 0x80000000, v6
	v_and_b32_e32 v12, 15, v12
	v_bfe_u32 v13, v6, 27, 4
	v_lshlrev_b32_sdwa v6, v15, v6 dst_sel:DWORD dst_unused:UNUSED_PAD src0_sel:DWORD src1_sel:BYTE_3
	v_sub_u32_e32 v14, 29, v14
	v_and_b32_e32 v6, 7, v6
	v_cmp_eq_u16_e32 vcc, 0, v12
	v_cndmask_b32_e32 v6, v10, v6, vcc
	v_cndmask_b32_e32 v10, v13, v14, vcc
	v_mov_b32_e32 v12, 0x3b800000
	v_lshlrev_b32_e32 v6, 20, v6
	v_lshl_add_u32 v10, v10, 23, v12
	v_or3_b32 v10, v11, v10, v6
.LBB9_1948:
	s_or_b64 exec, exec, s[6:7]
	s_movk_i32 s4, 0x7f
	v_cmp_gt_i16_sdwa s[6:7], v2, s4 src0_sel:BYTE_3 src1_sel:DWORD
	s_mov_b64 s[4:5], 0
                                        ; implicit-def: $sgpr10
	s_and_saveexec_b64 s[8:9], s[6:7]
	s_xor_b64 s[6:7], exec, s[8:9]
	s_cbranch_execnz .LBB9_3997
; %bb.1949:
	s_or_saveexec_b64 s[6:7], s[6:7]
	v_mov_b32_e32 v6, s10
	s_xor_b64 exec, exec, s[6:7]
	s_cbranch_execnz .LBB9_4000
.LBB9_1950:
	s_or_b64 exec, exec, s[6:7]
	s_and_saveexec_b64 s[6:7], s[4:5]
	s_cbranch_execz .LBB9_1952
.LBB9_1951:
	v_bfe_u32 v6, v2, 24, 3
	v_ffbh_u32_e32 v14, v6
	v_min_u32_e32 v14, 32, v14
	v_lshrrev_b32_e32 v12, 27, v2
	v_subrev_u32_e32 v15, 28, v14
	v_and_b32_e32 v11, 0x80000000, v2
	v_and_b32_e32 v12, 15, v12
	v_bfe_u32 v13, v2, 27, 4
	v_lshlrev_b32_sdwa v2, v15, v2 dst_sel:DWORD dst_unused:UNUSED_PAD src0_sel:DWORD src1_sel:BYTE_3
	v_sub_u32_e32 v14, 29, v14
	v_and_b32_e32 v2, 7, v2
	v_cmp_eq_u16_e32 vcc, 0, v12
	v_cndmask_b32_e32 v2, v6, v2, vcc
	v_cndmask_b32_e32 v6, v13, v14, vcc
	v_mov_b32_e32 v12, 0x3b800000
	v_lshlrev_b32_e32 v2, 20, v2
	v_lshl_add_u32 v6, v6, 23, v12
	v_or3_b32 v6, v11, v6, v2
.LBB9_1952:
	s_or_b64 exec, exec, s[6:7]
	s_nop 0
	v_mfma_f32_16x16x4f32 a[0:3], v10, v6, a[0:3]
	s_movk_i32 s4, 0x7f
	v_cmp_gt_i16_sdwa s[6:7], v7, s4 src0_sel:BYTE_0 src1_sel:DWORD
	s_mov_b64 s[4:5], 0
                                        ; implicit-def: $sgpr10
	s_and_saveexec_b64 s[8:9], s[6:7]
	s_xor_b64 s[6:7], exec, s[8:9]
	s_cbranch_execnz .LBB9_4001
; %bb.1953:
	s_or_saveexec_b64 s[6:7], s[6:7]
	v_mov_b32_e32 v2, s10
	s_xor_b64 exec, exec, s[6:7]
	s_cbranch_execnz .LBB9_4004
.LBB9_1954:
	s_or_b64 exec, exec, s[6:7]
	s_and_saveexec_b64 s[6:7], s[4:5]
	s_cbranch_execz .LBB9_1956
.LBB9_1955:
	v_and_b32_e32 v2, 7, v7
	v_ffbh_u32_e32 v10, v2
	v_min_u32_e32 v10, 32, v10
	v_lshrrev_b16_e32 v6, 3, v7
	v_subrev_u32_e32 v11, 28, v10
	v_and_b32_e32 v6, 15, v6
	v_lshlrev_b32_e32 v11, v11, v7
	v_sub_u32_e32 v10, 29, v10
	v_and_b32_e32 v11, 7, v11
	v_cmp_eq_u16_e32 vcc, 0, v6
	v_cndmask_b32_e32 v2, v2, v11, vcc
	v_cndmask_b32_e32 v6, v6, v10, vcc
	v_lshlrev_b32_e32 v10, 24, v7
	v_mov_b32_e32 v11, 0x3b800000
	v_lshlrev_b32_e32 v2, 20, v2
	v_and_b32_e32 v10, 0x80000000, v10
	v_lshl_add_u32 v6, v6, 23, v11
	v_or3_b32 v2, v10, v6, v2
.LBB9_1956:
	s_or_b64 exec, exec, s[6:7]
	s_movk_i32 s4, 0x7f
	v_cmp_gt_i16_sdwa s[6:7], v3, s4 src0_sel:BYTE_0 src1_sel:DWORD
	s_mov_b64 s[4:5], 0
                                        ; implicit-def: $sgpr10
	s_and_saveexec_b64 s[8:9], s[6:7]
	s_xor_b64 s[6:7], exec, s[8:9]
	s_cbranch_execnz .LBB9_4005
; %bb.1957:
	s_or_saveexec_b64 s[6:7], s[6:7]
	v_mov_b32_e32 v6, s10
	s_xor_b64 exec, exec, s[6:7]
	s_cbranch_execnz .LBB9_4008
.LBB9_1958:
	s_or_b64 exec, exec, s[6:7]
	s_and_saveexec_b64 s[6:7], s[4:5]
	s_cbranch_execz .LBB9_1960
.LBB9_1959:
	v_and_b32_e32 v6, 7, v3
	v_ffbh_u32_e32 v11, v6
	v_min_u32_e32 v11, 32, v11
	v_lshrrev_b16_e32 v10, 3, v3
	v_subrev_u32_e32 v12, 28, v11
	v_and_b32_e32 v10, 15, v10
	v_lshlrev_b32_e32 v12, v12, v3
	v_sub_u32_e32 v11, 29, v11
	v_and_b32_e32 v12, 7, v12
	v_cmp_eq_u16_e32 vcc, 0, v10
	v_cndmask_b32_e32 v6, v6, v12, vcc
	v_cndmask_b32_e32 v10, v10, v11, vcc
	v_lshlrev_b32_e32 v11, 24, v3
	v_mov_b32_e32 v12, 0x3b800000
	v_lshlrev_b32_e32 v6, 20, v6
	v_and_b32_e32 v11, 0x80000000, v11
	v_lshl_add_u32 v10, v10, 23, v12
	v_or3_b32 v6, v11, v10, v6
.LBB9_1960:
	s_or_b64 exec, exec, s[6:7]
	s_nop 0
	v_mfma_f32_16x16x4f32 a[0:3], v2, v6, a[0:3]
	v_lshrrev_b32_e32 v6, 8, v7
	s_movk_i32 s4, 0x7f
	v_cmp_gt_i16_sdwa s[6:7], v6, s4 src0_sel:BYTE_0 src1_sel:DWORD
	s_mov_b64 s[4:5], 0
                                        ; implicit-def: $sgpr10
	s_and_saveexec_b64 s[8:9], s[6:7]
	s_xor_b64 s[6:7], exec, s[8:9]
	s_cbranch_execnz .LBB9_4009
; %bb.1961:
	s_or_saveexec_b64 s[6:7], s[6:7]
	v_mov_b32_e32 v2, s10
	s_xor_b64 exec, exec, s[6:7]
	s_cbranch_execnz .LBB9_4012
.LBB9_1962:
	s_or_b64 exec, exec, s[6:7]
	s_and_saveexec_b64 s[6:7], s[4:5]
	s_cbranch_execz .LBB9_1964
.LBB9_1963:
	v_bfe_u32 v2, v7, 8, 3
	v_ffbh_u32_e32 v11, v2
	v_min_u32_e32 v11, 32, v11
	v_lshrrev_b16_e32 v10, 3, v6
	v_subrev_u32_e32 v12, 28, v11
	v_and_b32_e32 v10, 15, v10
	v_lshlrev_b32_e32 v6, v12, v6
	v_sub_u32_e32 v11, 29, v11
	v_and_b32_e32 v6, 7, v6
	v_cmp_eq_u16_e32 vcc, 0, v10
	v_cndmask_b32_e32 v2, v2, v6, vcc
	v_cndmask_b32_e32 v6, v10, v11, vcc
	v_lshlrev_b32_e32 v10, 16, v7
	v_mov_b32_e32 v11, 0x3b800000
	v_lshlrev_b32_e32 v2, 20, v2
	v_and_b32_e32 v10, 0x80000000, v10
	v_lshl_add_u32 v6, v6, 23, v11
	v_or3_b32 v2, v10, v6, v2
.LBB9_1964:
	s_or_b64 exec, exec, s[6:7]
	v_lshrrev_b32_e32 v6, 8, v3
	s_movk_i32 s4, 0x7f
	v_cmp_gt_i16_sdwa s[6:7], v6, s4 src0_sel:BYTE_0 src1_sel:DWORD
	s_mov_b64 s[4:5], 0
                                        ; implicit-def: $sgpr10
	s_and_saveexec_b64 s[8:9], s[6:7]
	s_xor_b64 s[6:7], exec, s[8:9]
	s_cbranch_execnz .LBB9_4013
; %bb.1965:
	s_or_saveexec_b64 s[6:7], s[6:7]
	v_mov_b32_e32 v10, s10
	s_xor_b64 exec, exec, s[6:7]
	s_cbranch_execnz .LBB9_4016
.LBB9_1966:
	s_or_b64 exec, exec, s[6:7]
	s_and_saveexec_b64 s[6:7], s[4:5]
	s_cbranch_execz .LBB9_1968
.LBB9_1967:
	v_bfe_u32 v10, v3, 8, 3
	v_ffbh_u32_e32 v12, v10
	v_min_u32_e32 v12, 32, v12
	v_lshrrev_b16_e32 v11, 3, v6
	v_subrev_u32_e32 v13, 28, v12
	v_and_b32_e32 v11, 15, v11
	v_lshlrev_b32_e32 v6, v13, v6
	v_sub_u32_e32 v12, 29, v12
	v_and_b32_e32 v6, 7, v6
	v_cmp_eq_u16_e32 vcc, 0, v11
	v_cndmask_b32_e32 v6, v10, v6, vcc
	v_cndmask_b32_e32 v10, v11, v12, vcc
	v_lshlrev_b32_e32 v11, 16, v3
	v_mov_b32_e32 v12, 0x3b800000
	v_lshlrev_b32_e32 v6, 20, v6
	v_and_b32_e32 v11, 0x80000000, v11
	v_lshl_add_u32 v10, v10, 23, v12
	v_or3_b32 v10, v11, v10, v6
.LBB9_1968:
	s_or_b64 exec, exec, s[6:7]
	s_nop 0
	v_mfma_f32_16x16x4f32 a[0:3], v2, v10, a[0:3]
	s_movk_i32 s4, 0xff
	v_and_b32_sdwa v6, v7, s4 dst_sel:DWORD dst_unused:UNUSED_PAD src0_sel:WORD_1 src1_sel:DWORD
	s_movk_i32 s4, 0x7f
	v_cmp_lt_i16_e32 vcc, s4, v6
	s_mov_b64 s[4:5], 0
                                        ; implicit-def: $sgpr10
	s_and_saveexec_b64 s[6:7], vcc
	s_xor_b64 s[6:7], exec, s[6:7]
	s_cbranch_execnz .LBB9_4017
; %bb.1969:
	s_or_saveexec_b64 s[6:7], s[6:7]
	v_mov_b32_e32 v2, s10
	s_xor_b64 exec, exec, s[6:7]
	s_cbranch_execnz .LBB9_4020
.LBB9_1970:
	s_or_b64 exec, exec, s[6:7]
	s_and_saveexec_b64 s[6:7], s[4:5]
	s_cbranch_execz .LBB9_1972
.LBB9_1971:
	v_bfe_u32 v2, v7, 16, 3
	v_ffbh_u32_e32 v11, v2
	v_min_u32_e32 v11, 32, v11
	v_lshrrev_b32_e32 v6, 19, v7
	v_subrev_u32_e32 v12, 28, v11
	v_and_b32_e32 v6, 15, v6
	v_lshlrev_b32_sdwa v12, v12, v7 dst_sel:DWORD dst_unused:UNUSED_PAD src0_sel:DWORD src1_sel:WORD_1
	v_bfe_u32 v10, v7, 19, 4
	v_sub_u32_e32 v11, 29, v11
	v_and_b32_e32 v12, 7, v12
	v_cmp_eq_u16_e32 vcc, 0, v6
	v_cndmask_b32_e32 v2, v2, v12, vcc
	v_cndmask_b32_e32 v6, v10, v11, vcc
	v_lshlrev_b32_e32 v10, 8, v7
	v_mov_b32_e32 v11, 0x3b800000
	v_lshlrev_b32_e32 v2, 20, v2
	v_and_b32_e32 v10, 0x80000000, v10
	v_lshl_add_u32 v6, v6, 23, v11
	v_or3_b32 v2, v10, v6, v2
.LBB9_1972:
	s_or_b64 exec, exec, s[6:7]
	s_movk_i32 s4, 0xff
	v_and_b32_sdwa v6, v3, s4 dst_sel:DWORD dst_unused:UNUSED_PAD src0_sel:WORD_1 src1_sel:DWORD
	s_movk_i32 s4, 0x7f
	v_cmp_lt_i16_e32 vcc, s4, v6
	s_mov_b64 s[4:5], 0
                                        ; implicit-def: $sgpr10
	s_and_saveexec_b64 s[6:7], vcc
	s_xor_b64 s[6:7], exec, s[6:7]
	s_cbranch_execnz .LBB9_4021
; %bb.1973:
	s_or_saveexec_b64 s[6:7], s[6:7]
	v_mov_b32_e32 v10, s10
	s_xor_b64 exec, exec, s[6:7]
	s_cbranch_execnz .LBB9_4024
.LBB9_1974:
	s_or_b64 exec, exec, s[6:7]
	s_and_saveexec_b64 s[6:7], s[4:5]
	s_cbranch_execz .LBB9_1976
.LBB9_1975:
	v_bfe_u32 v6, v3, 16, 3
	v_ffbh_u32_e32 v12, v6
	v_min_u32_e32 v12, 32, v12
	v_lshrrev_b32_e32 v10, 19, v3
	v_subrev_u32_e32 v13, 28, v12
	v_and_b32_e32 v10, 15, v10
	v_lshlrev_b32_sdwa v13, v13, v3 dst_sel:DWORD dst_unused:UNUSED_PAD src0_sel:DWORD src1_sel:WORD_1
	v_bfe_u32 v11, v3, 19, 4
	v_sub_u32_e32 v12, 29, v12
	v_and_b32_e32 v13, 7, v13
	v_cmp_eq_u16_e32 vcc, 0, v10
	v_cndmask_b32_e32 v6, v6, v13, vcc
	v_cndmask_b32_e32 v10, v11, v12, vcc
	v_lshlrev_b32_e32 v11, 8, v3
	v_mov_b32_e32 v12, 0x3b800000
	v_lshlrev_b32_e32 v6, 20, v6
	v_and_b32_e32 v11, 0x80000000, v11
	v_lshl_add_u32 v10, v10, 23, v12
	v_or3_b32 v10, v11, v10, v6
.LBB9_1976:
	s_or_b64 exec, exec, s[6:7]
	s_nop 0
	v_mfma_f32_16x16x4f32 a[0:3], v2, v10, a[0:3]
	s_movk_i32 s4, 0x7f
	v_cmp_gt_i16_sdwa s[6:7], v7, s4 src0_sel:BYTE_3 src1_sel:DWORD
	s_mov_b64 s[4:5], 0
                                        ; implicit-def: $sgpr10
	s_and_saveexec_b64 s[8:9], s[6:7]
	s_xor_b64 s[6:7], exec, s[8:9]
	s_cbranch_execnz .LBB9_4025
; %bb.1977:
	s_or_saveexec_b64 s[6:7], s[6:7]
	v_mov_b32_e32 v2, s10
	s_xor_b64 exec, exec, s[6:7]
	s_cbranch_execnz .LBB9_4028
.LBB9_1978:
	s_or_b64 exec, exec, s[6:7]
	s_and_saveexec_b64 s[6:7], s[4:5]
	s_cbranch_execz .LBB9_1980
.LBB9_1979:
	v_bfe_u32 v2, v7, 24, 3
	v_ffbh_u32_e32 v12, v2
	v_min_u32_e32 v12, 32, v12
	v_lshrrev_b32_e32 v10, 27, v7
	v_subrev_u32_e32 v13, 28, v12
	v_and_b32_e32 v6, 0x80000000, v7
	v_and_b32_e32 v10, 15, v10
	v_bfe_u32 v11, v7, 27, 4
	v_lshlrev_b32_sdwa v7, v13, v7 dst_sel:DWORD dst_unused:UNUSED_PAD src0_sel:DWORD src1_sel:BYTE_3
	v_sub_u32_e32 v12, 29, v12
	v_and_b32_e32 v7, 7, v7
	v_cmp_eq_u16_e32 vcc, 0, v10
	v_cndmask_b32_e32 v2, v2, v7, vcc
	v_cndmask_b32_e32 v7, v11, v12, vcc
	v_mov_b32_e32 v10, 0x3b800000
	v_lshlrev_b32_e32 v2, 20, v2
	v_lshl_add_u32 v7, v7, 23, v10
	v_or3_b32 v2, v6, v7, v2
.LBB9_1980:
	s_or_b64 exec, exec, s[6:7]
	s_movk_i32 s4, 0x7f
	v_cmp_gt_i16_sdwa s[6:7], v3, s4 src0_sel:BYTE_3 src1_sel:DWORD
	s_mov_b64 s[4:5], 0
                                        ; implicit-def: $sgpr10
	s_and_saveexec_b64 s[8:9], s[6:7]
	s_xor_b64 s[6:7], exec, s[8:9]
	s_cbranch_execnz .LBB9_4029
; %bb.1981:
	s_or_saveexec_b64 s[6:7], s[6:7]
	v_mov_b32_e32 v6, s10
	s_xor_b64 exec, exec, s[6:7]
	s_cbranch_execnz .LBB9_4032
.LBB9_1982:
	s_or_b64 exec, exec, s[6:7]
	s_and_saveexec_b64 s[6:7], s[4:5]
	s_cbranch_execz .LBB9_1984
.LBB9_1983:
	v_bfe_u32 v6, v3, 24, 3
	v_ffbh_u32_e32 v12, v6
	v_min_u32_e32 v12, 32, v12
	v_lshrrev_b32_e32 v10, 27, v3
	v_subrev_u32_e32 v13, 28, v12
	v_and_b32_e32 v7, 0x80000000, v3
	v_and_b32_e32 v10, 15, v10
	v_bfe_u32 v11, v3, 27, 4
	v_lshlrev_b32_sdwa v3, v13, v3 dst_sel:DWORD dst_unused:UNUSED_PAD src0_sel:DWORD src1_sel:BYTE_3
	v_sub_u32_e32 v12, 29, v12
	v_and_b32_e32 v3, 7, v3
	v_cmp_eq_u16_e32 vcc, 0, v10
	v_cndmask_b32_e32 v3, v6, v3, vcc
	v_cndmask_b32_e32 v6, v11, v12, vcc
	v_mov_b32_e32 v10, 0x3b800000
	v_lshlrev_b32_e32 v3, 20, v3
	v_lshl_add_u32 v6, v6, 23, v10
	v_or3_b32 v6, v7, v6, v3
.LBB9_1984:
	s_or_b64 exec, exec, s[6:7]
	s_nop 0
	v_mfma_f32_16x16x4f32 a[0:3], v2, v6, a[0:3]
	s_movk_i32 s4, 0x7f
	v_cmp_gt_i16_sdwa s[6:7], v8, s4 src0_sel:BYTE_0 src1_sel:DWORD
	s_mov_b64 s[4:5], 0
                                        ; implicit-def: $sgpr10
	s_and_saveexec_b64 s[8:9], s[6:7]
	s_xor_b64 s[6:7], exec, s[8:9]
	s_cbranch_execnz .LBB9_4033
; %bb.1985:
	s_or_saveexec_b64 s[6:7], s[6:7]
	v_mov_b32_e32 v2, s10
	s_xor_b64 exec, exec, s[6:7]
	s_cbranch_execnz .LBB9_4036
.LBB9_1986:
	s_or_b64 exec, exec, s[6:7]
	s_and_saveexec_b64 s[6:7], s[4:5]
	s_cbranch_execz .LBB9_1988
.LBB9_1987:
	v_and_b32_e32 v2, 7, v8
	v_ffbh_u32_e32 v6, v2
	v_min_u32_e32 v6, 32, v6
	v_lshrrev_b16_e32 v3, 3, v8
	v_subrev_u32_e32 v7, 28, v6
	v_and_b32_e32 v3, 15, v3
	v_lshlrev_b32_e32 v7, v7, v8
	v_sub_u32_e32 v6, 29, v6
	v_and_b32_e32 v7, 7, v7
	v_cmp_eq_u16_e32 vcc, 0, v3
	v_cndmask_b32_e32 v2, v2, v7, vcc
	v_cndmask_b32_e32 v3, v3, v6, vcc
	v_lshlrev_b32_e32 v6, 24, v8
	v_mov_b32_e32 v7, 0x3b800000
	v_lshlrev_b32_e32 v2, 20, v2
	v_and_b32_e32 v6, 0x80000000, v6
	v_lshl_add_u32 v3, v3, 23, v7
	v_or3_b32 v2, v6, v3, v2
.LBB9_1988:
	s_or_b64 exec, exec, s[6:7]
	s_movk_i32 s4, 0x7f
	v_cmp_gt_i16_sdwa s[6:7], v4, s4 src0_sel:BYTE_0 src1_sel:DWORD
	s_mov_b64 s[4:5], 0
                                        ; implicit-def: $sgpr10
	s_and_saveexec_b64 s[8:9], s[6:7]
	s_xor_b64 s[6:7], exec, s[8:9]
	s_cbranch_execnz .LBB9_4037
; %bb.1989:
	s_or_saveexec_b64 s[6:7], s[6:7]
	v_mov_b32_e32 v3, s10
	s_xor_b64 exec, exec, s[6:7]
	s_cbranch_execnz .LBB9_4040
.LBB9_1990:
	s_or_b64 exec, exec, s[6:7]
	s_and_saveexec_b64 s[6:7], s[4:5]
	s_cbranch_execz .LBB9_1992
.LBB9_1991:
	v_and_b32_e32 v3, 7, v4
	v_ffbh_u32_e32 v7, v3
	v_min_u32_e32 v7, 32, v7
	v_lshrrev_b16_e32 v6, 3, v4
	v_subrev_u32_e32 v10, 28, v7
	v_and_b32_e32 v6, 15, v6
	v_lshlrev_b32_e32 v10, v10, v4
	v_sub_u32_e32 v7, 29, v7
	v_and_b32_e32 v10, 7, v10
	v_cmp_eq_u16_e32 vcc, 0, v6
	v_cndmask_b32_e32 v3, v3, v10, vcc
	v_cndmask_b32_e32 v6, v6, v7, vcc
	v_lshlrev_b32_e32 v7, 24, v4
	v_mov_b32_e32 v10, 0x3b800000
	v_lshlrev_b32_e32 v3, 20, v3
	v_and_b32_e32 v7, 0x80000000, v7
	v_lshl_add_u32 v6, v6, 23, v10
	v_or3_b32 v3, v7, v6, v3
.LBB9_1992:
	s_or_b64 exec, exec, s[6:7]
	s_nop 0
	v_mfma_f32_16x16x4f32 a[0:3], v2, v3, a[0:3]
	v_lshrrev_b32_e32 v3, 8, v8
	s_movk_i32 s4, 0x7f
	v_cmp_gt_i16_sdwa s[6:7], v3, s4 src0_sel:BYTE_0 src1_sel:DWORD
	s_mov_b64 s[4:5], 0
                                        ; implicit-def: $sgpr10
	s_and_saveexec_b64 s[8:9], s[6:7]
	s_xor_b64 s[6:7], exec, s[8:9]
	s_cbranch_execnz .LBB9_4041
; %bb.1993:
	s_or_saveexec_b64 s[6:7], s[6:7]
	v_mov_b32_e32 v2, s10
	s_xor_b64 exec, exec, s[6:7]
	s_cbranch_execnz .LBB9_4044
.LBB9_1994:
	s_or_b64 exec, exec, s[6:7]
	s_and_saveexec_b64 s[6:7], s[4:5]
	s_cbranch_execz .LBB9_1996
.LBB9_1995:
	v_bfe_u32 v2, v8, 8, 3
	v_ffbh_u32_e32 v7, v2
	v_min_u32_e32 v7, 32, v7
	v_lshrrev_b16_e32 v6, 3, v3
	v_subrev_u32_e32 v10, 28, v7
	v_and_b32_e32 v6, 15, v6
	v_lshlrev_b32_e32 v3, v10, v3
	v_sub_u32_e32 v7, 29, v7
	v_and_b32_e32 v3, 7, v3
	v_cmp_eq_u16_e32 vcc, 0, v6
	v_cndmask_b32_e32 v2, v2, v3, vcc
	v_cndmask_b32_e32 v3, v6, v7, vcc
	v_lshlrev_b32_e32 v6, 16, v8
	v_mov_b32_e32 v7, 0x3b800000
	v_lshlrev_b32_e32 v2, 20, v2
	v_and_b32_e32 v6, 0x80000000, v6
	v_lshl_add_u32 v3, v3, 23, v7
	v_or3_b32 v2, v6, v3, v2
.LBB9_1996:
	s_or_b64 exec, exec, s[6:7]
	v_lshrrev_b32_e32 v3, 8, v4
	s_movk_i32 s4, 0x7f
	v_cmp_gt_i16_sdwa s[6:7], v3, s4 src0_sel:BYTE_0 src1_sel:DWORD
	s_mov_b64 s[4:5], 0
                                        ; implicit-def: $sgpr10
	s_and_saveexec_b64 s[8:9], s[6:7]
	s_xor_b64 s[6:7], exec, s[8:9]
	s_cbranch_execnz .LBB9_4045
; %bb.1997:
	s_or_saveexec_b64 s[6:7], s[6:7]
	v_mov_b32_e32 v6, s10
	s_xor_b64 exec, exec, s[6:7]
	s_cbranch_execnz .LBB9_4048
.LBB9_1998:
	s_or_b64 exec, exec, s[6:7]
	s_and_saveexec_b64 s[6:7], s[4:5]
	s_cbranch_execz .LBB9_2000
.LBB9_1999:
	v_bfe_u32 v6, v4, 8, 3
	v_ffbh_u32_e32 v10, v6
	v_min_u32_e32 v10, 32, v10
	v_lshrrev_b16_e32 v7, 3, v3
	v_subrev_u32_e32 v11, 28, v10
	v_and_b32_e32 v7, 15, v7
	v_lshlrev_b32_e32 v3, v11, v3
	v_sub_u32_e32 v10, 29, v10
	v_and_b32_e32 v3, 7, v3
	v_cmp_eq_u16_e32 vcc, 0, v7
	v_cndmask_b32_e32 v3, v6, v3, vcc
	v_cndmask_b32_e32 v6, v7, v10, vcc
	v_lshlrev_b32_e32 v7, 16, v4
	v_mov_b32_e32 v10, 0x3b800000
	v_lshlrev_b32_e32 v3, 20, v3
	v_and_b32_e32 v7, 0x80000000, v7
	v_lshl_add_u32 v6, v6, 23, v10
	v_or3_b32 v6, v7, v6, v3
.LBB9_2000:
	s_or_b64 exec, exec, s[6:7]
	s_nop 0
	v_mfma_f32_16x16x4f32 a[0:3], v2, v6, a[0:3]
	s_movk_i32 s4, 0xff
	v_and_b32_sdwa v3, v8, s4 dst_sel:DWORD dst_unused:UNUSED_PAD src0_sel:WORD_1 src1_sel:DWORD
	s_movk_i32 s4, 0x7f
	v_cmp_lt_i16_e32 vcc, s4, v3
	s_mov_b64 s[4:5], 0
                                        ; implicit-def: $sgpr10
	s_and_saveexec_b64 s[6:7], vcc
	s_xor_b64 s[6:7], exec, s[6:7]
	s_cbranch_execnz .LBB9_4049
; %bb.2001:
	s_or_saveexec_b64 s[6:7], s[6:7]
	v_mov_b32_e32 v2, s10
	s_xor_b64 exec, exec, s[6:7]
	s_cbranch_execnz .LBB9_4052
.LBB9_2002:
	s_or_b64 exec, exec, s[6:7]
	s_and_saveexec_b64 s[6:7], s[4:5]
	s_cbranch_execz .LBB9_2004
.LBB9_2003:
	v_bfe_u32 v2, v8, 16, 3
	v_ffbh_u32_e32 v7, v2
	v_min_u32_e32 v7, 32, v7
	v_lshrrev_b32_e32 v3, 19, v8
	v_subrev_u32_e32 v10, 28, v7
	v_and_b32_e32 v3, 15, v3
	v_lshlrev_b32_sdwa v10, v10, v8 dst_sel:DWORD dst_unused:UNUSED_PAD src0_sel:DWORD src1_sel:WORD_1
	v_bfe_u32 v6, v8, 19, 4
	v_sub_u32_e32 v7, 29, v7
	v_and_b32_e32 v10, 7, v10
	v_cmp_eq_u16_e32 vcc, 0, v3
	v_cndmask_b32_e32 v2, v2, v10, vcc
	v_cndmask_b32_e32 v3, v6, v7, vcc
	v_lshlrev_b32_e32 v6, 8, v8
	v_mov_b32_e32 v7, 0x3b800000
	v_lshlrev_b32_e32 v2, 20, v2
	v_and_b32_e32 v6, 0x80000000, v6
	v_lshl_add_u32 v3, v3, 23, v7
	v_or3_b32 v2, v6, v3, v2
.LBB9_2004:
	s_or_b64 exec, exec, s[6:7]
	s_movk_i32 s4, 0xff
	v_and_b32_sdwa v3, v4, s4 dst_sel:DWORD dst_unused:UNUSED_PAD src0_sel:WORD_1 src1_sel:DWORD
	s_movk_i32 s4, 0x7f
	v_cmp_lt_i16_e32 vcc, s4, v3
	s_mov_b64 s[4:5], 0
                                        ; implicit-def: $sgpr10
	s_and_saveexec_b64 s[6:7], vcc
	s_xor_b64 s[6:7], exec, s[6:7]
	s_cbranch_execnz .LBB9_4053
; %bb.2005:
	s_or_saveexec_b64 s[6:7], s[6:7]
	v_mov_b32_e32 v6, s10
	s_xor_b64 exec, exec, s[6:7]
	s_cbranch_execnz .LBB9_4056
.LBB9_2006:
	s_or_b64 exec, exec, s[6:7]
	s_and_saveexec_b64 s[6:7], s[4:5]
	s_cbranch_execz .LBB9_2008
.LBB9_2007:
	v_bfe_u32 v3, v4, 16, 3
	v_ffbh_u32_e32 v10, v3
	v_min_u32_e32 v10, 32, v10
	v_lshrrev_b32_e32 v6, 19, v4
	v_subrev_u32_e32 v11, 28, v10
	v_and_b32_e32 v6, 15, v6
	v_lshlrev_b32_sdwa v11, v11, v4 dst_sel:DWORD dst_unused:UNUSED_PAD src0_sel:DWORD src1_sel:WORD_1
	v_bfe_u32 v7, v4, 19, 4
	v_sub_u32_e32 v10, 29, v10
	v_and_b32_e32 v11, 7, v11
	v_cmp_eq_u16_e32 vcc, 0, v6
	v_cndmask_b32_e32 v3, v3, v11, vcc
	v_cndmask_b32_e32 v6, v7, v10, vcc
	v_lshlrev_b32_e32 v7, 8, v4
	v_mov_b32_e32 v10, 0x3b800000
	v_lshlrev_b32_e32 v3, 20, v3
	v_and_b32_e32 v7, 0x80000000, v7
	v_lshl_add_u32 v6, v6, 23, v10
	v_or3_b32 v6, v7, v6, v3
.LBB9_2008:
	s_or_b64 exec, exec, s[6:7]
	s_nop 0
	v_mfma_f32_16x16x4f32 a[0:3], v2, v6, a[0:3]
	s_movk_i32 s4, 0x7f
	v_cmp_gt_i16_sdwa s[6:7], v8, s4 src0_sel:BYTE_3 src1_sel:DWORD
	s_mov_b64 s[4:5], 0
                                        ; implicit-def: $sgpr10
	s_and_saveexec_b64 s[8:9], s[6:7]
	s_xor_b64 s[6:7], exec, s[8:9]
	s_cbranch_execnz .LBB9_4057
; %bb.2009:
	s_or_saveexec_b64 s[6:7], s[6:7]
	v_mov_b32_e32 v2, s10
	s_xor_b64 exec, exec, s[6:7]
	s_cbranch_execnz .LBB9_4060
.LBB9_2010:
	s_or_b64 exec, exec, s[6:7]
	s_and_saveexec_b64 s[6:7], s[4:5]
	s_cbranch_execz .LBB9_2012
.LBB9_2011:
	v_bfe_u32 v2, v8, 24, 3
	v_ffbh_u32_e32 v10, v2
	v_min_u32_e32 v10, 32, v10
	v_lshrrev_b32_e32 v6, 27, v8
	v_subrev_u32_e32 v11, 28, v10
	v_and_b32_e32 v3, 0x80000000, v8
	v_and_b32_e32 v6, 15, v6
	v_bfe_u32 v7, v8, 27, 4
	v_lshlrev_b32_sdwa v8, v11, v8 dst_sel:DWORD dst_unused:UNUSED_PAD src0_sel:DWORD src1_sel:BYTE_3
	v_sub_u32_e32 v10, 29, v10
	v_and_b32_e32 v8, 7, v8
	v_cmp_eq_u16_e32 vcc, 0, v6
	v_cndmask_b32_e32 v2, v2, v8, vcc
	v_cndmask_b32_e32 v6, v7, v10, vcc
	v_mov_b32_e32 v7, 0x3b800000
	v_lshlrev_b32_e32 v2, 20, v2
	v_lshl_add_u32 v6, v6, 23, v7
	v_or3_b32 v2, v3, v6, v2
.LBB9_2012:
	s_or_b64 exec, exec, s[6:7]
	s_movk_i32 s4, 0x7f
	v_cmp_gt_i16_sdwa s[6:7], v4, s4 src0_sel:BYTE_3 src1_sel:DWORD
	s_mov_b64 s[4:5], 0
                                        ; implicit-def: $sgpr10
	s_and_saveexec_b64 s[8:9], s[6:7]
	s_xor_b64 s[6:7], exec, s[8:9]
	s_cbranch_execnz .LBB9_4061
; %bb.2013:
	s_or_saveexec_b64 s[6:7], s[6:7]
	v_mov_b32_e32 v3, s10
	s_xor_b64 exec, exec, s[6:7]
	s_cbranch_execnz .LBB9_4064
.LBB9_2014:
	s_or_b64 exec, exec, s[6:7]
	s_and_saveexec_b64 s[6:7], s[4:5]
	s_cbranch_execz .LBB9_2016
.LBB9_2015:
	v_bfe_u32 v3, v4, 24, 3
	v_ffbh_u32_e32 v10, v3
	v_min_u32_e32 v10, 32, v10
	v_lshrrev_b32_e32 v7, 27, v4
	v_subrev_u32_e32 v11, 28, v10
	v_and_b32_e32 v6, 0x80000000, v4
	v_and_b32_e32 v7, 15, v7
	v_bfe_u32 v8, v4, 27, 4
	v_lshlrev_b32_sdwa v4, v11, v4 dst_sel:DWORD dst_unused:UNUSED_PAD src0_sel:DWORD src1_sel:BYTE_3
	v_sub_u32_e32 v10, 29, v10
	v_and_b32_e32 v4, 7, v4
	v_cmp_eq_u16_e32 vcc, 0, v7
	v_cndmask_b32_e32 v3, v3, v4, vcc
	v_cndmask_b32_e32 v4, v8, v10, vcc
	v_mov_b32_e32 v7, 0x3b800000
	v_lshlrev_b32_e32 v3, 20, v3
	v_lshl_add_u32 v4, v4, 23, v7
	v_or3_b32 v3, v6, v4, v3
.LBB9_2016:
	s_or_b64 exec, exec, s[6:7]
	s_nop 0
	v_mfma_f32_16x16x4f32 a[0:3], v2, v3, a[0:3]
	s_movk_i32 s4, 0x7f
	v_cmp_gt_i16_sdwa s[6:7], v9, s4 src0_sel:BYTE_0 src1_sel:DWORD
	s_mov_b64 s[4:5], 0
                                        ; implicit-def: $sgpr10
	s_and_saveexec_b64 s[8:9], s[6:7]
	s_xor_b64 s[6:7], exec, s[8:9]
	s_cbranch_execnz .LBB9_4065
; %bb.2017:
	s_or_saveexec_b64 s[6:7], s[6:7]
	v_mov_b32_e32 v2, s10
	s_xor_b64 exec, exec, s[6:7]
	s_cbranch_execnz .LBB9_4068
.LBB9_2018:
	s_or_b64 exec, exec, s[6:7]
	s_and_saveexec_b64 s[6:7], s[4:5]
	s_cbranch_execz .LBB9_2020
.LBB9_2019:
	v_mov_b32_e32 v2, 8
	v_and_b32_e32 v3, 7, v9
	v_lshrrev_b32_sdwa v2, v2, v9 dst_sel:BYTE_1 dst_unused:UNUSED_PAD src0_sel:DWORD src1_sel:DWORD
	v_ffbh_u32_e32 v4, v3
	v_or_b32_sdwa v2, v9, v2 dst_sel:DWORD dst_unused:UNUSED_PAD src0_sel:BYTE_0 src1_sel:DWORD
	v_min_u32_e32 v4, 32, v4
	v_lshrrev_b16_e32 v2, 3, v2
	v_subrev_u32_e32 v6, 28, v4
	v_and_b32_e32 v2, 15, v2
	v_lshlrev_b32_e32 v6, v6, v9
	v_sub_u32_e32 v4, 29, v4
	v_and_b32_e32 v6, 7, v6
	v_cmp_eq_u16_e32 vcc, 0, v2
	v_cndmask_b32_e32 v3, v3, v6, vcc
	v_cndmask_b32_e32 v2, v2, v4, vcc
	v_lshlrev_b32_e32 v4, 24, v9
	v_mov_b32_e32 v6, 0x3b800000
	v_lshlrev_b32_e32 v3, 20, v3
	v_and_b32_e32 v4, 0x80000000, v4
	v_lshl_add_u32 v2, v2, 23, v6
	v_or3_b32 v2, v4, v2, v3
.LBB9_2020:
	s_or_b64 exec, exec, s[6:7]
	s_movk_i32 s4, 0x7f
	v_cmp_gt_i16_sdwa s[6:7], v5, s4 src0_sel:BYTE_0 src1_sel:DWORD
	s_mov_b64 s[4:5], 0
                                        ; implicit-def: $sgpr10
	s_and_saveexec_b64 s[8:9], s[6:7]
	s_xor_b64 s[6:7], exec, s[8:9]
	s_cbranch_execnz .LBB9_4069
; %bb.2021:
	s_or_saveexec_b64 s[6:7], s[6:7]
	v_mov_b32_e32 v3, s10
	s_xor_b64 exec, exec, s[6:7]
	s_cbranch_execnz .LBB9_4072
.LBB9_2022:
	s_or_b64 exec, exec, s[6:7]
	s_and_saveexec_b64 s[6:7], s[4:5]
	s_cbranch_execz .LBB9_2024
.LBB9_2023:
	v_mov_b32_e32 v3, 8
	v_and_b32_e32 v4, 7, v5
	v_lshrrev_b32_sdwa v3, v3, v5 dst_sel:BYTE_1 dst_unused:UNUSED_PAD src0_sel:DWORD src1_sel:DWORD
	v_ffbh_u32_e32 v6, v4
	v_or_b32_sdwa v3, v5, v3 dst_sel:DWORD dst_unused:UNUSED_PAD src0_sel:BYTE_0 src1_sel:DWORD
	v_min_u32_e32 v6, 32, v6
	v_lshrrev_b16_e32 v3, 3, v3
	v_subrev_u32_e32 v7, 28, v6
	v_and_b32_e32 v3, 15, v3
	v_lshlrev_b32_e32 v7, v7, v5
	v_sub_u32_e32 v6, 29, v6
	v_and_b32_e32 v7, 7, v7
	v_cmp_eq_u16_e32 vcc, 0, v3
	v_cndmask_b32_e32 v4, v4, v7, vcc
	v_cndmask_b32_e32 v3, v3, v6, vcc
	v_lshlrev_b32_e32 v6, 24, v5
	v_mov_b32_e32 v7, 0x3b800000
	v_lshlrev_b32_e32 v4, 20, v4
	v_and_b32_e32 v6, 0x80000000, v6
	v_lshl_add_u32 v3, v3, 23, v7
	v_or3_b32 v3, v6, v3, v4
.LBB9_2024:
	s_or_b64 exec, exec, s[6:7]
	s_nop 0
	v_mfma_f32_16x16x4f32 a[0:3], v2, v3, a[0:3]
	v_lshrrev_b32_e32 v3, 8, v9
	s_movk_i32 s4, 0x7f
	v_cmp_gt_i16_sdwa s[6:7], v3, s4 src0_sel:BYTE_0 src1_sel:DWORD
	s_mov_b64 s[4:5], 0
                                        ; implicit-def: $sgpr10
	s_and_saveexec_b64 s[8:9], s[6:7]
	s_xor_b64 s[6:7], exec, s[8:9]
	s_cbranch_execnz .LBB9_4073
; %bb.2025:
	s_or_saveexec_b64 s[6:7], s[6:7]
	v_mov_b32_e32 v2, s10
	s_xor_b64 exec, exec, s[6:7]
	s_cbranch_execnz .LBB9_4076
.LBB9_2026:
	s_or_b64 exec, exec, s[6:7]
	s_and_saveexec_b64 s[6:7], s[4:5]
	s_cbranch_execz .LBB9_2028
.LBB9_2027:
	v_bfe_u32 v2, v9, 8, 3
	v_ffbh_u32_e32 v6, v2
	v_min_u32_e32 v6, 32, v6
	v_lshrrev_b16_e32 v4, 3, v3
	v_subrev_u32_e32 v7, 28, v6
	v_and_b32_e32 v4, 15, v4
	v_lshlrev_b32_e32 v3, v7, v3
	v_sub_u32_e32 v6, 29, v6
	v_and_b32_e32 v3, 7, v3
	v_cmp_eq_u16_e32 vcc, 0, v4
	v_cndmask_b32_e32 v2, v2, v3, vcc
	v_cndmask_b32_e32 v3, v4, v6, vcc
	v_lshlrev_b32_e32 v4, 16, v9
	v_mov_b32_e32 v6, 0x3b800000
	v_lshlrev_b32_e32 v2, 20, v2
	v_and_b32_e32 v4, 0x80000000, v4
	v_lshl_add_u32 v3, v3, 23, v6
	v_or3_b32 v2, v4, v3, v2
.LBB9_2028:
	s_or_b64 exec, exec, s[6:7]
	v_lshrrev_b32_e32 v3, 8, v5
	s_movk_i32 s4, 0x7f
	v_cmp_gt_i16_sdwa s[6:7], v3, s4 src0_sel:BYTE_0 src1_sel:DWORD
	s_mov_b64 s[4:5], 0
                                        ; implicit-def: $sgpr10
	s_and_saveexec_b64 s[8:9], s[6:7]
	s_xor_b64 s[6:7], exec, s[8:9]
	s_cbranch_execnz .LBB9_4077
; %bb.2029:
	s_or_saveexec_b64 s[6:7], s[6:7]
	v_mov_b32_e32 v4, s10
	s_xor_b64 exec, exec, s[6:7]
	s_cbranch_execnz .LBB9_4080
.LBB9_2030:
	s_or_b64 exec, exec, s[6:7]
	s_and_saveexec_b64 s[6:7], s[4:5]
	s_cbranch_execz .LBB9_2032
.LBB9_2031:
	v_bfe_u32 v4, v5, 8, 3
	v_ffbh_u32_e32 v7, v4
	v_min_u32_e32 v7, 32, v7
	v_lshrrev_b16_e32 v6, 3, v3
	v_subrev_u32_e32 v8, 28, v7
	v_and_b32_e32 v6, 15, v6
	v_lshlrev_b32_e32 v3, v8, v3
	v_sub_u32_e32 v7, 29, v7
	v_and_b32_e32 v3, 7, v3
	v_cmp_eq_u16_e32 vcc, 0, v6
	v_cndmask_b32_e32 v3, v4, v3, vcc
	v_cndmask_b32_e32 v4, v6, v7, vcc
	v_lshlrev_b32_e32 v6, 16, v5
	v_mov_b32_e32 v7, 0x3b800000
	v_lshlrev_b32_e32 v3, 20, v3
	v_and_b32_e32 v6, 0x80000000, v6
	v_lshl_add_u32 v4, v4, 23, v7
	v_or3_b32 v4, v6, v4, v3
.LBB9_2032:
	s_or_b64 exec, exec, s[6:7]
	s_nop 0
	v_mfma_f32_16x16x4f32 a[0:3], v2, v4, a[0:3]
	s_movk_i32 s4, 0xff
	v_and_b32_sdwa v3, v9, s4 dst_sel:DWORD dst_unused:UNUSED_PAD src0_sel:WORD_1 src1_sel:DWORD
	s_movk_i32 s4, 0x7f
	v_cmp_lt_i16_e32 vcc, s4, v3
	s_mov_b64 s[4:5], 0
                                        ; implicit-def: $sgpr10
	s_and_saveexec_b64 s[6:7], vcc
	s_xor_b64 s[6:7], exec, s[6:7]
	s_cbranch_execnz .LBB9_4081
; %bb.2033:
	s_or_saveexec_b64 s[6:7], s[6:7]
	v_mov_b32_e32 v2, s10
	s_xor_b64 exec, exec, s[6:7]
	s_cbranch_execnz .LBB9_4084
.LBB9_2034:
	s_or_b64 exec, exec, s[6:7]
	s_and_saveexec_b64 s[6:7], s[4:5]
	s_cbranch_execz .LBB9_2036
.LBB9_2035:
	v_bfe_u32 v2, v9, 16, 3
	v_ffbh_u32_e32 v6, v2
	v_min_u32_e32 v6, 32, v6
	v_lshrrev_b32_e32 v3, 19, v9
	v_subrev_u32_e32 v7, 28, v6
	v_and_b32_e32 v3, 15, v3
	v_lshlrev_b32_sdwa v7, v7, v9 dst_sel:DWORD dst_unused:UNUSED_PAD src0_sel:DWORD src1_sel:WORD_1
	v_bfe_u32 v4, v9, 19, 4
	v_sub_u32_e32 v6, 29, v6
	v_and_b32_e32 v7, 7, v7
	v_cmp_eq_u16_e32 vcc, 0, v3
	v_cndmask_b32_e32 v2, v2, v7, vcc
	v_cndmask_b32_e32 v3, v4, v6, vcc
	v_lshlrev_b32_e32 v4, 8, v9
	v_mov_b32_e32 v6, 0x3b800000
	v_lshlrev_b32_e32 v2, 20, v2
	v_and_b32_e32 v4, 0x80000000, v4
	v_lshl_add_u32 v3, v3, 23, v6
	v_or3_b32 v2, v4, v3, v2
.LBB9_2036:
	s_or_b64 exec, exec, s[6:7]
	s_movk_i32 s4, 0xff
	v_and_b32_sdwa v3, v5, s4 dst_sel:DWORD dst_unused:UNUSED_PAD src0_sel:WORD_1 src1_sel:DWORD
	s_movk_i32 s4, 0x7f
	v_cmp_lt_i16_e32 vcc, s4, v3
	s_mov_b64 s[4:5], 0
                                        ; implicit-def: $sgpr10
	s_and_saveexec_b64 s[6:7], vcc
	s_xor_b64 s[6:7], exec, s[6:7]
	s_cbranch_execnz .LBB9_4085
; %bb.2037:
	s_or_saveexec_b64 s[6:7], s[6:7]
	v_mov_b32_e32 v4, s10
	s_xor_b64 exec, exec, s[6:7]
	s_cbranch_execnz .LBB9_4088
.LBB9_2038:
	s_or_b64 exec, exec, s[6:7]
	s_and_saveexec_b64 s[6:7], s[4:5]
	s_cbranch_execz .LBB9_2040
.LBB9_2039:
	v_bfe_u32 v3, v5, 16, 3
	v_ffbh_u32_e32 v7, v3
	v_min_u32_e32 v7, 32, v7
	v_lshrrev_b32_e32 v4, 19, v5
	v_subrev_u32_e32 v8, 28, v7
	v_and_b32_e32 v4, 15, v4
	v_lshlrev_b32_sdwa v8, v8, v5 dst_sel:DWORD dst_unused:UNUSED_PAD src0_sel:DWORD src1_sel:WORD_1
	v_bfe_u32 v6, v5, 19, 4
	v_sub_u32_e32 v7, 29, v7
	v_and_b32_e32 v8, 7, v8
	v_cmp_eq_u16_e32 vcc, 0, v4
	v_cndmask_b32_e32 v3, v3, v8, vcc
	v_cndmask_b32_e32 v4, v6, v7, vcc
	v_lshlrev_b32_e32 v6, 8, v5
	v_mov_b32_e32 v7, 0x3b800000
	v_lshlrev_b32_e32 v3, 20, v3
	v_and_b32_e32 v6, 0x80000000, v6
	v_lshl_add_u32 v4, v4, 23, v7
	v_or3_b32 v4, v6, v4, v3
.LBB9_2040:
	s_or_b64 exec, exec, s[6:7]
	s_nop 0
	v_mfma_f32_16x16x4f32 a[0:3], v2, v4, a[0:3]
	s_movk_i32 s4, 0x7f
	v_cmp_gt_i16_sdwa s[6:7], v9, s4 src0_sel:BYTE_3 src1_sel:DWORD
	s_mov_b64 s[4:5], 0
                                        ; implicit-def: $sgpr10
	s_and_saveexec_b64 s[8:9], s[6:7]
	s_xor_b64 s[6:7], exec, s[8:9]
	s_cbranch_execnz .LBB9_4089
; %bb.2041:
	s_or_saveexec_b64 s[6:7], s[6:7]
	v_mov_b32_e32 v2, s10
	s_xor_b64 exec, exec, s[6:7]
	s_cbranch_execnz .LBB9_4092
.LBB9_2042:
	s_or_b64 exec, exec, s[6:7]
	s_and_saveexec_b64 s[6:7], s[4:5]
	s_cbranch_execz .LBB9_2044
.LBB9_2043:
	v_bfe_u32 v2, v9, 24, 3
	v_ffbh_u32_e32 v7, v2
	v_min_u32_e32 v7, 32, v7
	v_lshrrev_b32_e32 v4, 27, v9
	v_subrev_u32_e32 v8, 28, v7
	v_and_b32_e32 v4, 15, v4
	v_lshlrev_b32_sdwa v8, v8, v9 dst_sel:DWORD dst_unused:UNUSED_PAD src0_sel:DWORD src1_sel:BYTE_3
	v_bfe_u32 v6, v9, 27, 4
	v_sub_u32_e32 v7, 29, v7
	v_and_b32_e32 v8, 7, v8
	v_cmp_eq_u16_e32 vcc, 0, v4
	v_cndmask_b32_e32 v2, v2, v8, vcc
	v_cndmask_b32_e32 v4, v6, v7, vcc
	v_mov_b32_e32 v6, 0x3b800000
	v_and_b32_e32 v3, 0x80000000, v9
	v_lshlrev_b32_e32 v2, 20, v2
	v_lshl_add_u32 v4, v4, 23, v6
	v_or3_b32 v2, v3, v4, v2
.LBB9_2044:
	s_or_b64 exec, exec, s[6:7]
	s_movk_i32 s4, 0x7f
	v_cmp_gt_i16_sdwa s[6:7], v5, s4 src0_sel:BYTE_3 src1_sel:DWORD
	s_mov_b64 s[4:5], 0
                                        ; implicit-def: $sgpr10
	s_and_saveexec_b64 s[8:9], s[6:7]
	s_xor_b64 s[6:7], exec, s[8:9]
	s_cbranch_execnz .LBB9_4093
; %bb.2045:
	s_or_saveexec_b64 s[6:7], s[6:7]
	v_mov_b32_e32 v3, s10
	s_xor_b64 exec, exec, s[6:7]
	s_cbranch_execnz .LBB9_4096
.LBB9_2046:
	s_or_b64 exec, exec, s[6:7]
	s_and_saveexec_b64 s[6:7], s[4:5]
	s_cbranch_execz .LBB9_2048
.LBB9_2047:
	v_bfe_u32 v3, v5, 24, 3
	v_ffbh_u32_e32 v8, v3
	v_min_u32_e32 v8, 32, v8
	v_lshrrev_b32_e32 v6, 27, v5
	v_subrev_u32_e32 v9, 28, v8
	v_and_b32_e32 v4, 0x80000000, v5
	v_and_b32_e32 v6, 15, v6
	v_bfe_u32 v7, v5, 27, 4
	v_lshlrev_b32_sdwa v5, v9, v5 dst_sel:DWORD dst_unused:UNUSED_PAD src0_sel:DWORD src1_sel:BYTE_3
	v_sub_u32_e32 v8, 29, v8
	v_and_b32_e32 v5, 7, v5
	v_cmp_eq_u16_e32 vcc, 0, v6
	v_cndmask_b32_e32 v3, v3, v5, vcc
	v_cndmask_b32_e32 v5, v7, v8, vcc
	v_mov_b32_e32 v6, 0x3b800000
	v_lshlrev_b32_e32 v3, 20, v3
	v_lshl_add_u32 v5, v5, 23, v6
	v_or3_b32 v3, v4, v5, v3
.LBB9_2048:
	s_or_b64 exec, exec, s[6:7]
	s_nop 0
	v_mfma_f32_16x16x4f32 a[0:3], v2, v3, a[0:3]
	s_nop 7
	s_nop 2
	flat_store_dwordx4 v[0:1], a[0:3] offset:240
	s_waitcnt vmcnt(0) lgkmcnt(0)
	s_setpc_b64 s[30:31]
.LBB9_2049:
	s_movk_i32 s4, 0x80
	v_cmp_eq_u16_sdwa s[12:13], v6, s4 src0_sel:BYTE_0 src1_sel:DWORD
	s_mov_b64 s[4:5], -1
                                        ; implicit-def: $sgpr10
	s_and_saveexec_b64 s[8:9], s[12:13]
; %bb.2050:
	s_mov_b32 s10, 0x7f800001
	s_xor_b64 s[4:5], exec, -1
; %bb.2051:
	s_or_b64 exec, exec, s[8:9]
	s_and_b64 s[4:5], s[4:5], exec
	s_or_saveexec_b64 s[6:7], s[6:7]
	v_mov_b32_e32 v12, s10
	s_xor_b64 exec, exec, s[6:7]
	s_cbranch_execz .LBB9_2
.LBB9_2052:
	v_mov_b32_e32 v12, 0
	v_cmp_ne_u16_sdwa s[8:9], v6, v12 src0_sel:BYTE_0 src1_sel:DWORD
	s_andn2_b64 s[4:5], s[4:5], exec
	s_and_b64 s[8:9], s[8:9], exec
	s_or_b64 s[4:5], s[4:5], s[8:9]
	s_or_b64 exec, exec, s[6:7]
	s_and_saveexec_b64 s[6:7], s[4:5]
	s_cbranch_execnz .LBB9_3
	s_branch .LBB9_4
.LBB9_2053:
	s_movk_i32 s4, 0x80
	v_cmp_eq_u16_sdwa s[12:13], v2, s4 src0_sel:BYTE_0 src1_sel:DWORD
	s_mov_b64 s[4:5], -1
                                        ; implicit-def: $sgpr10
	s_and_saveexec_b64 s[8:9], s[12:13]
; %bb.2054:
	s_mov_b32 s10, 0x7f800001
	s_xor_b64 s[4:5], exec, -1
; %bb.2055:
	s_or_b64 exec, exec, s[8:9]
	s_and_b64 s[4:5], s[4:5], exec
	s_or_saveexec_b64 s[6:7], s[6:7]
	v_mov_b32_e32 v13, s10
	s_xor_b64 exec, exec, s[6:7]
	s_cbranch_execz .LBB9_6
.LBB9_2056:
	v_mov_b32_e32 v13, 0
	v_cmp_ne_u16_sdwa s[8:9], v2, v13 src0_sel:BYTE_0 src1_sel:DWORD
	s_andn2_b64 s[4:5], s[4:5], exec
	s_and_b64 s[8:9], s[8:9], exec
	s_or_b64 s[4:5], s[4:5], s[8:9]
	s_or_b64 exec, exec, s[6:7]
	s_and_saveexec_b64 s[6:7], s[4:5]
	s_cbranch_execnz .LBB9_7
	s_branch .LBB9_8
.LBB9_2057:
	s_movk_i32 s4, 0x80
	v_cmp_eq_u16_sdwa s[12:13], v13, s4 src0_sel:BYTE_0 src1_sel:DWORD
	s_mov_b64 s[4:5], -1
                                        ; implicit-def: $sgpr10
	s_and_saveexec_b64 s[8:9], s[12:13]
; %bb.2058:
	s_mov_b32 s10, 0x7f800001
	s_xor_b64 s[4:5], exec, -1
; %bb.2059:
	s_or_b64 exec, exec, s[8:9]
	s_and_b64 s[4:5], s[4:5], exec
	s_or_saveexec_b64 s[6:7], s[6:7]
	v_mov_b32_e32 v12, s10
	s_xor_b64 exec, exec, s[6:7]
	s_cbranch_execz .LBB9_10
.LBB9_2060:
	v_mov_b32_e32 v12, 0
	v_cmp_ne_u16_sdwa s[8:9], v13, v12 src0_sel:BYTE_0 src1_sel:DWORD
	s_andn2_b64 s[4:5], s[4:5], exec
	s_and_b64 s[8:9], s[8:9], exec
	s_or_b64 s[4:5], s[4:5], s[8:9]
	s_or_b64 exec, exec, s[6:7]
	s_and_saveexec_b64 s[6:7], s[4:5]
	s_cbranch_execnz .LBB9_11
	s_branch .LBB9_12
.LBB9_2061:
	s_movk_i32 s4, 0x80
	v_cmp_eq_u16_sdwa s[12:13], v13, s4 src0_sel:BYTE_0 src1_sel:DWORD
	s_mov_b64 s[4:5], -1
                                        ; implicit-def: $sgpr10
	s_and_saveexec_b64 s[8:9], s[12:13]
; %bb.2062:
	s_mov_b32 s10, 0x7f800001
	s_xor_b64 s[4:5], exec, -1
; %bb.2063:
	s_or_b64 exec, exec, s[8:9]
	s_and_b64 s[4:5], s[4:5], exec
	s_or_saveexec_b64 s[6:7], s[6:7]
	v_mov_b32_e32 v14, s10
	s_xor_b64 exec, exec, s[6:7]
	s_cbranch_execz .LBB9_14
.LBB9_2064:
	v_mov_b32_e32 v14, 0
	v_cmp_ne_u16_sdwa s[8:9], v13, v14 src0_sel:BYTE_0 src1_sel:DWORD
	s_andn2_b64 s[4:5], s[4:5], exec
	s_and_b64 s[8:9], s[8:9], exec
	s_or_b64 s[4:5], s[4:5], s[8:9]
	s_or_b64 exec, exec, s[6:7]
	s_and_saveexec_b64 s[6:7], s[4:5]
	s_cbranch_execnz .LBB9_15
	s_branch .LBB9_16
.LBB9_2065:
	s_movk_i32 s4, 0x80
	v_cmp_eq_u16_e32 vcc, s4, v13
	s_mov_b64 s[4:5], -1
                                        ; implicit-def: $sgpr10
	s_and_saveexec_b64 s[8:9], vcc
; %bb.2066:
	s_mov_b32 s10, 0x7f800001
	s_xor_b64 s[4:5], exec, -1
; %bb.2067:
	s_or_b64 exec, exec, s[8:9]
	s_and_b64 s[4:5], s[4:5], exec
                                        ; implicit-def: $vgpr13
	s_or_saveexec_b64 s[6:7], s[6:7]
	v_mov_b32_e32 v12, s10
	s_xor_b64 exec, exec, s[6:7]
	s_cbranch_execz .LBB9_18
.LBB9_2068:
	v_cmp_ne_u16_e32 vcc, 0, v13
	s_andn2_b64 s[4:5], s[4:5], exec
	s_and_b64 s[8:9], vcc, exec
	v_mov_b32_e32 v12, 0
	s_or_b64 s[4:5], s[4:5], s[8:9]
	s_or_b64 exec, exec, s[6:7]
	s_and_saveexec_b64 s[6:7], s[4:5]
	s_cbranch_execnz .LBB9_19
	s_branch .LBB9_20
.LBB9_2069:
	s_movk_i32 s4, 0x80
	v_cmp_eq_u16_e32 vcc, s4, v13
	s_mov_b64 s[4:5], -1
                                        ; implicit-def: $sgpr10
	s_and_saveexec_b64 s[8:9], vcc
; %bb.2070:
	s_mov_b32 s10, 0x7f800001
	s_xor_b64 s[4:5], exec, -1
; %bb.2071:
	s_or_b64 exec, exec, s[8:9]
	s_and_b64 s[4:5], s[4:5], exec
                                        ; implicit-def: $vgpr13
	s_or_saveexec_b64 s[6:7], s[6:7]
	v_mov_b32_e32 v14, s10
	s_xor_b64 exec, exec, s[6:7]
	s_cbranch_execz .LBB9_22
.LBB9_2072:
	v_cmp_ne_u16_e32 vcc, 0, v13
	s_andn2_b64 s[4:5], s[4:5], exec
	s_and_b64 s[8:9], vcc, exec
	v_mov_b32_e32 v14, 0
	s_or_b64 s[4:5], s[4:5], s[8:9]
	s_or_b64 exec, exec, s[6:7]
	s_and_saveexec_b64 s[6:7], s[4:5]
	s_cbranch_execnz .LBB9_23
	s_branch .LBB9_24
.LBB9_2073:
	s_movk_i32 s4, 0x80
	v_cmp_eq_u16_sdwa s[12:13], v6, s4 src0_sel:BYTE_3 src1_sel:DWORD
	s_mov_b64 s[4:5], -1
                                        ; implicit-def: $sgpr10
	s_and_saveexec_b64 s[8:9], s[12:13]
; %bb.2074:
	s_mov_b32 s10, 0x7f800001
	s_xor_b64 s[4:5], exec, -1
; %bb.2075:
	s_or_b64 exec, exec, s[8:9]
	s_and_b64 s[4:5], s[4:5], exec
	s_or_saveexec_b64 s[6:7], s[6:7]
	v_mov_b32_e32 v12, s10
	s_xor_b64 exec, exec, s[6:7]
	s_cbranch_execz .LBB9_26
.LBB9_2076:
	v_mov_b32_e32 v12, 0
	v_cmp_ne_u16_sdwa s[8:9], v6, v12 src0_sel:BYTE_3 src1_sel:DWORD
	s_andn2_b64 s[4:5], s[4:5], exec
	s_and_b64 s[8:9], s[8:9], exec
	s_or_b64 s[4:5], s[4:5], s[8:9]
	s_or_b64 exec, exec, s[6:7]
	s_and_saveexec_b64 s[6:7], s[4:5]
	s_cbranch_execnz .LBB9_27
	s_branch .LBB9_28
.LBB9_2077:
	s_movk_i32 s4, 0x80
	v_cmp_eq_u16_sdwa s[12:13], v2, s4 src0_sel:BYTE_3 src1_sel:DWORD
	s_mov_b64 s[4:5], -1
                                        ; implicit-def: $sgpr10
	s_and_saveexec_b64 s[8:9], s[12:13]
; %bb.2078:
	s_mov_b32 s10, 0x7f800001
	s_xor_b64 s[4:5], exec, -1
; %bb.2079:
	s_or_b64 exec, exec, s[8:9]
	s_and_b64 s[4:5], s[4:5], exec
	s_or_saveexec_b64 s[6:7], s[6:7]
	v_mov_b32_e32 v6, s10
	s_xor_b64 exec, exec, s[6:7]
	s_cbranch_execz .LBB9_30
.LBB9_2080:
	v_mov_b32_e32 v6, 0
	v_cmp_ne_u16_sdwa s[8:9], v2, v6 src0_sel:BYTE_3 src1_sel:DWORD
	s_andn2_b64 s[4:5], s[4:5], exec
	s_and_b64 s[8:9], s[8:9], exec
	s_or_b64 s[4:5], s[4:5], s[8:9]
	s_or_b64 exec, exec, s[6:7]
	s_and_saveexec_b64 s[6:7], s[4:5]
	s_cbranch_execnz .LBB9_31
	s_branch .LBB9_32
.LBB9_2081:
	s_movk_i32 s4, 0x80
	v_cmp_eq_u16_sdwa s[12:13], v7, s4 src0_sel:BYTE_0 src1_sel:DWORD
	s_mov_b64 s[4:5], -1
                                        ; implicit-def: $sgpr10
	s_and_saveexec_b64 s[8:9], s[12:13]
; %bb.2082:
	s_mov_b32 s10, 0x7f800001
	s_xor_b64 s[4:5], exec, -1
; %bb.2083:
	s_or_b64 exec, exec, s[8:9]
	s_and_b64 s[4:5], s[4:5], exec
	s_or_saveexec_b64 s[6:7], s[6:7]
	v_mov_b32_e32 v2, s10
	s_xor_b64 exec, exec, s[6:7]
	s_cbranch_execz .LBB9_34
.LBB9_2084:
	v_mov_b32_e32 v2, 0
	v_cmp_ne_u16_sdwa s[8:9], v7, v2 src0_sel:BYTE_0 src1_sel:DWORD
	s_andn2_b64 s[4:5], s[4:5], exec
	s_and_b64 s[8:9], s[8:9], exec
	s_or_b64 s[4:5], s[4:5], s[8:9]
	s_or_b64 exec, exec, s[6:7]
	s_and_saveexec_b64 s[6:7], s[4:5]
	s_cbranch_execnz .LBB9_35
	s_branch .LBB9_36
.LBB9_2085:
	s_movk_i32 s4, 0x80
	v_cmp_eq_u16_sdwa s[12:13], v3, s4 src0_sel:BYTE_0 src1_sel:DWORD
	s_mov_b64 s[4:5], -1
                                        ; implicit-def: $sgpr10
	s_and_saveexec_b64 s[8:9], s[12:13]
; %bb.2086:
	s_mov_b32 s10, 0x7f800001
	s_xor_b64 s[4:5], exec, -1
; %bb.2087:
	s_or_b64 exec, exec, s[8:9]
	s_and_b64 s[4:5], s[4:5], exec
	s_or_saveexec_b64 s[6:7], s[6:7]
	v_mov_b32_e32 v6, s10
	s_xor_b64 exec, exec, s[6:7]
	s_cbranch_execz .LBB9_38
.LBB9_2088:
	v_mov_b32_e32 v6, 0
	v_cmp_ne_u16_sdwa s[8:9], v3, v6 src0_sel:BYTE_0 src1_sel:DWORD
	s_andn2_b64 s[4:5], s[4:5], exec
	s_and_b64 s[8:9], s[8:9], exec
	s_or_b64 s[4:5], s[4:5], s[8:9]
	s_or_b64 exec, exec, s[6:7]
	s_and_saveexec_b64 s[6:7], s[4:5]
	s_cbranch_execnz .LBB9_39
	s_branch .LBB9_40
.LBB9_2089:
	s_movk_i32 s4, 0x80
	v_cmp_eq_u16_sdwa s[12:13], v6, s4 src0_sel:BYTE_0 src1_sel:DWORD
	s_mov_b64 s[4:5], -1
                                        ; implicit-def: $sgpr10
	s_and_saveexec_b64 s[8:9], s[12:13]
; %bb.2090:
	s_mov_b32 s10, 0x7f800001
	s_xor_b64 s[4:5], exec, -1
; %bb.2091:
	s_or_b64 exec, exec, s[8:9]
	s_and_b64 s[4:5], s[4:5], exec
	s_or_saveexec_b64 s[6:7], s[6:7]
	v_mov_b32_e32 v2, s10
	s_xor_b64 exec, exec, s[6:7]
	s_cbranch_execz .LBB9_42
.LBB9_2092:
	v_mov_b32_e32 v2, 0
	v_cmp_ne_u16_sdwa s[8:9], v6, v2 src0_sel:BYTE_0 src1_sel:DWORD
	s_andn2_b64 s[4:5], s[4:5], exec
	s_and_b64 s[8:9], s[8:9], exec
	s_or_b64 s[4:5], s[4:5], s[8:9]
	s_or_b64 exec, exec, s[6:7]
	s_and_saveexec_b64 s[6:7], s[4:5]
	s_cbranch_execnz .LBB9_43
	s_branch .LBB9_44
.LBB9_2093:
	s_movk_i32 s4, 0x80
	v_cmp_eq_u16_sdwa s[12:13], v6, s4 src0_sel:BYTE_0 src1_sel:DWORD
	s_mov_b64 s[4:5], -1
                                        ; implicit-def: $sgpr10
	s_and_saveexec_b64 s[8:9], s[12:13]
; %bb.2094:
	s_mov_b32 s10, 0x7f800001
	s_xor_b64 s[4:5], exec, -1
; %bb.2095:
	s_or_b64 exec, exec, s[8:9]
	s_and_b64 s[4:5], s[4:5], exec
	s_or_saveexec_b64 s[6:7], s[6:7]
	v_mov_b32_e32 v12, s10
	s_xor_b64 exec, exec, s[6:7]
	s_cbranch_execz .LBB9_46
.LBB9_2096:
	v_mov_b32_e32 v12, 0
	v_cmp_ne_u16_sdwa s[8:9], v6, v12 src0_sel:BYTE_0 src1_sel:DWORD
	s_andn2_b64 s[4:5], s[4:5], exec
	s_and_b64 s[8:9], s[8:9], exec
	s_or_b64 s[4:5], s[4:5], s[8:9]
	s_or_b64 exec, exec, s[6:7]
	s_and_saveexec_b64 s[6:7], s[4:5]
	s_cbranch_execnz .LBB9_47
	s_branch .LBB9_48
.LBB9_2097:
	s_movk_i32 s4, 0x80
	v_cmp_eq_u16_e32 vcc, s4, v6
	s_mov_b64 s[4:5], -1
                                        ; implicit-def: $sgpr10
	s_and_saveexec_b64 s[8:9], vcc
; %bb.2098:
	s_mov_b32 s10, 0x7f800001
	s_xor_b64 s[4:5], exec, -1
; %bb.2099:
	s_or_b64 exec, exec, s[8:9]
	s_and_b64 s[4:5], s[4:5], exec
                                        ; implicit-def: $vgpr6
	s_or_saveexec_b64 s[6:7], s[6:7]
	v_mov_b32_e32 v2, s10
	s_xor_b64 exec, exec, s[6:7]
	s_cbranch_execz .LBB9_50
.LBB9_2100:
	v_cmp_ne_u16_e32 vcc, 0, v6
	s_andn2_b64 s[4:5], s[4:5], exec
	s_and_b64 s[8:9], vcc, exec
	v_mov_b32_e32 v2, 0
	s_or_b64 s[4:5], s[4:5], s[8:9]
	s_or_b64 exec, exec, s[6:7]
	s_and_saveexec_b64 s[6:7], s[4:5]
	s_cbranch_execnz .LBB9_51
	s_branch .LBB9_52
.LBB9_2101:
	s_movk_i32 s4, 0x80
	v_cmp_eq_u16_e32 vcc, s4, v6
	s_mov_b64 s[4:5], -1
                                        ; implicit-def: $sgpr10
	s_and_saveexec_b64 s[8:9], vcc
; %bb.2102:
	s_mov_b32 s10, 0x7f800001
	s_xor_b64 s[4:5], exec, -1
; %bb.2103:
	s_or_b64 exec, exec, s[8:9]
	s_and_b64 s[4:5], s[4:5], exec
                                        ; implicit-def: $vgpr6
	s_or_saveexec_b64 s[6:7], s[6:7]
	v_mov_b32_e32 v12, s10
	s_xor_b64 exec, exec, s[6:7]
	s_cbranch_execz .LBB9_54
.LBB9_2104:
	v_cmp_ne_u16_e32 vcc, 0, v6
	s_andn2_b64 s[4:5], s[4:5], exec
	s_and_b64 s[8:9], vcc, exec
	v_mov_b32_e32 v12, 0
	s_or_b64 s[4:5], s[4:5], s[8:9]
	s_or_b64 exec, exec, s[6:7]
	s_and_saveexec_b64 s[6:7], s[4:5]
	s_cbranch_execnz .LBB9_55
	s_branch .LBB9_56
.LBB9_2105:
	s_movk_i32 s4, 0x80
	v_cmp_eq_u16_sdwa s[12:13], v7, s4 src0_sel:BYTE_3 src1_sel:DWORD
	s_mov_b64 s[4:5], -1
                                        ; implicit-def: $sgpr10
	s_and_saveexec_b64 s[8:9], s[12:13]
; %bb.2106:
	s_mov_b32 s10, 0x7f800001
	s_xor_b64 s[4:5], exec, -1
; %bb.2107:
	s_or_b64 exec, exec, s[8:9]
	s_and_b64 s[4:5], s[4:5], exec
	s_or_saveexec_b64 s[6:7], s[6:7]
	v_mov_b32_e32 v2, s10
	s_xor_b64 exec, exec, s[6:7]
	s_cbranch_execz .LBB9_58
.LBB9_2108:
	v_mov_b32_e32 v2, 0
	v_cmp_ne_u16_sdwa s[8:9], v7, v2 src0_sel:BYTE_3 src1_sel:DWORD
	s_andn2_b64 s[4:5], s[4:5], exec
	s_and_b64 s[8:9], s[8:9], exec
	s_or_b64 s[4:5], s[4:5], s[8:9]
	s_or_b64 exec, exec, s[6:7]
	s_and_saveexec_b64 s[6:7], s[4:5]
	s_cbranch_execnz .LBB9_59
	s_branch .LBB9_60
.LBB9_2109:
	s_movk_i32 s4, 0x80
	v_cmp_eq_u16_sdwa s[12:13], v3, s4 src0_sel:BYTE_3 src1_sel:DWORD
	s_mov_b64 s[4:5], -1
                                        ; implicit-def: $sgpr10
	s_and_saveexec_b64 s[8:9], s[12:13]
; %bb.2110:
	s_mov_b32 s10, 0x7f800001
	s_xor_b64 s[4:5], exec, -1
; %bb.2111:
	s_or_b64 exec, exec, s[8:9]
	s_and_b64 s[4:5], s[4:5], exec
	s_or_saveexec_b64 s[6:7], s[6:7]
	v_mov_b32_e32 v6, s10
	s_xor_b64 exec, exec, s[6:7]
	s_cbranch_execz .LBB9_62
.LBB9_2112:
	v_mov_b32_e32 v6, 0
	v_cmp_ne_u16_sdwa s[8:9], v3, v6 src0_sel:BYTE_3 src1_sel:DWORD
	s_andn2_b64 s[4:5], s[4:5], exec
	s_and_b64 s[8:9], s[8:9], exec
	s_or_b64 s[4:5], s[4:5], s[8:9]
	s_or_b64 exec, exec, s[6:7]
	s_and_saveexec_b64 s[6:7], s[4:5]
	s_cbranch_execnz .LBB9_63
	s_branch .LBB9_64
.LBB9_2113:
	s_movk_i32 s4, 0x80
	v_cmp_eq_u16_sdwa s[12:13], v8, s4 src0_sel:BYTE_0 src1_sel:DWORD
	s_mov_b64 s[4:5], -1
                                        ; implicit-def: $sgpr10
	s_and_saveexec_b64 s[8:9], s[12:13]
; %bb.2114:
	s_mov_b32 s10, 0x7f800001
	s_xor_b64 s[4:5], exec, -1
; %bb.2115:
	s_or_b64 exec, exec, s[8:9]
	s_and_b64 s[4:5], s[4:5], exec
	s_or_saveexec_b64 s[6:7], s[6:7]
	v_mov_b32_e32 v2, s10
	s_xor_b64 exec, exec, s[6:7]
	s_cbranch_execz .LBB9_66
.LBB9_2116:
	v_mov_b32_e32 v2, 0
	v_cmp_ne_u16_sdwa s[8:9], v8, v2 src0_sel:BYTE_0 src1_sel:DWORD
	s_andn2_b64 s[4:5], s[4:5], exec
	s_and_b64 s[8:9], s[8:9], exec
	s_or_b64 s[4:5], s[4:5], s[8:9]
	s_or_b64 exec, exec, s[6:7]
	s_and_saveexec_b64 s[6:7], s[4:5]
	s_cbranch_execnz .LBB9_67
	s_branch .LBB9_68
.LBB9_2117:
	s_movk_i32 s4, 0x80
	v_cmp_eq_u16_sdwa s[12:13], v4, s4 src0_sel:BYTE_0 src1_sel:DWORD
	s_mov_b64 s[4:5], -1
                                        ; implicit-def: $sgpr10
	s_and_saveexec_b64 s[8:9], s[12:13]
; %bb.2118:
	s_mov_b32 s10, 0x7f800001
	s_xor_b64 s[4:5], exec, -1
; %bb.2119:
	s_or_b64 exec, exec, s[8:9]
	s_and_b64 s[4:5], s[4:5], exec
	s_or_saveexec_b64 s[6:7], s[6:7]
	v_mov_b32_e32 v3, s10
	s_xor_b64 exec, exec, s[6:7]
	s_cbranch_execz .LBB9_70
.LBB9_2120:
	v_mov_b32_e32 v3, 0
	v_cmp_ne_u16_sdwa s[8:9], v4, v3 src0_sel:BYTE_0 src1_sel:DWORD
	s_andn2_b64 s[4:5], s[4:5], exec
	s_and_b64 s[8:9], s[8:9], exec
	s_or_b64 s[4:5], s[4:5], s[8:9]
	s_or_b64 exec, exec, s[6:7]
	s_and_saveexec_b64 s[6:7], s[4:5]
	s_cbranch_execnz .LBB9_71
	s_branch .LBB9_72
.LBB9_2121:
	s_movk_i32 s4, 0x80
	v_cmp_eq_u16_sdwa s[12:13], v3, s4 src0_sel:BYTE_0 src1_sel:DWORD
	s_mov_b64 s[4:5], -1
                                        ; implicit-def: $sgpr10
	s_and_saveexec_b64 s[8:9], s[12:13]
; %bb.2122:
	s_mov_b32 s10, 0x7f800001
	s_xor_b64 s[4:5], exec, -1
; %bb.2123:
	s_or_b64 exec, exec, s[8:9]
	s_and_b64 s[4:5], s[4:5], exec
	s_or_saveexec_b64 s[6:7], s[6:7]
	v_mov_b32_e32 v2, s10
	s_xor_b64 exec, exec, s[6:7]
	s_cbranch_execz .LBB9_74
.LBB9_2124:
	v_mov_b32_e32 v2, 0
	v_cmp_ne_u16_sdwa s[8:9], v3, v2 src0_sel:BYTE_0 src1_sel:DWORD
	s_andn2_b64 s[4:5], s[4:5], exec
	s_and_b64 s[8:9], s[8:9], exec
	s_or_b64 s[4:5], s[4:5], s[8:9]
	s_or_b64 exec, exec, s[6:7]
	s_and_saveexec_b64 s[6:7], s[4:5]
	s_cbranch_execnz .LBB9_75
	s_branch .LBB9_76
.LBB9_2125:
	s_movk_i32 s4, 0x80
	v_cmp_eq_u16_sdwa s[12:13], v3, s4 src0_sel:BYTE_0 src1_sel:DWORD
	s_mov_b64 s[4:5], -1
                                        ; implicit-def: $sgpr10
	s_and_saveexec_b64 s[8:9], s[12:13]
; %bb.2126:
	s_mov_b32 s10, 0x7f800001
	s_xor_b64 s[4:5], exec, -1
; %bb.2127:
	s_or_b64 exec, exec, s[8:9]
	s_and_b64 s[4:5], s[4:5], exec
	s_or_saveexec_b64 s[6:7], s[6:7]
	v_mov_b32_e32 v6, s10
	s_xor_b64 exec, exec, s[6:7]
	s_cbranch_execz .LBB9_78
.LBB9_2128:
	v_mov_b32_e32 v6, 0
	v_cmp_ne_u16_sdwa s[8:9], v3, v6 src0_sel:BYTE_0 src1_sel:DWORD
	s_andn2_b64 s[4:5], s[4:5], exec
	s_and_b64 s[8:9], s[8:9], exec
	s_or_b64 s[4:5], s[4:5], s[8:9]
	s_or_b64 exec, exec, s[6:7]
	s_and_saveexec_b64 s[6:7], s[4:5]
	s_cbranch_execnz .LBB9_79
	s_branch .LBB9_80
.LBB9_2129:
	s_movk_i32 s4, 0x80
	v_cmp_eq_u16_e32 vcc, s4, v3
	s_mov_b64 s[4:5], -1
                                        ; implicit-def: $sgpr10
	s_and_saveexec_b64 s[8:9], vcc
; %bb.2130:
	s_mov_b32 s10, 0x7f800001
	s_xor_b64 s[4:5], exec, -1
; %bb.2131:
	s_or_b64 exec, exec, s[8:9]
	s_and_b64 s[4:5], s[4:5], exec
                                        ; implicit-def: $vgpr3
	s_or_saveexec_b64 s[6:7], s[6:7]
	v_mov_b32_e32 v2, s10
	s_xor_b64 exec, exec, s[6:7]
	s_cbranch_execz .LBB9_82
.LBB9_2132:
	v_cmp_ne_u16_e32 vcc, 0, v3
	s_andn2_b64 s[4:5], s[4:5], exec
	s_and_b64 s[8:9], vcc, exec
	v_mov_b32_e32 v2, 0
	s_or_b64 s[4:5], s[4:5], s[8:9]
	s_or_b64 exec, exec, s[6:7]
	s_and_saveexec_b64 s[6:7], s[4:5]
	s_cbranch_execnz .LBB9_83
	s_branch .LBB9_84
.LBB9_2133:
	s_movk_i32 s4, 0x80
	v_cmp_eq_u16_e32 vcc, s4, v3
	s_mov_b64 s[4:5], -1
                                        ; implicit-def: $sgpr10
	s_and_saveexec_b64 s[8:9], vcc
; %bb.2134:
	s_mov_b32 s10, 0x7f800001
	s_xor_b64 s[4:5], exec, -1
; %bb.2135:
	s_or_b64 exec, exec, s[8:9]
	s_and_b64 s[4:5], s[4:5], exec
                                        ; implicit-def: $vgpr3
	s_or_saveexec_b64 s[6:7], s[6:7]
	v_mov_b32_e32 v6, s10
	s_xor_b64 exec, exec, s[6:7]
	s_cbranch_execz .LBB9_86
.LBB9_2136:
	v_cmp_ne_u16_e32 vcc, 0, v3
	s_andn2_b64 s[4:5], s[4:5], exec
	s_and_b64 s[8:9], vcc, exec
	v_mov_b32_e32 v6, 0
	s_or_b64 s[4:5], s[4:5], s[8:9]
	s_or_b64 exec, exec, s[6:7]
	s_and_saveexec_b64 s[6:7], s[4:5]
	s_cbranch_execnz .LBB9_87
	s_branch .LBB9_88
.LBB9_2137:
	s_movk_i32 s4, 0x80
	v_cmp_eq_u16_sdwa s[12:13], v8, s4 src0_sel:BYTE_3 src1_sel:DWORD
	s_mov_b64 s[4:5], -1
                                        ; implicit-def: $sgpr10
	s_and_saveexec_b64 s[8:9], s[12:13]
; %bb.2138:
	s_mov_b32 s10, 0x7f800001
	s_xor_b64 s[4:5], exec, -1
; %bb.2139:
	s_or_b64 exec, exec, s[8:9]
	s_and_b64 s[4:5], s[4:5], exec
	s_or_saveexec_b64 s[6:7], s[6:7]
	v_mov_b32_e32 v2, s10
	s_xor_b64 exec, exec, s[6:7]
	s_cbranch_execz .LBB9_90
.LBB9_2140:
	v_mov_b32_e32 v2, 0
	v_cmp_ne_u16_sdwa s[8:9], v8, v2 src0_sel:BYTE_3 src1_sel:DWORD
	s_andn2_b64 s[4:5], s[4:5], exec
	s_and_b64 s[8:9], s[8:9], exec
	s_or_b64 s[4:5], s[4:5], s[8:9]
	s_or_b64 exec, exec, s[6:7]
	s_and_saveexec_b64 s[6:7], s[4:5]
	s_cbranch_execnz .LBB9_91
	s_branch .LBB9_92
.LBB9_2141:
	s_movk_i32 s4, 0x80
	v_cmp_eq_u16_sdwa s[12:13], v4, s4 src0_sel:BYTE_3 src1_sel:DWORD
	s_mov_b64 s[4:5], -1
                                        ; implicit-def: $sgpr10
	s_and_saveexec_b64 s[8:9], s[12:13]
; %bb.2142:
	s_mov_b32 s10, 0x7f800001
	s_xor_b64 s[4:5], exec, -1
; %bb.2143:
	s_or_b64 exec, exec, s[8:9]
	s_and_b64 s[4:5], s[4:5], exec
	s_or_saveexec_b64 s[6:7], s[6:7]
	v_mov_b32_e32 v3, s10
	s_xor_b64 exec, exec, s[6:7]
	s_cbranch_execz .LBB9_94
.LBB9_2144:
	v_mov_b32_e32 v3, 0
	v_cmp_ne_u16_sdwa s[8:9], v4, v3 src0_sel:BYTE_3 src1_sel:DWORD
	s_andn2_b64 s[4:5], s[4:5], exec
	s_and_b64 s[8:9], s[8:9], exec
	s_or_b64 s[4:5], s[4:5], s[8:9]
	s_or_b64 exec, exec, s[6:7]
	s_and_saveexec_b64 s[6:7], s[4:5]
	s_cbranch_execnz .LBB9_95
	s_branch .LBB9_96
.LBB9_2145:
	s_movk_i32 s4, 0x80
	v_cmp_eq_u16_sdwa s[12:13], v9, s4 src0_sel:BYTE_0 src1_sel:DWORD
	s_mov_b64 s[4:5], -1
                                        ; implicit-def: $sgpr10
	s_and_saveexec_b64 s[8:9], s[12:13]
; %bb.2146:
	s_mov_b32 s10, 0x7f800001
	s_xor_b64 s[4:5], exec, -1
; %bb.2147:
	s_or_b64 exec, exec, s[8:9]
	s_and_b64 s[4:5], s[4:5], exec
	s_or_saveexec_b64 s[6:7], s[6:7]
	v_mov_b32_e32 v2, s10
	s_xor_b64 exec, exec, s[6:7]
	s_cbranch_execz .LBB9_98
.LBB9_2148:
	v_mov_b32_e32 v2, 0
	v_cmp_ne_u16_sdwa s[8:9], v9, v2 src0_sel:BYTE_0 src1_sel:DWORD
	s_andn2_b64 s[4:5], s[4:5], exec
	s_and_b64 s[8:9], s[8:9], exec
	s_or_b64 s[4:5], s[4:5], s[8:9]
	s_or_b64 exec, exec, s[6:7]
	s_and_saveexec_b64 s[6:7], s[4:5]
	s_cbranch_execnz .LBB9_99
	s_branch .LBB9_100
.LBB9_2149:
	s_movk_i32 s4, 0x80
	v_cmp_eq_u16_sdwa s[12:13], v5, s4 src0_sel:BYTE_0 src1_sel:DWORD
	s_mov_b64 s[4:5], -1
                                        ; implicit-def: $sgpr10
	s_and_saveexec_b64 s[8:9], s[12:13]
; %bb.2150:
	s_mov_b32 s10, 0x7f800001
	s_xor_b64 s[4:5], exec, -1
; %bb.2151:
	s_or_b64 exec, exec, s[8:9]
	s_and_b64 s[4:5], s[4:5], exec
	s_or_saveexec_b64 s[6:7], s[6:7]
	v_mov_b32_e32 v3, s10
	s_xor_b64 exec, exec, s[6:7]
	s_cbranch_execz .LBB9_102
.LBB9_2152:
	v_mov_b32_e32 v3, 0
	v_cmp_ne_u16_sdwa s[8:9], v5, v3 src0_sel:BYTE_0 src1_sel:DWORD
	s_andn2_b64 s[4:5], s[4:5], exec
	s_and_b64 s[8:9], s[8:9], exec
	s_or_b64 s[4:5], s[4:5], s[8:9]
	s_or_b64 exec, exec, s[6:7]
	s_and_saveexec_b64 s[6:7], s[4:5]
	s_cbranch_execnz .LBB9_103
	s_branch .LBB9_104
.LBB9_2153:
	s_movk_i32 s4, 0x80
	v_cmp_eq_u16_sdwa s[12:13], v3, s4 src0_sel:BYTE_0 src1_sel:DWORD
	s_mov_b64 s[4:5], -1
                                        ; implicit-def: $sgpr10
	s_and_saveexec_b64 s[8:9], s[12:13]
; %bb.2154:
	s_mov_b32 s10, 0x7f800001
	s_xor_b64 s[4:5], exec, -1
; %bb.2155:
	s_or_b64 exec, exec, s[8:9]
	s_and_b64 s[4:5], s[4:5], exec
	s_or_saveexec_b64 s[6:7], s[6:7]
	v_mov_b32_e32 v2, s10
	s_xor_b64 exec, exec, s[6:7]
	s_cbranch_execz .LBB9_106
.LBB9_2156:
	v_mov_b32_e32 v2, 0
	v_cmp_ne_u16_sdwa s[8:9], v3, v2 src0_sel:BYTE_0 src1_sel:DWORD
	s_andn2_b64 s[4:5], s[4:5], exec
	s_and_b64 s[8:9], s[8:9], exec
	s_or_b64 s[4:5], s[4:5], s[8:9]
	s_or_b64 exec, exec, s[6:7]
	s_and_saveexec_b64 s[6:7], s[4:5]
	s_cbranch_execnz .LBB9_107
	s_branch .LBB9_108
.LBB9_2157:
	s_movk_i32 s4, 0x80
	v_cmp_eq_u16_sdwa s[12:13], v3, s4 src0_sel:BYTE_0 src1_sel:DWORD
	s_mov_b64 s[4:5], -1
                                        ; implicit-def: $sgpr10
	s_and_saveexec_b64 s[8:9], s[12:13]
; %bb.2158:
	s_mov_b32 s10, 0x7f800001
	s_xor_b64 s[4:5], exec, -1
; %bb.2159:
	s_or_b64 exec, exec, s[8:9]
	s_and_b64 s[4:5], s[4:5], exec
	s_or_saveexec_b64 s[6:7], s[6:7]
	v_mov_b32_e32 v4, s10
	s_xor_b64 exec, exec, s[6:7]
	s_cbranch_execz .LBB9_110
.LBB9_2160:
	v_mov_b32_e32 v4, 0
	v_cmp_ne_u16_sdwa s[8:9], v3, v4 src0_sel:BYTE_0 src1_sel:DWORD
	s_andn2_b64 s[4:5], s[4:5], exec
	s_and_b64 s[8:9], s[8:9], exec
	s_or_b64 s[4:5], s[4:5], s[8:9]
	s_or_b64 exec, exec, s[6:7]
	s_and_saveexec_b64 s[6:7], s[4:5]
	s_cbranch_execnz .LBB9_111
	s_branch .LBB9_112
.LBB9_2161:
	s_movk_i32 s4, 0x80
	v_cmp_eq_u16_e32 vcc, s4, v3
	s_mov_b64 s[4:5], -1
                                        ; implicit-def: $sgpr10
	s_and_saveexec_b64 s[8:9], vcc
; %bb.2162:
	s_mov_b32 s10, 0x7f800001
	s_xor_b64 s[4:5], exec, -1
; %bb.2163:
	s_or_b64 exec, exec, s[8:9]
	s_and_b64 s[4:5], s[4:5], exec
                                        ; implicit-def: $vgpr3
	s_or_saveexec_b64 s[6:7], s[6:7]
	v_mov_b32_e32 v2, s10
	s_xor_b64 exec, exec, s[6:7]
	s_cbranch_execz .LBB9_114
.LBB9_2164:
	v_cmp_ne_u16_e32 vcc, 0, v3
	s_andn2_b64 s[4:5], s[4:5], exec
	s_and_b64 s[8:9], vcc, exec
	v_mov_b32_e32 v2, 0
	s_or_b64 s[4:5], s[4:5], s[8:9]
	s_or_b64 exec, exec, s[6:7]
	s_and_saveexec_b64 s[6:7], s[4:5]
	s_cbranch_execnz .LBB9_115
	s_branch .LBB9_116
.LBB9_2165:
	s_movk_i32 s4, 0x80
	v_cmp_eq_u16_e32 vcc, s4, v3
	s_mov_b64 s[4:5], -1
                                        ; implicit-def: $sgpr10
	s_and_saveexec_b64 s[8:9], vcc
; %bb.2166:
	s_mov_b32 s10, 0x7f800001
	s_xor_b64 s[4:5], exec, -1
; %bb.2167:
	s_or_b64 exec, exec, s[8:9]
	s_and_b64 s[4:5], s[4:5], exec
                                        ; implicit-def: $vgpr3
	s_or_saveexec_b64 s[6:7], s[6:7]
	v_mov_b32_e32 v4, s10
	s_xor_b64 exec, exec, s[6:7]
	s_cbranch_execz .LBB9_118
.LBB9_2168:
	v_cmp_ne_u16_e32 vcc, 0, v3
	s_andn2_b64 s[4:5], s[4:5], exec
	s_and_b64 s[8:9], vcc, exec
	v_mov_b32_e32 v4, 0
	s_or_b64 s[4:5], s[4:5], s[8:9]
	s_or_b64 exec, exec, s[6:7]
	s_and_saveexec_b64 s[6:7], s[4:5]
	s_cbranch_execnz .LBB9_119
	s_branch .LBB9_120
.LBB9_2169:
	s_movk_i32 s4, 0x80
	v_cmp_eq_u16_sdwa s[12:13], v9, s4 src0_sel:BYTE_3 src1_sel:DWORD
	s_mov_b64 s[4:5], -1
                                        ; implicit-def: $sgpr10
	s_and_saveexec_b64 s[8:9], s[12:13]
; %bb.2170:
	s_mov_b32 s10, 0x7f800001
	s_xor_b64 s[4:5], exec, -1
; %bb.2171:
	s_or_b64 exec, exec, s[8:9]
	s_and_b64 s[4:5], s[4:5], exec
	s_or_saveexec_b64 s[6:7], s[6:7]
	v_mov_b32_e32 v2, s10
	s_xor_b64 exec, exec, s[6:7]
	s_cbranch_execz .LBB9_122
.LBB9_2172:
	v_mov_b32_e32 v2, 0
	v_cmp_ne_u16_sdwa s[8:9], v9, v2 src0_sel:BYTE_3 src1_sel:DWORD
	s_andn2_b64 s[4:5], s[4:5], exec
	s_and_b64 s[8:9], s[8:9], exec
	s_or_b64 s[4:5], s[4:5], s[8:9]
	s_or_b64 exec, exec, s[6:7]
	s_and_saveexec_b64 s[6:7], s[4:5]
	s_cbranch_execnz .LBB9_123
	s_branch .LBB9_124
.LBB9_2173:
	s_movk_i32 s4, 0x80
	v_cmp_eq_u16_sdwa s[12:13], v5, s4 src0_sel:BYTE_3 src1_sel:DWORD
	s_mov_b64 s[4:5], -1
                                        ; implicit-def: $sgpr10
	s_and_saveexec_b64 s[8:9], s[12:13]
; %bb.2174:
	s_mov_b32 s10, 0x7f800001
	s_xor_b64 s[4:5], exec, -1
; %bb.2175:
	s_or_b64 exec, exec, s[8:9]
	s_and_b64 s[4:5], s[4:5], exec
	s_or_saveexec_b64 s[6:7], s[6:7]
	v_mov_b32_e32 v3, s10
	s_xor_b64 exec, exec, s[6:7]
	s_cbranch_execz .LBB9_126
.LBB9_2176:
	v_mov_b32_e32 v3, 0
	v_cmp_ne_u16_sdwa s[8:9], v5, v3 src0_sel:BYTE_3 src1_sel:DWORD
	s_andn2_b64 s[4:5], s[4:5], exec
	s_and_b64 s[8:9], s[8:9], exec
	s_or_b64 s[4:5], s[4:5], s[8:9]
	s_or_b64 exec, exec, s[6:7]
	s_and_saveexec_b64 s[6:7], s[4:5]
	s_cbranch_execnz .LBB9_127
	s_branch .LBB9_128
.LBB9_2177:
	s_movk_i32 s4, 0x80
	v_cmp_eq_u16_sdwa s[12:13], v6, s4 src0_sel:BYTE_0 src1_sel:DWORD
	s_mov_b64 s[4:5], -1
                                        ; implicit-def: $sgpr10
	s_and_saveexec_b64 s[8:9], s[12:13]
; %bb.2178:
	s_mov_b32 s10, 0x7f800001
	s_xor_b64 s[4:5], exec, -1
; %bb.2179:
	s_or_b64 exec, exec, s[8:9]
	s_and_b64 s[4:5], s[4:5], exec
	s_or_saveexec_b64 s[6:7], s[6:7]
	v_mov_b32_e32 v12, s10
	s_xor_b64 exec, exec, s[6:7]
	s_cbranch_execz .LBB9_130
.LBB9_2180:
	v_mov_b32_e32 v12, 0
	v_cmp_ne_u16_sdwa s[8:9], v6, v12 src0_sel:BYTE_0 src1_sel:DWORD
	s_andn2_b64 s[4:5], s[4:5], exec
	s_and_b64 s[8:9], s[8:9], exec
	s_or_b64 s[4:5], s[4:5], s[8:9]
	s_or_b64 exec, exec, s[6:7]
	s_and_saveexec_b64 s[6:7], s[4:5]
	s_cbranch_execnz .LBB9_131
	s_branch .LBB9_132
.LBB9_2181:
	s_movk_i32 s4, 0x80
	v_cmp_eq_u16_sdwa s[12:13], v2, s4 src0_sel:BYTE_0 src1_sel:DWORD
	s_mov_b64 s[4:5], -1
                                        ; implicit-def: $sgpr10
	s_and_saveexec_b64 s[8:9], s[12:13]
; %bb.2182:
	s_mov_b32 s10, 0x7f800001
	s_xor_b64 s[4:5], exec, -1
; %bb.2183:
	s_or_b64 exec, exec, s[8:9]
	s_and_b64 s[4:5], s[4:5], exec
	s_or_saveexec_b64 s[6:7], s[6:7]
	v_mov_b32_e32 v13, s10
	s_xor_b64 exec, exec, s[6:7]
	s_cbranch_execz .LBB9_134
.LBB9_2184:
	v_mov_b32_e32 v13, 0
	v_cmp_ne_u16_sdwa s[8:9], v2, v13 src0_sel:BYTE_0 src1_sel:DWORD
	s_andn2_b64 s[4:5], s[4:5], exec
	s_and_b64 s[8:9], s[8:9], exec
	s_or_b64 s[4:5], s[4:5], s[8:9]
	s_or_b64 exec, exec, s[6:7]
	s_and_saveexec_b64 s[6:7], s[4:5]
	s_cbranch_execnz .LBB9_135
	s_branch .LBB9_136
.LBB9_2185:
	s_movk_i32 s4, 0x80
	v_cmp_eq_u16_sdwa s[12:13], v13, s4 src0_sel:BYTE_0 src1_sel:DWORD
	s_mov_b64 s[4:5], -1
                                        ; implicit-def: $sgpr10
	s_and_saveexec_b64 s[8:9], s[12:13]
; %bb.2186:
	s_mov_b32 s10, 0x7f800001
	s_xor_b64 s[4:5], exec, -1
; %bb.2187:
	s_or_b64 exec, exec, s[8:9]
	s_and_b64 s[4:5], s[4:5], exec
	s_or_saveexec_b64 s[6:7], s[6:7]
	v_mov_b32_e32 v12, s10
	s_xor_b64 exec, exec, s[6:7]
	s_cbranch_execz .LBB9_138
.LBB9_2188:
	v_mov_b32_e32 v12, 0
	v_cmp_ne_u16_sdwa s[8:9], v13, v12 src0_sel:BYTE_0 src1_sel:DWORD
	s_andn2_b64 s[4:5], s[4:5], exec
	s_and_b64 s[8:9], s[8:9], exec
	s_or_b64 s[4:5], s[4:5], s[8:9]
	s_or_b64 exec, exec, s[6:7]
	s_and_saveexec_b64 s[6:7], s[4:5]
	s_cbranch_execnz .LBB9_139
	s_branch .LBB9_140
.LBB9_2189:
	s_movk_i32 s4, 0x80
	v_cmp_eq_u16_sdwa s[12:13], v13, s4 src0_sel:BYTE_0 src1_sel:DWORD
	s_mov_b64 s[4:5], -1
                                        ; implicit-def: $sgpr10
	s_and_saveexec_b64 s[8:9], s[12:13]
; %bb.2190:
	s_mov_b32 s10, 0x7f800001
	s_xor_b64 s[4:5], exec, -1
; %bb.2191:
	s_or_b64 exec, exec, s[8:9]
	s_and_b64 s[4:5], s[4:5], exec
	s_or_saveexec_b64 s[6:7], s[6:7]
	v_mov_b32_e32 v14, s10
	s_xor_b64 exec, exec, s[6:7]
	s_cbranch_execz .LBB9_142
.LBB9_2192:
	v_mov_b32_e32 v14, 0
	v_cmp_ne_u16_sdwa s[8:9], v13, v14 src0_sel:BYTE_0 src1_sel:DWORD
	s_andn2_b64 s[4:5], s[4:5], exec
	s_and_b64 s[8:9], s[8:9], exec
	s_or_b64 s[4:5], s[4:5], s[8:9]
	s_or_b64 exec, exec, s[6:7]
	s_and_saveexec_b64 s[6:7], s[4:5]
	s_cbranch_execnz .LBB9_143
	s_branch .LBB9_144
.LBB9_2193:
	s_movk_i32 s4, 0x80
	v_cmp_eq_u16_e32 vcc, s4, v13
	s_mov_b64 s[4:5], -1
                                        ; implicit-def: $sgpr10
	s_and_saveexec_b64 s[8:9], vcc
; %bb.2194:
	s_mov_b32 s10, 0x7f800001
	s_xor_b64 s[4:5], exec, -1
; %bb.2195:
	s_or_b64 exec, exec, s[8:9]
	s_and_b64 s[4:5], s[4:5], exec
                                        ; implicit-def: $vgpr13
	s_or_saveexec_b64 s[6:7], s[6:7]
	v_mov_b32_e32 v12, s10
	s_xor_b64 exec, exec, s[6:7]
	s_cbranch_execz .LBB9_146
.LBB9_2196:
	v_cmp_ne_u16_e32 vcc, 0, v13
	s_andn2_b64 s[4:5], s[4:5], exec
	s_and_b64 s[8:9], vcc, exec
	v_mov_b32_e32 v12, 0
	s_or_b64 s[4:5], s[4:5], s[8:9]
	s_or_b64 exec, exec, s[6:7]
	s_and_saveexec_b64 s[6:7], s[4:5]
	s_cbranch_execnz .LBB9_147
	s_branch .LBB9_148
.LBB9_2197:
	s_movk_i32 s4, 0x80
	v_cmp_eq_u16_e32 vcc, s4, v13
	s_mov_b64 s[4:5], -1
                                        ; implicit-def: $sgpr10
	s_and_saveexec_b64 s[8:9], vcc
; %bb.2198:
	s_mov_b32 s10, 0x7f800001
	s_xor_b64 s[4:5], exec, -1
; %bb.2199:
	s_or_b64 exec, exec, s[8:9]
	s_and_b64 s[4:5], s[4:5], exec
                                        ; implicit-def: $vgpr13
	s_or_saveexec_b64 s[6:7], s[6:7]
	v_mov_b32_e32 v14, s10
	s_xor_b64 exec, exec, s[6:7]
	s_cbranch_execz .LBB9_150
.LBB9_2200:
	v_cmp_ne_u16_e32 vcc, 0, v13
	s_andn2_b64 s[4:5], s[4:5], exec
	s_and_b64 s[8:9], vcc, exec
	v_mov_b32_e32 v14, 0
	s_or_b64 s[4:5], s[4:5], s[8:9]
	s_or_b64 exec, exec, s[6:7]
	s_and_saveexec_b64 s[6:7], s[4:5]
	s_cbranch_execnz .LBB9_151
	s_branch .LBB9_152
.LBB9_2201:
	s_movk_i32 s4, 0x80
	v_cmp_eq_u16_sdwa s[12:13], v6, s4 src0_sel:BYTE_3 src1_sel:DWORD
	s_mov_b64 s[4:5], -1
                                        ; implicit-def: $sgpr10
	s_and_saveexec_b64 s[8:9], s[12:13]
; %bb.2202:
	s_mov_b32 s10, 0x7f800001
	s_xor_b64 s[4:5], exec, -1
; %bb.2203:
	s_or_b64 exec, exec, s[8:9]
	s_and_b64 s[4:5], s[4:5], exec
	s_or_saveexec_b64 s[6:7], s[6:7]
	v_mov_b32_e32 v12, s10
	s_xor_b64 exec, exec, s[6:7]
	s_cbranch_execz .LBB9_154
.LBB9_2204:
	v_mov_b32_e32 v12, 0
	v_cmp_ne_u16_sdwa s[8:9], v6, v12 src0_sel:BYTE_3 src1_sel:DWORD
	s_andn2_b64 s[4:5], s[4:5], exec
	s_and_b64 s[8:9], s[8:9], exec
	s_or_b64 s[4:5], s[4:5], s[8:9]
	s_or_b64 exec, exec, s[6:7]
	s_and_saveexec_b64 s[6:7], s[4:5]
	s_cbranch_execnz .LBB9_155
	s_branch .LBB9_156
.LBB9_2205:
	s_movk_i32 s4, 0x80
	v_cmp_eq_u16_sdwa s[12:13], v2, s4 src0_sel:BYTE_3 src1_sel:DWORD
	s_mov_b64 s[4:5], -1
                                        ; implicit-def: $sgpr10
	s_and_saveexec_b64 s[8:9], s[12:13]
; %bb.2206:
	s_mov_b32 s10, 0x7f800001
	s_xor_b64 s[4:5], exec, -1
; %bb.2207:
	s_or_b64 exec, exec, s[8:9]
	s_and_b64 s[4:5], s[4:5], exec
	s_or_saveexec_b64 s[6:7], s[6:7]
	v_mov_b32_e32 v6, s10
	s_xor_b64 exec, exec, s[6:7]
	s_cbranch_execz .LBB9_158
.LBB9_2208:
	v_mov_b32_e32 v6, 0
	v_cmp_ne_u16_sdwa s[8:9], v2, v6 src0_sel:BYTE_3 src1_sel:DWORD
	s_andn2_b64 s[4:5], s[4:5], exec
	s_and_b64 s[8:9], s[8:9], exec
	s_or_b64 s[4:5], s[4:5], s[8:9]
	s_or_b64 exec, exec, s[6:7]
	s_and_saveexec_b64 s[6:7], s[4:5]
	s_cbranch_execnz .LBB9_159
	s_branch .LBB9_160
.LBB9_2209:
	s_movk_i32 s4, 0x80
	v_cmp_eq_u16_sdwa s[12:13], v7, s4 src0_sel:BYTE_0 src1_sel:DWORD
	s_mov_b64 s[4:5], -1
                                        ; implicit-def: $sgpr10
	s_and_saveexec_b64 s[8:9], s[12:13]
; %bb.2210:
	s_mov_b32 s10, 0x7f800001
	s_xor_b64 s[4:5], exec, -1
; %bb.2211:
	s_or_b64 exec, exec, s[8:9]
	s_and_b64 s[4:5], s[4:5], exec
	s_or_saveexec_b64 s[6:7], s[6:7]
	v_mov_b32_e32 v2, s10
	s_xor_b64 exec, exec, s[6:7]
	s_cbranch_execz .LBB9_162
.LBB9_2212:
	v_mov_b32_e32 v2, 0
	v_cmp_ne_u16_sdwa s[8:9], v7, v2 src0_sel:BYTE_0 src1_sel:DWORD
	s_andn2_b64 s[4:5], s[4:5], exec
	s_and_b64 s[8:9], s[8:9], exec
	s_or_b64 s[4:5], s[4:5], s[8:9]
	s_or_b64 exec, exec, s[6:7]
	s_and_saveexec_b64 s[6:7], s[4:5]
	s_cbranch_execnz .LBB9_163
	s_branch .LBB9_164
.LBB9_2213:
	s_movk_i32 s4, 0x80
	v_cmp_eq_u16_sdwa s[12:13], v3, s4 src0_sel:BYTE_0 src1_sel:DWORD
	s_mov_b64 s[4:5], -1
                                        ; implicit-def: $sgpr10
	s_and_saveexec_b64 s[8:9], s[12:13]
; %bb.2214:
	s_mov_b32 s10, 0x7f800001
	s_xor_b64 s[4:5], exec, -1
; %bb.2215:
	s_or_b64 exec, exec, s[8:9]
	s_and_b64 s[4:5], s[4:5], exec
	s_or_saveexec_b64 s[6:7], s[6:7]
	v_mov_b32_e32 v6, s10
	s_xor_b64 exec, exec, s[6:7]
	s_cbranch_execz .LBB9_166
.LBB9_2216:
	v_mov_b32_e32 v6, 0
	v_cmp_ne_u16_sdwa s[8:9], v3, v6 src0_sel:BYTE_0 src1_sel:DWORD
	s_andn2_b64 s[4:5], s[4:5], exec
	s_and_b64 s[8:9], s[8:9], exec
	s_or_b64 s[4:5], s[4:5], s[8:9]
	s_or_b64 exec, exec, s[6:7]
	s_and_saveexec_b64 s[6:7], s[4:5]
	s_cbranch_execnz .LBB9_167
	s_branch .LBB9_168
.LBB9_2217:
	s_movk_i32 s4, 0x80
	v_cmp_eq_u16_sdwa s[12:13], v6, s4 src0_sel:BYTE_0 src1_sel:DWORD
	s_mov_b64 s[4:5], -1
                                        ; implicit-def: $sgpr10
	s_and_saveexec_b64 s[8:9], s[12:13]
; %bb.2218:
	s_mov_b32 s10, 0x7f800001
	s_xor_b64 s[4:5], exec, -1
; %bb.2219:
	s_or_b64 exec, exec, s[8:9]
	s_and_b64 s[4:5], s[4:5], exec
	s_or_saveexec_b64 s[6:7], s[6:7]
	v_mov_b32_e32 v2, s10
	s_xor_b64 exec, exec, s[6:7]
	s_cbranch_execz .LBB9_170
.LBB9_2220:
	v_mov_b32_e32 v2, 0
	v_cmp_ne_u16_sdwa s[8:9], v6, v2 src0_sel:BYTE_0 src1_sel:DWORD
	s_andn2_b64 s[4:5], s[4:5], exec
	s_and_b64 s[8:9], s[8:9], exec
	s_or_b64 s[4:5], s[4:5], s[8:9]
	s_or_b64 exec, exec, s[6:7]
	s_and_saveexec_b64 s[6:7], s[4:5]
	s_cbranch_execnz .LBB9_171
	s_branch .LBB9_172
.LBB9_2221:
	s_movk_i32 s4, 0x80
	v_cmp_eq_u16_sdwa s[12:13], v6, s4 src0_sel:BYTE_0 src1_sel:DWORD
	s_mov_b64 s[4:5], -1
                                        ; implicit-def: $sgpr10
	s_and_saveexec_b64 s[8:9], s[12:13]
; %bb.2222:
	s_mov_b32 s10, 0x7f800001
	s_xor_b64 s[4:5], exec, -1
; %bb.2223:
	s_or_b64 exec, exec, s[8:9]
	s_and_b64 s[4:5], s[4:5], exec
	s_or_saveexec_b64 s[6:7], s[6:7]
	v_mov_b32_e32 v12, s10
	s_xor_b64 exec, exec, s[6:7]
	s_cbranch_execz .LBB9_174
.LBB9_2224:
	v_mov_b32_e32 v12, 0
	v_cmp_ne_u16_sdwa s[8:9], v6, v12 src0_sel:BYTE_0 src1_sel:DWORD
	s_andn2_b64 s[4:5], s[4:5], exec
	s_and_b64 s[8:9], s[8:9], exec
	s_or_b64 s[4:5], s[4:5], s[8:9]
	s_or_b64 exec, exec, s[6:7]
	s_and_saveexec_b64 s[6:7], s[4:5]
	s_cbranch_execnz .LBB9_175
	s_branch .LBB9_176
.LBB9_2225:
	s_movk_i32 s4, 0x80
	v_cmp_eq_u16_e32 vcc, s4, v6
	s_mov_b64 s[4:5], -1
                                        ; implicit-def: $sgpr10
	s_and_saveexec_b64 s[8:9], vcc
; %bb.2226:
	s_mov_b32 s10, 0x7f800001
	s_xor_b64 s[4:5], exec, -1
; %bb.2227:
	s_or_b64 exec, exec, s[8:9]
	s_and_b64 s[4:5], s[4:5], exec
                                        ; implicit-def: $vgpr6
	s_or_saveexec_b64 s[6:7], s[6:7]
	v_mov_b32_e32 v2, s10
	s_xor_b64 exec, exec, s[6:7]
	s_cbranch_execz .LBB9_178
.LBB9_2228:
	v_cmp_ne_u16_e32 vcc, 0, v6
	s_andn2_b64 s[4:5], s[4:5], exec
	s_and_b64 s[8:9], vcc, exec
	v_mov_b32_e32 v2, 0
	s_or_b64 s[4:5], s[4:5], s[8:9]
	s_or_b64 exec, exec, s[6:7]
	s_and_saveexec_b64 s[6:7], s[4:5]
	s_cbranch_execnz .LBB9_179
	s_branch .LBB9_180
.LBB9_2229:
	s_movk_i32 s4, 0x80
	v_cmp_eq_u16_e32 vcc, s4, v6
	s_mov_b64 s[4:5], -1
                                        ; implicit-def: $sgpr10
	s_and_saveexec_b64 s[8:9], vcc
; %bb.2230:
	s_mov_b32 s10, 0x7f800001
	s_xor_b64 s[4:5], exec, -1
; %bb.2231:
	s_or_b64 exec, exec, s[8:9]
	s_and_b64 s[4:5], s[4:5], exec
                                        ; implicit-def: $vgpr6
	s_or_saveexec_b64 s[6:7], s[6:7]
	v_mov_b32_e32 v12, s10
	s_xor_b64 exec, exec, s[6:7]
	s_cbranch_execz .LBB9_182
.LBB9_2232:
	v_cmp_ne_u16_e32 vcc, 0, v6
	s_andn2_b64 s[4:5], s[4:5], exec
	s_and_b64 s[8:9], vcc, exec
	v_mov_b32_e32 v12, 0
	s_or_b64 s[4:5], s[4:5], s[8:9]
	s_or_b64 exec, exec, s[6:7]
	s_and_saveexec_b64 s[6:7], s[4:5]
	s_cbranch_execnz .LBB9_183
	s_branch .LBB9_184
.LBB9_2233:
	s_movk_i32 s4, 0x80
	v_cmp_eq_u16_sdwa s[12:13], v7, s4 src0_sel:BYTE_3 src1_sel:DWORD
	s_mov_b64 s[4:5], -1
                                        ; implicit-def: $sgpr10
	s_and_saveexec_b64 s[8:9], s[12:13]
; %bb.2234:
	s_mov_b32 s10, 0x7f800001
	s_xor_b64 s[4:5], exec, -1
; %bb.2235:
	s_or_b64 exec, exec, s[8:9]
	s_and_b64 s[4:5], s[4:5], exec
	s_or_saveexec_b64 s[6:7], s[6:7]
	v_mov_b32_e32 v2, s10
	s_xor_b64 exec, exec, s[6:7]
	s_cbranch_execz .LBB9_186
.LBB9_2236:
	v_mov_b32_e32 v2, 0
	v_cmp_ne_u16_sdwa s[8:9], v7, v2 src0_sel:BYTE_3 src1_sel:DWORD
	s_andn2_b64 s[4:5], s[4:5], exec
	s_and_b64 s[8:9], s[8:9], exec
	s_or_b64 s[4:5], s[4:5], s[8:9]
	s_or_b64 exec, exec, s[6:7]
	s_and_saveexec_b64 s[6:7], s[4:5]
	s_cbranch_execnz .LBB9_187
	s_branch .LBB9_188
.LBB9_2237:
	s_movk_i32 s4, 0x80
	v_cmp_eq_u16_sdwa s[12:13], v3, s4 src0_sel:BYTE_3 src1_sel:DWORD
	s_mov_b64 s[4:5], -1
                                        ; implicit-def: $sgpr10
	s_and_saveexec_b64 s[8:9], s[12:13]
; %bb.2238:
	s_mov_b32 s10, 0x7f800001
	s_xor_b64 s[4:5], exec, -1
; %bb.2239:
	s_or_b64 exec, exec, s[8:9]
	s_and_b64 s[4:5], s[4:5], exec
	s_or_saveexec_b64 s[6:7], s[6:7]
	v_mov_b32_e32 v6, s10
	s_xor_b64 exec, exec, s[6:7]
	s_cbranch_execz .LBB9_190
.LBB9_2240:
	v_mov_b32_e32 v6, 0
	v_cmp_ne_u16_sdwa s[8:9], v3, v6 src0_sel:BYTE_3 src1_sel:DWORD
	s_andn2_b64 s[4:5], s[4:5], exec
	s_and_b64 s[8:9], s[8:9], exec
	s_or_b64 s[4:5], s[4:5], s[8:9]
	s_or_b64 exec, exec, s[6:7]
	s_and_saveexec_b64 s[6:7], s[4:5]
	s_cbranch_execnz .LBB9_191
	s_branch .LBB9_192
.LBB9_2241:
	s_movk_i32 s4, 0x80
	v_cmp_eq_u16_sdwa s[12:13], v8, s4 src0_sel:BYTE_0 src1_sel:DWORD
	s_mov_b64 s[4:5], -1
                                        ; implicit-def: $sgpr10
	s_and_saveexec_b64 s[8:9], s[12:13]
; %bb.2242:
	s_mov_b32 s10, 0x7f800001
	s_xor_b64 s[4:5], exec, -1
; %bb.2243:
	s_or_b64 exec, exec, s[8:9]
	s_and_b64 s[4:5], s[4:5], exec
	s_or_saveexec_b64 s[6:7], s[6:7]
	v_mov_b32_e32 v2, s10
	s_xor_b64 exec, exec, s[6:7]
	s_cbranch_execz .LBB9_194
.LBB9_2244:
	v_mov_b32_e32 v2, 0
	v_cmp_ne_u16_sdwa s[8:9], v8, v2 src0_sel:BYTE_0 src1_sel:DWORD
	s_andn2_b64 s[4:5], s[4:5], exec
	s_and_b64 s[8:9], s[8:9], exec
	s_or_b64 s[4:5], s[4:5], s[8:9]
	s_or_b64 exec, exec, s[6:7]
	s_and_saveexec_b64 s[6:7], s[4:5]
	s_cbranch_execnz .LBB9_195
	s_branch .LBB9_196
.LBB9_2245:
	s_movk_i32 s4, 0x80
	v_cmp_eq_u16_sdwa s[12:13], v4, s4 src0_sel:BYTE_0 src1_sel:DWORD
	s_mov_b64 s[4:5], -1
                                        ; implicit-def: $sgpr10
	s_and_saveexec_b64 s[8:9], s[12:13]
; %bb.2246:
	s_mov_b32 s10, 0x7f800001
	s_xor_b64 s[4:5], exec, -1
; %bb.2247:
	s_or_b64 exec, exec, s[8:9]
	s_and_b64 s[4:5], s[4:5], exec
	s_or_saveexec_b64 s[6:7], s[6:7]
	v_mov_b32_e32 v3, s10
	s_xor_b64 exec, exec, s[6:7]
	s_cbranch_execz .LBB9_198
.LBB9_2248:
	v_mov_b32_e32 v3, 0
	v_cmp_ne_u16_sdwa s[8:9], v4, v3 src0_sel:BYTE_0 src1_sel:DWORD
	s_andn2_b64 s[4:5], s[4:5], exec
	s_and_b64 s[8:9], s[8:9], exec
	s_or_b64 s[4:5], s[4:5], s[8:9]
	s_or_b64 exec, exec, s[6:7]
	s_and_saveexec_b64 s[6:7], s[4:5]
	s_cbranch_execnz .LBB9_199
	s_branch .LBB9_200
.LBB9_2249:
	s_movk_i32 s4, 0x80
	v_cmp_eq_u16_sdwa s[12:13], v3, s4 src0_sel:BYTE_0 src1_sel:DWORD
	s_mov_b64 s[4:5], -1
                                        ; implicit-def: $sgpr10
	s_and_saveexec_b64 s[8:9], s[12:13]
; %bb.2250:
	s_mov_b32 s10, 0x7f800001
	s_xor_b64 s[4:5], exec, -1
; %bb.2251:
	s_or_b64 exec, exec, s[8:9]
	s_and_b64 s[4:5], s[4:5], exec
	s_or_saveexec_b64 s[6:7], s[6:7]
	v_mov_b32_e32 v2, s10
	s_xor_b64 exec, exec, s[6:7]
	s_cbranch_execz .LBB9_202
.LBB9_2252:
	v_mov_b32_e32 v2, 0
	v_cmp_ne_u16_sdwa s[8:9], v3, v2 src0_sel:BYTE_0 src1_sel:DWORD
	s_andn2_b64 s[4:5], s[4:5], exec
	s_and_b64 s[8:9], s[8:9], exec
	s_or_b64 s[4:5], s[4:5], s[8:9]
	s_or_b64 exec, exec, s[6:7]
	s_and_saveexec_b64 s[6:7], s[4:5]
	s_cbranch_execnz .LBB9_203
	s_branch .LBB9_204
.LBB9_2253:
	s_movk_i32 s4, 0x80
	v_cmp_eq_u16_sdwa s[12:13], v3, s4 src0_sel:BYTE_0 src1_sel:DWORD
	s_mov_b64 s[4:5], -1
                                        ; implicit-def: $sgpr10
	s_and_saveexec_b64 s[8:9], s[12:13]
; %bb.2254:
	s_mov_b32 s10, 0x7f800001
	s_xor_b64 s[4:5], exec, -1
; %bb.2255:
	s_or_b64 exec, exec, s[8:9]
	s_and_b64 s[4:5], s[4:5], exec
	s_or_saveexec_b64 s[6:7], s[6:7]
	v_mov_b32_e32 v6, s10
	s_xor_b64 exec, exec, s[6:7]
	s_cbranch_execz .LBB9_206
.LBB9_2256:
	v_mov_b32_e32 v6, 0
	v_cmp_ne_u16_sdwa s[8:9], v3, v6 src0_sel:BYTE_0 src1_sel:DWORD
	s_andn2_b64 s[4:5], s[4:5], exec
	s_and_b64 s[8:9], s[8:9], exec
	s_or_b64 s[4:5], s[4:5], s[8:9]
	s_or_b64 exec, exec, s[6:7]
	s_and_saveexec_b64 s[6:7], s[4:5]
	s_cbranch_execnz .LBB9_207
	s_branch .LBB9_208
.LBB9_2257:
	s_movk_i32 s4, 0x80
	v_cmp_eq_u16_e32 vcc, s4, v3
	s_mov_b64 s[4:5], -1
                                        ; implicit-def: $sgpr10
	s_and_saveexec_b64 s[8:9], vcc
; %bb.2258:
	s_mov_b32 s10, 0x7f800001
	s_xor_b64 s[4:5], exec, -1
; %bb.2259:
	s_or_b64 exec, exec, s[8:9]
	s_and_b64 s[4:5], s[4:5], exec
                                        ; implicit-def: $vgpr3
	s_or_saveexec_b64 s[6:7], s[6:7]
	v_mov_b32_e32 v2, s10
	s_xor_b64 exec, exec, s[6:7]
	s_cbranch_execz .LBB9_210
.LBB9_2260:
	v_cmp_ne_u16_e32 vcc, 0, v3
	s_andn2_b64 s[4:5], s[4:5], exec
	s_and_b64 s[8:9], vcc, exec
	v_mov_b32_e32 v2, 0
	s_or_b64 s[4:5], s[4:5], s[8:9]
	s_or_b64 exec, exec, s[6:7]
	s_and_saveexec_b64 s[6:7], s[4:5]
	s_cbranch_execnz .LBB9_211
	s_branch .LBB9_212
.LBB9_2261:
	s_movk_i32 s4, 0x80
	v_cmp_eq_u16_e32 vcc, s4, v3
	s_mov_b64 s[4:5], -1
                                        ; implicit-def: $sgpr10
	s_and_saveexec_b64 s[8:9], vcc
; %bb.2262:
	s_mov_b32 s10, 0x7f800001
	s_xor_b64 s[4:5], exec, -1
; %bb.2263:
	s_or_b64 exec, exec, s[8:9]
	s_and_b64 s[4:5], s[4:5], exec
                                        ; implicit-def: $vgpr3
	s_or_saveexec_b64 s[6:7], s[6:7]
	v_mov_b32_e32 v6, s10
	s_xor_b64 exec, exec, s[6:7]
	s_cbranch_execz .LBB9_214
.LBB9_2264:
	v_cmp_ne_u16_e32 vcc, 0, v3
	s_andn2_b64 s[4:5], s[4:5], exec
	s_and_b64 s[8:9], vcc, exec
	v_mov_b32_e32 v6, 0
	s_or_b64 s[4:5], s[4:5], s[8:9]
	s_or_b64 exec, exec, s[6:7]
	s_and_saveexec_b64 s[6:7], s[4:5]
	s_cbranch_execnz .LBB9_215
	s_branch .LBB9_216
.LBB9_2265:
	s_movk_i32 s4, 0x80
	v_cmp_eq_u16_sdwa s[12:13], v8, s4 src0_sel:BYTE_3 src1_sel:DWORD
	s_mov_b64 s[4:5], -1
                                        ; implicit-def: $sgpr10
	s_and_saveexec_b64 s[8:9], s[12:13]
; %bb.2266:
	s_mov_b32 s10, 0x7f800001
	s_xor_b64 s[4:5], exec, -1
; %bb.2267:
	s_or_b64 exec, exec, s[8:9]
	s_and_b64 s[4:5], s[4:5], exec
	s_or_saveexec_b64 s[6:7], s[6:7]
	v_mov_b32_e32 v2, s10
	s_xor_b64 exec, exec, s[6:7]
	s_cbranch_execz .LBB9_218
.LBB9_2268:
	v_mov_b32_e32 v2, 0
	v_cmp_ne_u16_sdwa s[8:9], v8, v2 src0_sel:BYTE_3 src1_sel:DWORD
	s_andn2_b64 s[4:5], s[4:5], exec
	s_and_b64 s[8:9], s[8:9], exec
	s_or_b64 s[4:5], s[4:5], s[8:9]
	s_or_b64 exec, exec, s[6:7]
	s_and_saveexec_b64 s[6:7], s[4:5]
	s_cbranch_execnz .LBB9_219
	s_branch .LBB9_220
.LBB9_2269:
	s_movk_i32 s4, 0x80
	v_cmp_eq_u16_sdwa s[12:13], v4, s4 src0_sel:BYTE_3 src1_sel:DWORD
	s_mov_b64 s[4:5], -1
                                        ; implicit-def: $sgpr10
	s_and_saveexec_b64 s[8:9], s[12:13]
; %bb.2270:
	s_mov_b32 s10, 0x7f800001
	s_xor_b64 s[4:5], exec, -1
; %bb.2271:
	s_or_b64 exec, exec, s[8:9]
	s_and_b64 s[4:5], s[4:5], exec
	s_or_saveexec_b64 s[6:7], s[6:7]
	v_mov_b32_e32 v3, s10
	s_xor_b64 exec, exec, s[6:7]
	s_cbranch_execz .LBB9_222
.LBB9_2272:
	v_mov_b32_e32 v3, 0
	v_cmp_ne_u16_sdwa s[8:9], v4, v3 src0_sel:BYTE_3 src1_sel:DWORD
	s_andn2_b64 s[4:5], s[4:5], exec
	s_and_b64 s[8:9], s[8:9], exec
	s_or_b64 s[4:5], s[4:5], s[8:9]
	s_or_b64 exec, exec, s[6:7]
	s_and_saveexec_b64 s[6:7], s[4:5]
	s_cbranch_execnz .LBB9_223
	s_branch .LBB9_224
.LBB9_2273:
	s_movk_i32 s4, 0x80
	v_cmp_eq_u16_sdwa s[12:13], v9, s4 src0_sel:BYTE_0 src1_sel:DWORD
	s_mov_b64 s[4:5], -1
                                        ; implicit-def: $sgpr10
	s_and_saveexec_b64 s[8:9], s[12:13]
; %bb.2274:
	s_mov_b32 s10, 0x7f800001
	s_xor_b64 s[4:5], exec, -1
; %bb.2275:
	s_or_b64 exec, exec, s[8:9]
	s_and_b64 s[4:5], s[4:5], exec
	s_or_saveexec_b64 s[6:7], s[6:7]
	v_mov_b32_e32 v2, s10
	s_xor_b64 exec, exec, s[6:7]
	s_cbranch_execz .LBB9_226
.LBB9_2276:
	v_mov_b32_e32 v2, 0
	v_cmp_ne_u16_sdwa s[8:9], v9, v2 src0_sel:BYTE_0 src1_sel:DWORD
	s_andn2_b64 s[4:5], s[4:5], exec
	s_and_b64 s[8:9], s[8:9], exec
	s_or_b64 s[4:5], s[4:5], s[8:9]
	s_or_b64 exec, exec, s[6:7]
	s_and_saveexec_b64 s[6:7], s[4:5]
	s_cbranch_execnz .LBB9_227
	s_branch .LBB9_228
.LBB9_2277:
	s_movk_i32 s4, 0x80
	v_cmp_eq_u16_sdwa s[12:13], v5, s4 src0_sel:BYTE_0 src1_sel:DWORD
	s_mov_b64 s[4:5], -1
                                        ; implicit-def: $sgpr10
	s_and_saveexec_b64 s[8:9], s[12:13]
; %bb.2278:
	s_mov_b32 s10, 0x7f800001
	s_xor_b64 s[4:5], exec, -1
; %bb.2279:
	s_or_b64 exec, exec, s[8:9]
	s_and_b64 s[4:5], s[4:5], exec
	s_or_saveexec_b64 s[6:7], s[6:7]
	v_mov_b32_e32 v3, s10
	s_xor_b64 exec, exec, s[6:7]
	s_cbranch_execz .LBB9_230
.LBB9_2280:
	v_mov_b32_e32 v3, 0
	v_cmp_ne_u16_sdwa s[8:9], v5, v3 src0_sel:BYTE_0 src1_sel:DWORD
	s_andn2_b64 s[4:5], s[4:5], exec
	s_and_b64 s[8:9], s[8:9], exec
	s_or_b64 s[4:5], s[4:5], s[8:9]
	s_or_b64 exec, exec, s[6:7]
	s_and_saveexec_b64 s[6:7], s[4:5]
	s_cbranch_execnz .LBB9_231
	s_branch .LBB9_232
.LBB9_2281:
	s_movk_i32 s4, 0x80
	v_cmp_eq_u16_sdwa s[12:13], v3, s4 src0_sel:BYTE_0 src1_sel:DWORD
	s_mov_b64 s[4:5], -1
                                        ; implicit-def: $sgpr10
	s_and_saveexec_b64 s[8:9], s[12:13]
; %bb.2282:
	s_mov_b32 s10, 0x7f800001
	s_xor_b64 s[4:5], exec, -1
; %bb.2283:
	s_or_b64 exec, exec, s[8:9]
	s_and_b64 s[4:5], s[4:5], exec
	s_or_saveexec_b64 s[6:7], s[6:7]
	v_mov_b32_e32 v2, s10
	s_xor_b64 exec, exec, s[6:7]
	s_cbranch_execz .LBB9_234
.LBB9_2284:
	v_mov_b32_e32 v2, 0
	v_cmp_ne_u16_sdwa s[8:9], v3, v2 src0_sel:BYTE_0 src1_sel:DWORD
	s_andn2_b64 s[4:5], s[4:5], exec
	s_and_b64 s[8:9], s[8:9], exec
	s_or_b64 s[4:5], s[4:5], s[8:9]
	s_or_b64 exec, exec, s[6:7]
	s_and_saveexec_b64 s[6:7], s[4:5]
	s_cbranch_execnz .LBB9_235
	s_branch .LBB9_236
.LBB9_2285:
	s_movk_i32 s4, 0x80
	v_cmp_eq_u16_sdwa s[12:13], v3, s4 src0_sel:BYTE_0 src1_sel:DWORD
	s_mov_b64 s[4:5], -1
                                        ; implicit-def: $sgpr10
	s_and_saveexec_b64 s[8:9], s[12:13]
; %bb.2286:
	s_mov_b32 s10, 0x7f800001
	s_xor_b64 s[4:5], exec, -1
; %bb.2287:
	s_or_b64 exec, exec, s[8:9]
	s_and_b64 s[4:5], s[4:5], exec
	s_or_saveexec_b64 s[6:7], s[6:7]
	v_mov_b32_e32 v4, s10
	s_xor_b64 exec, exec, s[6:7]
	s_cbranch_execz .LBB9_238
.LBB9_2288:
	v_mov_b32_e32 v4, 0
	v_cmp_ne_u16_sdwa s[8:9], v3, v4 src0_sel:BYTE_0 src1_sel:DWORD
	s_andn2_b64 s[4:5], s[4:5], exec
	s_and_b64 s[8:9], s[8:9], exec
	s_or_b64 s[4:5], s[4:5], s[8:9]
	s_or_b64 exec, exec, s[6:7]
	s_and_saveexec_b64 s[6:7], s[4:5]
	s_cbranch_execnz .LBB9_239
	s_branch .LBB9_240
.LBB9_2289:
	s_movk_i32 s4, 0x80
	v_cmp_eq_u16_e32 vcc, s4, v3
	s_mov_b64 s[4:5], -1
                                        ; implicit-def: $sgpr10
	s_and_saveexec_b64 s[8:9], vcc
; %bb.2290:
	s_mov_b32 s10, 0x7f800001
	s_xor_b64 s[4:5], exec, -1
; %bb.2291:
	s_or_b64 exec, exec, s[8:9]
	s_and_b64 s[4:5], s[4:5], exec
                                        ; implicit-def: $vgpr3
	s_or_saveexec_b64 s[6:7], s[6:7]
	v_mov_b32_e32 v2, s10
	s_xor_b64 exec, exec, s[6:7]
	s_cbranch_execz .LBB9_242
.LBB9_2292:
	v_cmp_ne_u16_e32 vcc, 0, v3
	s_andn2_b64 s[4:5], s[4:5], exec
	s_and_b64 s[8:9], vcc, exec
	v_mov_b32_e32 v2, 0
	s_or_b64 s[4:5], s[4:5], s[8:9]
	s_or_b64 exec, exec, s[6:7]
	s_and_saveexec_b64 s[6:7], s[4:5]
	s_cbranch_execnz .LBB9_243
	s_branch .LBB9_244
.LBB9_2293:
	s_movk_i32 s4, 0x80
	v_cmp_eq_u16_e32 vcc, s4, v3
	s_mov_b64 s[4:5], -1
                                        ; implicit-def: $sgpr10
	s_and_saveexec_b64 s[8:9], vcc
; %bb.2294:
	s_mov_b32 s10, 0x7f800001
	s_xor_b64 s[4:5], exec, -1
; %bb.2295:
	s_or_b64 exec, exec, s[8:9]
	s_and_b64 s[4:5], s[4:5], exec
                                        ; implicit-def: $vgpr3
	s_or_saveexec_b64 s[6:7], s[6:7]
	v_mov_b32_e32 v4, s10
	s_xor_b64 exec, exec, s[6:7]
	s_cbranch_execz .LBB9_246
.LBB9_2296:
	v_cmp_ne_u16_e32 vcc, 0, v3
	s_andn2_b64 s[4:5], s[4:5], exec
	s_and_b64 s[8:9], vcc, exec
	v_mov_b32_e32 v4, 0
	s_or_b64 s[4:5], s[4:5], s[8:9]
	s_or_b64 exec, exec, s[6:7]
	s_and_saveexec_b64 s[6:7], s[4:5]
	s_cbranch_execnz .LBB9_247
	s_branch .LBB9_248
.LBB9_2297:
	s_movk_i32 s4, 0x80
	v_cmp_eq_u16_sdwa s[12:13], v9, s4 src0_sel:BYTE_3 src1_sel:DWORD
	s_mov_b64 s[4:5], -1
                                        ; implicit-def: $sgpr10
	s_and_saveexec_b64 s[8:9], s[12:13]
; %bb.2298:
	s_mov_b32 s10, 0x7f800001
	s_xor_b64 s[4:5], exec, -1
; %bb.2299:
	s_or_b64 exec, exec, s[8:9]
	s_and_b64 s[4:5], s[4:5], exec
	s_or_saveexec_b64 s[6:7], s[6:7]
	v_mov_b32_e32 v2, s10
	s_xor_b64 exec, exec, s[6:7]
	s_cbranch_execz .LBB9_250
.LBB9_2300:
	v_mov_b32_e32 v2, 0
	v_cmp_ne_u16_sdwa s[8:9], v9, v2 src0_sel:BYTE_3 src1_sel:DWORD
	s_andn2_b64 s[4:5], s[4:5], exec
	s_and_b64 s[8:9], s[8:9], exec
	s_or_b64 s[4:5], s[4:5], s[8:9]
	s_or_b64 exec, exec, s[6:7]
	s_and_saveexec_b64 s[6:7], s[4:5]
	s_cbranch_execnz .LBB9_251
	s_branch .LBB9_252
.LBB9_2301:
	s_movk_i32 s4, 0x80
	v_cmp_eq_u16_sdwa s[12:13], v5, s4 src0_sel:BYTE_3 src1_sel:DWORD
	s_mov_b64 s[4:5], -1
                                        ; implicit-def: $sgpr10
	s_and_saveexec_b64 s[8:9], s[12:13]
; %bb.2302:
	s_mov_b32 s10, 0x7f800001
	s_xor_b64 s[4:5], exec, -1
; %bb.2303:
	s_or_b64 exec, exec, s[8:9]
	s_and_b64 s[4:5], s[4:5], exec
	s_or_saveexec_b64 s[6:7], s[6:7]
	v_mov_b32_e32 v3, s10
	s_xor_b64 exec, exec, s[6:7]
	s_cbranch_execz .LBB9_254
.LBB9_2304:
	v_mov_b32_e32 v3, 0
	v_cmp_ne_u16_sdwa s[8:9], v5, v3 src0_sel:BYTE_3 src1_sel:DWORD
	s_andn2_b64 s[4:5], s[4:5], exec
	s_and_b64 s[8:9], s[8:9], exec
	s_or_b64 s[4:5], s[4:5], s[8:9]
	s_or_b64 exec, exec, s[6:7]
	s_and_saveexec_b64 s[6:7], s[4:5]
	s_cbranch_execnz .LBB9_255
	s_branch .LBB9_256
.LBB9_2305:
	s_movk_i32 s4, 0x80
	v_cmp_eq_u16_sdwa s[12:13], v6, s4 src0_sel:BYTE_0 src1_sel:DWORD
	s_mov_b64 s[4:5], -1
                                        ; implicit-def: $sgpr10
	s_and_saveexec_b64 s[8:9], s[12:13]
; %bb.2306:
	s_mov_b32 s10, 0x7f800001
	s_xor_b64 s[4:5], exec, -1
; %bb.2307:
	s_or_b64 exec, exec, s[8:9]
	s_and_b64 s[4:5], s[4:5], exec
	s_or_saveexec_b64 s[6:7], s[6:7]
	v_mov_b32_e32 v12, s10
	s_xor_b64 exec, exec, s[6:7]
	s_cbranch_execz .LBB9_258
.LBB9_2308:
	v_mov_b32_e32 v12, 0
	v_cmp_ne_u16_sdwa s[8:9], v6, v12 src0_sel:BYTE_0 src1_sel:DWORD
	s_andn2_b64 s[4:5], s[4:5], exec
	s_and_b64 s[8:9], s[8:9], exec
	s_or_b64 s[4:5], s[4:5], s[8:9]
	s_or_b64 exec, exec, s[6:7]
	s_and_saveexec_b64 s[6:7], s[4:5]
	s_cbranch_execnz .LBB9_259
	s_branch .LBB9_260
.LBB9_2309:
	s_movk_i32 s4, 0x80
	v_cmp_eq_u16_sdwa s[12:13], v2, s4 src0_sel:BYTE_0 src1_sel:DWORD
	s_mov_b64 s[4:5], -1
                                        ; implicit-def: $sgpr10
	s_and_saveexec_b64 s[8:9], s[12:13]
; %bb.2310:
	s_mov_b32 s10, 0x7f800001
	s_xor_b64 s[4:5], exec, -1
; %bb.2311:
	s_or_b64 exec, exec, s[8:9]
	s_and_b64 s[4:5], s[4:5], exec
	s_or_saveexec_b64 s[6:7], s[6:7]
	v_mov_b32_e32 v13, s10
	s_xor_b64 exec, exec, s[6:7]
	s_cbranch_execz .LBB9_262
.LBB9_2312:
	v_mov_b32_e32 v13, 0
	v_cmp_ne_u16_sdwa s[8:9], v2, v13 src0_sel:BYTE_0 src1_sel:DWORD
	s_andn2_b64 s[4:5], s[4:5], exec
	s_and_b64 s[8:9], s[8:9], exec
	s_or_b64 s[4:5], s[4:5], s[8:9]
	s_or_b64 exec, exec, s[6:7]
	s_and_saveexec_b64 s[6:7], s[4:5]
	s_cbranch_execnz .LBB9_263
	s_branch .LBB9_264
.LBB9_2313:
	s_movk_i32 s4, 0x80
	v_cmp_eq_u16_sdwa s[12:13], v13, s4 src0_sel:BYTE_0 src1_sel:DWORD
	s_mov_b64 s[4:5], -1
                                        ; implicit-def: $sgpr10
	s_and_saveexec_b64 s[8:9], s[12:13]
; %bb.2314:
	s_mov_b32 s10, 0x7f800001
	s_xor_b64 s[4:5], exec, -1
; %bb.2315:
	s_or_b64 exec, exec, s[8:9]
	s_and_b64 s[4:5], s[4:5], exec
	s_or_saveexec_b64 s[6:7], s[6:7]
	v_mov_b32_e32 v12, s10
	s_xor_b64 exec, exec, s[6:7]
	s_cbranch_execz .LBB9_266
.LBB9_2316:
	v_mov_b32_e32 v12, 0
	v_cmp_ne_u16_sdwa s[8:9], v13, v12 src0_sel:BYTE_0 src1_sel:DWORD
	s_andn2_b64 s[4:5], s[4:5], exec
	s_and_b64 s[8:9], s[8:9], exec
	s_or_b64 s[4:5], s[4:5], s[8:9]
	s_or_b64 exec, exec, s[6:7]
	s_and_saveexec_b64 s[6:7], s[4:5]
	s_cbranch_execnz .LBB9_267
	s_branch .LBB9_268
.LBB9_2317:
	s_movk_i32 s4, 0x80
	v_cmp_eq_u16_sdwa s[12:13], v13, s4 src0_sel:BYTE_0 src1_sel:DWORD
	s_mov_b64 s[4:5], -1
                                        ; implicit-def: $sgpr10
	s_and_saveexec_b64 s[8:9], s[12:13]
; %bb.2318:
	s_mov_b32 s10, 0x7f800001
	s_xor_b64 s[4:5], exec, -1
; %bb.2319:
	s_or_b64 exec, exec, s[8:9]
	s_and_b64 s[4:5], s[4:5], exec
	s_or_saveexec_b64 s[6:7], s[6:7]
	v_mov_b32_e32 v14, s10
	s_xor_b64 exec, exec, s[6:7]
	s_cbranch_execz .LBB9_270
.LBB9_2320:
	v_mov_b32_e32 v14, 0
	v_cmp_ne_u16_sdwa s[8:9], v13, v14 src0_sel:BYTE_0 src1_sel:DWORD
	s_andn2_b64 s[4:5], s[4:5], exec
	s_and_b64 s[8:9], s[8:9], exec
	s_or_b64 s[4:5], s[4:5], s[8:9]
	s_or_b64 exec, exec, s[6:7]
	s_and_saveexec_b64 s[6:7], s[4:5]
	s_cbranch_execnz .LBB9_271
	s_branch .LBB9_272
.LBB9_2321:
	s_movk_i32 s4, 0x80
	v_cmp_eq_u16_e32 vcc, s4, v13
	s_mov_b64 s[4:5], -1
                                        ; implicit-def: $sgpr10
	s_and_saveexec_b64 s[8:9], vcc
; %bb.2322:
	s_mov_b32 s10, 0x7f800001
	s_xor_b64 s[4:5], exec, -1
; %bb.2323:
	s_or_b64 exec, exec, s[8:9]
	s_and_b64 s[4:5], s[4:5], exec
                                        ; implicit-def: $vgpr13
	s_or_saveexec_b64 s[6:7], s[6:7]
	v_mov_b32_e32 v12, s10
	s_xor_b64 exec, exec, s[6:7]
	s_cbranch_execz .LBB9_274
.LBB9_2324:
	v_cmp_ne_u16_e32 vcc, 0, v13
	s_andn2_b64 s[4:5], s[4:5], exec
	s_and_b64 s[8:9], vcc, exec
	v_mov_b32_e32 v12, 0
	s_or_b64 s[4:5], s[4:5], s[8:9]
	s_or_b64 exec, exec, s[6:7]
	s_and_saveexec_b64 s[6:7], s[4:5]
	s_cbranch_execnz .LBB9_275
	s_branch .LBB9_276
.LBB9_2325:
	s_movk_i32 s4, 0x80
	v_cmp_eq_u16_e32 vcc, s4, v13
	s_mov_b64 s[4:5], -1
                                        ; implicit-def: $sgpr10
	s_and_saveexec_b64 s[8:9], vcc
; %bb.2326:
	s_mov_b32 s10, 0x7f800001
	s_xor_b64 s[4:5], exec, -1
; %bb.2327:
	s_or_b64 exec, exec, s[8:9]
	s_and_b64 s[4:5], s[4:5], exec
                                        ; implicit-def: $vgpr13
	s_or_saveexec_b64 s[6:7], s[6:7]
	v_mov_b32_e32 v14, s10
	s_xor_b64 exec, exec, s[6:7]
	s_cbranch_execz .LBB9_278
.LBB9_2328:
	v_cmp_ne_u16_e32 vcc, 0, v13
	s_andn2_b64 s[4:5], s[4:5], exec
	s_and_b64 s[8:9], vcc, exec
	v_mov_b32_e32 v14, 0
	s_or_b64 s[4:5], s[4:5], s[8:9]
	s_or_b64 exec, exec, s[6:7]
	s_and_saveexec_b64 s[6:7], s[4:5]
	s_cbranch_execnz .LBB9_279
	s_branch .LBB9_280
.LBB9_2329:
	s_movk_i32 s4, 0x80
	v_cmp_eq_u16_sdwa s[12:13], v6, s4 src0_sel:BYTE_3 src1_sel:DWORD
	s_mov_b64 s[4:5], -1
                                        ; implicit-def: $sgpr10
	s_and_saveexec_b64 s[8:9], s[12:13]
; %bb.2330:
	s_mov_b32 s10, 0x7f800001
	s_xor_b64 s[4:5], exec, -1
; %bb.2331:
	s_or_b64 exec, exec, s[8:9]
	s_and_b64 s[4:5], s[4:5], exec
	s_or_saveexec_b64 s[6:7], s[6:7]
	v_mov_b32_e32 v12, s10
	s_xor_b64 exec, exec, s[6:7]
	s_cbranch_execz .LBB9_282
.LBB9_2332:
	v_mov_b32_e32 v12, 0
	v_cmp_ne_u16_sdwa s[8:9], v6, v12 src0_sel:BYTE_3 src1_sel:DWORD
	s_andn2_b64 s[4:5], s[4:5], exec
	s_and_b64 s[8:9], s[8:9], exec
	s_or_b64 s[4:5], s[4:5], s[8:9]
	s_or_b64 exec, exec, s[6:7]
	s_and_saveexec_b64 s[6:7], s[4:5]
	s_cbranch_execnz .LBB9_283
	s_branch .LBB9_284
.LBB9_2333:
	s_movk_i32 s4, 0x80
	v_cmp_eq_u16_sdwa s[12:13], v2, s4 src0_sel:BYTE_3 src1_sel:DWORD
	s_mov_b64 s[4:5], -1
                                        ; implicit-def: $sgpr10
	s_and_saveexec_b64 s[8:9], s[12:13]
; %bb.2334:
	s_mov_b32 s10, 0x7f800001
	s_xor_b64 s[4:5], exec, -1
; %bb.2335:
	s_or_b64 exec, exec, s[8:9]
	s_and_b64 s[4:5], s[4:5], exec
	s_or_saveexec_b64 s[6:7], s[6:7]
	v_mov_b32_e32 v6, s10
	s_xor_b64 exec, exec, s[6:7]
	s_cbranch_execz .LBB9_286
.LBB9_2336:
	v_mov_b32_e32 v6, 0
	v_cmp_ne_u16_sdwa s[8:9], v2, v6 src0_sel:BYTE_3 src1_sel:DWORD
	s_andn2_b64 s[4:5], s[4:5], exec
	s_and_b64 s[8:9], s[8:9], exec
	s_or_b64 s[4:5], s[4:5], s[8:9]
	s_or_b64 exec, exec, s[6:7]
	s_and_saveexec_b64 s[6:7], s[4:5]
	s_cbranch_execnz .LBB9_287
	s_branch .LBB9_288
.LBB9_2337:
	s_movk_i32 s4, 0x80
	v_cmp_eq_u16_sdwa s[12:13], v7, s4 src0_sel:BYTE_0 src1_sel:DWORD
	s_mov_b64 s[4:5], -1
                                        ; implicit-def: $sgpr10
	s_and_saveexec_b64 s[8:9], s[12:13]
; %bb.2338:
	s_mov_b32 s10, 0x7f800001
	s_xor_b64 s[4:5], exec, -1
; %bb.2339:
	s_or_b64 exec, exec, s[8:9]
	s_and_b64 s[4:5], s[4:5], exec
	s_or_saveexec_b64 s[6:7], s[6:7]
	v_mov_b32_e32 v2, s10
	s_xor_b64 exec, exec, s[6:7]
	s_cbranch_execz .LBB9_290
.LBB9_2340:
	v_mov_b32_e32 v2, 0
	v_cmp_ne_u16_sdwa s[8:9], v7, v2 src0_sel:BYTE_0 src1_sel:DWORD
	s_andn2_b64 s[4:5], s[4:5], exec
	s_and_b64 s[8:9], s[8:9], exec
	s_or_b64 s[4:5], s[4:5], s[8:9]
	s_or_b64 exec, exec, s[6:7]
	s_and_saveexec_b64 s[6:7], s[4:5]
	s_cbranch_execnz .LBB9_291
	s_branch .LBB9_292
.LBB9_2341:
	s_movk_i32 s4, 0x80
	v_cmp_eq_u16_sdwa s[12:13], v3, s4 src0_sel:BYTE_0 src1_sel:DWORD
	s_mov_b64 s[4:5], -1
                                        ; implicit-def: $sgpr10
	s_and_saveexec_b64 s[8:9], s[12:13]
; %bb.2342:
	s_mov_b32 s10, 0x7f800001
	s_xor_b64 s[4:5], exec, -1
; %bb.2343:
	s_or_b64 exec, exec, s[8:9]
	s_and_b64 s[4:5], s[4:5], exec
	s_or_saveexec_b64 s[6:7], s[6:7]
	v_mov_b32_e32 v6, s10
	s_xor_b64 exec, exec, s[6:7]
	s_cbranch_execz .LBB9_294
.LBB9_2344:
	v_mov_b32_e32 v6, 0
	v_cmp_ne_u16_sdwa s[8:9], v3, v6 src0_sel:BYTE_0 src1_sel:DWORD
	s_andn2_b64 s[4:5], s[4:5], exec
	s_and_b64 s[8:9], s[8:9], exec
	s_or_b64 s[4:5], s[4:5], s[8:9]
	s_or_b64 exec, exec, s[6:7]
	s_and_saveexec_b64 s[6:7], s[4:5]
	s_cbranch_execnz .LBB9_295
	s_branch .LBB9_296
.LBB9_2345:
	s_movk_i32 s4, 0x80
	v_cmp_eq_u16_sdwa s[12:13], v6, s4 src0_sel:BYTE_0 src1_sel:DWORD
	s_mov_b64 s[4:5], -1
                                        ; implicit-def: $sgpr10
	s_and_saveexec_b64 s[8:9], s[12:13]
; %bb.2346:
	s_mov_b32 s10, 0x7f800001
	s_xor_b64 s[4:5], exec, -1
; %bb.2347:
	s_or_b64 exec, exec, s[8:9]
	s_and_b64 s[4:5], s[4:5], exec
	s_or_saveexec_b64 s[6:7], s[6:7]
	v_mov_b32_e32 v2, s10
	s_xor_b64 exec, exec, s[6:7]
	s_cbranch_execz .LBB9_298
.LBB9_2348:
	v_mov_b32_e32 v2, 0
	v_cmp_ne_u16_sdwa s[8:9], v6, v2 src0_sel:BYTE_0 src1_sel:DWORD
	s_andn2_b64 s[4:5], s[4:5], exec
	s_and_b64 s[8:9], s[8:9], exec
	s_or_b64 s[4:5], s[4:5], s[8:9]
	s_or_b64 exec, exec, s[6:7]
	s_and_saveexec_b64 s[6:7], s[4:5]
	s_cbranch_execnz .LBB9_299
	s_branch .LBB9_300
.LBB9_2349:
	s_movk_i32 s4, 0x80
	v_cmp_eq_u16_sdwa s[12:13], v6, s4 src0_sel:BYTE_0 src1_sel:DWORD
	s_mov_b64 s[4:5], -1
                                        ; implicit-def: $sgpr10
	s_and_saveexec_b64 s[8:9], s[12:13]
; %bb.2350:
	s_mov_b32 s10, 0x7f800001
	s_xor_b64 s[4:5], exec, -1
; %bb.2351:
	s_or_b64 exec, exec, s[8:9]
	s_and_b64 s[4:5], s[4:5], exec
	s_or_saveexec_b64 s[6:7], s[6:7]
	v_mov_b32_e32 v12, s10
	s_xor_b64 exec, exec, s[6:7]
	s_cbranch_execz .LBB9_302
.LBB9_2352:
	v_mov_b32_e32 v12, 0
	v_cmp_ne_u16_sdwa s[8:9], v6, v12 src0_sel:BYTE_0 src1_sel:DWORD
	s_andn2_b64 s[4:5], s[4:5], exec
	s_and_b64 s[8:9], s[8:9], exec
	s_or_b64 s[4:5], s[4:5], s[8:9]
	s_or_b64 exec, exec, s[6:7]
	s_and_saveexec_b64 s[6:7], s[4:5]
	s_cbranch_execnz .LBB9_303
	s_branch .LBB9_304
.LBB9_2353:
	s_movk_i32 s4, 0x80
	v_cmp_eq_u16_e32 vcc, s4, v6
	s_mov_b64 s[4:5], -1
                                        ; implicit-def: $sgpr10
	s_and_saveexec_b64 s[8:9], vcc
; %bb.2354:
	s_mov_b32 s10, 0x7f800001
	s_xor_b64 s[4:5], exec, -1
; %bb.2355:
	s_or_b64 exec, exec, s[8:9]
	s_and_b64 s[4:5], s[4:5], exec
                                        ; implicit-def: $vgpr6
	s_or_saveexec_b64 s[6:7], s[6:7]
	v_mov_b32_e32 v2, s10
	s_xor_b64 exec, exec, s[6:7]
	s_cbranch_execz .LBB9_306
.LBB9_2356:
	v_cmp_ne_u16_e32 vcc, 0, v6
	s_andn2_b64 s[4:5], s[4:5], exec
	s_and_b64 s[8:9], vcc, exec
	v_mov_b32_e32 v2, 0
	s_or_b64 s[4:5], s[4:5], s[8:9]
	s_or_b64 exec, exec, s[6:7]
	s_and_saveexec_b64 s[6:7], s[4:5]
	s_cbranch_execnz .LBB9_307
	s_branch .LBB9_308
.LBB9_2357:
	s_movk_i32 s4, 0x80
	v_cmp_eq_u16_e32 vcc, s4, v6
	s_mov_b64 s[4:5], -1
                                        ; implicit-def: $sgpr10
	s_and_saveexec_b64 s[8:9], vcc
; %bb.2358:
	s_mov_b32 s10, 0x7f800001
	s_xor_b64 s[4:5], exec, -1
; %bb.2359:
	s_or_b64 exec, exec, s[8:9]
	s_and_b64 s[4:5], s[4:5], exec
                                        ; implicit-def: $vgpr6
	s_or_saveexec_b64 s[6:7], s[6:7]
	v_mov_b32_e32 v12, s10
	s_xor_b64 exec, exec, s[6:7]
	s_cbranch_execz .LBB9_310
.LBB9_2360:
	v_cmp_ne_u16_e32 vcc, 0, v6
	s_andn2_b64 s[4:5], s[4:5], exec
	s_and_b64 s[8:9], vcc, exec
	v_mov_b32_e32 v12, 0
	s_or_b64 s[4:5], s[4:5], s[8:9]
	s_or_b64 exec, exec, s[6:7]
	s_and_saveexec_b64 s[6:7], s[4:5]
	s_cbranch_execnz .LBB9_311
	s_branch .LBB9_312
.LBB9_2361:
	s_movk_i32 s4, 0x80
	v_cmp_eq_u16_sdwa s[12:13], v7, s4 src0_sel:BYTE_3 src1_sel:DWORD
	s_mov_b64 s[4:5], -1
                                        ; implicit-def: $sgpr10
	s_and_saveexec_b64 s[8:9], s[12:13]
; %bb.2362:
	s_mov_b32 s10, 0x7f800001
	s_xor_b64 s[4:5], exec, -1
; %bb.2363:
	s_or_b64 exec, exec, s[8:9]
	s_and_b64 s[4:5], s[4:5], exec
	s_or_saveexec_b64 s[6:7], s[6:7]
	v_mov_b32_e32 v2, s10
	s_xor_b64 exec, exec, s[6:7]
	s_cbranch_execz .LBB9_314
.LBB9_2364:
	v_mov_b32_e32 v2, 0
	v_cmp_ne_u16_sdwa s[8:9], v7, v2 src0_sel:BYTE_3 src1_sel:DWORD
	s_andn2_b64 s[4:5], s[4:5], exec
	s_and_b64 s[8:9], s[8:9], exec
	s_or_b64 s[4:5], s[4:5], s[8:9]
	s_or_b64 exec, exec, s[6:7]
	s_and_saveexec_b64 s[6:7], s[4:5]
	s_cbranch_execnz .LBB9_315
	s_branch .LBB9_316
.LBB9_2365:
	s_movk_i32 s4, 0x80
	v_cmp_eq_u16_sdwa s[12:13], v3, s4 src0_sel:BYTE_3 src1_sel:DWORD
	s_mov_b64 s[4:5], -1
                                        ; implicit-def: $sgpr10
	s_and_saveexec_b64 s[8:9], s[12:13]
; %bb.2366:
	s_mov_b32 s10, 0x7f800001
	s_xor_b64 s[4:5], exec, -1
; %bb.2367:
	s_or_b64 exec, exec, s[8:9]
	s_and_b64 s[4:5], s[4:5], exec
	s_or_saveexec_b64 s[6:7], s[6:7]
	v_mov_b32_e32 v6, s10
	s_xor_b64 exec, exec, s[6:7]
	s_cbranch_execz .LBB9_318
.LBB9_2368:
	v_mov_b32_e32 v6, 0
	v_cmp_ne_u16_sdwa s[8:9], v3, v6 src0_sel:BYTE_3 src1_sel:DWORD
	s_andn2_b64 s[4:5], s[4:5], exec
	s_and_b64 s[8:9], s[8:9], exec
	s_or_b64 s[4:5], s[4:5], s[8:9]
	s_or_b64 exec, exec, s[6:7]
	s_and_saveexec_b64 s[6:7], s[4:5]
	s_cbranch_execnz .LBB9_319
	s_branch .LBB9_320
.LBB9_2369:
	s_movk_i32 s4, 0x80
	v_cmp_eq_u16_sdwa s[12:13], v8, s4 src0_sel:BYTE_0 src1_sel:DWORD
	s_mov_b64 s[4:5], -1
                                        ; implicit-def: $sgpr10
	s_and_saveexec_b64 s[8:9], s[12:13]
; %bb.2370:
	s_mov_b32 s10, 0x7f800001
	s_xor_b64 s[4:5], exec, -1
; %bb.2371:
	s_or_b64 exec, exec, s[8:9]
	s_and_b64 s[4:5], s[4:5], exec
	s_or_saveexec_b64 s[6:7], s[6:7]
	v_mov_b32_e32 v2, s10
	s_xor_b64 exec, exec, s[6:7]
	s_cbranch_execz .LBB9_322
.LBB9_2372:
	v_mov_b32_e32 v2, 0
	v_cmp_ne_u16_sdwa s[8:9], v8, v2 src0_sel:BYTE_0 src1_sel:DWORD
	s_andn2_b64 s[4:5], s[4:5], exec
	s_and_b64 s[8:9], s[8:9], exec
	s_or_b64 s[4:5], s[4:5], s[8:9]
	s_or_b64 exec, exec, s[6:7]
	s_and_saveexec_b64 s[6:7], s[4:5]
	s_cbranch_execnz .LBB9_323
	s_branch .LBB9_324
.LBB9_2373:
	s_movk_i32 s4, 0x80
	v_cmp_eq_u16_sdwa s[12:13], v4, s4 src0_sel:BYTE_0 src1_sel:DWORD
	s_mov_b64 s[4:5], -1
                                        ; implicit-def: $sgpr10
	s_and_saveexec_b64 s[8:9], s[12:13]
; %bb.2374:
	s_mov_b32 s10, 0x7f800001
	s_xor_b64 s[4:5], exec, -1
; %bb.2375:
	s_or_b64 exec, exec, s[8:9]
	s_and_b64 s[4:5], s[4:5], exec
	s_or_saveexec_b64 s[6:7], s[6:7]
	v_mov_b32_e32 v3, s10
	s_xor_b64 exec, exec, s[6:7]
	s_cbranch_execz .LBB9_326
.LBB9_2376:
	v_mov_b32_e32 v3, 0
	v_cmp_ne_u16_sdwa s[8:9], v4, v3 src0_sel:BYTE_0 src1_sel:DWORD
	s_andn2_b64 s[4:5], s[4:5], exec
	s_and_b64 s[8:9], s[8:9], exec
	s_or_b64 s[4:5], s[4:5], s[8:9]
	s_or_b64 exec, exec, s[6:7]
	s_and_saveexec_b64 s[6:7], s[4:5]
	s_cbranch_execnz .LBB9_327
	s_branch .LBB9_328
.LBB9_2377:
	s_movk_i32 s4, 0x80
	v_cmp_eq_u16_sdwa s[12:13], v3, s4 src0_sel:BYTE_0 src1_sel:DWORD
	s_mov_b64 s[4:5], -1
                                        ; implicit-def: $sgpr10
	s_and_saveexec_b64 s[8:9], s[12:13]
; %bb.2378:
	s_mov_b32 s10, 0x7f800001
	s_xor_b64 s[4:5], exec, -1
; %bb.2379:
	s_or_b64 exec, exec, s[8:9]
	s_and_b64 s[4:5], s[4:5], exec
	s_or_saveexec_b64 s[6:7], s[6:7]
	v_mov_b32_e32 v2, s10
	s_xor_b64 exec, exec, s[6:7]
	s_cbranch_execz .LBB9_330
.LBB9_2380:
	v_mov_b32_e32 v2, 0
	v_cmp_ne_u16_sdwa s[8:9], v3, v2 src0_sel:BYTE_0 src1_sel:DWORD
	s_andn2_b64 s[4:5], s[4:5], exec
	s_and_b64 s[8:9], s[8:9], exec
	s_or_b64 s[4:5], s[4:5], s[8:9]
	s_or_b64 exec, exec, s[6:7]
	s_and_saveexec_b64 s[6:7], s[4:5]
	s_cbranch_execnz .LBB9_331
	s_branch .LBB9_332
.LBB9_2381:
	s_movk_i32 s4, 0x80
	v_cmp_eq_u16_sdwa s[12:13], v3, s4 src0_sel:BYTE_0 src1_sel:DWORD
	s_mov_b64 s[4:5], -1
                                        ; implicit-def: $sgpr10
	s_and_saveexec_b64 s[8:9], s[12:13]
; %bb.2382:
	s_mov_b32 s10, 0x7f800001
	s_xor_b64 s[4:5], exec, -1
; %bb.2383:
	s_or_b64 exec, exec, s[8:9]
	s_and_b64 s[4:5], s[4:5], exec
	s_or_saveexec_b64 s[6:7], s[6:7]
	v_mov_b32_e32 v6, s10
	s_xor_b64 exec, exec, s[6:7]
	s_cbranch_execz .LBB9_334
.LBB9_2384:
	v_mov_b32_e32 v6, 0
	v_cmp_ne_u16_sdwa s[8:9], v3, v6 src0_sel:BYTE_0 src1_sel:DWORD
	s_andn2_b64 s[4:5], s[4:5], exec
	s_and_b64 s[8:9], s[8:9], exec
	s_or_b64 s[4:5], s[4:5], s[8:9]
	s_or_b64 exec, exec, s[6:7]
	s_and_saveexec_b64 s[6:7], s[4:5]
	s_cbranch_execnz .LBB9_335
	s_branch .LBB9_336
.LBB9_2385:
	s_movk_i32 s4, 0x80
	v_cmp_eq_u16_e32 vcc, s4, v3
	s_mov_b64 s[4:5], -1
                                        ; implicit-def: $sgpr10
	s_and_saveexec_b64 s[8:9], vcc
; %bb.2386:
	s_mov_b32 s10, 0x7f800001
	s_xor_b64 s[4:5], exec, -1
; %bb.2387:
	s_or_b64 exec, exec, s[8:9]
	s_and_b64 s[4:5], s[4:5], exec
                                        ; implicit-def: $vgpr3
	s_or_saveexec_b64 s[6:7], s[6:7]
	v_mov_b32_e32 v2, s10
	s_xor_b64 exec, exec, s[6:7]
	s_cbranch_execz .LBB9_338
.LBB9_2388:
	v_cmp_ne_u16_e32 vcc, 0, v3
	s_andn2_b64 s[4:5], s[4:5], exec
	s_and_b64 s[8:9], vcc, exec
	v_mov_b32_e32 v2, 0
	s_or_b64 s[4:5], s[4:5], s[8:9]
	s_or_b64 exec, exec, s[6:7]
	s_and_saveexec_b64 s[6:7], s[4:5]
	s_cbranch_execnz .LBB9_339
	s_branch .LBB9_340
.LBB9_2389:
	s_movk_i32 s4, 0x80
	v_cmp_eq_u16_e32 vcc, s4, v3
	s_mov_b64 s[4:5], -1
                                        ; implicit-def: $sgpr10
	s_and_saveexec_b64 s[8:9], vcc
; %bb.2390:
	s_mov_b32 s10, 0x7f800001
	s_xor_b64 s[4:5], exec, -1
; %bb.2391:
	s_or_b64 exec, exec, s[8:9]
	s_and_b64 s[4:5], s[4:5], exec
                                        ; implicit-def: $vgpr3
	s_or_saveexec_b64 s[6:7], s[6:7]
	v_mov_b32_e32 v6, s10
	s_xor_b64 exec, exec, s[6:7]
	s_cbranch_execz .LBB9_342
.LBB9_2392:
	v_cmp_ne_u16_e32 vcc, 0, v3
	s_andn2_b64 s[4:5], s[4:5], exec
	s_and_b64 s[8:9], vcc, exec
	v_mov_b32_e32 v6, 0
	s_or_b64 s[4:5], s[4:5], s[8:9]
	s_or_b64 exec, exec, s[6:7]
	s_and_saveexec_b64 s[6:7], s[4:5]
	s_cbranch_execnz .LBB9_343
	s_branch .LBB9_344
.LBB9_2393:
	s_movk_i32 s4, 0x80
	v_cmp_eq_u16_sdwa s[12:13], v8, s4 src0_sel:BYTE_3 src1_sel:DWORD
	s_mov_b64 s[4:5], -1
                                        ; implicit-def: $sgpr10
	s_and_saveexec_b64 s[8:9], s[12:13]
; %bb.2394:
	s_mov_b32 s10, 0x7f800001
	s_xor_b64 s[4:5], exec, -1
; %bb.2395:
	s_or_b64 exec, exec, s[8:9]
	s_and_b64 s[4:5], s[4:5], exec
	s_or_saveexec_b64 s[6:7], s[6:7]
	v_mov_b32_e32 v2, s10
	s_xor_b64 exec, exec, s[6:7]
	s_cbranch_execz .LBB9_346
.LBB9_2396:
	v_mov_b32_e32 v2, 0
	v_cmp_ne_u16_sdwa s[8:9], v8, v2 src0_sel:BYTE_3 src1_sel:DWORD
	s_andn2_b64 s[4:5], s[4:5], exec
	s_and_b64 s[8:9], s[8:9], exec
	s_or_b64 s[4:5], s[4:5], s[8:9]
	s_or_b64 exec, exec, s[6:7]
	s_and_saveexec_b64 s[6:7], s[4:5]
	s_cbranch_execnz .LBB9_347
	s_branch .LBB9_348
.LBB9_2397:
	s_movk_i32 s4, 0x80
	v_cmp_eq_u16_sdwa s[12:13], v4, s4 src0_sel:BYTE_3 src1_sel:DWORD
	s_mov_b64 s[4:5], -1
                                        ; implicit-def: $sgpr10
	s_and_saveexec_b64 s[8:9], s[12:13]
; %bb.2398:
	s_mov_b32 s10, 0x7f800001
	s_xor_b64 s[4:5], exec, -1
; %bb.2399:
	s_or_b64 exec, exec, s[8:9]
	s_and_b64 s[4:5], s[4:5], exec
	s_or_saveexec_b64 s[6:7], s[6:7]
	v_mov_b32_e32 v3, s10
	s_xor_b64 exec, exec, s[6:7]
	s_cbranch_execz .LBB9_350
.LBB9_2400:
	v_mov_b32_e32 v3, 0
	v_cmp_ne_u16_sdwa s[8:9], v4, v3 src0_sel:BYTE_3 src1_sel:DWORD
	s_andn2_b64 s[4:5], s[4:5], exec
	s_and_b64 s[8:9], s[8:9], exec
	s_or_b64 s[4:5], s[4:5], s[8:9]
	s_or_b64 exec, exec, s[6:7]
	s_and_saveexec_b64 s[6:7], s[4:5]
	s_cbranch_execnz .LBB9_351
	s_branch .LBB9_352
.LBB9_2401:
	s_movk_i32 s4, 0x80
	v_cmp_eq_u16_sdwa s[12:13], v9, s4 src0_sel:BYTE_0 src1_sel:DWORD
	s_mov_b64 s[4:5], -1
                                        ; implicit-def: $sgpr10
	s_and_saveexec_b64 s[8:9], s[12:13]
; %bb.2402:
	s_mov_b32 s10, 0x7f800001
	s_xor_b64 s[4:5], exec, -1
; %bb.2403:
	s_or_b64 exec, exec, s[8:9]
	s_and_b64 s[4:5], s[4:5], exec
	s_or_saveexec_b64 s[6:7], s[6:7]
	v_mov_b32_e32 v2, s10
	s_xor_b64 exec, exec, s[6:7]
	s_cbranch_execz .LBB9_354
.LBB9_2404:
	v_mov_b32_e32 v2, 0
	v_cmp_ne_u16_sdwa s[8:9], v9, v2 src0_sel:BYTE_0 src1_sel:DWORD
	s_andn2_b64 s[4:5], s[4:5], exec
	s_and_b64 s[8:9], s[8:9], exec
	s_or_b64 s[4:5], s[4:5], s[8:9]
	s_or_b64 exec, exec, s[6:7]
	s_and_saveexec_b64 s[6:7], s[4:5]
	s_cbranch_execnz .LBB9_355
	s_branch .LBB9_356
.LBB9_2405:
	s_movk_i32 s4, 0x80
	v_cmp_eq_u16_sdwa s[12:13], v5, s4 src0_sel:BYTE_0 src1_sel:DWORD
	s_mov_b64 s[4:5], -1
                                        ; implicit-def: $sgpr10
	s_and_saveexec_b64 s[8:9], s[12:13]
; %bb.2406:
	s_mov_b32 s10, 0x7f800001
	s_xor_b64 s[4:5], exec, -1
; %bb.2407:
	s_or_b64 exec, exec, s[8:9]
	s_and_b64 s[4:5], s[4:5], exec
	s_or_saveexec_b64 s[6:7], s[6:7]
	v_mov_b32_e32 v3, s10
	s_xor_b64 exec, exec, s[6:7]
	s_cbranch_execz .LBB9_358
.LBB9_2408:
	v_mov_b32_e32 v3, 0
	v_cmp_ne_u16_sdwa s[8:9], v5, v3 src0_sel:BYTE_0 src1_sel:DWORD
	s_andn2_b64 s[4:5], s[4:5], exec
	s_and_b64 s[8:9], s[8:9], exec
	s_or_b64 s[4:5], s[4:5], s[8:9]
	s_or_b64 exec, exec, s[6:7]
	s_and_saveexec_b64 s[6:7], s[4:5]
	s_cbranch_execnz .LBB9_359
	s_branch .LBB9_360
.LBB9_2409:
	s_movk_i32 s4, 0x80
	v_cmp_eq_u16_sdwa s[12:13], v3, s4 src0_sel:BYTE_0 src1_sel:DWORD
	s_mov_b64 s[4:5], -1
                                        ; implicit-def: $sgpr10
	s_and_saveexec_b64 s[8:9], s[12:13]
; %bb.2410:
	s_mov_b32 s10, 0x7f800001
	s_xor_b64 s[4:5], exec, -1
; %bb.2411:
	s_or_b64 exec, exec, s[8:9]
	s_and_b64 s[4:5], s[4:5], exec
	s_or_saveexec_b64 s[6:7], s[6:7]
	v_mov_b32_e32 v2, s10
	s_xor_b64 exec, exec, s[6:7]
	s_cbranch_execz .LBB9_362
.LBB9_2412:
	v_mov_b32_e32 v2, 0
	v_cmp_ne_u16_sdwa s[8:9], v3, v2 src0_sel:BYTE_0 src1_sel:DWORD
	s_andn2_b64 s[4:5], s[4:5], exec
	s_and_b64 s[8:9], s[8:9], exec
	s_or_b64 s[4:5], s[4:5], s[8:9]
	s_or_b64 exec, exec, s[6:7]
	s_and_saveexec_b64 s[6:7], s[4:5]
	s_cbranch_execnz .LBB9_363
	s_branch .LBB9_364
.LBB9_2413:
	s_movk_i32 s4, 0x80
	v_cmp_eq_u16_sdwa s[12:13], v3, s4 src0_sel:BYTE_0 src1_sel:DWORD
	s_mov_b64 s[4:5], -1
                                        ; implicit-def: $sgpr10
	s_and_saveexec_b64 s[8:9], s[12:13]
; %bb.2414:
	s_mov_b32 s10, 0x7f800001
	s_xor_b64 s[4:5], exec, -1
; %bb.2415:
	s_or_b64 exec, exec, s[8:9]
	s_and_b64 s[4:5], s[4:5], exec
	s_or_saveexec_b64 s[6:7], s[6:7]
	v_mov_b32_e32 v4, s10
	s_xor_b64 exec, exec, s[6:7]
	s_cbranch_execz .LBB9_366
.LBB9_2416:
	v_mov_b32_e32 v4, 0
	v_cmp_ne_u16_sdwa s[8:9], v3, v4 src0_sel:BYTE_0 src1_sel:DWORD
	s_andn2_b64 s[4:5], s[4:5], exec
	s_and_b64 s[8:9], s[8:9], exec
	s_or_b64 s[4:5], s[4:5], s[8:9]
	s_or_b64 exec, exec, s[6:7]
	s_and_saveexec_b64 s[6:7], s[4:5]
	s_cbranch_execnz .LBB9_367
	s_branch .LBB9_368
.LBB9_2417:
	s_movk_i32 s4, 0x80
	v_cmp_eq_u16_e32 vcc, s4, v3
	s_mov_b64 s[4:5], -1
                                        ; implicit-def: $sgpr10
	s_and_saveexec_b64 s[8:9], vcc
; %bb.2418:
	s_mov_b32 s10, 0x7f800001
	s_xor_b64 s[4:5], exec, -1
; %bb.2419:
	s_or_b64 exec, exec, s[8:9]
	s_and_b64 s[4:5], s[4:5], exec
                                        ; implicit-def: $vgpr3
	s_or_saveexec_b64 s[6:7], s[6:7]
	v_mov_b32_e32 v2, s10
	s_xor_b64 exec, exec, s[6:7]
	s_cbranch_execz .LBB9_370
.LBB9_2420:
	v_cmp_ne_u16_e32 vcc, 0, v3
	s_andn2_b64 s[4:5], s[4:5], exec
	s_and_b64 s[8:9], vcc, exec
	v_mov_b32_e32 v2, 0
	s_or_b64 s[4:5], s[4:5], s[8:9]
	s_or_b64 exec, exec, s[6:7]
	s_and_saveexec_b64 s[6:7], s[4:5]
	s_cbranch_execnz .LBB9_371
	s_branch .LBB9_372
.LBB9_2421:
	s_movk_i32 s4, 0x80
	v_cmp_eq_u16_e32 vcc, s4, v3
	s_mov_b64 s[4:5], -1
                                        ; implicit-def: $sgpr10
	s_and_saveexec_b64 s[8:9], vcc
; %bb.2422:
	s_mov_b32 s10, 0x7f800001
	s_xor_b64 s[4:5], exec, -1
; %bb.2423:
	s_or_b64 exec, exec, s[8:9]
	s_and_b64 s[4:5], s[4:5], exec
                                        ; implicit-def: $vgpr3
	s_or_saveexec_b64 s[6:7], s[6:7]
	v_mov_b32_e32 v4, s10
	s_xor_b64 exec, exec, s[6:7]
	s_cbranch_execz .LBB9_374
.LBB9_2424:
	v_cmp_ne_u16_e32 vcc, 0, v3
	s_andn2_b64 s[4:5], s[4:5], exec
	s_and_b64 s[8:9], vcc, exec
	v_mov_b32_e32 v4, 0
	s_or_b64 s[4:5], s[4:5], s[8:9]
	s_or_b64 exec, exec, s[6:7]
	s_and_saveexec_b64 s[6:7], s[4:5]
	s_cbranch_execnz .LBB9_375
	s_branch .LBB9_376
.LBB9_2425:
	s_movk_i32 s4, 0x80
	v_cmp_eq_u16_sdwa s[12:13], v9, s4 src0_sel:BYTE_3 src1_sel:DWORD
	s_mov_b64 s[4:5], -1
                                        ; implicit-def: $sgpr10
	s_and_saveexec_b64 s[8:9], s[12:13]
; %bb.2426:
	s_mov_b32 s10, 0x7f800001
	s_xor_b64 s[4:5], exec, -1
; %bb.2427:
	s_or_b64 exec, exec, s[8:9]
	s_and_b64 s[4:5], s[4:5], exec
	s_or_saveexec_b64 s[6:7], s[6:7]
	v_mov_b32_e32 v2, s10
	s_xor_b64 exec, exec, s[6:7]
	s_cbranch_execz .LBB9_378
.LBB9_2428:
	v_mov_b32_e32 v2, 0
	v_cmp_ne_u16_sdwa s[8:9], v9, v2 src0_sel:BYTE_3 src1_sel:DWORD
	s_andn2_b64 s[4:5], s[4:5], exec
	s_and_b64 s[8:9], s[8:9], exec
	s_or_b64 s[4:5], s[4:5], s[8:9]
	s_or_b64 exec, exec, s[6:7]
	s_and_saveexec_b64 s[6:7], s[4:5]
	s_cbranch_execnz .LBB9_379
	s_branch .LBB9_380
.LBB9_2429:
	s_movk_i32 s4, 0x80
	v_cmp_eq_u16_sdwa s[12:13], v5, s4 src0_sel:BYTE_3 src1_sel:DWORD
	s_mov_b64 s[4:5], -1
                                        ; implicit-def: $sgpr10
	s_and_saveexec_b64 s[8:9], s[12:13]
; %bb.2430:
	s_mov_b32 s10, 0x7f800001
	s_xor_b64 s[4:5], exec, -1
; %bb.2431:
	s_or_b64 exec, exec, s[8:9]
	s_and_b64 s[4:5], s[4:5], exec
	s_or_saveexec_b64 s[6:7], s[6:7]
	v_mov_b32_e32 v3, s10
	s_xor_b64 exec, exec, s[6:7]
	s_cbranch_execz .LBB9_382
.LBB9_2432:
	v_mov_b32_e32 v3, 0
	v_cmp_ne_u16_sdwa s[8:9], v5, v3 src0_sel:BYTE_3 src1_sel:DWORD
	s_andn2_b64 s[4:5], s[4:5], exec
	s_and_b64 s[8:9], s[8:9], exec
	s_or_b64 s[4:5], s[4:5], s[8:9]
	s_or_b64 exec, exec, s[6:7]
	s_and_saveexec_b64 s[6:7], s[4:5]
	s_cbranch_execnz .LBB9_383
	s_branch .LBB9_384
.LBB9_2433:
	s_movk_i32 s4, 0x80
	v_cmp_eq_u16_sdwa s[12:13], v6, s4 src0_sel:BYTE_0 src1_sel:DWORD
	s_mov_b64 s[4:5], -1
                                        ; implicit-def: $sgpr10
	s_and_saveexec_b64 s[8:9], s[12:13]
; %bb.2434:
	s_mov_b32 s10, 0x7f800001
	s_xor_b64 s[4:5], exec, -1
; %bb.2435:
	s_or_b64 exec, exec, s[8:9]
	s_and_b64 s[4:5], s[4:5], exec
	s_or_saveexec_b64 s[6:7], s[6:7]
	v_mov_b32_e32 v12, s10
	s_xor_b64 exec, exec, s[6:7]
	s_cbranch_execz .LBB9_386
.LBB9_2436:
	v_mov_b32_e32 v12, 0
	v_cmp_ne_u16_sdwa s[8:9], v6, v12 src0_sel:BYTE_0 src1_sel:DWORD
	s_andn2_b64 s[4:5], s[4:5], exec
	s_and_b64 s[8:9], s[8:9], exec
	s_or_b64 s[4:5], s[4:5], s[8:9]
	s_or_b64 exec, exec, s[6:7]
	s_and_saveexec_b64 s[6:7], s[4:5]
	s_cbranch_execnz .LBB9_387
	s_branch .LBB9_388
.LBB9_2437:
	s_movk_i32 s4, 0x80
	v_cmp_eq_u16_sdwa s[12:13], v2, s4 src0_sel:BYTE_0 src1_sel:DWORD
	s_mov_b64 s[4:5], -1
                                        ; implicit-def: $sgpr10
	s_and_saveexec_b64 s[8:9], s[12:13]
; %bb.2438:
	s_mov_b32 s10, 0x7f800001
	s_xor_b64 s[4:5], exec, -1
; %bb.2439:
	s_or_b64 exec, exec, s[8:9]
	s_and_b64 s[4:5], s[4:5], exec
	s_or_saveexec_b64 s[6:7], s[6:7]
	v_mov_b32_e32 v13, s10
	s_xor_b64 exec, exec, s[6:7]
	s_cbranch_execz .LBB9_390
.LBB9_2440:
	v_mov_b32_e32 v13, 0
	v_cmp_ne_u16_sdwa s[8:9], v2, v13 src0_sel:BYTE_0 src1_sel:DWORD
	s_andn2_b64 s[4:5], s[4:5], exec
	s_and_b64 s[8:9], s[8:9], exec
	s_or_b64 s[4:5], s[4:5], s[8:9]
	s_or_b64 exec, exec, s[6:7]
	s_and_saveexec_b64 s[6:7], s[4:5]
	s_cbranch_execnz .LBB9_391
	s_branch .LBB9_392
.LBB9_2441:
	s_movk_i32 s4, 0x80
	v_cmp_eq_u16_sdwa s[12:13], v13, s4 src0_sel:BYTE_0 src1_sel:DWORD
	s_mov_b64 s[4:5], -1
                                        ; implicit-def: $sgpr10
	s_and_saveexec_b64 s[8:9], s[12:13]
; %bb.2442:
	s_mov_b32 s10, 0x7f800001
	s_xor_b64 s[4:5], exec, -1
; %bb.2443:
	s_or_b64 exec, exec, s[8:9]
	s_and_b64 s[4:5], s[4:5], exec
	s_or_saveexec_b64 s[6:7], s[6:7]
	v_mov_b32_e32 v12, s10
	s_xor_b64 exec, exec, s[6:7]
	s_cbranch_execz .LBB9_394
.LBB9_2444:
	v_mov_b32_e32 v12, 0
	v_cmp_ne_u16_sdwa s[8:9], v13, v12 src0_sel:BYTE_0 src1_sel:DWORD
	s_andn2_b64 s[4:5], s[4:5], exec
	s_and_b64 s[8:9], s[8:9], exec
	s_or_b64 s[4:5], s[4:5], s[8:9]
	s_or_b64 exec, exec, s[6:7]
	s_and_saveexec_b64 s[6:7], s[4:5]
	s_cbranch_execnz .LBB9_395
	s_branch .LBB9_396
.LBB9_2445:
	s_movk_i32 s4, 0x80
	v_cmp_eq_u16_sdwa s[12:13], v13, s4 src0_sel:BYTE_0 src1_sel:DWORD
	s_mov_b64 s[4:5], -1
                                        ; implicit-def: $sgpr10
	s_and_saveexec_b64 s[8:9], s[12:13]
; %bb.2446:
	s_mov_b32 s10, 0x7f800001
	s_xor_b64 s[4:5], exec, -1
; %bb.2447:
	s_or_b64 exec, exec, s[8:9]
	s_and_b64 s[4:5], s[4:5], exec
	s_or_saveexec_b64 s[6:7], s[6:7]
	v_mov_b32_e32 v14, s10
	s_xor_b64 exec, exec, s[6:7]
	s_cbranch_execz .LBB9_398
.LBB9_2448:
	v_mov_b32_e32 v14, 0
	v_cmp_ne_u16_sdwa s[8:9], v13, v14 src0_sel:BYTE_0 src1_sel:DWORD
	s_andn2_b64 s[4:5], s[4:5], exec
	s_and_b64 s[8:9], s[8:9], exec
	s_or_b64 s[4:5], s[4:5], s[8:9]
	s_or_b64 exec, exec, s[6:7]
	s_and_saveexec_b64 s[6:7], s[4:5]
	s_cbranch_execnz .LBB9_399
	s_branch .LBB9_400
.LBB9_2449:
	s_movk_i32 s4, 0x80
	v_cmp_eq_u16_e32 vcc, s4, v13
	s_mov_b64 s[4:5], -1
                                        ; implicit-def: $sgpr10
	s_and_saveexec_b64 s[8:9], vcc
; %bb.2450:
	s_mov_b32 s10, 0x7f800001
	s_xor_b64 s[4:5], exec, -1
; %bb.2451:
	s_or_b64 exec, exec, s[8:9]
	s_and_b64 s[4:5], s[4:5], exec
                                        ; implicit-def: $vgpr13
	s_or_saveexec_b64 s[6:7], s[6:7]
	v_mov_b32_e32 v12, s10
	s_xor_b64 exec, exec, s[6:7]
	s_cbranch_execz .LBB9_402
.LBB9_2452:
	v_cmp_ne_u16_e32 vcc, 0, v13
	s_andn2_b64 s[4:5], s[4:5], exec
	s_and_b64 s[8:9], vcc, exec
	v_mov_b32_e32 v12, 0
	s_or_b64 s[4:5], s[4:5], s[8:9]
	s_or_b64 exec, exec, s[6:7]
	s_and_saveexec_b64 s[6:7], s[4:5]
	s_cbranch_execnz .LBB9_403
	s_branch .LBB9_404
.LBB9_2453:
	s_movk_i32 s4, 0x80
	v_cmp_eq_u16_e32 vcc, s4, v13
	s_mov_b64 s[4:5], -1
                                        ; implicit-def: $sgpr10
	s_and_saveexec_b64 s[8:9], vcc
; %bb.2454:
	s_mov_b32 s10, 0x7f800001
	s_xor_b64 s[4:5], exec, -1
; %bb.2455:
	s_or_b64 exec, exec, s[8:9]
	s_and_b64 s[4:5], s[4:5], exec
                                        ; implicit-def: $vgpr13
	s_or_saveexec_b64 s[6:7], s[6:7]
	v_mov_b32_e32 v14, s10
	s_xor_b64 exec, exec, s[6:7]
	s_cbranch_execz .LBB9_406
.LBB9_2456:
	v_cmp_ne_u16_e32 vcc, 0, v13
	s_andn2_b64 s[4:5], s[4:5], exec
	s_and_b64 s[8:9], vcc, exec
	v_mov_b32_e32 v14, 0
	s_or_b64 s[4:5], s[4:5], s[8:9]
	s_or_b64 exec, exec, s[6:7]
	s_and_saveexec_b64 s[6:7], s[4:5]
	s_cbranch_execnz .LBB9_407
	s_branch .LBB9_408
.LBB9_2457:
	s_movk_i32 s4, 0x80
	v_cmp_eq_u16_sdwa s[12:13], v6, s4 src0_sel:BYTE_3 src1_sel:DWORD
	s_mov_b64 s[4:5], -1
                                        ; implicit-def: $sgpr10
	s_and_saveexec_b64 s[8:9], s[12:13]
; %bb.2458:
	s_mov_b32 s10, 0x7f800001
	s_xor_b64 s[4:5], exec, -1
; %bb.2459:
	s_or_b64 exec, exec, s[8:9]
	s_and_b64 s[4:5], s[4:5], exec
	s_or_saveexec_b64 s[6:7], s[6:7]
	v_mov_b32_e32 v12, s10
	s_xor_b64 exec, exec, s[6:7]
	s_cbranch_execz .LBB9_410
.LBB9_2460:
	v_mov_b32_e32 v12, 0
	v_cmp_ne_u16_sdwa s[8:9], v6, v12 src0_sel:BYTE_3 src1_sel:DWORD
	s_andn2_b64 s[4:5], s[4:5], exec
	s_and_b64 s[8:9], s[8:9], exec
	s_or_b64 s[4:5], s[4:5], s[8:9]
	s_or_b64 exec, exec, s[6:7]
	s_and_saveexec_b64 s[6:7], s[4:5]
	s_cbranch_execnz .LBB9_411
	s_branch .LBB9_412
.LBB9_2461:
	s_movk_i32 s4, 0x80
	v_cmp_eq_u16_sdwa s[12:13], v2, s4 src0_sel:BYTE_3 src1_sel:DWORD
	s_mov_b64 s[4:5], -1
                                        ; implicit-def: $sgpr10
	s_and_saveexec_b64 s[8:9], s[12:13]
; %bb.2462:
	s_mov_b32 s10, 0x7f800001
	s_xor_b64 s[4:5], exec, -1
; %bb.2463:
	s_or_b64 exec, exec, s[8:9]
	s_and_b64 s[4:5], s[4:5], exec
	s_or_saveexec_b64 s[6:7], s[6:7]
	v_mov_b32_e32 v6, s10
	s_xor_b64 exec, exec, s[6:7]
	s_cbranch_execz .LBB9_414
.LBB9_2464:
	v_mov_b32_e32 v6, 0
	v_cmp_ne_u16_sdwa s[8:9], v2, v6 src0_sel:BYTE_3 src1_sel:DWORD
	s_andn2_b64 s[4:5], s[4:5], exec
	s_and_b64 s[8:9], s[8:9], exec
	s_or_b64 s[4:5], s[4:5], s[8:9]
	s_or_b64 exec, exec, s[6:7]
	s_and_saveexec_b64 s[6:7], s[4:5]
	s_cbranch_execnz .LBB9_415
	s_branch .LBB9_416
.LBB9_2465:
	s_movk_i32 s4, 0x80
	v_cmp_eq_u16_sdwa s[12:13], v7, s4 src0_sel:BYTE_0 src1_sel:DWORD
	s_mov_b64 s[4:5], -1
                                        ; implicit-def: $sgpr10
	s_and_saveexec_b64 s[8:9], s[12:13]
; %bb.2466:
	s_mov_b32 s10, 0x7f800001
	s_xor_b64 s[4:5], exec, -1
; %bb.2467:
	s_or_b64 exec, exec, s[8:9]
	s_and_b64 s[4:5], s[4:5], exec
	s_or_saveexec_b64 s[6:7], s[6:7]
	v_mov_b32_e32 v2, s10
	s_xor_b64 exec, exec, s[6:7]
	s_cbranch_execz .LBB9_418
.LBB9_2468:
	v_mov_b32_e32 v2, 0
	v_cmp_ne_u16_sdwa s[8:9], v7, v2 src0_sel:BYTE_0 src1_sel:DWORD
	s_andn2_b64 s[4:5], s[4:5], exec
	s_and_b64 s[8:9], s[8:9], exec
	s_or_b64 s[4:5], s[4:5], s[8:9]
	s_or_b64 exec, exec, s[6:7]
	s_and_saveexec_b64 s[6:7], s[4:5]
	s_cbranch_execnz .LBB9_419
	s_branch .LBB9_420
.LBB9_2469:
	s_movk_i32 s4, 0x80
	v_cmp_eq_u16_sdwa s[12:13], v3, s4 src0_sel:BYTE_0 src1_sel:DWORD
	s_mov_b64 s[4:5], -1
                                        ; implicit-def: $sgpr10
	s_and_saveexec_b64 s[8:9], s[12:13]
; %bb.2470:
	s_mov_b32 s10, 0x7f800001
	s_xor_b64 s[4:5], exec, -1
; %bb.2471:
	s_or_b64 exec, exec, s[8:9]
	s_and_b64 s[4:5], s[4:5], exec
	s_or_saveexec_b64 s[6:7], s[6:7]
	v_mov_b32_e32 v6, s10
	s_xor_b64 exec, exec, s[6:7]
	s_cbranch_execz .LBB9_422
.LBB9_2472:
	v_mov_b32_e32 v6, 0
	v_cmp_ne_u16_sdwa s[8:9], v3, v6 src0_sel:BYTE_0 src1_sel:DWORD
	s_andn2_b64 s[4:5], s[4:5], exec
	s_and_b64 s[8:9], s[8:9], exec
	s_or_b64 s[4:5], s[4:5], s[8:9]
	s_or_b64 exec, exec, s[6:7]
	s_and_saveexec_b64 s[6:7], s[4:5]
	s_cbranch_execnz .LBB9_423
	s_branch .LBB9_424
.LBB9_2473:
	s_movk_i32 s4, 0x80
	v_cmp_eq_u16_sdwa s[12:13], v6, s4 src0_sel:BYTE_0 src1_sel:DWORD
	s_mov_b64 s[4:5], -1
                                        ; implicit-def: $sgpr10
	s_and_saveexec_b64 s[8:9], s[12:13]
; %bb.2474:
	s_mov_b32 s10, 0x7f800001
	s_xor_b64 s[4:5], exec, -1
; %bb.2475:
	s_or_b64 exec, exec, s[8:9]
	s_and_b64 s[4:5], s[4:5], exec
	s_or_saveexec_b64 s[6:7], s[6:7]
	v_mov_b32_e32 v2, s10
	s_xor_b64 exec, exec, s[6:7]
	s_cbranch_execz .LBB9_426
.LBB9_2476:
	v_mov_b32_e32 v2, 0
	v_cmp_ne_u16_sdwa s[8:9], v6, v2 src0_sel:BYTE_0 src1_sel:DWORD
	s_andn2_b64 s[4:5], s[4:5], exec
	s_and_b64 s[8:9], s[8:9], exec
	s_or_b64 s[4:5], s[4:5], s[8:9]
	s_or_b64 exec, exec, s[6:7]
	s_and_saveexec_b64 s[6:7], s[4:5]
	s_cbranch_execnz .LBB9_427
	s_branch .LBB9_428
.LBB9_2477:
	s_movk_i32 s4, 0x80
	v_cmp_eq_u16_sdwa s[12:13], v6, s4 src0_sel:BYTE_0 src1_sel:DWORD
	s_mov_b64 s[4:5], -1
                                        ; implicit-def: $sgpr10
	s_and_saveexec_b64 s[8:9], s[12:13]
; %bb.2478:
	s_mov_b32 s10, 0x7f800001
	s_xor_b64 s[4:5], exec, -1
; %bb.2479:
	s_or_b64 exec, exec, s[8:9]
	s_and_b64 s[4:5], s[4:5], exec
	s_or_saveexec_b64 s[6:7], s[6:7]
	v_mov_b32_e32 v12, s10
	s_xor_b64 exec, exec, s[6:7]
	s_cbranch_execz .LBB9_430
.LBB9_2480:
	v_mov_b32_e32 v12, 0
	v_cmp_ne_u16_sdwa s[8:9], v6, v12 src0_sel:BYTE_0 src1_sel:DWORD
	s_andn2_b64 s[4:5], s[4:5], exec
	s_and_b64 s[8:9], s[8:9], exec
	s_or_b64 s[4:5], s[4:5], s[8:9]
	s_or_b64 exec, exec, s[6:7]
	s_and_saveexec_b64 s[6:7], s[4:5]
	s_cbranch_execnz .LBB9_431
	s_branch .LBB9_432
.LBB9_2481:
	s_movk_i32 s4, 0x80
	v_cmp_eq_u16_e32 vcc, s4, v6
	s_mov_b64 s[4:5], -1
                                        ; implicit-def: $sgpr10
	s_and_saveexec_b64 s[8:9], vcc
; %bb.2482:
	s_mov_b32 s10, 0x7f800001
	s_xor_b64 s[4:5], exec, -1
; %bb.2483:
	s_or_b64 exec, exec, s[8:9]
	s_and_b64 s[4:5], s[4:5], exec
                                        ; implicit-def: $vgpr6
	s_or_saveexec_b64 s[6:7], s[6:7]
	v_mov_b32_e32 v2, s10
	s_xor_b64 exec, exec, s[6:7]
	s_cbranch_execz .LBB9_434
.LBB9_2484:
	v_cmp_ne_u16_e32 vcc, 0, v6
	s_andn2_b64 s[4:5], s[4:5], exec
	s_and_b64 s[8:9], vcc, exec
	v_mov_b32_e32 v2, 0
	s_or_b64 s[4:5], s[4:5], s[8:9]
	s_or_b64 exec, exec, s[6:7]
	s_and_saveexec_b64 s[6:7], s[4:5]
	s_cbranch_execnz .LBB9_435
	s_branch .LBB9_436
.LBB9_2485:
	s_movk_i32 s4, 0x80
	v_cmp_eq_u16_e32 vcc, s4, v6
	s_mov_b64 s[4:5], -1
                                        ; implicit-def: $sgpr10
	s_and_saveexec_b64 s[8:9], vcc
; %bb.2486:
	s_mov_b32 s10, 0x7f800001
	s_xor_b64 s[4:5], exec, -1
; %bb.2487:
	s_or_b64 exec, exec, s[8:9]
	s_and_b64 s[4:5], s[4:5], exec
                                        ; implicit-def: $vgpr6
	s_or_saveexec_b64 s[6:7], s[6:7]
	v_mov_b32_e32 v12, s10
	s_xor_b64 exec, exec, s[6:7]
	s_cbranch_execz .LBB9_438
.LBB9_2488:
	v_cmp_ne_u16_e32 vcc, 0, v6
	s_andn2_b64 s[4:5], s[4:5], exec
	s_and_b64 s[8:9], vcc, exec
	v_mov_b32_e32 v12, 0
	s_or_b64 s[4:5], s[4:5], s[8:9]
	s_or_b64 exec, exec, s[6:7]
	s_and_saveexec_b64 s[6:7], s[4:5]
	s_cbranch_execnz .LBB9_439
	s_branch .LBB9_440
.LBB9_2489:
	s_movk_i32 s4, 0x80
	v_cmp_eq_u16_sdwa s[12:13], v7, s4 src0_sel:BYTE_3 src1_sel:DWORD
	s_mov_b64 s[4:5], -1
                                        ; implicit-def: $sgpr10
	s_and_saveexec_b64 s[8:9], s[12:13]
; %bb.2490:
	s_mov_b32 s10, 0x7f800001
	s_xor_b64 s[4:5], exec, -1
; %bb.2491:
	s_or_b64 exec, exec, s[8:9]
	s_and_b64 s[4:5], s[4:5], exec
	s_or_saveexec_b64 s[6:7], s[6:7]
	v_mov_b32_e32 v2, s10
	s_xor_b64 exec, exec, s[6:7]
	s_cbranch_execz .LBB9_442
.LBB9_2492:
	v_mov_b32_e32 v2, 0
	v_cmp_ne_u16_sdwa s[8:9], v7, v2 src0_sel:BYTE_3 src1_sel:DWORD
	s_andn2_b64 s[4:5], s[4:5], exec
	s_and_b64 s[8:9], s[8:9], exec
	s_or_b64 s[4:5], s[4:5], s[8:9]
	s_or_b64 exec, exec, s[6:7]
	s_and_saveexec_b64 s[6:7], s[4:5]
	s_cbranch_execnz .LBB9_443
	s_branch .LBB9_444
.LBB9_2493:
	s_movk_i32 s4, 0x80
	v_cmp_eq_u16_sdwa s[12:13], v3, s4 src0_sel:BYTE_3 src1_sel:DWORD
	s_mov_b64 s[4:5], -1
                                        ; implicit-def: $sgpr10
	s_and_saveexec_b64 s[8:9], s[12:13]
; %bb.2494:
	s_mov_b32 s10, 0x7f800001
	s_xor_b64 s[4:5], exec, -1
; %bb.2495:
	s_or_b64 exec, exec, s[8:9]
	s_and_b64 s[4:5], s[4:5], exec
	s_or_saveexec_b64 s[6:7], s[6:7]
	v_mov_b32_e32 v6, s10
	s_xor_b64 exec, exec, s[6:7]
	s_cbranch_execz .LBB9_446
.LBB9_2496:
	v_mov_b32_e32 v6, 0
	v_cmp_ne_u16_sdwa s[8:9], v3, v6 src0_sel:BYTE_3 src1_sel:DWORD
	s_andn2_b64 s[4:5], s[4:5], exec
	s_and_b64 s[8:9], s[8:9], exec
	s_or_b64 s[4:5], s[4:5], s[8:9]
	s_or_b64 exec, exec, s[6:7]
	s_and_saveexec_b64 s[6:7], s[4:5]
	s_cbranch_execnz .LBB9_447
	s_branch .LBB9_448
.LBB9_2497:
	s_movk_i32 s4, 0x80
	v_cmp_eq_u16_sdwa s[12:13], v8, s4 src0_sel:BYTE_0 src1_sel:DWORD
	s_mov_b64 s[4:5], -1
                                        ; implicit-def: $sgpr10
	s_and_saveexec_b64 s[8:9], s[12:13]
; %bb.2498:
	s_mov_b32 s10, 0x7f800001
	s_xor_b64 s[4:5], exec, -1
; %bb.2499:
	s_or_b64 exec, exec, s[8:9]
	s_and_b64 s[4:5], s[4:5], exec
	s_or_saveexec_b64 s[6:7], s[6:7]
	v_mov_b32_e32 v2, s10
	s_xor_b64 exec, exec, s[6:7]
	s_cbranch_execz .LBB9_450
.LBB9_2500:
	v_mov_b32_e32 v2, 0
	v_cmp_ne_u16_sdwa s[8:9], v8, v2 src0_sel:BYTE_0 src1_sel:DWORD
	s_andn2_b64 s[4:5], s[4:5], exec
	s_and_b64 s[8:9], s[8:9], exec
	s_or_b64 s[4:5], s[4:5], s[8:9]
	s_or_b64 exec, exec, s[6:7]
	s_and_saveexec_b64 s[6:7], s[4:5]
	s_cbranch_execnz .LBB9_451
	s_branch .LBB9_452
.LBB9_2501:
	s_movk_i32 s4, 0x80
	v_cmp_eq_u16_sdwa s[12:13], v4, s4 src0_sel:BYTE_0 src1_sel:DWORD
	s_mov_b64 s[4:5], -1
                                        ; implicit-def: $sgpr10
	s_and_saveexec_b64 s[8:9], s[12:13]
; %bb.2502:
	s_mov_b32 s10, 0x7f800001
	s_xor_b64 s[4:5], exec, -1
; %bb.2503:
	s_or_b64 exec, exec, s[8:9]
	s_and_b64 s[4:5], s[4:5], exec
	s_or_saveexec_b64 s[6:7], s[6:7]
	v_mov_b32_e32 v3, s10
	s_xor_b64 exec, exec, s[6:7]
	s_cbranch_execz .LBB9_454
.LBB9_2504:
	v_mov_b32_e32 v3, 0
	v_cmp_ne_u16_sdwa s[8:9], v4, v3 src0_sel:BYTE_0 src1_sel:DWORD
	s_andn2_b64 s[4:5], s[4:5], exec
	s_and_b64 s[8:9], s[8:9], exec
	s_or_b64 s[4:5], s[4:5], s[8:9]
	s_or_b64 exec, exec, s[6:7]
	s_and_saveexec_b64 s[6:7], s[4:5]
	s_cbranch_execnz .LBB9_455
	s_branch .LBB9_456
.LBB9_2505:
	s_movk_i32 s4, 0x80
	v_cmp_eq_u16_sdwa s[12:13], v3, s4 src0_sel:BYTE_0 src1_sel:DWORD
	s_mov_b64 s[4:5], -1
                                        ; implicit-def: $sgpr10
	s_and_saveexec_b64 s[8:9], s[12:13]
; %bb.2506:
	s_mov_b32 s10, 0x7f800001
	s_xor_b64 s[4:5], exec, -1
; %bb.2507:
	s_or_b64 exec, exec, s[8:9]
	s_and_b64 s[4:5], s[4:5], exec
	s_or_saveexec_b64 s[6:7], s[6:7]
	v_mov_b32_e32 v2, s10
	s_xor_b64 exec, exec, s[6:7]
	s_cbranch_execz .LBB9_458
.LBB9_2508:
	v_mov_b32_e32 v2, 0
	v_cmp_ne_u16_sdwa s[8:9], v3, v2 src0_sel:BYTE_0 src1_sel:DWORD
	s_andn2_b64 s[4:5], s[4:5], exec
	s_and_b64 s[8:9], s[8:9], exec
	s_or_b64 s[4:5], s[4:5], s[8:9]
	s_or_b64 exec, exec, s[6:7]
	s_and_saveexec_b64 s[6:7], s[4:5]
	s_cbranch_execnz .LBB9_459
	s_branch .LBB9_460
.LBB9_2509:
	s_movk_i32 s4, 0x80
	v_cmp_eq_u16_sdwa s[12:13], v3, s4 src0_sel:BYTE_0 src1_sel:DWORD
	s_mov_b64 s[4:5], -1
                                        ; implicit-def: $sgpr10
	s_and_saveexec_b64 s[8:9], s[12:13]
; %bb.2510:
	s_mov_b32 s10, 0x7f800001
	s_xor_b64 s[4:5], exec, -1
; %bb.2511:
	s_or_b64 exec, exec, s[8:9]
	s_and_b64 s[4:5], s[4:5], exec
	s_or_saveexec_b64 s[6:7], s[6:7]
	v_mov_b32_e32 v6, s10
	s_xor_b64 exec, exec, s[6:7]
	s_cbranch_execz .LBB9_462
.LBB9_2512:
	v_mov_b32_e32 v6, 0
	v_cmp_ne_u16_sdwa s[8:9], v3, v6 src0_sel:BYTE_0 src1_sel:DWORD
	s_andn2_b64 s[4:5], s[4:5], exec
	s_and_b64 s[8:9], s[8:9], exec
	s_or_b64 s[4:5], s[4:5], s[8:9]
	s_or_b64 exec, exec, s[6:7]
	s_and_saveexec_b64 s[6:7], s[4:5]
	s_cbranch_execnz .LBB9_463
	s_branch .LBB9_464
.LBB9_2513:
	s_movk_i32 s4, 0x80
	v_cmp_eq_u16_e32 vcc, s4, v3
	s_mov_b64 s[4:5], -1
                                        ; implicit-def: $sgpr10
	s_and_saveexec_b64 s[8:9], vcc
; %bb.2514:
	s_mov_b32 s10, 0x7f800001
	s_xor_b64 s[4:5], exec, -1
; %bb.2515:
	s_or_b64 exec, exec, s[8:9]
	s_and_b64 s[4:5], s[4:5], exec
                                        ; implicit-def: $vgpr3
	s_or_saveexec_b64 s[6:7], s[6:7]
	v_mov_b32_e32 v2, s10
	s_xor_b64 exec, exec, s[6:7]
	s_cbranch_execz .LBB9_466
.LBB9_2516:
	v_cmp_ne_u16_e32 vcc, 0, v3
	s_andn2_b64 s[4:5], s[4:5], exec
	s_and_b64 s[8:9], vcc, exec
	v_mov_b32_e32 v2, 0
	s_or_b64 s[4:5], s[4:5], s[8:9]
	s_or_b64 exec, exec, s[6:7]
	s_and_saveexec_b64 s[6:7], s[4:5]
	s_cbranch_execnz .LBB9_467
	s_branch .LBB9_468
.LBB9_2517:
	s_movk_i32 s4, 0x80
	v_cmp_eq_u16_e32 vcc, s4, v3
	s_mov_b64 s[4:5], -1
                                        ; implicit-def: $sgpr10
	s_and_saveexec_b64 s[8:9], vcc
; %bb.2518:
	s_mov_b32 s10, 0x7f800001
	s_xor_b64 s[4:5], exec, -1
; %bb.2519:
	s_or_b64 exec, exec, s[8:9]
	s_and_b64 s[4:5], s[4:5], exec
                                        ; implicit-def: $vgpr3
	s_or_saveexec_b64 s[6:7], s[6:7]
	v_mov_b32_e32 v6, s10
	s_xor_b64 exec, exec, s[6:7]
	s_cbranch_execz .LBB9_470
.LBB9_2520:
	v_cmp_ne_u16_e32 vcc, 0, v3
	s_andn2_b64 s[4:5], s[4:5], exec
	s_and_b64 s[8:9], vcc, exec
	v_mov_b32_e32 v6, 0
	s_or_b64 s[4:5], s[4:5], s[8:9]
	s_or_b64 exec, exec, s[6:7]
	s_and_saveexec_b64 s[6:7], s[4:5]
	s_cbranch_execnz .LBB9_471
	s_branch .LBB9_472
.LBB9_2521:
	s_movk_i32 s4, 0x80
	v_cmp_eq_u16_sdwa s[12:13], v8, s4 src0_sel:BYTE_3 src1_sel:DWORD
	s_mov_b64 s[4:5], -1
                                        ; implicit-def: $sgpr10
	s_and_saveexec_b64 s[8:9], s[12:13]
; %bb.2522:
	s_mov_b32 s10, 0x7f800001
	s_xor_b64 s[4:5], exec, -1
; %bb.2523:
	s_or_b64 exec, exec, s[8:9]
	s_and_b64 s[4:5], s[4:5], exec
	s_or_saveexec_b64 s[6:7], s[6:7]
	v_mov_b32_e32 v2, s10
	s_xor_b64 exec, exec, s[6:7]
	s_cbranch_execz .LBB9_474
.LBB9_2524:
	v_mov_b32_e32 v2, 0
	v_cmp_ne_u16_sdwa s[8:9], v8, v2 src0_sel:BYTE_3 src1_sel:DWORD
	s_andn2_b64 s[4:5], s[4:5], exec
	s_and_b64 s[8:9], s[8:9], exec
	s_or_b64 s[4:5], s[4:5], s[8:9]
	s_or_b64 exec, exec, s[6:7]
	s_and_saveexec_b64 s[6:7], s[4:5]
	s_cbranch_execnz .LBB9_475
	s_branch .LBB9_476
.LBB9_2525:
	s_movk_i32 s4, 0x80
	v_cmp_eq_u16_sdwa s[12:13], v4, s4 src0_sel:BYTE_3 src1_sel:DWORD
	s_mov_b64 s[4:5], -1
                                        ; implicit-def: $sgpr10
	s_and_saveexec_b64 s[8:9], s[12:13]
; %bb.2526:
	s_mov_b32 s10, 0x7f800001
	s_xor_b64 s[4:5], exec, -1
; %bb.2527:
	s_or_b64 exec, exec, s[8:9]
	s_and_b64 s[4:5], s[4:5], exec
	s_or_saveexec_b64 s[6:7], s[6:7]
	v_mov_b32_e32 v3, s10
	s_xor_b64 exec, exec, s[6:7]
	s_cbranch_execz .LBB9_478
.LBB9_2528:
	v_mov_b32_e32 v3, 0
	v_cmp_ne_u16_sdwa s[8:9], v4, v3 src0_sel:BYTE_3 src1_sel:DWORD
	s_andn2_b64 s[4:5], s[4:5], exec
	s_and_b64 s[8:9], s[8:9], exec
	s_or_b64 s[4:5], s[4:5], s[8:9]
	s_or_b64 exec, exec, s[6:7]
	s_and_saveexec_b64 s[6:7], s[4:5]
	s_cbranch_execnz .LBB9_479
	s_branch .LBB9_480
.LBB9_2529:
	s_movk_i32 s4, 0x80
	v_cmp_eq_u16_sdwa s[12:13], v9, s4 src0_sel:BYTE_0 src1_sel:DWORD
	s_mov_b64 s[4:5], -1
                                        ; implicit-def: $sgpr10
	s_and_saveexec_b64 s[8:9], s[12:13]
; %bb.2530:
	s_mov_b32 s10, 0x7f800001
	s_xor_b64 s[4:5], exec, -1
; %bb.2531:
	s_or_b64 exec, exec, s[8:9]
	s_and_b64 s[4:5], s[4:5], exec
	s_or_saveexec_b64 s[6:7], s[6:7]
	v_mov_b32_e32 v2, s10
	s_xor_b64 exec, exec, s[6:7]
	s_cbranch_execz .LBB9_482
.LBB9_2532:
	v_mov_b32_e32 v2, 0
	v_cmp_ne_u16_sdwa s[8:9], v9, v2 src0_sel:BYTE_0 src1_sel:DWORD
	s_andn2_b64 s[4:5], s[4:5], exec
	s_and_b64 s[8:9], s[8:9], exec
	s_or_b64 s[4:5], s[4:5], s[8:9]
	s_or_b64 exec, exec, s[6:7]
	s_and_saveexec_b64 s[6:7], s[4:5]
	s_cbranch_execnz .LBB9_483
	s_branch .LBB9_484
.LBB9_2533:
	s_movk_i32 s4, 0x80
	v_cmp_eq_u16_sdwa s[12:13], v5, s4 src0_sel:BYTE_0 src1_sel:DWORD
	s_mov_b64 s[4:5], -1
                                        ; implicit-def: $sgpr10
	s_and_saveexec_b64 s[8:9], s[12:13]
; %bb.2534:
	s_mov_b32 s10, 0x7f800001
	s_xor_b64 s[4:5], exec, -1
; %bb.2535:
	s_or_b64 exec, exec, s[8:9]
	s_and_b64 s[4:5], s[4:5], exec
	s_or_saveexec_b64 s[6:7], s[6:7]
	v_mov_b32_e32 v3, s10
	s_xor_b64 exec, exec, s[6:7]
	s_cbranch_execz .LBB9_486
.LBB9_2536:
	v_mov_b32_e32 v3, 0
	v_cmp_ne_u16_sdwa s[8:9], v5, v3 src0_sel:BYTE_0 src1_sel:DWORD
	s_andn2_b64 s[4:5], s[4:5], exec
	s_and_b64 s[8:9], s[8:9], exec
	s_or_b64 s[4:5], s[4:5], s[8:9]
	s_or_b64 exec, exec, s[6:7]
	s_and_saveexec_b64 s[6:7], s[4:5]
	s_cbranch_execnz .LBB9_487
	s_branch .LBB9_488
.LBB9_2537:
	s_movk_i32 s4, 0x80
	v_cmp_eq_u16_sdwa s[12:13], v3, s4 src0_sel:BYTE_0 src1_sel:DWORD
	s_mov_b64 s[4:5], -1
                                        ; implicit-def: $sgpr10
	s_and_saveexec_b64 s[8:9], s[12:13]
; %bb.2538:
	s_mov_b32 s10, 0x7f800001
	s_xor_b64 s[4:5], exec, -1
; %bb.2539:
	s_or_b64 exec, exec, s[8:9]
	s_and_b64 s[4:5], s[4:5], exec
	s_or_saveexec_b64 s[6:7], s[6:7]
	v_mov_b32_e32 v2, s10
	s_xor_b64 exec, exec, s[6:7]
	s_cbranch_execz .LBB9_490
.LBB9_2540:
	v_mov_b32_e32 v2, 0
	v_cmp_ne_u16_sdwa s[8:9], v3, v2 src0_sel:BYTE_0 src1_sel:DWORD
	s_andn2_b64 s[4:5], s[4:5], exec
	s_and_b64 s[8:9], s[8:9], exec
	s_or_b64 s[4:5], s[4:5], s[8:9]
	s_or_b64 exec, exec, s[6:7]
	s_and_saveexec_b64 s[6:7], s[4:5]
	s_cbranch_execnz .LBB9_491
	s_branch .LBB9_492
.LBB9_2541:
	s_movk_i32 s4, 0x80
	v_cmp_eq_u16_sdwa s[12:13], v3, s4 src0_sel:BYTE_0 src1_sel:DWORD
	s_mov_b64 s[4:5], -1
                                        ; implicit-def: $sgpr10
	s_and_saveexec_b64 s[8:9], s[12:13]
; %bb.2542:
	s_mov_b32 s10, 0x7f800001
	s_xor_b64 s[4:5], exec, -1
; %bb.2543:
	s_or_b64 exec, exec, s[8:9]
	s_and_b64 s[4:5], s[4:5], exec
	s_or_saveexec_b64 s[6:7], s[6:7]
	v_mov_b32_e32 v4, s10
	s_xor_b64 exec, exec, s[6:7]
	s_cbranch_execz .LBB9_494
.LBB9_2544:
	v_mov_b32_e32 v4, 0
	v_cmp_ne_u16_sdwa s[8:9], v3, v4 src0_sel:BYTE_0 src1_sel:DWORD
	s_andn2_b64 s[4:5], s[4:5], exec
	s_and_b64 s[8:9], s[8:9], exec
	s_or_b64 s[4:5], s[4:5], s[8:9]
	s_or_b64 exec, exec, s[6:7]
	s_and_saveexec_b64 s[6:7], s[4:5]
	s_cbranch_execnz .LBB9_495
	s_branch .LBB9_496
.LBB9_2545:
	s_movk_i32 s4, 0x80
	v_cmp_eq_u16_e32 vcc, s4, v3
	s_mov_b64 s[4:5], -1
                                        ; implicit-def: $sgpr10
	s_and_saveexec_b64 s[8:9], vcc
; %bb.2546:
	s_mov_b32 s10, 0x7f800001
	s_xor_b64 s[4:5], exec, -1
; %bb.2547:
	s_or_b64 exec, exec, s[8:9]
	s_and_b64 s[4:5], s[4:5], exec
                                        ; implicit-def: $vgpr3
	s_or_saveexec_b64 s[6:7], s[6:7]
	v_mov_b32_e32 v2, s10
	s_xor_b64 exec, exec, s[6:7]
	s_cbranch_execz .LBB9_498
.LBB9_2548:
	v_cmp_ne_u16_e32 vcc, 0, v3
	s_andn2_b64 s[4:5], s[4:5], exec
	s_and_b64 s[8:9], vcc, exec
	v_mov_b32_e32 v2, 0
	s_or_b64 s[4:5], s[4:5], s[8:9]
	s_or_b64 exec, exec, s[6:7]
	s_and_saveexec_b64 s[6:7], s[4:5]
	s_cbranch_execnz .LBB9_499
	s_branch .LBB9_500
.LBB9_2549:
	s_movk_i32 s4, 0x80
	v_cmp_eq_u16_e32 vcc, s4, v3
	s_mov_b64 s[4:5], -1
                                        ; implicit-def: $sgpr10
	s_and_saveexec_b64 s[8:9], vcc
; %bb.2550:
	s_mov_b32 s10, 0x7f800001
	s_xor_b64 s[4:5], exec, -1
; %bb.2551:
	s_or_b64 exec, exec, s[8:9]
	s_and_b64 s[4:5], s[4:5], exec
                                        ; implicit-def: $vgpr3
	s_or_saveexec_b64 s[6:7], s[6:7]
	v_mov_b32_e32 v4, s10
	s_xor_b64 exec, exec, s[6:7]
	s_cbranch_execz .LBB9_502
.LBB9_2552:
	v_cmp_ne_u16_e32 vcc, 0, v3
	s_andn2_b64 s[4:5], s[4:5], exec
	s_and_b64 s[8:9], vcc, exec
	v_mov_b32_e32 v4, 0
	s_or_b64 s[4:5], s[4:5], s[8:9]
	s_or_b64 exec, exec, s[6:7]
	s_and_saveexec_b64 s[6:7], s[4:5]
	s_cbranch_execnz .LBB9_503
	s_branch .LBB9_504
.LBB9_2553:
	s_movk_i32 s4, 0x80
	v_cmp_eq_u16_sdwa s[12:13], v9, s4 src0_sel:BYTE_3 src1_sel:DWORD
	s_mov_b64 s[4:5], -1
                                        ; implicit-def: $sgpr10
	s_and_saveexec_b64 s[8:9], s[12:13]
; %bb.2554:
	s_mov_b32 s10, 0x7f800001
	s_xor_b64 s[4:5], exec, -1
; %bb.2555:
	s_or_b64 exec, exec, s[8:9]
	s_and_b64 s[4:5], s[4:5], exec
	s_or_saveexec_b64 s[6:7], s[6:7]
	v_mov_b32_e32 v2, s10
	s_xor_b64 exec, exec, s[6:7]
	s_cbranch_execz .LBB9_506
.LBB9_2556:
	v_mov_b32_e32 v2, 0
	v_cmp_ne_u16_sdwa s[8:9], v9, v2 src0_sel:BYTE_3 src1_sel:DWORD
	s_andn2_b64 s[4:5], s[4:5], exec
	s_and_b64 s[8:9], s[8:9], exec
	s_or_b64 s[4:5], s[4:5], s[8:9]
	s_or_b64 exec, exec, s[6:7]
	s_and_saveexec_b64 s[6:7], s[4:5]
	s_cbranch_execnz .LBB9_507
	s_branch .LBB9_508
.LBB9_2557:
	s_movk_i32 s4, 0x80
	v_cmp_eq_u16_sdwa s[12:13], v5, s4 src0_sel:BYTE_3 src1_sel:DWORD
	s_mov_b64 s[4:5], -1
                                        ; implicit-def: $sgpr10
	s_and_saveexec_b64 s[8:9], s[12:13]
; %bb.2558:
	s_mov_b32 s10, 0x7f800001
	s_xor_b64 s[4:5], exec, -1
; %bb.2559:
	s_or_b64 exec, exec, s[8:9]
	s_and_b64 s[4:5], s[4:5], exec
	s_or_saveexec_b64 s[6:7], s[6:7]
	v_mov_b32_e32 v3, s10
	s_xor_b64 exec, exec, s[6:7]
	s_cbranch_execz .LBB9_510
.LBB9_2560:
	v_mov_b32_e32 v3, 0
	v_cmp_ne_u16_sdwa s[8:9], v5, v3 src0_sel:BYTE_3 src1_sel:DWORD
	s_andn2_b64 s[4:5], s[4:5], exec
	s_and_b64 s[8:9], s[8:9], exec
	s_or_b64 s[4:5], s[4:5], s[8:9]
	s_or_b64 exec, exec, s[6:7]
	s_and_saveexec_b64 s[6:7], s[4:5]
	s_cbranch_execnz .LBB9_511
	s_branch .LBB9_512
.LBB9_2561:
	s_movk_i32 s4, 0x80
	v_cmp_eq_u16_sdwa s[12:13], v6, s4 src0_sel:BYTE_0 src1_sel:DWORD
	s_mov_b64 s[4:5], -1
                                        ; implicit-def: $sgpr10
	s_and_saveexec_b64 s[8:9], s[12:13]
; %bb.2562:
	s_mov_b32 s10, 0x7f800001
	s_xor_b64 s[4:5], exec, -1
; %bb.2563:
	s_or_b64 exec, exec, s[8:9]
	s_and_b64 s[4:5], s[4:5], exec
	s_or_saveexec_b64 s[6:7], s[6:7]
	v_mov_b32_e32 v12, s10
	s_xor_b64 exec, exec, s[6:7]
	s_cbranch_execz .LBB9_514
.LBB9_2564:
	v_mov_b32_e32 v12, 0
	v_cmp_ne_u16_sdwa s[8:9], v6, v12 src0_sel:BYTE_0 src1_sel:DWORD
	s_andn2_b64 s[4:5], s[4:5], exec
	s_and_b64 s[8:9], s[8:9], exec
	s_or_b64 s[4:5], s[4:5], s[8:9]
	s_or_b64 exec, exec, s[6:7]
	s_and_saveexec_b64 s[6:7], s[4:5]
	s_cbranch_execnz .LBB9_515
	s_branch .LBB9_516
.LBB9_2565:
	s_movk_i32 s4, 0x80
	v_cmp_eq_u16_sdwa s[12:13], v2, s4 src0_sel:BYTE_0 src1_sel:DWORD
	s_mov_b64 s[4:5], -1
                                        ; implicit-def: $sgpr10
	s_and_saveexec_b64 s[8:9], s[12:13]
; %bb.2566:
	s_mov_b32 s10, 0x7f800001
	s_xor_b64 s[4:5], exec, -1
; %bb.2567:
	s_or_b64 exec, exec, s[8:9]
	s_and_b64 s[4:5], s[4:5], exec
	s_or_saveexec_b64 s[6:7], s[6:7]
	v_mov_b32_e32 v13, s10
	s_xor_b64 exec, exec, s[6:7]
	s_cbranch_execz .LBB9_518
.LBB9_2568:
	v_mov_b32_e32 v13, 0
	v_cmp_ne_u16_sdwa s[8:9], v2, v13 src0_sel:BYTE_0 src1_sel:DWORD
	s_andn2_b64 s[4:5], s[4:5], exec
	s_and_b64 s[8:9], s[8:9], exec
	s_or_b64 s[4:5], s[4:5], s[8:9]
	s_or_b64 exec, exec, s[6:7]
	s_and_saveexec_b64 s[6:7], s[4:5]
	s_cbranch_execnz .LBB9_519
	s_branch .LBB9_520
.LBB9_2569:
	s_movk_i32 s4, 0x80
	v_cmp_eq_u16_sdwa s[12:13], v13, s4 src0_sel:BYTE_0 src1_sel:DWORD
	s_mov_b64 s[4:5], -1
                                        ; implicit-def: $sgpr10
	s_and_saveexec_b64 s[8:9], s[12:13]
; %bb.2570:
	s_mov_b32 s10, 0x7f800001
	s_xor_b64 s[4:5], exec, -1
; %bb.2571:
	s_or_b64 exec, exec, s[8:9]
	s_and_b64 s[4:5], s[4:5], exec
	s_or_saveexec_b64 s[6:7], s[6:7]
	v_mov_b32_e32 v12, s10
	s_xor_b64 exec, exec, s[6:7]
	s_cbranch_execz .LBB9_522
.LBB9_2572:
	v_mov_b32_e32 v12, 0
	v_cmp_ne_u16_sdwa s[8:9], v13, v12 src0_sel:BYTE_0 src1_sel:DWORD
	s_andn2_b64 s[4:5], s[4:5], exec
	s_and_b64 s[8:9], s[8:9], exec
	s_or_b64 s[4:5], s[4:5], s[8:9]
	s_or_b64 exec, exec, s[6:7]
	s_and_saveexec_b64 s[6:7], s[4:5]
	s_cbranch_execnz .LBB9_523
	s_branch .LBB9_524
.LBB9_2573:
	s_movk_i32 s4, 0x80
	v_cmp_eq_u16_sdwa s[12:13], v13, s4 src0_sel:BYTE_0 src1_sel:DWORD
	s_mov_b64 s[4:5], -1
                                        ; implicit-def: $sgpr10
	s_and_saveexec_b64 s[8:9], s[12:13]
; %bb.2574:
	s_mov_b32 s10, 0x7f800001
	s_xor_b64 s[4:5], exec, -1
; %bb.2575:
	s_or_b64 exec, exec, s[8:9]
	s_and_b64 s[4:5], s[4:5], exec
	s_or_saveexec_b64 s[6:7], s[6:7]
	v_mov_b32_e32 v14, s10
	s_xor_b64 exec, exec, s[6:7]
	s_cbranch_execz .LBB9_526
.LBB9_2576:
	v_mov_b32_e32 v14, 0
	v_cmp_ne_u16_sdwa s[8:9], v13, v14 src0_sel:BYTE_0 src1_sel:DWORD
	s_andn2_b64 s[4:5], s[4:5], exec
	s_and_b64 s[8:9], s[8:9], exec
	s_or_b64 s[4:5], s[4:5], s[8:9]
	s_or_b64 exec, exec, s[6:7]
	s_and_saveexec_b64 s[6:7], s[4:5]
	s_cbranch_execnz .LBB9_527
	s_branch .LBB9_528
.LBB9_2577:
	s_movk_i32 s4, 0x80
	v_cmp_eq_u16_e32 vcc, s4, v13
	s_mov_b64 s[4:5], -1
                                        ; implicit-def: $sgpr10
	s_and_saveexec_b64 s[8:9], vcc
; %bb.2578:
	s_mov_b32 s10, 0x7f800001
	s_xor_b64 s[4:5], exec, -1
; %bb.2579:
	s_or_b64 exec, exec, s[8:9]
	s_and_b64 s[4:5], s[4:5], exec
                                        ; implicit-def: $vgpr13
	s_or_saveexec_b64 s[6:7], s[6:7]
	v_mov_b32_e32 v12, s10
	s_xor_b64 exec, exec, s[6:7]
	s_cbranch_execz .LBB9_530
.LBB9_2580:
	v_cmp_ne_u16_e32 vcc, 0, v13
	s_andn2_b64 s[4:5], s[4:5], exec
	s_and_b64 s[8:9], vcc, exec
	v_mov_b32_e32 v12, 0
	s_or_b64 s[4:5], s[4:5], s[8:9]
	s_or_b64 exec, exec, s[6:7]
	s_and_saveexec_b64 s[6:7], s[4:5]
	s_cbranch_execnz .LBB9_531
	s_branch .LBB9_532
.LBB9_2581:
	s_movk_i32 s4, 0x80
	v_cmp_eq_u16_e32 vcc, s4, v13
	s_mov_b64 s[4:5], -1
                                        ; implicit-def: $sgpr10
	s_and_saveexec_b64 s[8:9], vcc
; %bb.2582:
	s_mov_b32 s10, 0x7f800001
	s_xor_b64 s[4:5], exec, -1
; %bb.2583:
	s_or_b64 exec, exec, s[8:9]
	s_and_b64 s[4:5], s[4:5], exec
                                        ; implicit-def: $vgpr13
	s_or_saveexec_b64 s[6:7], s[6:7]
	v_mov_b32_e32 v14, s10
	s_xor_b64 exec, exec, s[6:7]
	s_cbranch_execz .LBB9_534
.LBB9_2584:
	v_cmp_ne_u16_e32 vcc, 0, v13
	s_andn2_b64 s[4:5], s[4:5], exec
	s_and_b64 s[8:9], vcc, exec
	v_mov_b32_e32 v14, 0
	s_or_b64 s[4:5], s[4:5], s[8:9]
	s_or_b64 exec, exec, s[6:7]
	s_and_saveexec_b64 s[6:7], s[4:5]
	s_cbranch_execnz .LBB9_535
	s_branch .LBB9_536
.LBB9_2585:
	s_movk_i32 s4, 0x80
	v_cmp_eq_u16_sdwa s[12:13], v6, s4 src0_sel:BYTE_3 src1_sel:DWORD
	s_mov_b64 s[4:5], -1
                                        ; implicit-def: $sgpr10
	s_and_saveexec_b64 s[8:9], s[12:13]
; %bb.2586:
	s_mov_b32 s10, 0x7f800001
	s_xor_b64 s[4:5], exec, -1
; %bb.2587:
	s_or_b64 exec, exec, s[8:9]
	s_and_b64 s[4:5], s[4:5], exec
	s_or_saveexec_b64 s[6:7], s[6:7]
	v_mov_b32_e32 v12, s10
	s_xor_b64 exec, exec, s[6:7]
	s_cbranch_execz .LBB9_538
.LBB9_2588:
	v_mov_b32_e32 v12, 0
	v_cmp_ne_u16_sdwa s[8:9], v6, v12 src0_sel:BYTE_3 src1_sel:DWORD
	s_andn2_b64 s[4:5], s[4:5], exec
	s_and_b64 s[8:9], s[8:9], exec
	s_or_b64 s[4:5], s[4:5], s[8:9]
	s_or_b64 exec, exec, s[6:7]
	s_and_saveexec_b64 s[6:7], s[4:5]
	s_cbranch_execnz .LBB9_539
	s_branch .LBB9_540
.LBB9_2589:
	s_movk_i32 s4, 0x80
	v_cmp_eq_u16_sdwa s[12:13], v2, s4 src0_sel:BYTE_3 src1_sel:DWORD
	s_mov_b64 s[4:5], -1
                                        ; implicit-def: $sgpr10
	s_and_saveexec_b64 s[8:9], s[12:13]
; %bb.2590:
	s_mov_b32 s10, 0x7f800001
	s_xor_b64 s[4:5], exec, -1
; %bb.2591:
	s_or_b64 exec, exec, s[8:9]
	s_and_b64 s[4:5], s[4:5], exec
	s_or_saveexec_b64 s[6:7], s[6:7]
	v_mov_b32_e32 v6, s10
	s_xor_b64 exec, exec, s[6:7]
	s_cbranch_execz .LBB9_542
.LBB9_2592:
	v_mov_b32_e32 v6, 0
	v_cmp_ne_u16_sdwa s[8:9], v2, v6 src0_sel:BYTE_3 src1_sel:DWORD
	s_andn2_b64 s[4:5], s[4:5], exec
	s_and_b64 s[8:9], s[8:9], exec
	s_or_b64 s[4:5], s[4:5], s[8:9]
	s_or_b64 exec, exec, s[6:7]
	s_and_saveexec_b64 s[6:7], s[4:5]
	s_cbranch_execnz .LBB9_543
	s_branch .LBB9_544
.LBB9_2593:
	s_movk_i32 s4, 0x80
	v_cmp_eq_u16_sdwa s[12:13], v7, s4 src0_sel:BYTE_0 src1_sel:DWORD
	s_mov_b64 s[4:5], -1
                                        ; implicit-def: $sgpr10
	s_and_saveexec_b64 s[8:9], s[12:13]
; %bb.2594:
	s_mov_b32 s10, 0x7f800001
	s_xor_b64 s[4:5], exec, -1
; %bb.2595:
	s_or_b64 exec, exec, s[8:9]
	s_and_b64 s[4:5], s[4:5], exec
	s_or_saveexec_b64 s[6:7], s[6:7]
	v_mov_b32_e32 v2, s10
	s_xor_b64 exec, exec, s[6:7]
	s_cbranch_execz .LBB9_546
.LBB9_2596:
	v_mov_b32_e32 v2, 0
	v_cmp_ne_u16_sdwa s[8:9], v7, v2 src0_sel:BYTE_0 src1_sel:DWORD
	s_andn2_b64 s[4:5], s[4:5], exec
	s_and_b64 s[8:9], s[8:9], exec
	s_or_b64 s[4:5], s[4:5], s[8:9]
	s_or_b64 exec, exec, s[6:7]
	s_and_saveexec_b64 s[6:7], s[4:5]
	s_cbranch_execnz .LBB9_547
	s_branch .LBB9_548
.LBB9_2597:
	s_movk_i32 s4, 0x80
	v_cmp_eq_u16_sdwa s[12:13], v3, s4 src0_sel:BYTE_0 src1_sel:DWORD
	s_mov_b64 s[4:5], -1
                                        ; implicit-def: $sgpr10
	s_and_saveexec_b64 s[8:9], s[12:13]
; %bb.2598:
	s_mov_b32 s10, 0x7f800001
	s_xor_b64 s[4:5], exec, -1
; %bb.2599:
	s_or_b64 exec, exec, s[8:9]
	s_and_b64 s[4:5], s[4:5], exec
	s_or_saveexec_b64 s[6:7], s[6:7]
	v_mov_b32_e32 v6, s10
	s_xor_b64 exec, exec, s[6:7]
	s_cbranch_execz .LBB9_550
.LBB9_2600:
	v_mov_b32_e32 v6, 0
	v_cmp_ne_u16_sdwa s[8:9], v3, v6 src0_sel:BYTE_0 src1_sel:DWORD
	s_andn2_b64 s[4:5], s[4:5], exec
	s_and_b64 s[8:9], s[8:9], exec
	s_or_b64 s[4:5], s[4:5], s[8:9]
	s_or_b64 exec, exec, s[6:7]
	s_and_saveexec_b64 s[6:7], s[4:5]
	s_cbranch_execnz .LBB9_551
	s_branch .LBB9_552
.LBB9_2601:
	s_movk_i32 s4, 0x80
	v_cmp_eq_u16_sdwa s[12:13], v6, s4 src0_sel:BYTE_0 src1_sel:DWORD
	s_mov_b64 s[4:5], -1
                                        ; implicit-def: $sgpr10
	s_and_saveexec_b64 s[8:9], s[12:13]
; %bb.2602:
	s_mov_b32 s10, 0x7f800001
	s_xor_b64 s[4:5], exec, -1
; %bb.2603:
	s_or_b64 exec, exec, s[8:9]
	s_and_b64 s[4:5], s[4:5], exec
	s_or_saveexec_b64 s[6:7], s[6:7]
	v_mov_b32_e32 v2, s10
	s_xor_b64 exec, exec, s[6:7]
	s_cbranch_execz .LBB9_554
.LBB9_2604:
	v_mov_b32_e32 v2, 0
	v_cmp_ne_u16_sdwa s[8:9], v6, v2 src0_sel:BYTE_0 src1_sel:DWORD
	s_andn2_b64 s[4:5], s[4:5], exec
	s_and_b64 s[8:9], s[8:9], exec
	s_or_b64 s[4:5], s[4:5], s[8:9]
	s_or_b64 exec, exec, s[6:7]
	s_and_saveexec_b64 s[6:7], s[4:5]
	s_cbranch_execnz .LBB9_555
	s_branch .LBB9_556
.LBB9_2605:
	s_movk_i32 s4, 0x80
	v_cmp_eq_u16_sdwa s[12:13], v6, s4 src0_sel:BYTE_0 src1_sel:DWORD
	s_mov_b64 s[4:5], -1
                                        ; implicit-def: $sgpr10
	s_and_saveexec_b64 s[8:9], s[12:13]
; %bb.2606:
	s_mov_b32 s10, 0x7f800001
	s_xor_b64 s[4:5], exec, -1
; %bb.2607:
	s_or_b64 exec, exec, s[8:9]
	s_and_b64 s[4:5], s[4:5], exec
	s_or_saveexec_b64 s[6:7], s[6:7]
	v_mov_b32_e32 v12, s10
	s_xor_b64 exec, exec, s[6:7]
	s_cbranch_execz .LBB9_558
.LBB9_2608:
	v_mov_b32_e32 v12, 0
	v_cmp_ne_u16_sdwa s[8:9], v6, v12 src0_sel:BYTE_0 src1_sel:DWORD
	s_andn2_b64 s[4:5], s[4:5], exec
	s_and_b64 s[8:9], s[8:9], exec
	s_or_b64 s[4:5], s[4:5], s[8:9]
	s_or_b64 exec, exec, s[6:7]
	s_and_saveexec_b64 s[6:7], s[4:5]
	s_cbranch_execnz .LBB9_559
	s_branch .LBB9_560
.LBB9_2609:
	s_movk_i32 s4, 0x80
	v_cmp_eq_u16_e32 vcc, s4, v6
	s_mov_b64 s[4:5], -1
                                        ; implicit-def: $sgpr10
	s_and_saveexec_b64 s[8:9], vcc
; %bb.2610:
	s_mov_b32 s10, 0x7f800001
	s_xor_b64 s[4:5], exec, -1
; %bb.2611:
	s_or_b64 exec, exec, s[8:9]
	s_and_b64 s[4:5], s[4:5], exec
                                        ; implicit-def: $vgpr6
	s_or_saveexec_b64 s[6:7], s[6:7]
	v_mov_b32_e32 v2, s10
	s_xor_b64 exec, exec, s[6:7]
	s_cbranch_execz .LBB9_562
.LBB9_2612:
	v_cmp_ne_u16_e32 vcc, 0, v6
	s_andn2_b64 s[4:5], s[4:5], exec
	s_and_b64 s[8:9], vcc, exec
	v_mov_b32_e32 v2, 0
	s_or_b64 s[4:5], s[4:5], s[8:9]
	s_or_b64 exec, exec, s[6:7]
	s_and_saveexec_b64 s[6:7], s[4:5]
	s_cbranch_execnz .LBB9_563
	s_branch .LBB9_564
.LBB9_2613:
	s_movk_i32 s4, 0x80
	v_cmp_eq_u16_e32 vcc, s4, v6
	s_mov_b64 s[4:5], -1
                                        ; implicit-def: $sgpr10
	s_and_saveexec_b64 s[8:9], vcc
; %bb.2614:
	s_mov_b32 s10, 0x7f800001
	s_xor_b64 s[4:5], exec, -1
; %bb.2615:
	s_or_b64 exec, exec, s[8:9]
	s_and_b64 s[4:5], s[4:5], exec
                                        ; implicit-def: $vgpr6
	s_or_saveexec_b64 s[6:7], s[6:7]
	v_mov_b32_e32 v12, s10
	s_xor_b64 exec, exec, s[6:7]
	s_cbranch_execz .LBB9_566
.LBB9_2616:
	v_cmp_ne_u16_e32 vcc, 0, v6
	s_andn2_b64 s[4:5], s[4:5], exec
	s_and_b64 s[8:9], vcc, exec
	v_mov_b32_e32 v12, 0
	s_or_b64 s[4:5], s[4:5], s[8:9]
	s_or_b64 exec, exec, s[6:7]
	s_and_saveexec_b64 s[6:7], s[4:5]
	s_cbranch_execnz .LBB9_567
	s_branch .LBB9_568
.LBB9_2617:
	s_movk_i32 s4, 0x80
	v_cmp_eq_u16_sdwa s[12:13], v7, s4 src0_sel:BYTE_3 src1_sel:DWORD
	s_mov_b64 s[4:5], -1
                                        ; implicit-def: $sgpr10
	s_and_saveexec_b64 s[8:9], s[12:13]
; %bb.2618:
	s_mov_b32 s10, 0x7f800001
	s_xor_b64 s[4:5], exec, -1
; %bb.2619:
	s_or_b64 exec, exec, s[8:9]
	s_and_b64 s[4:5], s[4:5], exec
	s_or_saveexec_b64 s[6:7], s[6:7]
	v_mov_b32_e32 v2, s10
	s_xor_b64 exec, exec, s[6:7]
	s_cbranch_execz .LBB9_570
.LBB9_2620:
	v_mov_b32_e32 v2, 0
	v_cmp_ne_u16_sdwa s[8:9], v7, v2 src0_sel:BYTE_3 src1_sel:DWORD
	s_andn2_b64 s[4:5], s[4:5], exec
	s_and_b64 s[8:9], s[8:9], exec
	s_or_b64 s[4:5], s[4:5], s[8:9]
	s_or_b64 exec, exec, s[6:7]
	s_and_saveexec_b64 s[6:7], s[4:5]
	s_cbranch_execnz .LBB9_571
	s_branch .LBB9_572
.LBB9_2621:
	s_movk_i32 s4, 0x80
	v_cmp_eq_u16_sdwa s[12:13], v3, s4 src0_sel:BYTE_3 src1_sel:DWORD
	s_mov_b64 s[4:5], -1
                                        ; implicit-def: $sgpr10
	s_and_saveexec_b64 s[8:9], s[12:13]
; %bb.2622:
	s_mov_b32 s10, 0x7f800001
	s_xor_b64 s[4:5], exec, -1
; %bb.2623:
	s_or_b64 exec, exec, s[8:9]
	s_and_b64 s[4:5], s[4:5], exec
	s_or_saveexec_b64 s[6:7], s[6:7]
	v_mov_b32_e32 v6, s10
	s_xor_b64 exec, exec, s[6:7]
	s_cbranch_execz .LBB9_574
.LBB9_2624:
	v_mov_b32_e32 v6, 0
	v_cmp_ne_u16_sdwa s[8:9], v3, v6 src0_sel:BYTE_3 src1_sel:DWORD
	s_andn2_b64 s[4:5], s[4:5], exec
	s_and_b64 s[8:9], s[8:9], exec
	s_or_b64 s[4:5], s[4:5], s[8:9]
	s_or_b64 exec, exec, s[6:7]
	s_and_saveexec_b64 s[6:7], s[4:5]
	s_cbranch_execnz .LBB9_575
	s_branch .LBB9_576
.LBB9_2625:
	s_movk_i32 s4, 0x80
	v_cmp_eq_u16_sdwa s[12:13], v8, s4 src0_sel:BYTE_0 src1_sel:DWORD
	s_mov_b64 s[4:5], -1
                                        ; implicit-def: $sgpr10
	s_and_saveexec_b64 s[8:9], s[12:13]
; %bb.2626:
	s_mov_b32 s10, 0x7f800001
	s_xor_b64 s[4:5], exec, -1
; %bb.2627:
	s_or_b64 exec, exec, s[8:9]
	s_and_b64 s[4:5], s[4:5], exec
	s_or_saveexec_b64 s[6:7], s[6:7]
	v_mov_b32_e32 v2, s10
	s_xor_b64 exec, exec, s[6:7]
	s_cbranch_execz .LBB9_578
.LBB9_2628:
	v_mov_b32_e32 v2, 0
	v_cmp_ne_u16_sdwa s[8:9], v8, v2 src0_sel:BYTE_0 src1_sel:DWORD
	s_andn2_b64 s[4:5], s[4:5], exec
	s_and_b64 s[8:9], s[8:9], exec
	s_or_b64 s[4:5], s[4:5], s[8:9]
	s_or_b64 exec, exec, s[6:7]
	s_and_saveexec_b64 s[6:7], s[4:5]
	s_cbranch_execnz .LBB9_579
	s_branch .LBB9_580
.LBB9_2629:
	s_movk_i32 s4, 0x80
	v_cmp_eq_u16_sdwa s[12:13], v4, s4 src0_sel:BYTE_0 src1_sel:DWORD
	s_mov_b64 s[4:5], -1
                                        ; implicit-def: $sgpr10
	s_and_saveexec_b64 s[8:9], s[12:13]
; %bb.2630:
	s_mov_b32 s10, 0x7f800001
	s_xor_b64 s[4:5], exec, -1
; %bb.2631:
	s_or_b64 exec, exec, s[8:9]
	s_and_b64 s[4:5], s[4:5], exec
	s_or_saveexec_b64 s[6:7], s[6:7]
	v_mov_b32_e32 v3, s10
	s_xor_b64 exec, exec, s[6:7]
	s_cbranch_execz .LBB9_582
.LBB9_2632:
	v_mov_b32_e32 v3, 0
	v_cmp_ne_u16_sdwa s[8:9], v4, v3 src0_sel:BYTE_0 src1_sel:DWORD
	s_andn2_b64 s[4:5], s[4:5], exec
	s_and_b64 s[8:9], s[8:9], exec
	s_or_b64 s[4:5], s[4:5], s[8:9]
	s_or_b64 exec, exec, s[6:7]
	s_and_saveexec_b64 s[6:7], s[4:5]
	s_cbranch_execnz .LBB9_583
	s_branch .LBB9_584
.LBB9_2633:
	s_movk_i32 s4, 0x80
	v_cmp_eq_u16_sdwa s[12:13], v3, s4 src0_sel:BYTE_0 src1_sel:DWORD
	s_mov_b64 s[4:5], -1
                                        ; implicit-def: $sgpr10
	s_and_saveexec_b64 s[8:9], s[12:13]
; %bb.2634:
	s_mov_b32 s10, 0x7f800001
	s_xor_b64 s[4:5], exec, -1
; %bb.2635:
	s_or_b64 exec, exec, s[8:9]
	s_and_b64 s[4:5], s[4:5], exec
	s_or_saveexec_b64 s[6:7], s[6:7]
	v_mov_b32_e32 v2, s10
	s_xor_b64 exec, exec, s[6:7]
	s_cbranch_execz .LBB9_586
.LBB9_2636:
	v_mov_b32_e32 v2, 0
	v_cmp_ne_u16_sdwa s[8:9], v3, v2 src0_sel:BYTE_0 src1_sel:DWORD
	s_andn2_b64 s[4:5], s[4:5], exec
	s_and_b64 s[8:9], s[8:9], exec
	s_or_b64 s[4:5], s[4:5], s[8:9]
	s_or_b64 exec, exec, s[6:7]
	s_and_saveexec_b64 s[6:7], s[4:5]
	s_cbranch_execnz .LBB9_587
	s_branch .LBB9_588
.LBB9_2637:
	s_movk_i32 s4, 0x80
	v_cmp_eq_u16_sdwa s[12:13], v3, s4 src0_sel:BYTE_0 src1_sel:DWORD
	s_mov_b64 s[4:5], -1
                                        ; implicit-def: $sgpr10
	s_and_saveexec_b64 s[8:9], s[12:13]
; %bb.2638:
	s_mov_b32 s10, 0x7f800001
	s_xor_b64 s[4:5], exec, -1
; %bb.2639:
	s_or_b64 exec, exec, s[8:9]
	s_and_b64 s[4:5], s[4:5], exec
	s_or_saveexec_b64 s[6:7], s[6:7]
	v_mov_b32_e32 v6, s10
	s_xor_b64 exec, exec, s[6:7]
	s_cbranch_execz .LBB9_590
.LBB9_2640:
	v_mov_b32_e32 v6, 0
	v_cmp_ne_u16_sdwa s[8:9], v3, v6 src0_sel:BYTE_0 src1_sel:DWORD
	s_andn2_b64 s[4:5], s[4:5], exec
	s_and_b64 s[8:9], s[8:9], exec
	s_or_b64 s[4:5], s[4:5], s[8:9]
	s_or_b64 exec, exec, s[6:7]
	s_and_saveexec_b64 s[6:7], s[4:5]
	s_cbranch_execnz .LBB9_591
	s_branch .LBB9_592
.LBB9_2641:
	s_movk_i32 s4, 0x80
	v_cmp_eq_u16_e32 vcc, s4, v3
	s_mov_b64 s[4:5], -1
                                        ; implicit-def: $sgpr10
	s_and_saveexec_b64 s[8:9], vcc
; %bb.2642:
	s_mov_b32 s10, 0x7f800001
	s_xor_b64 s[4:5], exec, -1
; %bb.2643:
	s_or_b64 exec, exec, s[8:9]
	s_and_b64 s[4:5], s[4:5], exec
                                        ; implicit-def: $vgpr3
	s_or_saveexec_b64 s[6:7], s[6:7]
	v_mov_b32_e32 v2, s10
	s_xor_b64 exec, exec, s[6:7]
	s_cbranch_execz .LBB9_594
.LBB9_2644:
	v_cmp_ne_u16_e32 vcc, 0, v3
	s_andn2_b64 s[4:5], s[4:5], exec
	s_and_b64 s[8:9], vcc, exec
	v_mov_b32_e32 v2, 0
	s_or_b64 s[4:5], s[4:5], s[8:9]
	s_or_b64 exec, exec, s[6:7]
	s_and_saveexec_b64 s[6:7], s[4:5]
	s_cbranch_execnz .LBB9_595
	s_branch .LBB9_596
.LBB9_2645:
	s_movk_i32 s4, 0x80
	v_cmp_eq_u16_e32 vcc, s4, v3
	s_mov_b64 s[4:5], -1
                                        ; implicit-def: $sgpr10
	s_and_saveexec_b64 s[8:9], vcc
; %bb.2646:
	s_mov_b32 s10, 0x7f800001
	s_xor_b64 s[4:5], exec, -1
; %bb.2647:
	s_or_b64 exec, exec, s[8:9]
	s_and_b64 s[4:5], s[4:5], exec
                                        ; implicit-def: $vgpr3
	s_or_saveexec_b64 s[6:7], s[6:7]
	v_mov_b32_e32 v6, s10
	s_xor_b64 exec, exec, s[6:7]
	s_cbranch_execz .LBB9_598
.LBB9_2648:
	v_cmp_ne_u16_e32 vcc, 0, v3
	s_andn2_b64 s[4:5], s[4:5], exec
	s_and_b64 s[8:9], vcc, exec
	v_mov_b32_e32 v6, 0
	s_or_b64 s[4:5], s[4:5], s[8:9]
	s_or_b64 exec, exec, s[6:7]
	s_and_saveexec_b64 s[6:7], s[4:5]
	s_cbranch_execnz .LBB9_599
	s_branch .LBB9_600
.LBB9_2649:
	s_movk_i32 s4, 0x80
	v_cmp_eq_u16_sdwa s[12:13], v8, s4 src0_sel:BYTE_3 src1_sel:DWORD
	s_mov_b64 s[4:5], -1
                                        ; implicit-def: $sgpr10
	s_and_saveexec_b64 s[8:9], s[12:13]
; %bb.2650:
	s_mov_b32 s10, 0x7f800001
	s_xor_b64 s[4:5], exec, -1
; %bb.2651:
	s_or_b64 exec, exec, s[8:9]
	s_and_b64 s[4:5], s[4:5], exec
	s_or_saveexec_b64 s[6:7], s[6:7]
	v_mov_b32_e32 v2, s10
	s_xor_b64 exec, exec, s[6:7]
	s_cbranch_execz .LBB9_602
.LBB9_2652:
	v_mov_b32_e32 v2, 0
	v_cmp_ne_u16_sdwa s[8:9], v8, v2 src0_sel:BYTE_3 src1_sel:DWORD
	s_andn2_b64 s[4:5], s[4:5], exec
	s_and_b64 s[8:9], s[8:9], exec
	s_or_b64 s[4:5], s[4:5], s[8:9]
	s_or_b64 exec, exec, s[6:7]
	s_and_saveexec_b64 s[6:7], s[4:5]
	s_cbranch_execnz .LBB9_603
	s_branch .LBB9_604
.LBB9_2653:
	s_movk_i32 s4, 0x80
	v_cmp_eq_u16_sdwa s[12:13], v4, s4 src0_sel:BYTE_3 src1_sel:DWORD
	s_mov_b64 s[4:5], -1
                                        ; implicit-def: $sgpr10
	s_and_saveexec_b64 s[8:9], s[12:13]
; %bb.2654:
	s_mov_b32 s10, 0x7f800001
	s_xor_b64 s[4:5], exec, -1
; %bb.2655:
	s_or_b64 exec, exec, s[8:9]
	s_and_b64 s[4:5], s[4:5], exec
	s_or_saveexec_b64 s[6:7], s[6:7]
	v_mov_b32_e32 v3, s10
	s_xor_b64 exec, exec, s[6:7]
	s_cbranch_execz .LBB9_606
.LBB9_2656:
	v_mov_b32_e32 v3, 0
	v_cmp_ne_u16_sdwa s[8:9], v4, v3 src0_sel:BYTE_3 src1_sel:DWORD
	s_andn2_b64 s[4:5], s[4:5], exec
	s_and_b64 s[8:9], s[8:9], exec
	s_or_b64 s[4:5], s[4:5], s[8:9]
	s_or_b64 exec, exec, s[6:7]
	s_and_saveexec_b64 s[6:7], s[4:5]
	s_cbranch_execnz .LBB9_607
	s_branch .LBB9_608
.LBB9_2657:
	s_movk_i32 s4, 0x80
	v_cmp_eq_u16_sdwa s[12:13], v9, s4 src0_sel:BYTE_0 src1_sel:DWORD
	s_mov_b64 s[4:5], -1
                                        ; implicit-def: $sgpr10
	s_and_saveexec_b64 s[8:9], s[12:13]
; %bb.2658:
	s_mov_b32 s10, 0x7f800001
	s_xor_b64 s[4:5], exec, -1
; %bb.2659:
	s_or_b64 exec, exec, s[8:9]
	s_and_b64 s[4:5], s[4:5], exec
	s_or_saveexec_b64 s[6:7], s[6:7]
	v_mov_b32_e32 v2, s10
	s_xor_b64 exec, exec, s[6:7]
	s_cbranch_execz .LBB9_610
.LBB9_2660:
	v_mov_b32_e32 v2, 0
	v_cmp_ne_u16_sdwa s[8:9], v9, v2 src0_sel:BYTE_0 src1_sel:DWORD
	s_andn2_b64 s[4:5], s[4:5], exec
	s_and_b64 s[8:9], s[8:9], exec
	s_or_b64 s[4:5], s[4:5], s[8:9]
	s_or_b64 exec, exec, s[6:7]
	s_and_saveexec_b64 s[6:7], s[4:5]
	s_cbranch_execnz .LBB9_611
	s_branch .LBB9_612
.LBB9_2661:
	s_movk_i32 s4, 0x80
	v_cmp_eq_u16_sdwa s[12:13], v5, s4 src0_sel:BYTE_0 src1_sel:DWORD
	s_mov_b64 s[4:5], -1
                                        ; implicit-def: $sgpr10
	s_and_saveexec_b64 s[8:9], s[12:13]
; %bb.2662:
	s_mov_b32 s10, 0x7f800001
	s_xor_b64 s[4:5], exec, -1
; %bb.2663:
	s_or_b64 exec, exec, s[8:9]
	s_and_b64 s[4:5], s[4:5], exec
	s_or_saveexec_b64 s[6:7], s[6:7]
	v_mov_b32_e32 v3, s10
	s_xor_b64 exec, exec, s[6:7]
	s_cbranch_execz .LBB9_614
.LBB9_2664:
	v_mov_b32_e32 v3, 0
	v_cmp_ne_u16_sdwa s[8:9], v5, v3 src0_sel:BYTE_0 src1_sel:DWORD
	s_andn2_b64 s[4:5], s[4:5], exec
	s_and_b64 s[8:9], s[8:9], exec
	s_or_b64 s[4:5], s[4:5], s[8:9]
	s_or_b64 exec, exec, s[6:7]
	s_and_saveexec_b64 s[6:7], s[4:5]
	s_cbranch_execnz .LBB9_615
	s_branch .LBB9_616
.LBB9_2665:
	s_movk_i32 s4, 0x80
	v_cmp_eq_u16_sdwa s[12:13], v3, s4 src0_sel:BYTE_0 src1_sel:DWORD
	s_mov_b64 s[4:5], -1
                                        ; implicit-def: $sgpr10
	s_and_saveexec_b64 s[8:9], s[12:13]
; %bb.2666:
	s_mov_b32 s10, 0x7f800001
	s_xor_b64 s[4:5], exec, -1
; %bb.2667:
	s_or_b64 exec, exec, s[8:9]
	s_and_b64 s[4:5], s[4:5], exec
	s_or_saveexec_b64 s[6:7], s[6:7]
	v_mov_b32_e32 v2, s10
	s_xor_b64 exec, exec, s[6:7]
	s_cbranch_execz .LBB9_618
.LBB9_2668:
	v_mov_b32_e32 v2, 0
	v_cmp_ne_u16_sdwa s[8:9], v3, v2 src0_sel:BYTE_0 src1_sel:DWORD
	s_andn2_b64 s[4:5], s[4:5], exec
	s_and_b64 s[8:9], s[8:9], exec
	s_or_b64 s[4:5], s[4:5], s[8:9]
	s_or_b64 exec, exec, s[6:7]
	s_and_saveexec_b64 s[6:7], s[4:5]
	s_cbranch_execnz .LBB9_619
	s_branch .LBB9_620
.LBB9_2669:
	s_movk_i32 s4, 0x80
	v_cmp_eq_u16_sdwa s[12:13], v3, s4 src0_sel:BYTE_0 src1_sel:DWORD
	s_mov_b64 s[4:5], -1
                                        ; implicit-def: $sgpr10
	s_and_saveexec_b64 s[8:9], s[12:13]
; %bb.2670:
	s_mov_b32 s10, 0x7f800001
	s_xor_b64 s[4:5], exec, -1
; %bb.2671:
	s_or_b64 exec, exec, s[8:9]
	s_and_b64 s[4:5], s[4:5], exec
	s_or_saveexec_b64 s[6:7], s[6:7]
	v_mov_b32_e32 v4, s10
	s_xor_b64 exec, exec, s[6:7]
	s_cbranch_execz .LBB9_622
.LBB9_2672:
	v_mov_b32_e32 v4, 0
	v_cmp_ne_u16_sdwa s[8:9], v3, v4 src0_sel:BYTE_0 src1_sel:DWORD
	s_andn2_b64 s[4:5], s[4:5], exec
	s_and_b64 s[8:9], s[8:9], exec
	s_or_b64 s[4:5], s[4:5], s[8:9]
	s_or_b64 exec, exec, s[6:7]
	s_and_saveexec_b64 s[6:7], s[4:5]
	s_cbranch_execnz .LBB9_623
	s_branch .LBB9_624
.LBB9_2673:
	s_movk_i32 s4, 0x80
	v_cmp_eq_u16_e32 vcc, s4, v3
	s_mov_b64 s[4:5], -1
                                        ; implicit-def: $sgpr10
	s_and_saveexec_b64 s[8:9], vcc
; %bb.2674:
	s_mov_b32 s10, 0x7f800001
	s_xor_b64 s[4:5], exec, -1
; %bb.2675:
	s_or_b64 exec, exec, s[8:9]
	s_and_b64 s[4:5], s[4:5], exec
                                        ; implicit-def: $vgpr3
	s_or_saveexec_b64 s[6:7], s[6:7]
	v_mov_b32_e32 v2, s10
	s_xor_b64 exec, exec, s[6:7]
	s_cbranch_execz .LBB9_626
.LBB9_2676:
	v_cmp_ne_u16_e32 vcc, 0, v3
	s_andn2_b64 s[4:5], s[4:5], exec
	s_and_b64 s[8:9], vcc, exec
	v_mov_b32_e32 v2, 0
	s_or_b64 s[4:5], s[4:5], s[8:9]
	s_or_b64 exec, exec, s[6:7]
	s_and_saveexec_b64 s[6:7], s[4:5]
	s_cbranch_execnz .LBB9_627
	s_branch .LBB9_628
.LBB9_2677:
	s_movk_i32 s4, 0x80
	v_cmp_eq_u16_e32 vcc, s4, v3
	s_mov_b64 s[4:5], -1
                                        ; implicit-def: $sgpr10
	s_and_saveexec_b64 s[8:9], vcc
; %bb.2678:
	s_mov_b32 s10, 0x7f800001
	s_xor_b64 s[4:5], exec, -1
; %bb.2679:
	s_or_b64 exec, exec, s[8:9]
	s_and_b64 s[4:5], s[4:5], exec
                                        ; implicit-def: $vgpr3
	s_or_saveexec_b64 s[6:7], s[6:7]
	v_mov_b32_e32 v4, s10
	s_xor_b64 exec, exec, s[6:7]
	s_cbranch_execz .LBB9_630
.LBB9_2680:
	v_cmp_ne_u16_e32 vcc, 0, v3
	s_andn2_b64 s[4:5], s[4:5], exec
	s_and_b64 s[8:9], vcc, exec
	v_mov_b32_e32 v4, 0
	s_or_b64 s[4:5], s[4:5], s[8:9]
	s_or_b64 exec, exec, s[6:7]
	s_and_saveexec_b64 s[6:7], s[4:5]
	s_cbranch_execnz .LBB9_631
	s_branch .LBB9_632
.LBB9_2681:
	s_movk_i32 s4, 0x80
	v_cmp_eq_u16_sdwa s[12:13], v9, s4 src0_sel:BYTE_3 src1_sel:DWORD
	s_mov_b64 s[4:5], -1
                                        ; implicit-def: $sgpr10
	s_and_saveexec_b64 s[8:9], s[12:13]
; %bb.2682:
	s_mov_b32 s10, 0x7f800001
	s_xor_b64 s[4:5], exec, -1
; %bb.2683:
	s_or_b64 exec, exec, s[8:9]
	s_and_b64 s[4:5], s[4:5], exec
	s_or_saveexec_b64 s[6:7], s[6:7]
	v_mov_b32_e32 v2, s10
	s_xor_b64 exec, exec, s[6:7]
	s_cbranch_execz .LBB9_634
.LBB9_2684:
	v_mov_b32_e32 v2, 0
	v_cmp_ne_u16_sdwa s[8:9], v9, v2 src0_sel:BYTE_3 src1_sel:DWORD
	s_andn2_b64 s[4:5], s[4:5], exec
	s_and_b64 s[8:9], s[8:9], exec
	s_or_b64 s[4:5], s[4:5], s[8:9]
	s_or_b64 exec, exec, s[6:7]
	s_and_saveexec_b64 s[6:7], s[4:5]
	s_cbranch_execnz .LBB9_635
	s_branch .LBB9_636
.LBB9_2685:
	s_movk_i32 s4, 0x80
	v_cmp_eq_u16_sdwa s[12:13], v5, s4 src0_sel:BYTE_3 src1_sel:DWORD
	s_mov_b64 s[4:5], -1
                                        ; implicit-def: $sgpr10
	s_and_saveexec_b64 s[8:9], s[12:13]
; %bb.2686:
	s_mov_b32 s10, 0x7f800001
	s_xor_b64 s[4:5], exec, -1
; %bb.2687:
	s_or_b64 exec, exec, s[8:9]
	s_and_b64 s[4:5], s[4:5], exec
	s_or_saveexec_b64 s[6:7], s[6:7]
	v_mov_b32_e32 v3, s10
	s_xor_b64 exec, exec, s[6:7]
	s_cbranch_execz .LBB9_638
.LBB9_2688:
	v_mov_b32_e32 v3, 0
	v_cmp_ne_u16_sdwa s[8:9], v5, v3 src0_sel:BYTE_3 src1_sel:DWORD
	s_andn2_b64 s[4:5], s[4:5], exec
	s_and_b64 s[8:9], s[8:9], exec
	s_or_b64 s[4:5], s[4:5], s[8:9]
	s_or_b64 exec, exec, s[6:7]
	s_and_saveexec_b64 s[6:7], s[4:5]
	s_cbranch_execnz .LBB9_639
	s_branch .LBB9_640
.LBB9_2689:
	s_movk_i32 s4, 0x80
	v_cmp_eq_u16_sdwa s[12:13], v6, s4 src0_sel:BYTE_0 src1_sel:DWORD
	s_mov_b64 s[4:5], -1
                                        ; implicit-def: $sgpr10
	s_and_saveexec_b64 s[8:9], s[12:13]
; %bb.2690:
	s_mov_b32 s10, 0x7f800001
	s_xor_b64 s[4:5], exec, -1
; %bb.2691:
	s_or_b64 exec, exec, s[8:9]
	s_and_b64 s[4:5], s[4:5], exec
	s_or_saveexec_b64 s[6:7], s[6:7]
	v_mov_b32_e32 v12, s10
	s_xor_b64 exec, exec, s[6:7]
	s_cbranch_execz .LBB9_642
.LBB9_2692:
	v_mov_b32_e32 v12, 0
	v_cmp_ne_u16_sdwa s[8:9], v6, v12 src0_sel:BYTE_0 src1_sel:DWORD
	s_andn2_b64 s[4:5], s[4:5], exec
	s_and_b64 s[8:9], s[8:9], exec
	s_or_b64 s[4:5], s[4:5], s[8:9]
	s_or_b64 exec, exec, s[6:7]
	s_and_saveexec_b64 s[6:7], s[4:5]
	s_cbranch_execnz .LBB9_643
	s_branch .LBB9_644
.LBB9_2693:
	s_movk_i32 s4, 0x80
	v_cmp_eq_u16_sdwa s[12:13], v2, s4 src0_sel:BYTE_0 src1_sel:DWORD
	s_mov_b64 s[4:5], -1
                                        ; implicit-def: $sgpr10
	s_and_saveexec_b64 s[8:9], s[12:13]
; %bb.2694:
	s_mov_b32 s10, 0x7f800001
	s_xor_b64 s[4:5], exec, -1
; %bb.2695:
	s_or_b64 exec, exec, s[8:9]
	s_and_b64 s[4:5], s[4:5], exec
	s_or_saveexec_b64 s[6:7], s[6:7]
	v_mov_b32_e32 v13, s10
	s_xor_b64 exec, exec, s[6:7]
	s_cbranch_execz .LBB9_646
.LBB9_2696:
	v_mov_b32_e32 v13, 0
	v_cmp_ne_u16_sdwa s[8:9], v2, v13 src0_sel:BYTE_0 src1_sel:DWORD
	s_andn2_b64 s[4:5], s[4:5], exec
	s_and_b64 s[8:9], s[8:9], exec
	s_or_b64 s[4:5], s[4:5], s[8:9]
	s_or_b64 exec, exec, s[6:7]
	s_and_saveexec_b64 s[6:7], s[4:5]
	s_cbranch_execnz .LBB9_647
	s_branch .LBB9_648
.LBB9_2697:
	s_movk_i32 s4, 0x80
	v_cmp_eq_u16_sdwa s[12:13], v13, s4 src0_sel:BYTE_0 src1_sel:DWORD
	s_mov_b64 s[4:5], -1
                                        ; implicit-def: $sgpr10
	s_and_saveexec_b64 s[8:9], s[12:13]
; %bb.2698:
	s_mov_b32 s10, 0x7f800001
	s_xor_b64 s[4:5], exec, -1
; %bb.2699:
	s_or_b64 exec, exec, s[8:9]
	s_and_b64 s[4:5], s[4:5], exec
	s_or_saveexec_b64 s[6:7], s[6:7]
	v_mov_b32_e32 v12, s10
	s_xor_b64 exec, exec, s[6:7]
	s_cbranch_execz .LBB9_650
.LBB9_2700:
	v_mov_b32_e32 v12, 0
	v_cmp_ne_u16_sdwa s[8:9], v13, v12 src0_sel:BYTE_0 src1_sel:DWORD
	s_andn2_b64 s[4:5], s[4:5], exec
	s_and_b64 s[8:9], s[8:9], exec
	s_or_b64 s[4:5], s[4:5], s[8:9]
	s_or_b64 exec, exec, s[6:7]
	s_and_saveexec_b64 s[6:7], s[4:5]
	s_cbranch_execnz .LBB9_651
	s_branch .LBB9_652
.LBB9_2701:
	s_movk_i32 s4, 0x80
	v_cmp_eq_u16_sdwa s[12:13], v13, s4 src0_sel:BYTE_0 src1_sel:DWORD
	s_mov_b64 s[4:5], -1
                                        ; implicit-def: $sgpr10
	s_and_saveexec_b64 s[8:9], s[12:13]
; %bb.2702:
	s_mov_b32 s10, 0x7f800001
	s_xor_b64 s[4:5], exec, -1
; %bb.2703:
	s_or_b64 exec, exec, s[8:9]
	s_and_b64 s[4:5], s[4:5], exec
	s_or_saveexec_b64 s[6:7], s[6:7]
	v_mov_b32_e32 v14, s10
	s_xor_b64 exec, exec, s[6:7]
	s_cbranch_execz .LBB9_654
.LBB9_2704:
	v_mov_b32_e32 v14, 0
	v_cmp_ne_u16_sdwa s[8:9], v13, v14 src0_sel:BYTE_0 src1_sel:DWORD
	s_andn2_b64 s[4:5], s[4:5], exec
	s_and_b64 s[8:9], s[8:9], exec
	s_or_b64 s[4:5], s[4:5], s[8:9]
	s_or_b64 exec, exec, s[6:7]
	s_and_saveexec_b64 s[6:7], s[4:5]
	s_cbranch_execnz .LBB9_655
	s_branch .LBB9_656
.LBB9_2705:
	s_movk_i32 s4, 0x80
	v_cmp_eq_u16_e32 vcc, s4, v13
	s_mov_b64 s[4:5], -1
                                        ; implicit-def: $sgpr10
	s_and_saveexec_b64 s[8:9], vcc
; %bb.2706:
	s_mov_b32 s10, 0x7f800001
	s_xor_b64 s[4:5], exec, -1
; %bb.2707:
	s_or_b64 exec, exec, s[8:9]
	s_and_b64 s[4:5], s[4:5], exec
                                        ; implicit-def: $vgpr13
	s_or_saveexec_b64 s[6:7], s[6:7]
	v_mov_b32_e32 v12, s10
	s_xor_b64 exec, exec, s[6:7]
	s_cbranch_execz .LBB9_658
.LBB9_2708:
	v_cmp_ne_u16_e32 vcc, 0, v13
	s_andn2_b64 s[4:5], s[4:5], exec
	s_and_b64 s[8:9], vcc, exec
	v_mov_b32_e32 v12, 0
	s_or_b64 s[4:5], s[4:5], s[8:9]
	s_or_b64 exec, exec, s[6:7]
	s_and_saveexec_b64 s[6:7], s[4:5]
	s_cbranch_execnz .LBB9_659
	s_branch .LBB9_660
.LBB9_2709:
	s_movk_i32 s4, 0x80
	v_cmp_eq_u16_e32 vcc, s4, v13
	s_mov_b64 s[4:5], -1
                                        ; implicit-def: $sgpr10
	s_and_saveexec_b64 s[8:9], vcc
; %bb.2710:
	s_mov_b32 s10, 0x7f800001
	s_xor_b64 s[4:5], exec, -1
; %bb.2711:
	s_or_b64 exec, exec, s[8:9]
	s_and_b64 s[4:5], s[4:5], exec
                                        ; implicit-def: $vgpr13
	s_or_saveexec_b64 s[6:7], s[6:7]
	v_mov_b32_e32 v14, s10
	s_xor_b64 exec, exec, s[6:7]
	s_cbranch_execz .LBB9_662
.LBB9_2712:
	v_cmp_ne_u16_e32 vcc, 0, v13
	s_andn2_b64 s[4:5], s[4:5], exec
	s_and_b64 s[8:9], vcc, exec
	v_mov_b32_e32 v14, 0
	s_or_b64 s[4:5], s[4:5], s[8:9]
	s_or_b64 exec, exec, s[6:7]
	s_and_saveexec_b64 s[6:7], s[4:5]
	s_cbranch_execnz .LBB9_663
	s_branch .LBB9_664
.LBB9_2713:
	s_movk_i32 s4, 0x80
	v_cmp_eq_u16_sdwa s[12:13], v6, s4 src0_sel:BYTE_3 src1_sel:DWORD
	s_mov_b64 s[4:5], -1
                                        ; implicit-def: $sgpr10
	s_and_saveexec_b64 s[8:9], s[12:13]
; %bb.2714:
	s_mov_b32 s10, 0x7f800001
	s_xor_b64 s[4:5], exec, -1
; %bb.2715:
	s_or_b64 exec, exec, s[8:9]
	s_and_b64 s[4:5], s[4:5], exec
	s_or_saveexec_b64 s[6:7], s[6:7]
	v_mov_b32_e32 v12, s10
	s_xor_b64 exec, exec, s[6:7]
	s_cbranch_execz .LBB9_666
.LBB9_2716:
	v_mov_b32_e32 v12, 0
	v_cmp_ne_u16_sdwa s[8:9], v6, v12 src0_sel:BYTE_3 src1_sel:DWORD
	s_andn2_b64 s[4:5], s[4:5], exec
	s_and_b64 s[8:9], s[8:9], exec
	s_or_b64 s[4:5], s[4:5], s[8:9]
	s_or_b64 exec, exec, s[6:7]
	s_and_saveexec_b64 s[6:7], s[4:5]
	s_cbranch_execnz .LBB9_667
	s_branch .LBB9_668
.LBB9_2717:
	s_movk_i32 s4, 0x80
	v_cmp_eq_u16_sdwa s[12:13], v2, s4 src0_sel:BYTE_3 src1_sel:DWORD
	s_mov_b64 s[4:5], -1
                                        ; implicit-def: $sgpr10
	s_and_saveexec_b64 s[8:9], s[12:13]
; %bb.2718:
	s_mov_b32 s10, 0x7f800001
	s_xor_b64 s[4:5], exec, -1
; %bb.2719:
	s_or_b64 exec, exec, s[8:9]
	s_and_b64 s[4:5], s[4:5], exec
	s_or_saveexec_b64 s[6:7], s[6:7]
	v_mov_b32_e32 v6, s10
	s_xor_b64 exec, exec, s[6:7]
	s_cbranch_execz .LBB9_670
.LBB9_2720:
	v_mov_b32_e32 v6, 0
	v_cmp_ne_u16_sdwa s[8:9], v2, v6 src0_sel:BYTE_3 src1_sel:DWORD
	s_andn2_b64 s[4:5], s[4:5], exec
	s_and_b64 s[8:9], s[8:9], exec
	s_or_b64 s[4:5], s[4:5], s[8:9]
	s_or_b64 exec, exec, s[6:7]
	s_and_saveexec_b64 s[6:7], s[4:5]
	s_cbranch_execnz .LBB9_671
	s_branch .LBB9_672
.LBB9_2721:
	s_movk_i32 s4, 0x80
	v_cmp_eq_u16_sdwa s[12:13], v7, s4 src0_sel:BYTE_0 src1_sel:DWORD
	s_mov_b64 s[4:5], -1
                                        ; implicit-def: $sgpr10
	s_and_saveexec_b64 s[8:9], s[12:13]
; %bb.2722:
	s_mov_b32 s10, 0x7f800001
	s_xor_b64 s[4:5], exec, -1
; %bb.2723:
	s_or_b64 exec, exec, s[8:9]
	s_and_b64 s[4:5], s[4:5], exec
	s_or_saveexec_b64 s[6:7], s[6:7]
	v_mov_b32_e32 v2, s10
	s_xor_b64 exec, exec, s[6:7]
	s_cbranch_execz .LBB9_674
.LBB9_2724:
	v_mov_b32_e32 v2, 0
	v_cmp_ne_u16_sdwa s[8:9], v7, v2 src0_sel:BYTE_0 src1_sel:DWORD
	s_andn2_b64 s[4:5], s[4:5], exec
	s_and_b64 s[8:9], s[8:9], exec
	s_or_b64 s[4:5], s[4:5], s[8:9]
	s_or_b64 exec, exec, s[6:7]
	s_and_saveexec_b64 s[6:7], s[4:5]
	s_cbranch_execnz .LBB9_675
	s_branch .LBB9_676
.LBB9_2725:
	s_movk_i32 s4, 0x80
	v_cmp_eq_u16_sdwa s[12:13], v3, s4 src0_sel:BYTE_0 src1_sel:DWORD
	s_mov_b64 s[4:5], -1
                                        ; implicit-def: $sgpr10
	s_and_saveexec_b64 s[8:9], s[12:13]
; %bb.2726:
	s_mov_b32 s10, 0x7f800001
	s_xor_b64 s[4:5], exec, -1
; %bb.2727:
	s_or_b64 exec, exec, s[8:9]
	s_and_b64 s[4:5], s[4:5], exec
	s_or_saveexec_b64 s[6:7], s[6:7]
	v_mov_b32_e32 v6, s10
	s_xor_b64 exec, exec, s[6:7]
	s_cbranch_execz .LBB9_678
.LBB9_2728:
	v_mov_b32_e32 v6, 0
	v_cmp_ne_u16_sdwa s[8:9], v3, v6 src0_sel:BYTE_0 src1_sel:DWORD
	s_andn2_b64 s[4:5], s[4:5], exec
	s_and_b64 s[8:9], s[8:9], exec
	s_or_b64 s[4:5], s[4:5], s[8:9]
	s_or_b64 exec, exec, s[6:7]
	s_and_saveexec_b64 s[6:7], s[4:5]
	s_cbranch_execnz .LBB9_679
	s_branch .LBB9_680
.LBB9_2729:
	s_movk_i32 s4, 0x80
	v_cmp_eq_u16_sdwa s[12:13], v6, s4 src0_sel:BYTE_0 src1_sel:DWORD
	s_mov_b64 s[4:5], -1
                                        ; implicit-def: $sgpr10
	s_and_saveexec_b64 s[8:9], s[12:13]
; %bb.2730:
	s_mov_b32 s10, 0x7f800001
	s_xor_b64 s[4:5], exec, -1
; %bb.2731:
	s_or_b64 exec, exec, s[8:9]
	s_and_b64 s[4:5], s[4:5], exec
	s_or_saveexec_b64 s[6:7], s[6:7]
	v_mov_b32_e32 v2, s10
	s_xor_b64 exec, exec, s[6:7]
	s_cbranch_execz .LBB9_682
.LBB9_2732:
	v_mov_b32_e32 v2, 0
	v_cmp_ne_u16_sdwa s[8:9], v6, v2 src0_sel:BYTE_0 src1_sel:DWORD
	s_andn2_b64 s[4:5], s[4:5], exec
	s_and_b64 s[8:9], s[8:9], exec
	s_or_b64 s[4:5], s[4:5], s[8:9]
	s_or_b64 exec, exec, s[6:7]
	s_and_saveexec_b64 s[6:7], s[4:5]
	s_cbranch_execnz .LBB9_683
	s_branch .LBB9_684
.LBB9_2733:
	s_movk_i32 s4, 0x80
	v_cmp_eq_u16_sdwa s[12:13], v6, s4 src0_sel:BYTE_0 src1_sel:DWORD
	s_mov_b64 s[4:5], -1
                                        ; implicit-def: $sgpr10
	s_and_saveexec_b64 s[8:9], s[12:13]
; %bb.2734:
	s_mov_b32 s10, 0x7f800001
	s_xor_b64 s[4:5], exec, -1
; %bb.2735:
	s_or_b64 exec, exec, s[8:9]
	s_and_b64 s[4:5], s[4:5], exec
	s_or_saveexec_b64 s[6:7], s[6:7]
	v_mov_b32_e32 v12, s10
	s_xor_b64 exec, exec, s[6:7]
	s_cbranch_execz .LBB9_686
.LBB9_2736:
	v_mov_b32_e32 v12, 0
	v_cmp_ne_u16_sdwa s[8:9], v6, v12 src0_sel:BYTE_0 src1_sel:DWORD
	s_andn2_b64 s[4:5], s[4:5], exec
	s_and_b64 s[8:9], s[8:9], exec
	s_or_b64 s[4:5], s[4:5], s[8:9]
	s_or_b64 exec, exec, s[6:7]
	s_and_saveexec_b64 s[6:7], s[4:5]
	s_cbranch_execnz .LBB9_687
	s_branch .LBB9_688
.LBB9_2737:
	s_movk_i32 s4, 0x80
	v_cmp_eq_u16_e32 vcc, s4, v6
	s_mov_b64 s[4:5], -1
                                        ; implicit-def: $sgpr10
	s_and_saveexec_b64 s[8:9], vcc
; %bb.2738:
	s_mov_b32 s10, 0x7f800001
	s_xor_b64 s[4:5], exec, -1
; %bb.2739:
	s_or_b64 exec, exec, s[8:9]
	s_and_b64 s[4:5], s[4:5], exec
                                        ; implicit-def: $vgpr6
	s_or_saveexec_b64 s[6:7], s[6:7]
	v_mov_b32_e32 v2, s10
	s_xor_b64 exec, exec, s[6:7]
	s_cbranch_execz .LBB9_690
.LBB9_2740:
	v_cmp_ne_u16_e32 vcc, 0, v6
	s_andn2_b64 s[4:5], s[4:5], exec
	s_and_b64 s[8:9], vcc, exec
	v_mov_b32_e32 v2, 0
	s_or_b64 s[4:5], s[4:5], s[8:9]
	s_or_b64 exec, exec, s[6:7]
	s_and_saveexec_b64 s[6:7], s[4:5]
	s_cbranch_execnz .LBB9_691
	s_branch .LBB9_692
.LBB9_2741:
	s_movk_i32 s4, 0x80
	v_cmp_eq_u16_e32 vcc, s4, v6
	s_mov_b64 s[4:5], -1
                                        ; implicit-def: $sgpr10
	s_and_saveexec_b64 s[8:9], vcc
; %bb.2742:
	s_mov_b32 s10, 0x7f800001
	s_xor_b64 s[4:5], exec, -1
; %bb.2743:
	s_or_b64 exec, exec, s[8:9]
	s_and_b64 s[4:5], s[4:5], exec
                                        ; implicit-def: $vgpr6
	s_or_saveexec_b64 s[6:7], s[6:7]
	v_mov_b32_e32 v12, s10
	s_xor_b64 exec, exec, s[6:7]
	s_cbranch_execz .LBB9_694
.LBB9_2744:
	v_cmp_ne_u16_e32 vcc, 0, v6
	s_andn2_b64 s[4:5], s[4:5], exec
	s_and_b64 s[8:9], vcc, exec
	v_mov_b32_e32 v12, 0
	s_or_b64 s[4:5], s[4:5], s[8:9]
	s_or_b64 exec, exec, s[6:7]
	s_and_saveexec_b64 s[6:7], s[4:5]
	s_cbranch_execnz .LBB9_695
	s_branch .LBB9_696
.LBB9_2745:
	s_movk_i32 s4, 0x80
	v_cmp_eq_u16_sdwa s[12:13], v7, s4 src0_sel:BYTE_3 src1_sel:DWORD
	s_mov_b64 s[4:5], -1
                                        ; implicit-def: $sgpr10
	s_and_saveexec_b64 s[8:9], s[12:13]
; %bb.2746:
	s_mov_b32 s10, 0x7f800001
	s_xor_b64 s[4:5], exec, -1
; %bb.2747:
	s_or_b64 exec, exec, s[8:9]
	s_and_b64 s[4:5], s[4:5], exec
	s_or_saveexec_b64 s[6:7], s[6:7]
	v_mov_b32_e32 v2, s10
	s_xor_b64 exec, exec, s[6:7]
	s_cbranch_execz .LBB9_698
.LBB9_2748:
	v_mov_b32_e32 v2, 0
	v_cmp_ne_u16_sdwa s[8:9], v7, v2 src0_sel:BYTE_3 src1_sel:DWORD
	s_andn2_b64 s[4:5], s[4:5], exec
	s_and_b64 s[8:9], s[8:9], exec
	s_or_b64 s[4:5], s[4:5], s[8:9]
	s_or_b64 exec, exec, s[6:7]
	s_and_saveexec_b64 s[6:7], s[4:5]
	s_cbranch_execnz .LBB9_699
	s_branch .LBB9_700
.LBB9_2749:
	s_movk_i32 s4, 0x80
	v_cmp_eq_u16_sdwa s[12:13], v3, s4 src0_sel:BYTE_3 src1_sel:DWORD
	s_mov_b64 s[4:5], -1
                                        ; implicit-def: $sgpr10
	s_and_saveexec_b64 s[8:9], s[12:13]
; %bb.2750:
	s_mov_b32 s10, 0x7f800001
	s_xor_b64 s[4:5], exec, -1
; %bb.2751:
	s_or_b64 exec, exec, s[8:9]
	s_and_b64 s[4:5], s[4:5], exec
	s_or_saveexec_b64 s[6:7], s[6:7]
	v_mov_b32_e32 v6, s10
	s_xor_b64 exec, exec, s[6:7]
	s_cbranch_execz .LBB9_702
.LBB9_2752:
	v_mov_b32_e32 v6, 0
	v_cmp_ne_u16_sdwa s[8:9], v3, v6 src0_sel:BYTE_3 src1_sel:DWORD
	s_andn2_b64 s[4:5], s[4:5], exec
	s_and_b64 s[8:9], s[8:9], exec
	s_or_b64 s[4:5], s[4:5], s[8:9]
	s_or_b64 exec, exec, s[6:7]
	s_and_saveexec_b64 s[6:7], s[4:5]
	s_cbranch_execnz .LBB9_703
	s_branch .LBB9_704
.LBB9_2753:
	s_movk_i32 s4, 0x80
	v_cmp_eq_u16_sdwa s[12:13], v8, s4 src0_sel:BYTE_0 src1_sel:DWORD
	s_mov_b64 s[4:5], -1
                                        ; implicit-def: $sgpr10
	s_and_saveexec_b64 s[8:9], s[12:13]
; %bb.2754:
	s_mov_b32 s10, 0x7f800001
	s_xor_b64 s[4:5], exec, -1
; %bb.2755:
	s_or_b64 exec, exec, s[8:9]
	s_and_b64 s[4:5], s[4:5], exec
	s_or_saveexec_b64 s[6:7], s[6:7]
	v_mov_b32_e32 v2, s10
	s_xor_b64 exec, exec, s[6:7]
	s_cbranch_execz .LBB9_706
.LBB9_2756:
	v_mov_b32_e32 v2, 0
	v_cmp_ne_u16_sdwa s[8:9], v8, v2 src0_sel:BYTE_0 src1_sel:DWORD
	s_andn2_b64 s[4:5], s[4:5], exec
	s_and_b64 s[8:9], s[8:9], exec
	s_or_b64 s[4:5], s[4:5], s[8:9]
	s_or_b64 exec, exec, s[6:7]
	s_and_saveexec_b64 s[6:7], s[4:5]
	s_cbranch_execnz .LBB9_707
	s_branch .LBB9_708
.LBB9_2757:
	s_movk_i32 s4, 0x80
	v_cmp_eq_u16_sdwa s[12:13], v4, s4 src0_sel:BYTE_0 src1_sel:DWORD
	s_mov_b64 s[4:5], -1
                                        ; implicit-def: $sgpr10
	s_and_saveexec_b64 s[8:9], s[12:13]
; %bb.2758:
	s_mov_b32 s10, 0x7f800001
	s_xor_b64 s[4:5], exec, -1
; %bb.2759:
	s_or_b64 exec, exec, s[8:9]
	s_and_b64 s[4:5], s[4:5], exec
	s_or_saveexec_b64 s[6:7], s[6:7]
	v_mov_b32_e32 v3, s10
	s_xor_b64 exec, exec, s[6:7]
	s_cbranch_execz .LBB9_710
.LBB9_2760:
	v_mov_b32_e32 v3, 0
	v_cmp_ne_u16_sdwa s[8:9], v4, v3 src0_sel:BYTE_0 src1_sel:DWORD
	s_andn2_b64 s[4:5], s[4:5], exec
	s_and_b64 s[8:9], s[8:9], exec
	s_or_b64 s[4:5], s[4:5], s[8:9]
	s_or_b64 exec, exec, s[6:7]
	s_and_saveexec_b64 s[6:7], s[4:5]
	s_cbranch_execnz .LBB9_711
	s_branch .LBB9_712
.LBB9_2761:
	s_movk_i32 s4, 0x80
	v_cmp_eq_u16_sdwa s[12:13], v3, s4 src0_sel:BYTE_0 src1_sel:DWORD
	s_mov_b64 s[4:5], -1
                                        ; implicit-def: $sgpr10
	s_and_saveexec_b64 s[8:9], s[12:13]
; %bb.2762:
	s_mov_b32 s10, 0x7f800001
	s_xor_b64 s[4:5], exec, -1
; %bb.2763:
	s_or_b64 exec, exec, s[8:9]
	s_and_b64 s[4:5], s[4:5], exec
	s_or_saveexec_b64 s[6:7], s[6:7]
	v_mov_b32_e32 v2, s10
	s_xor_b64 exec, exec, s[6:7]
	s_cbranch_execz .LBB9_714
.LBB9_2764:
	v_mov_b32_e32 v2, 0
	v_cmp_ne_u16_sdwa s[8:9], v3, v2 src0_sel:BYTE_0 src1_sel:DWORD
	s_andn2_b64 s[4:5], s[4:5], exec
	s_and_b64 s[8:9], s[8:9], exec
	s_or_b64 s[4:5], s[4:5], s[8:9]
	s_or_b64 exec, exec, s[6:7]
	s_and_saveexec_b64 s[6:7], s[4:5]
	s_cbranch_execnz .LBB9_715
	s_branch .LBB9_716
.LBB9_2765:
	s_movk_i32 s4, 0x80
	v_cmp_eq_u16_sdwa s[12:13], v3, s4 src0_sel:BYTE_0 src1_sel:DWORD
	s_mov_b64 s[4:5], -1
                                        ; implicit-def: $sgpr10
	s_and_saveexec_b64 s[8:9], s[12:13]
; %bb.2766:
	s_mov_b32 s10, 0x7f800001
	s_xor_b64 s[4:5], exec, -1
; %bb.2767:
	s_or_b64 exec, exec, s[8:9]
	s_and_b64 s[4:5], s[4:5], exec
	s_or_saveexec_b64 s[6:7], s[6:7]
	v_mov_b32_e32 v6, s10
	s_xor_b64 exec, exec, s[6:7]
	s_cbranch_execz .LBB9_718
.LBB9_2768:
	v_mov_b32_e32 v6, 0
	v_cmp_ne_u16_sdwa s[8:9], v3, v6 src0_sel:BYTE_0 src1_sel:DWORD
	s_andn2_b64 s[4:5], s[4:5], exec
	s_and_b64 s[8:9], s[8:9], exec
	s_or_b64 s[4:5], s[4:5], s[8:9]
	s_or_b64 exec, exec, s[6:7]
	s_and_saveexec_b64 s[6:7], s[4:5]
	s_cbranch_execnz .LBB9_719
	s_branch .LBB9_720
.LBB9_2769:
	s_movk_i32 s4, 0x80
	v_cmp_eq_u16_e32 vcc, s4, v3
	s_mov_b64 s[4:5], -1
                                        ; implicit-def: $sgpr10
	s_and_saveexec_b64 s[8:9], vcc
; %bb.2770:
	s_mov_b32 s10, 0x7f800001
	s_xor_b64 s[4:5], exec, -1
; %bb.2771:
	s_or_b64 exec, exec, s[8:9]
	s_and_b64 s[4:5], s[4:5], exec
                                        ; implicit-def: $vgpr3
	s_or_saveexec_b64 s[6:7], s[6:7]
	v_mov_b32_e32 v2, s10
	s_xor_b64 exec, exec, s[6:7]
	s_cbranch_execz .LBB9_722
.LBB9_2772:
	v_cmp_ne_u16_e32 vcc, 0, v3
	s_andn2_b64 s[4:5], s[4:5], exec
	s_and_b64 s[8:9], vcc, exec
	v_mov_b32_e32 v2, 0
	s_or_b64 s[4:5], s[4:5], s[8:9]
	s_or_b64 exec, exec, s[6:7]
	s_and_saveexec_b64 s[6:7], s[4:5]
	s_cbranch_execnz .LBB9_723
	s_branch .LBB9_724
.LBB9_2773:
	s_movk_i32 s4, 0x80
	v_cmp_eq_u16_e32 vcc, s4, v3
	s_mov_b64 s[4:5], -1
                                        ; implicit-def: $sgpr10
	s_and_saveexec_b64 s[8:9], vcc
; %bb.2774:
	s_mov_b32 s10, 0x7f800001
	s_xor_b64 s[4:5], exec, -1
; %bb.2775:
	s_or_b64 exec, exec, s[8:9]
	s_and_b64 s[4:5], s[4:5], exec
                                        ; implicit-def: $vgpr3
	s_or_saveexec_b64 s[6:7], s[6:7]
	v_mov_b32_e32 v6, s10
	s_xor_b64 exec, exec, s[6:7]
	s_cbranch_execz .LBB9_726
.LBB9_2776:
	v_cmp_ne_u16_e32 vcc, 0, v3
	s_andn2_b64 s[4:5], s[4:5], exec
	s_and_b64 s[8:9], vcc, exec
	v_mov_b32_e32 v6, 0
	s_or_b64 s[4:5], s[4:5], s[8:9]
	s_or_b64 exec, exec, s[6:7]
	s_and_saveexec_b64 s[6:7], s[4:5]
	s_cbranch_execnz .LBB9_727
	s_branch .LBB9_728
.LBB9_2777:
	s_movk_i32 s4, 0x80
	v_cmp_eq_u16_sdwa s[12:13], v8, s4 src0_sel:BYTE_3 src1_sel:DWORD
	s_mov_b64 s[4:5], -1
                                        ; implicit-def: $sgpr10
	s_and_saveexec_b64 s[8:9], s[12:13]
; %bb.2778:
	s_mov_b32 s10, 0x7f800001
	s_xor_b64 s[4:5], exec, -1
; %bb.2779:
	s_or_b64 exec, exec, s[8:9]
	s_and_b64 s[4:5], s[4:5], exec
	s_or_saveexec_b64 s[6:7], s[6:7]
	v_mov_b32_e32 v2, s10
	s_xor_b64 exec, exec, s[6:7]
	s_cbranch_execz .LBB9_730
.LBB9_2780:
	v_mov_b32_e32 v2, 0
	v_cmp_ne_u16_sdwa s[8:9], v8, v2 src0_sel:BYTE_3 src1_sel:DWORD
	s_andn2_b64 s[4:5], s[4:5], exec
	s_and_b64 s[8:9], s[8:9], exec
	s_or_b64 s[4:5], s[4:5], s[8:9]
	s_or_b64 exec, exec, s[6:7]
	s_and_saveexec_b64 s[6:7], s[4:5]
	s_cbranch_execnz .LBB9_731
	s_branch .LBB9_732
.LBB9_2781:
	s_movk_i32 s4, 0x80
	v_cmp_eq_u16_sdwa s[12:13], v4, s4 src0_sel:BYTE_3 src1_sel:DWORD
	s_mov_b64 s[4:5], -1
                                        ; implicit-def: $sgpr10
	s_and_saveexec_b64 s[8:9], s[12:13]
; %bb.2782:
	s_mov_b32 s10, 0x7f800001
	s_xor_b64 s[4:5], exec, -1
; %bb.2783:
	s_or_b64 exec, exec, s[8:9]
	s_and_b64 s[4:5], s[4:5], exec
	s_or_saveexec_b64 s[6:7], s[6:7]
	v_mov_b32_e32 v3, s10
	s_xor_b64 exec, exec, s[6:7]
	s_cbranch_execz .LBB9_734
.LBB9_2784:
	v_mov_b32_e32 v3, 0
	v_cmp_ne_u16_sdwa s[8:9], v4, v3 src0_sel:BYTE_3 src1_sel:DWORD
	s_andn2_b64 s[4:5], s[4:5], exec
	s_and_b64 s[8:9], s[8:9], exec
	s_or_b64 s[4:5], s[4:5], s[8:9]
	s_or_b64 exec, exec, s[6:7]
	s_and_saveexec_b64 s[6:7], s[4:5]
	s_cbranch_execnz .LBB9_735
	s_branch .LBB9_736
.LBB9_2785:
	s_movk_i32 s4, 0x80
	v_cmp_eq_u16_sdwa s[12:13], v9, s4 src0_sel:BYTE_0 src1_sel:DWORD
	s_mov_b64 s[4:5], -1
                                        ; implicit-def: $sgpr10
	s_and_saveexec_b64 s[8:9], s[12:13]
; %bb.2786:
	s_mov_b32 s10, 0x7f800001
	s_xor_b64 s[4:5], exec, -1
; %bb.2787:
	s_or_b64 exec, exec, s[8:9]
	s_and_b64 s[4:5], s[4:5], exec
	s_or_saveexec_b64 s[6:7], s[6:7]
	v_mov_b32_e32 v2, s10
	s_xor_b64 exec, exec, s[6:7]
	s_cbranch_execz .LBB9_738
.LBB9_2788:
	v_mov_b32_e32 v2, 0
	v_cmp_ne_u16_sdwa s[8:9], v9, v2 src0_sel:BYTE_0 src1_sel:DWORD
	s_andn2_b64 s[4:5], s[4:5], exec
	s_and_b64 s[8:9], s[8:9], exec
	s_or_b64 s[4:5], s[4:5], s[8:9]
	s_or_b64 exec, exec, s[6:7]
	s_and_saveexec_b64 s[6:7], s[4:5]
	s_cbranch_execnz .LBB9_739
	s_branch .LBB9_740
.LBB9_2789:
	s_movk_i32 s4, 0x80
	v_cmp_eq_u16_sdwa s[12:13], v5, s4 src0_sel:BYTE_0 src1_sel:DWORD
	s_mov_b64 s[4:5], -1
                                        ; implicit-def: $sgpr10
	s_and_saveexec_b64 s[8:9], s[12:13]
; %bb.2790:
	s_mov_b32 s10, 0x7f800001
	s_xor_b64 s[4:5], exec, -1
; %bb.2791:
	s_or_b64 exec, exec, s[8:9]
	s_and_b64 s[4:5], s[4:5], exec
	s_or_saveexec_b64 s[6:7], s[6:7]
	v_mov_b32_e32 v3, s10
	s_xor_b64 exec, exec, s[6:7]
	s_cbranch_execz .LBB9_742
.LBB9_2792:
	v_mov_b32_e32 v3, 0
	v_cmp_ne_u16_sdwa s[8:9], v5, v3 src0_sel:BYTE_0 src1_sel:DWORD
	s_andn2_b64 s[4:5], s[4:5], exec
	s_and_b64 s[8:9], s[8:9], exec
	s_or_b64 s[4:5], s[4:5], s[8:9]
	s_or_b64 exec, exec, s[6:7]
	s_and_saveexec_b64 s[6:7], s[4:5]
	s_cbranch_execnz .LBB9_743
	s_branch .LBB9_744
.LBB9_2793:
	s_movk_i32 s4, 0x80
	v_cmp_eq_u16_sdwa s[12:13], v3, s4 src0_sel:BYTE_0 src1_sel:DWORD
	s_mov_b64 s[4:5], -1
                                        ; implicit-def: $sgpr10
	s_and_saveexec_b64 s[8:9], s[12:13]
; %bb.2794:
	s_mov_b32 s10, 0x7f800001
	s_xor_b64 s[4:5], exec, -1
; %bb.2795:
	s_or_b64 exec, exec, s[8:9]
	s_and_b64 s[4:5], s[4:5], exec
	s_or_saveexec_b64 s[6:7], s[6:7]
	v_mov_b32_e32 v2, s10
	s_xor_b64 exec, exec, s[6:7]
	s_cbranch_execz .LBB9_746
.LBB9_2796:
	v_mov_b32_e32 v2, 0
	v_cmp_ne_u16_sdwa s[8:9], v3, v2 src0_sel:BYTE_0 src1_sel:DWORD
	s_andn2_b64 s[4:5], s[4:5], exec
	s_and_b64 s[8:9], s[8:9], exec
	s_or_b64 s[4:5], s[4:5], s[8:9]
	s_or_b64 exec, exec, s[6:7]
	s_and_saveexec_b64 s[6:7], s[4:5]
	s_cbranch_execnz .LBB9_747
	s_branch .LBB9_748
.LBB9_2797:
	s_movk_i32 s4, 0x80
	v_cmp_eq_u16_sdwa s[12:13], v3, s4 src0_sel:BYTE_0 src1_sel:DWORD
	s_mov_b64 s[4:5], -1
                                        ; implicit-def: $sgpr10
	s_and_saveexec_b64 s[8:9], s[12:13]
; %bb.2798:
	s_mov_b32 s10, 0x7f800001
	s_xor_b64 s[4:5], exec, -1
; %bb.2799:
	s_or_b64 exec, exec, s[8:9]
	s_and_b64 s[4:5], s[4:5], exec
	s_or_saveexec_b64 s[6:7], s[6:7]
	v_mov_b32_e32 v4, s10
	s_xor_b64 exec, exec, s[6:7]
	s_cbranch_execz .LBB9_750
.LBB9_2800:
	v_mov_b32_e32 v4, 0
	v_cmp_ne_u16_sdwa s[8:9], v3, v4 src0_sel:BYTE_0 src1_sel:DWORD
	s_andn2_b64 s[4:5], s[4:5], exec
	s_and_b64 s[8:9], s[8:9], exec
	s_or_b64 s[4:5], s[4:5], s[8:9]
	s_or_b64 exec, exec, s[6:7]
	s_and_saveexec_b64 s[6:7], s[4:5]
	s_cbranch_execnz .LBB9_751
	s_branch .LBB9_752
.LBB9_2801:
	s_movk_i32 s4, 0x80
	v_cmp_eq_u16_e32 vcc, s4, v3
	s_mov_b64 s[4:5], -1
                                        ; implicit-def: $sgpr10
	s_and_saveexec_b64 s[8:9], vcc
; %bb.2802:
	s_mov_b32 s10, 0x7f800001
	s_xor_b64 s[4:5], exec, -1
; %bb.2803:
	s_or_b64 exec, exec, s[8:9]
	s_and_b64 s[4:5], s[4:5], exec
                                        ; implicit-def: $vgpr3
	s_or_saveexec_b64 s[6:7], s[6:7]
	v_mov_b32_e32 v2, s10
	s_xor_b64 exec, exec, s[6:7]
	s_cbranch_execz .LBB9_754
.LBB9_2804:
	v_cmp_ne_u16_e32 vcc, 0, v3
	s_andn2_b64 s[4:5], s[4:5], exec
	s_and_b64 s[8:9], vcc, exec
	v_mov_b32_e32 v2, 0
	s_or_b64 s[4:5], s[4:5], s[8:9]
	s_or_b64 exec, exec, s[6:7]
	s_and_saveexec_b64 s[6:7], s[4:5]
	s_cbranch_execnz .LBB9_755
	s_branch .LBB9_756
.LBB9_2805:
	s_movk_i32 s4, 0x80
	v_cmp_eq_u16_e32 vcc, s4, v3
	s_mov_b64 s[4:5], -1
                                        ; implicit-def: $sgpr10
	s_and_saveexec_b64 s[8:9], vcc
; %bb.2806:
	s_mov_b32 s10, 0x7f800001
	s_xor_b64 s[4:5], exec, -1
; %bb.2807:
	s_or_b64 exec, exec, s[8:9]
	s_and_b64 s[4:5], s[4:5], exec
                                        ; implicit-def: $vgpr3
	s_or_saveexec_b64 s[6:7], s[6:7]
	v_mov_b32_e32 v4, s10
	s_xor_b64 exec, exec, s[6:7]
	s_cbranch_execz .LBB9_758
.LBB9_2808:
	v_cmp_ne_u16_e32 vcc, 0, v3
	s_andn2_b64 s[4:5], s[4:5], exec
	s_and_b64 s[8:9], vcc, exec
	v_mov_b32_e32 v4, 0
	s_or_b64 s[4:5], s[4:5], s[8:9]
	s_or_b64 exec, exec, s[6:7]
	s_and_saveexec_b64 s[6:7], s[4:5]
	s_cbranch_execnz .LBB9_759
	s_branch .LBB9_760
.LBB9_2809:
	s_movk_i32 s4, 0x80
	v_cmp_eq_u16_sdwa s[12:13], v9, s4 src0_sel:BYTE_3 src1_sel:DWORD
	s_mov_b64 s[4:5], -1
                                        ; implicit-def: $sgpr10
	s_and_saveexec_b64 s[8:9], s[12:13]
; %bb.2810:
	s_mov_b32 s10, 0x7f800001
	s_xor_b64 s[4:5], exec, -1
; %bb.2811:
	s_or_b64 exec, exec, s[8:9]
	s_and_b64 s[4:5], s[4:5], exec
	s_or_saveexec_b64 s[6:7], s[6:7]
	v_mov_b32_e32 v2, s10
	s_xor_b64 exec, exec, s[6:7]
	s_cbranch_execz .LBB9_762
.LBB9_2812:
	v_mov_b32_e32 v2, 0
	v_cmp_ne_u16_sdwa s[8:9], v9, v2 src0_sel:BYTE_3 src1_sel:DWORD
	s_andn2_b64 s[4:5], s[4:5], exec
	s_and_b64 s[8:9], s[8:9], exec
	s_or_b64 s[4:5], s[4:5], s[8:9]
	s_or_b64 exec, exec, s[6:7]
	s_and_saveexec_b64 s[6:7], s[4:5]
	s_cbranch_execnz .LBB9_763
	s_branch .LBB9_764
.LBB9_2813:
	s_movk_i32 s4, 0x80
	v_cmp_eq_u16_sdwa s[12:13], v5, s4 src0_sel:BYTE_3 src1_sel:DWORD
	s_mov_b64 s[4:5], -1
                                        ; implicit-def: $sgpr10
	s_and_saveexec_b64 s[8:9], s[12:13]
; %bb.2814:
	s_mov_b32 s10, 0x7f800001
	s_xor_b64 s[4:5], exec, -1
; %bb.2815:
	s_or_b64 exec, exec, s[8:9]
	s_and_b64 s[4:5], s[4:5], exec
	s_or_saveexec_b64 s[6:7], s[6:7]
	v_mov_b32_e32 v3, s10
	s_xor_b64 exec, exec, s[6:7]
	s_cbranch_execz .LBB9_766
.LBB9_2816:
	v_mov_b32_e32 v3, 0
	v_cmp_ne_u16_sdwa s[8:9], v5, v3 src0_sel:BYTE_3 src1_sel:DWORD
	s_andn2_b64 s[4:5], s[4:5], exec
	s_and_b64 s[8:9], s[8:9], exec
	s_or_b64 s[4:5], s[4:5], s[8:9]
	s_or_b64 exec, exec, s[6:7]
	s_and_saveexec_b64 s[6:7], s[4:5]
	s_cbranch_execnz .LBB9_767
	s_branch .LBB9_768
.LBB9_2817:
	s_movk_i32 s4, 0x80
	v_cmp_eq_u16_sdwa s[12:13], v6, s4 src0_sel:BYTE_0 src1_sel:DWORD
	s_mov_b64 s[4:5], -1
                                        ; implicit-def: $sgpr10
	s_and_saveexec_b64 s[8:9], s[12:13]
; %bb.2818:
	s_mov_b32 s10, 0x7f800001
	s_xor_b64 s[4:5], exec, -1
; %bb.2819:
	s_or_b64 exec, exec, s[8:9]
	s_and_b64 s[4:5], s[4:5], exec
	s_or_saveexec_b64 s[6:7], s[6:7]
	v_mov_b32_e32 v12, s10
	s_xor_b64 exec, exec, s[6:7]
	s_cbranch_execz .LBB9_770
.LBB9_2820:
	v_mov_b32_e32 v12, 0
	v_cmp_ne_u16_sdwa s[8:9], v6, v12 src0_sel:BYTE_0 src1_sel:DWORD
	s_andn2_b64 s[4:5], s[4:5], exec
	s_and_b64 s[8:9], s[8:9], exec
	s_or_b64 s[4:5], s[4:5], s[8:9]
	s_or_b64 exec, exec, s[6:7]
	s_and_saveexec_b64 s[6:7], s[4:5]
	s_cbranch_execnz .LBB9_771
	s_branch .LBB9_772
.LBB9_2821:
	s_movk_i32 s4, 0x80
	v_cmp_eq_u16_sdwa s[12:13], v2, s4 src0_sel:BYTE_0 src1_sel:DWORD
	s_mov_b64 s[4:5], -1
                                        ; implicit-def: $sgpr10
	s_and_saveexec_b64 s[8:9], s[12:13]
; %bb.2822:
	s_mov_b32 s10, 0x7f800001
	s_xor_b64 s[4:5], exec, -1
; %bb.2823:
	s_or_b64 exec, exec, s[8:9]
	s_and_b64 s[4:5], s[4:5], exec
	s_or_saveexec_b64 s[6:7], s[6:7]
	v_mov_b32_e32 v13, s10
	s_xor_b64 exec, exec, s[6:7]
	s_cbranch_execz .LBB9_774
.LBB9_2824:
	v_mov_b32_e32 v13, 0
	v_cmp_ne_u16_sdwa s[8:9], v2, v13 src0_sel:BYTE_0 src1_sel:DWORD
	s_andn2_b64 s[4:5], s[4:5], exec
	s_and_b64 s[8:9], s[8:9], exec
	s_or_b64 s[4:5], s[4:5], s[8:9]
	s_or_b64 exec, exec, s[6:7]
	s_and_saveexec_b64 s[6:7], s[4:5]
	s_cbranch_execnz .LBB9_775
	s_branch .LBB9_776
.LBB9_2825:
	s_movk_i32 s4, 0x80
	v_cmp_eq_u16_sdwa s[12:13], v13, s4 src0_sel:BYTE_0 src1_sel:DWORD
	s_mov_b64 s[4:5], -1
                                        ; implicit-def: $sgpr10
	s_and_saveexec_b64 s[8:9], s[12:13]
; %bb.2826:
	s_mov_b32 s10, 0x7f800001
	s_xor_b64 s[4:5], exec, -1
; %bb.2827:
	s_or_b64 exec, exec, s[8:9]
	s_and_b64 s[4:5], s[4:5], exec
	s_or_saveexec_b64 s[6:7], s[6:7]
	v_mov_b32_e32 v12, s10
	s_xor_b64 exec, exec, s[6:7]
	s_cbranch_execz .LBB9_778
.LBB9_2828:
	v_mov_b32_e32 v12, 0
	v_cmp_ne_u16_sdwa s[8:9], v13, v12 src0_sel:BYTE_0 src1_sel:DWORD
	s_andn2_b64 s[4:5], s[4:5], exec
	s_and_b64 s[8:9], s[8:9], exec
	s_or_b64 s[4:5], s[4:5], s[8:9]
	s_or_b64 exec, exec, s[6:7]
	s_and_saveexec_b64 s[6:7], s[4:5]
	s_cbranch_execnz .LBB9_779
	s_branch .LBB9_780
.LBB9_2829:
	s_movk_i32 s4, 0x80
	v_cmp_eq_u16_sdwa s[12:13], v13, s4 src0_sel:BYTE_0 src1_sel:DWORD
	s_mov_b64 s[4:5], -1
                                        ; implicit-def: $sgpr10
	s_and_saveexec_b64 s[8:9], s[12:13]
; %bb.2830:
	s_mov_b32 s10, 0x7f800001
	s_xor_b64 s[4:5], exec, -1
; %bb.2831:
	s_or_b64 exec, exec, s[8:9]
	s_and_b64 s[4:5], s[4:5], exec
	s_or_saveexec_b64 s[6:7], s[6:7]
	v_mov_b32_e32 v14, s10
	s_xor_b64 exec, exec, s[6:7]
	s_cbranch_execz .LBB9_782
.LBB9_2832:
	v_mov_b32_e32 v14, 0
	v_cmp_ne_u16_sdwa s[8:9], v13, v14 src0_sel:BYTE_0 src1_sel:DWORD
	s_andn2_b64 s[4:5], s[4:5], exec
	s_and_b64 s[8:9], s[8:9], exec
	s_or_b64 s[4:5], s[4:5], s[8:9]
	s_or_b64 exec, exec, s[6:7]
	s_and_saveexec_b64 s[6:7], s[4:5]
	s_cbranch_execnz .LBB9_783
	s_branch .LBB9_784
.LBB9_2833:
	s_movk_i32 s4, 0x80
	v_cmp_eq_u16_e32 vcc, s4, v13
	s_mov_b64 s[4:5], -1
                                        ; implicit-def: $sgpr10
	s_and_saveexec_b64 s[8:9], vcc
; %bb.2834:
	s_mov_b32 s10, 0x7f800001
	s_xor_b64 s[4:5], exec, -1
; %bb.2835:
	s_or_b64 exec, exec, s[8:9]
	s_and_b64 s[4:5], s[4:5], exec
                                        ; implicit-def: $vgpr13
	s_or_saveexec_b64 s[6:7], s[6:7]
	v_mov_b32_e32 v12, s10
	s_xor_b64 exec, exec, s[6:7]
	s_cbranch_execz .LBB9_786
.LBB9_2836:
	v_cmp_ne_u16_e32 vcc, 0, v13
	s_andn2_b64 s[4:5], s[4:5], exec
	s_and_b64 s[8:9], vcc, exec
	v_mov_b32_e32 v12, 0
	s_or_b64 s[4:5], s[4:5], s[8:9]
	s_or_b64 exec, exec, s[6:7]
	s_and_saveexec_b64 s[6:7], s[4:5]
	s_cbranch_execnz .LBB9_787
	s_branch .LBB9_788
.LBB9_2837:
	s_movk_i32 s4, 0x80
	v_cmp_eq_u16_e32 vcc, s4, v13
	s_mov_b64 s[4:5], -1
                                        ; implicit-def: $sgpr10
	s_and_saveexec_b64 s[8:9], vcc
; %bb.2838:
	s_mov_b32 s10, 0x7f800001
	s_xor_b64 s[4:5], exec, -1
; %bb.2839:
	s_or_b64 exec, exec, s[8:9]
	s_and_b64 s[4:5], s[4:5], exec
                                        ; implicit-def: $vgpr13
	s_or_saveexec_b64 s[6:7], s[6:7]
	v_mov_b32_e32 v14, s10
	s_xor_b64 exec, exec, s[6:7]
	s_cbranch_execz .LBB9_790
.LBB9_2840:
	v_cmp_ne_u16_e32 vcc, 0, v13
	s_andn2_b64 s[4:5], s[4:5], exec
	s_and_b64 s[8:9], vcc, exec
	v_mov_b32_e32 v14, 0
	s_or_b64 s[4:5], s[4:5], s[8:9]
	s_or_b64 exec, exec, s[6:7]
	s_and_saveexec_b64 s[6:7], s[4:5]
	s_cbranch_execnz .LBB9_791
	s_branch .LBB9_792
.LBB9_2841:
	s_movk_i32 s4, 0x80
	v_cmp_eq_u16_sdwa s[12:13], v6, s4 src0_sel:BYTE_3 src1_sel:DWORD
	s_mov_b64 s[4:5], -1
                                        ; implicit-def: $sgpr10
	s_and_saveexec_b64 s[8:9], s[12:13]
; %bb.2842:
	s_mov_b32 s10, 0x7f800001
	s_xor_b64 s[4:5], exec, -1
; %bb.2843:
	s_or_b64 exec, exec, s[8:9]
	s_and_b64 s[4:5], s[4:5], exec
	s_or_saveexec_b64 s[6:7], s[6:7]
	v_mov_b32_e32 v12, s10
	s_xor_b64 exec, exec, s[6:7]
	s_cbranch_execz .LBB9_794
.LBB9_2844:
	v_mov_b32_e32 v12, 0
	v_cmp_ne_u16_sdwa s[8:9], v6, v12 src0_sel:BYTE_3 src1_sel:DWORD
	s_andn2_b64 s[4:5], s[4:5], exec
	s_and_b64 s[8:9], s[8:9], exec
	s_or_b64 s[4:5], s[4:5], s[8:9]
	s_or_b64 exec, exec, s[6:7]
	s_and_saveexec_b64 s[6:7], s[4:5]
	s_cbranch_execnz .LBB9_795
	s_branch .LBB9_796
.LBB9_2845:
	s_movk_i32 s4, 0x80
	v_cmp_eq_u16_sdwa s[12:13], v2, s4 src0_sel:BYTE_3 src1_sel:DWORD
	s_mov_b64 s[4:5], -1
                                        ; implicit-def: $sgpr10
	s_and_saveexec_b64 s[8:9], s[12:13]
; %bb.2846:
	s_mov_b32 s10, 0x7f800001
	s_xor_b64 s[4:5], exec, -1
; %bb.2847:
	s_or_b64 exec, exec, s[8:9]
	s_and_b64 s[4:5], s[4:5], exec
	s_or_saveexec_b64 s[6:7], s[6:7]
	v_mov_b32_e32 v6, s10
	s_xor_b64 exec, exec, s[6:7]
	s_cbranch_execz .LBB9_798
.LBB9_2848:
	v_mov_b32_e32 v6, 0
	v_cmp_ne_u16_sdwa s[8:9], v2, v6 src0_sel:BYTE_3 src1_sel:DWORD
	s_andn2_b64 s[4:5], s[4:5], exec
	s_and_b64 s[8:9], s[8:9], exec
	s_or_b64 s[4:5], s[4:5], s[8:9]
	s_or_b64 exec, exec, s[6:7]
	s_and_saveexec_b64 s[6:7], s[4:5]
	s_cbranch_execnz .LBB9_799
	s_branch .LBB9_800
.LBB9_2849:
	s_movk_i32 s4, 0x80
	v_cmp_eq_u16_sdwa s[12:13], v7, s4 src0_sel:BYTE_0 src1_sel:DWORD
	s_mov_b64 s[4:5], -1
                                        ; implicit-def: $sgpr10
	s_and_saveexec_b64 s[8:9], s[12:13]
; %bb.2850:
	s_mov_b32 s10, 0x7f800001
	s_xor_b64 s[4:5], exec, -1
; %bb.2851:
	s_or_b64 exec, exec, s[8:9]
	s_and_b64 s[4:5], s[4:5], exec
	s_or_saveexec_b64 s[6:7], s[6:7]
	v_mov_b32_e32 v2, s10
	s_xor_b64 exec, exec, s[6:7]
	s_cbranch_execz .LBB9_802
.LBB9_2852:
	v_mov_b32_e32 v2, 0
	v_cmp_ne_u16_sdwa s[8:9], v7, v2 src0_sel:BYTE_0 src1_sel:DWORD
	s_andn2_b64 s[4:5], s[4:5], exec
	s_and_b64 s[8:9], s[8:9], exec
	s_or_b64 s[4:5], s[4:5], s[8:9]
	s_or_b64 exec, exec, s[6:7]
	s_and_saveexec_b64 s[6:7], s[4:5]
	s_cbranch_execnz .LBB9_803
	s_branch .LBB9_804
.LBB9_2853:
	s_movk_i32 s4, 0x80
	v_cmp_eq_u16_sdwa s[12:13], v3, s4 src0_sel:BYTE_0 src1_sel:DWORD
	s_mov_b64 s[4:5], -1
                                        ; implicit-def: $sgpr10
	s_and_saveexec_b64 s[8:9], s[12:13]
; %bb.2854:
	s_mov_b32 s10, 0x7f800001
	s_xor_b64 s[4:5], exec, -1
; %bb.2855:
	s_or_b64 exec, exec, s[8:9]
	s_and_b64 s[4:5], s[4:5], exec
	s_or_saveexec_b64 s[6:7], s[6:7]
	v_mov_b32_e32 v6, s10
	s_xor_b64 exec, exec, s[6:7]
	s_cbranch_execz .LBB9_806
.LBB9_2856:
	v_mov_b32_e32 v6, 0
	v_cmp_ne_u16_sdwa s[8:9], v3, v6 src0_sel:BYTE_0 src1_sel:DWORD
	s_andn2_b64 s[4:5], s[4:5], exec
	s_and_b64 s[8:9], s[8:9], exec
	s_or_b64 s[4:5], s[4:5], s[8:9]
	s_or_b64 exec, exec, s[6:7]
	s_and_saveexec_b64 s[6:7], s[4:5]
	s_cbranch_execnz .LBB9_807
	s_branch .LBB9_808
.LBB9_2857:
	s_movk_i32 s4, 0x80
	v_cmp_eq_u16_sdwa s[12:13], v6, s4 src0_sel:BYTE_0 src1_sel:DWORD
	s_mov_b64 s[4:5], -1
                                        ; implicit-def: $sgpr10
	s_and_saveexec_b64 s[8:9], s[12:13]
; %bb.2858:
	s_mov_b32 s10, 0x7f800001
	s_xor_b64 s[4:5], exec, -1
; %bb.2859:
	s_or_b64 exec, exec, s[8:9]
	s_and_b64 s[4:5], s[4:5], exec
	s_or_saveexec_b64 s[6:7], s[6:7]
	v_mov_b32_e32 v2, s10
	s_xor_b64 exec, exec, s[6:7]
	s_cbranch_execz .LBB9_810
.LBB9_2860:
	v_mov_b32_e32 v2, 0
	v_cmp_ne_u16_sdwa s[8:9], v6, v2 src0_sel:BYTE_0 src1_sel:DWORD
	s_andn2_b64 s[4:5], s[4:5], exec
	s_and_b64 s[8:9], s[8:9], exec
	s_or_b64 s[4:5], s[4:5], s[8:9]
	s_or_b64 exec, exec, s[6:7]
	s_and_saveexec_b64 s[6:7], s[4:5]
	s_cbranch_execnz .LBB9_811
	s_branch .LBB9_812
.LBB9_2861:
	s_movk_i32 s4, 0x80
	v_cmp_eq_u16_sdwa s[12:13], v6, s4 src0_sel:BYTE_0 src1_sel:DWORD
	s_mov_b64 s[4:5], -1
                                        ; implicit-def: $sgpr10
	s_and_saveexec_b64 s[8:9], s[12:13]
; %bb.2862:
	s_mov_b32 s10, 0x7f800001
	s_xor_b64 s[4:5], exec, -1
; %bb.2863:
	s_or_b64 exec, exec, s[8:9]
	s_and_b64 s[4:5], s[4:5], exec
	s_or_saveexec_b64 s[6:7], s[6:7]
	v_mov_b32_e32 v12, s10
	s_xor_b64 exec, exec, s[6:7]
	s_cbranch_execz .LBB9_814
.LBB9_2864:
	v_mov_b32_e32 v12, 0
	v_cmp_ne_u16_sdwa s[8:9], v6, v12 src0_sel:BYTE_0 src1_sel:DWORD
	s_andn2_b64 s[4:5], s[4:5], exec
	s_and_b64 s[8:9], s[8:9], exec
	s_or_b64 s[4:5], s[4:5], s[8:9]
	s_or_b64 exec, exec, s[6:7]
	s_and_saveexec_b64 s[6:7], s[4:5]
	s_cbranch_execnz .LBB9_815
	s_branch .LBB9_816
.LBB9_2865:
	s_movk_i32 s4, 0x80
	v_cmp_eq_u16_e32 vcc, s4, v6
	s_mov_b64 s[4:5], -1
                                        ; implicit-def: $sgpr10
	s_and_saveexec_b64 s[8:9], vcc
; %bb.2866:
	s_mov_b32 s10, 0x7f800001
	s_xor_b64 s[4:5], exec, -1
; %bb.2867:
	s_or_b64 exec, exec, s[8:9]
	s_and_b64 s[4:5], s[4:5], exec
                                        ; implicit-def: $vgpr6
	s_or_saveexec_b64 s[6:7], s[6:7]
	v_mov_b32_e32 v2, s10
	s_xor_b64 exec, exec, s[6:7]
	s_cbranch_execz .LBB9_818
.LBB9_2868:
	v_cmp_ne_u16_e32 vcc, 0, v6
	s_andn2_b64 s[4:5], s[4:5], exec
	s_and_b64 s[8:9], vcc, exec
	v_mov_b32_e32 v2, 0
	s_or_b64 s[4:5], s[4:5], s[8:9]
	s_or_b64 exec, exec, s[6:7]
	s_and_saveexec_b64 s[6:7], s[4:5]
	s_cbranch_execnz .LBB9_819
	s_branch .LBB9_820
.LBB9_2869:
	s_movk_i32 s4, 0x80
	v_cmp_eq_u16_e32 vcc, s4, v6
	s_mov_b64 s[4:5], -1
                                        ; implicit-def: $sgpr10
	s_and_saveexec_b64 s[8:9], vcc
; %bb.2870:
	s_mov_b32 s10, 0x7f800001
	s_xor_b64 s[4:5], exec, -1
; %bb.2871:
	s_or_b64 exec, exec, s[8:9]
	s_and_b64 s[4:5], s[4:5], exec
                                        ; implicit-def: $vgpr6
	s_or_saveexec_b64 s[6:7], s[6:7]
	v_mov_b32_e32 v12, s10
	s_xor_b64 exec, exec, s[6:7]
	s_cbranch_execz .LBB9_822
.LBB9_2872:
	v_cmp_ne_u16_e32 vcc, 0, v6
	s_andn2_b64 s[4:5], s[4:5], exec
	s_and_b64 s[8:9], vcc, exec
	v_mov_b32_e32 v12, 0
	s_or_b64 s[4:5], s[4:5], s[8:9]
	s_or_b64 exec, exec, s[6:7]
	s_and_saveexec_b64 s[6:7], s[4:5]
	s_cbranch_execnz .LBB9_823
	s_branch .LBB9_824
.LBB9_2873:
	s_movk_i32 s4, 0x80
	v_cmp_eq_u16_sdwa s[12:13], v7, s4 src0_sel:BYTE_3 src1_sel:DWORD
	s_mov_b64 s[4:5], -1
                                        ; implicit-def: $sgpr10
	s_and_saveexec_b64 s[8:9], s[12:13]
; %bb.2874:
	s_mov_b32 s10, 0x7f800001
	s_xor_b64 s[4:5], exec, -1
; %bb.2875:
	s_or_b64 exec, exec, s[8:9]
	s_and_b64 s[4:5], s[4:5], exec
	s_or_saveexec_b64 s[6:7], s[6:7]
	v_mov_b32_e32 v2, s10
	s_xor_b64 exec, exec, s[6:7]
	s_cbranch_execz .LBB9_826
.LBB9_2876:
	v_mov_b32_e32 v2, 0
	v_cmp_ne_u16_sdwa s[8:9], v7, v2 src0_sel:BYTE_3 src1_sel:DWORD
	s_andn2_b64 s[4:5], s[4:5], exec
	s_and_b64 s[8:9], s[8:9], exec
	s_or_b64 s[4:5], s[4:5], s[8:9]
	s_or_b64 exec, exec, s[6:7]
	s_and_saveexec_b64 s[6:7], s[4:5]
	s_cbranch_execnz .LBB9_827
	s_branch .LBB9_828
.LBB9_2877:
	s_movk_i32 s4, 0x80
	v_cmp_eq_u16_sdwa s[12:13], v3, s4 src0_sel:BYTE_3 src1_sel:DWORD
	s_mov_b64 s[4:5], -1
                                        ; implicit-def: $sgpr10
	s_and_saveexec_b64 s[8:9], s[12:13]
; %bb.2878:
	s_mov_b32 s10, 0x7f800001
	s_xor_b64 s[4:5], exec, -1
; %bb.2879:
	s_or_b64 exec, exec, s[8:9]
	s_and_b64 s[4:5], s[4:5], exec
	s_or_saveexec_b64 s[6:7], s[6:7]
	v_mov_b32_e32 v6, s10
	s_xor_b64 exec, exec, s[6:7]
	s_cbranch_execz .LBB9_830
.LBB9_2880:
	v_mov_b32_e32 v6, 0
	v_cmp_ne_u16_sdwa s[8:9], v3, v6 src0_sel:BYTE_3 src1_sel:DWORD
	s_andn2_b64 s[4:5], s[4:5], exec
	s_and_b64 s[8:9], s[8:9], exec
	s_or_b64 s[4:5], s[4:5], s[8:9]
	s_or_b64 exec, exec, s[6:7]
	s_and_saveexec_b64 s[6:7], s[4:5]
	s_cbranch_execnz .LBB9_831
	s_branch .LBB9_832
.LBB9_2881:
	s_movk_i32 s4, 0x80
	v_cmp_eq_u16_sdwa s[12:13], v8, s4 src0_sel:BYTE_0 src1_sel:DWORD
	s_mov_b64 s[4:5], -1
                                        ; implicit-def: $sgpr10
	s_and_saveexec_b64 s[8:9], s[12:13]
; %bb.2882:
	s_mov_b32 s10, 0x7f800001
	s_xor_b64 s[4:5], exec, -1
; %bb.2883:
	s_or_b64 exec, exec, s[8:9]
	s_and_b64 s[4:5], s[4:5], exec
	s_or_saveexec_b64 s[6:7], s[6:7]
	v_mov_b32_e32 v2, s10
	s_xor_b64 exec, exec, s[6:7]
	s_cbranch_execz .LBB9_834
.LBB9_2884:
	v_mov_b32_e32 v2, 0
	v_cmp_ne_u16_sdwa s[8:9], v8, v2 src0_sel:BYTE_0 src1_sel:DWORD
	s_andn2_b64 s[4:5], s[4:5], exec
	s_and_b64 s[8:9], s[8:9], exec
	s_or_b64 s[4:5], s[4:5], s[8:9]
	s_or_b64 exec, exec, s[6:7]
	s_and_saveexec_b64 s[6:7], s[4:5]
	s_cbranch_execnz .LBB9_835
	s_branch .LBB9_836
.LBB9_2885:
	s_movk_i32 s4, 0x80
	v_cmp_eq_u16_sdwa s[12:13], v4, s4 src0_sel:BYTE_0 src1_sel:DWORD
	s_mov_b64 s[4:5], -1
                                        ; implicit-def: $sgpr10
	s_and_saveexec_b64 s[8:9], s[12:13]
; %bb.2886:
	s_mov_b32 s10, 0x7f800001
	s_xor_b64 s[4:5], exec, -1
; %bb.2887:
	s_or_b64 exec, exec, s[8:9]
	s_and_b64 s[4:5], s[4:5], exec
	s_or_saveexec_b64 s[6:7], s[6:7]
	v_mov_b32_e32 v3, s10
	s_xor_b64 exec, exec, s[6:7]
	s_cbranch_execz .LBB9_838
.LBB9_2888:
	v_mov_b32_e32 v3, 0
	v_cmp_ne_u16_sdwa s[8:9], v4, v3 src0_sel:BYTE_0 src1_sel:DWORD
	s_andn2_b64 s[4:5], s[4:5], exec
	s_and_b64 s[8:9], s[8:9], exec
	s_or_b64 s[4:5], s[4:5], s[8:9]
	s_or_b64 exec, exec, s[6:7]
	s_and_saveexec_b64 s[6:7], s[4:5]
	s_cbranch_execnz .LBB9_839
	s_branch .LBB9_840
.LBB9_2889:
	s_movk_i32 s4, 0x80
	v_cmp_eq_u16_sdwa s[12:13], v3, s4 src0_sel:BYTE_0 src1_sel:DWORD
	s_mov_b64 s[4:5], -1
                                        ; implicit-def: $sgpr10
	s_and_saveexec_b64 s[8:9], s[12:13]
; %bb.2890:
	s_mov_b32 s10, 0x7f800001
	s_xor_b64 s[4:5], exec, -1
; %bb.2891:
	s_or_b64 exec, exec, s[8:9]
	s_and_b64 s[4:5], s[4:5], exec
	s_or_saveexec_b64 s[6:7], s[6:7]
	v_mov_b32_e32 v2, s10
	s_xor_b64 exec, exec, s[6:7]
	s_cbranch_execz .LBB9_842
.LBB9_2892:
	v_mov_b32_e32 v2, 0
	v_cmp_ne_u16_sdwa s[8:9], v3, v2 src0_sel:BYTE_0 src1_sel:DWORD
	s_andn2_b64 s[4:5], s[4:5], exec
	s_and_b64 s[8:9], s[8:9], exec
	s_or_b64 s[4:5], s[4:5], s[8:9]
	s_or_b64 exec, exec, s[6:7]
	s_and_saveexec_b64 s[6:7], s[4:5]
	s_cbranch_execnz .LBB9_843
	s_branch .LBB9_844
.LBB9_2893:
	s_movk_i32 s4, 0x80
	v_cmp_eq_u16_sdwa s[12:13], v3, s4 src0_sel:BYTE_0 src1_sel:DWORD
	s_mov_b64 s[4:5], -1
                                        ; implicit-def: $sgpr10
	s_and_saveexec_b64 s[8:9], s[12:13]
; %bb.2894:
	s_mov_b32 s10, 0x7f800001
	s_xor_b64 s[4:5], exec, -1
; %bb.2895:
	s_or_b64 exec, exec, s[8:9]
	s_and_b64 s[4:5], s[4:5], exec
	s_or_saveexec_b64 s[6:7], s[6:7]
	v_mov_b32_e32 v6, s10
	s_xor_b64 exec, exec, s[6:7]
	s_cbranch_execz .LBB9_846
.LBB9_2896:
	v_mov_b32_e32 v6, 0
	v_cmp_ne_u16_sdwa s[8:9], v3, v6 src0_sel:BYTE_0 src1_sel:DWORD
	s_andn2_b64 s[4:5], s[4:5], exec
	s_and_b64 s[8:9], s[8:9], exec
	s_or_b64 s[4:5], s[4:5], s[8:9]
	s_or_b64 exec, exec, s[6:7]
	s_and_saveexec_b64 s[6:7], s[4:5]
	s_cbranch_execnz .LBB9_847
	s_branch .LBB9_848
.LBB9_2897:
	s_movk_i32 s4, 0x80
	v_cmp_eq_u16_e32 vcc, s4, v3
	s_mov_b64 s[4:5], -1
                                        ; implicit-def: $sgpr10
	s_and_saveexec_b64 s[8:9], vcc
; %bb.2898:
	s_mov_b32 s10, 0x7f800001
	s_xor_b64 s[4:5], exec, -1
; %bb.2899:
	s_or_b64 exec, exec, s[8:9]
	s_and_b64 s[4:5], s[4:5], exec
                                        ; implicit-def: $vgpr3
	s_or_saveexec_b64 s[6:7], s[6:7]
	v_mov_b32_e32 v2, s10
	s_xor_b64 exec, exec, s[6:7]
	s_cbranch_execz .LBB9_850
.LBB9_2900:
	v_cmp_ne_u16_e32 vcc, 0, v3
	s_andn2_b64 s[4:5], s[4:5], exec
	s_and_b64 s[8:9], vcc, exec
	v_mov_b32_e32 v2, 0
	s_or_b64 s[4:5], s[4:5], s[8:9]
	s_or_b64 exec, exec, s[6:7]
	s_and_saveexec_b64 s[6:7], s[4:5]
	s_cbranch_execnz .LBB9_851
	s_branch .LBB9_852
.LBB9_2901:
	s_movk_i32 s4, 0x80
	v_cmp_eq_u16_e32 vcc, s4, v3
	s_mov_b64 s[4:5], -1
                                        ; implicit-def: $sgpr10
	s_and_saveexec_b64 s[8:9], vcc
; %bb.2902:
	s_mov_b32 s10, 0x7f800001
	s_xor_b64 s[4:5], exec, -1
; %bb.2903:
	s_or_b64 exec, exec, s[8:9]
	s_and_b64 s[4:5], s[4:5], exec
                                        ; implicit-def: $vgpr3
	s_or_saveexec_b64 s[6:7], s[6:7]
	v_mov_b32_e32 v6, s10
	s_xor_b64 exec, exec, s[6:7]
	s_cbranch_execz .LBB9_854
.LBB9_2904:
	v_cmp_ne_u16_e32 vcc, 0, v3
	s_andn2_b64 s[4:5], s[4:5], exec
	s_and_b64 s[8:9], vcc, exec
	v_mov_b32_e32 v6, 0
	s_or_b64 s[4:5], s[4:5], s[8:9]
	s_or_b64 exec, exec, s[6:7]
	s_and_saveexec_b64 s[6:7], s[4:5]
	s_cbranch_execnz .LBB9_855
	s_branch .LBB9_856
.LBB9_2905:
	s_movk_i32 s4, 0x80
	v_cmp_eq_u16_sdwa s[12:13], v8, s4 src0_sel:BYTE_3 src1_sel:DWORD
	s_mov_b64 s[4:5], -1
                                        ; implicit-def: $sgpr10
	s_and_saveexec_b64 s[8:9], s[12:13]
; %bb.2906:
	s_mov_b32 s10, 0x7f800001
	s_xor_b64 s[4:5], exec, -1
; %bb.2907:
	s_or_b64 exec, exec, s[8:9]
	s_and_b64 s[4:5], s[4:5], exec
	s_or_saveexec_b64 s[6:7], s[6:7]
	v_mov_b32_e32 v2, s10
	s_xor_b64 exec, exec, s[6:7]
	s_cbranch_execz .LBB9_858
.LBB9_2908:
	v_mov_b32_e32 v2, 0
	v_cmp_ne_u16_sdwa s[8:9], v8, v2 src0_sel:BYTE_3 src1_sel:DWORD
	s_andn2_b64 s[4:5], s[4:5], exec
	s_and_b64 s[8:9], s[8:9], exec
	s_or_b64 s[4:5], s[4:5], s[8:9]
	s_or_b64 exec, exec, s[6:7]
	s_and_saveexec_b64 s[6:7], s[4:5]
	s_cbranch_execnz .LBB9_859
	s_branch .LBB9_860
.LBB9_2909:
	s_movk_i32 s4, 0x80
	v_cmp_eq_u16_sdwa s[12:13], v4, s4 src0_sel:BYTE_3 src1_sel:DWORD
	s_mov_b64 s[4:5], -1
                                        ; implicit-def: $sgpr10
	s_and_saveexec_b64 s[8:9], s[12:13]
; %bb.2910:
	s_mov_b32 s10, 0x7f800001
	s_xor_b64 s[4:5], exec, -1
; %bb.2911:
	s_or_b64 exec, exec, s[8:9]
	s_and_b64 s[4:5], s[4:5], exec
	s_or_saveexec_b64 s[6:7], s[6:7]
	v_mov_b32_e32 v3, s10
	s_xor_b64 exec, exec, s[6:7]
	s_cbranch_execz .LBB9_862
.LBB9_2912:
	v_mov_b32_e32 v3, 0
	v_cmp_ne_u16_sdwa s[8:9], v4, v3 src0_sel:BYTE_3 src1_sel:DWORD
	s_andn2_b64 s[4:5], s[4:5], exec
	s_and_b64 s[8:9], s[8:9], exec
	s_or_b64 s[4:5], s[4:5], s[8:9]
	s_or_b64 exec, exec, s[6:7]
	s_and_saveexec_b64 s[6:7], s[4:5]
	s_cbranch_execnz .LBB9_863
	s_branch .LBB9_864
.LBB9_2913:
	s_movk_i32 s4, 0x80
	v_cmp_eq_u16_sdwa s[12:13], v9, s4 src0_sel:BYTE_0 src1_sel:DWORD
	s_mov_b64 s[4:5], -1
                                        ; implicit-def: $sgpr10
	s_and_saveexec_b64 s[8:9], s[12:13]
; %bb.2914:
	s_mov_b32 s10, 0x7f800001
	s_xor_b64 s[4:5], exec, -1
; %bb.2915:
	s_or_b64 exec, exec, s[8:9]
	s_and_b64 s[4:5], s[4:5], exec
	s_or_saveexec_b64 s[6:7], s[6:7]
	v_mov_b32_e32 v2, s10
	s_xor_b64 exec, exec, s[6:7]
	s_cbranch_execz .LBB9_866
.LBB9_2916:
	v_mov_b32_e32 v2, 0
	v_cmp_ne_u16_sdwa s[8:9], v9, v2 src0_sel:BYTE_0 src1_sel:DWORD
	s_andn2_b64 s[4:5], s[4:5], exec
	s_and_b64 s[8:9], s[8:9], exec
	s_or_b64 s[4:5], s[4:5], s[8:9]
	s_or_b64 exec, exec, s[6:7]
	s_and_saveexec_b64 s[6:7], s[4:5]
	s_cbranch_execnz .LBB9_867
	s_branch .LBB9_868
.LBB9_2917:
	s_movk_i32 s4, 0x80
	v_cmp_eq_u16_sdwa s[12:13], v5, s4 src0_sel:BYTE_0 src1_sel:DWORD
	s_mov_b64 s[4:5], -1
                                        ; implicit-def: $sgpr10
	s_and_saveexec_b64 s[8:9], s[12:13]
; %bb.2918:
	s_mov_b32 s10, 0x7f800001
	s_xor_b64 s[4:5], exec, -1
; %bb.2919:
	s_or_b64 exec, exec, s[8:9]
	s_and_b64 s[4:5], s[4:5], exec
	s_or_saveexec_b64 s[6:7], s[6:7]
	v_mov_b32_e32 v3, s10
	s_xor_b64 exec, exec, s[6:7]
	s_cbranch_execz .LBB9_870
.LBB9_2920:
	v_mov_b32_e32 v3, 0
	v_cmp_ne_u16_sdwa s[8:9], v5, v3 src0_sel:BYTE_0 src1_sel:DWORD
	s_andn2_b64 s[4:5], s[4:5], exec
	s_and_b64 s[8:9], s[8:9], exec
	s_or_b64 s[4:5], s[4:5], s[8:9]
	s_or_b64 exec, exec, s[6:7]
	s_and_saveexec_b64 s[6:7], s[4:5]
	s_cbranch_execnz .LBB9_871
	s_branch .LBB9_872
.LBB9_2921:
	s_movk_i32 s4, 0x80
	v_cmp_eq_u16_sdwa s[12:13], v3, s4 src0_sel:BYTE_0 src1_sel:DWORD
	s_mov_b64 s[4:5], -1
                                        ; implicit-def: $sgpr10
	s_and_saveexec_b64 s[8:9], s[12:13]
; %bb.2922:
	s_mov_b32 s10, 0x7f800001
	s_xor_b64 s[4:5], exec, -1
; %bb.2923:
	s_or_b64 exec, exec, s[8:9]
	s_and_b64 s[4:5], s[4:5], exec
	s_or_saveexec_b64 s[6:7], s[6:7]
	v_mov_b32_e32 v2, s10
	s_xor_b64 exec, exec, s[6:7]
	s_cbranch_execz .LBB9_874
.LBB9_2924:
	v_mov_b32_e32 v2, 0
	v_cmp_ne_u16_sdwa s[8:9], v3, v2 src0_sel:BYTE_0 src1_sel:DWORD
	s_andn2_b64 s[4:5], s[4:5], exec
	s_and_b64 s[8:9], s[8:9], exec
	s_or_b64 s[4:5], s[4:5], s[8:9]
	s_or_b64 exec, exec, s[6:7]
	s_and_saveexec_b64 s[6:7], s[4:5]
	s_cbranch_execnz .LBB9_875
	s_branch .LBB9_876
.LBB9_2925:
	s_movk_i32 s4, 0x80
	v_cmp_eq_u16_sdwa s[12:13], v3, s4 src0_sel:BYTE_0 src1_sel:DWORD
	s_mov_b64 s[4:5], -1
                                        ; implicit-def: $sgpr10
	s_and_saveexec_b64 s[8:9], s[12:13]
; %bb.2926:
	s_mov_b32 s10, 0x7f800001
	s_xor_b64 s[4:5], exec, -1
; %bb.2927:
	s_or_b64 exec, exec, s[8:9]
	s_and_b64 s[4:5], s[4:5], exec
	s_or_saveexec_b64 s[6:7], s[6:7]
	v_mov_b32_e32 v4, s10
	s_xor_b64 exec, exec, s[6:7]
	s_cbranch_execz .LBB9_878
.LBB9_2928:
	v_mov_b32_e32 v4, 0
	v_cmp_ne_u16_sdwa s[8:9], v3, v4 src0_sel:BYTE_0 src1_sel:DWORD
	s_andn2_b64 s[4:5], s[4:5], exec
	s_and_b64 s[8:9], s[8:9], exec
	s_or_b64 s[4:5], s[4:5], s[8:9]
	s_or_b64 exec, exec, s[6:7]
	s_and_saveexec_b64 s[6:7], s[4:5]
	s_cbranch_execnz .LBB9_879
	s_branch .LBB9_880
.LBB9_2929:
	s_movk_i32 s4, 0x80
	v_cmp_eq_u16_e32 vcc, s4, v3
	s_mov_b64 s[4:5], -1
                                        ; implicit-def: $sgpr10
	s_and_saveexec_b64 s[8:9], vcc
; %bb.2930:
	s_mov_b32 s10, 0x7f800001
	s_xor_b64 s[4:5], exec, -1
; %bb.2931:
	s_or_b64 exec, exec, s[8:9]
	s_and_b64 s[4:5], s[4:5], exec
                                        ; implicit-def: $vgpr3
	s_or_saveexec_b64 s[6:7], s[6:7]
	v_mov_b32_e32 v2, s10
	s_xor_b64 exec, exec, s[6:7]
	s_cbranch_execz .LBB9_882
.LBB9_2932:
	v_cmp_ne_u16_e32 vcc, 0, v3
	s_andn2_b64 s[4:5], s[4:5], exec
	s_and_b64 s[8:9], vcc, exec
	v_mov_b32_e32 v2, 0
	s_or_b64 s[4:5], s[4:5], s[8:9]
	s_or_b64 exec, exec, s[6:7]
	s_and_saveexec_b64 s[6:7], s[4:5]
	s_cbranch_execnz .LBB9_883
	s_branch .LBB9_884
.LBB9_2933:
	s_movk_i32 s4, 0x80
	v_cmp_eq_u16_e32 vcc, s4, v3
	s_mov_b64 s[4:5], -1
                                        ; implicit-def: $sgpr10
	s_and_saveexec_b64 s[8:9], vcc
; %bb.2934:
	s_mov_b32 s10, 0x7f800001
	s_xor_b64 s[4:5], exec, -1
; %bb.2935:
	s_or_b64 exec, exec, s[8:9]
	s_and_b64 s[4:5], s[4:5], exec
                                        ; implicit-def: $vgpr3
	s_or_saveexec_b64 s[6:7], s[6:7]
	v_mov_b32_e32 v4, s10
	s_xor_b64 exec, exec, s[6:7]
	s_cbranch_execz .LBB9_886
.LBB9_2936:
	v_cmp_ne_u16_e32 vcc, 0, v3
	s_andn2_b64 s[4:5], s[4:5], exec
	s_and_b64 s[8:9], vcc, exec
	v_mov_b32_e32 v4, 0
	s_or_b64 s[4:5], s[4:5], s[8:9]
	s_or_b64 exec, exec, s[6:7]
	s_and_saveexec_b64 s[6:7], s[4:5]
	s_cbranch_execnz .LBB9_887
	s_branch .LBB9_888
.LBB9_2937:
	s_movk_i32 s4, 0x80
	v_cmp_eq_u16_sdwa s[12:13], v9, s4 src0_sel:BYTE_3 src1_sel:DWORD
	s_mov_b64 s[4:5], -1
                                        ; implicit-def: $sgpr10
	s_and_saveexec_b64 s[8:9], s[12:13]
; %bb.2938:
	s_mov_b32 s10, 0x7f800001
	s_xor_b64 s[4:5], exec, -1
; %bb.2939:
	s_or_b64 exec, exec, s[8:9]
	s_and_b64 s[4:5], s[4:5], exec
	s_or_saveexec_b64 s[6:7], s[6:7]
	v_mov_b32_e32 v2, s10
	s_xor_b64 exec, exec, s[6:7]
	s_cbranch_execz .LBB9_890
.LBB9_2940:
	v_mov_b32_e32 v2, 0
	v_cmp_ne_u16_sdwa s[8:9], v9, v2 src0_sel:BYTE_3 src1_sel:DWORD
	s_andn2_b64 s[4:5], s[4:5], exec
	s_and_b64 s[8:9], s[8:9], exec
	s_or_b64 s[4:5], s[4:5], s[8:9]
	s_or_b64 exec, exec, s[6:7]
	s_and_saveexec_b64 s[6:7], s[4:5]
	s_cbranch_execnz .LBB9_891
	s_branch .LBB9_892
.LBB9_2941:
	s_movk_i32 s4, 0x80
	v_cmp_eq_u16_sdwa s[12:13], v5, s4 src0_sel:BYTE_3 src1_sel:DWORD
	s_mov_b64 s[4:5], -1
                                        ; implicit-def: $sgpr10
	s_and_saveexec_b64 s[8:9], s[12:13]
; %bb.2942:
	s_mov_b32 s10, 0x7f800001
	s_xor_b64 s[4:5], exec, -1
; %bb.2943:
	s_or_b64 exec, exec, s[8:9]
	s_and_b64 s[4:5], s[4:5], exec
	s_or_saveexec_b64 s[6:7], s[6:7]
	v_mov_b32_e32 v3, s10
	s_xor_b64 exec, exec, s[6:7]
	s_cbranch_execz .LBB9_894
.LBB9_2944:
	v_mov_b32_e32 v3, 0
	v_cmp_ne_u16_sdwa s[8:9], v5, v3 src0_sel:BYTE_3 src1_sel:DWORD
	s_andn2_b64 s[4:5], s[4:5], exec
	s_and_b64 s[8:9], s[8:9], exec
	s_or_b64 s[4:5], s[4:5], s[8:9]
	s_or_b64 exec, exec, s[6:7]
	s_and_saveexec_b64 s[6:7], s[4:5]
	s_cbranch_execnz .LBB9_895
	s_branch .LBB9_896
.LBB9_2945:
	s_movk_i32 s4, 0x80
	v_cmp_eq_u16_sdwa s[12:13], v6, s4 src0_sel:BYTE_0 src1_sel:DWORD
	s_mov_b64 s[4:5], -1
                                        ; implicit-def: $sgpr10
	s_and_saveexec_b64 s[8:9], s[12:13]
; %bb.2946:
	s_mov_b32 s10, 0x7f800001
	s_xor_b64 s[4:5], exec, -1
; %bb.2947:
	s_or_b64 exec, exec, s[8:9]
	s_and_b64 s[4:5], s[4:5], exec
	s_or_saveexec_b64 s[6:7], s[6:7]
	v_mov_b32_e32 v12, s10
	s_xor_b64 exec, exec, s[6:7]
	s_cbranch_execz .LBB9_898
.LBB9_2948:
	v_mov_b32_e32 v12, 0
	v_cmp_ne_u16_sdwa s[8:9], v6, v12 src0_sel:BYTE_0 src1_sel:DWORD
	s_andn2_b64 s[4:5], s[4:5], exec
	s_and_b64 s[8:9], s[8:9], exec
	s_or_b64 s[4:5], s[4:5], s[8:9]
	s_or_b64 exec, exec, s[6:7]
	s_and_saveexec_b64 s[6:7], s[4:5]
	s_cbranch_execnz .LBB9_899
	s_branch .LBB9_900
.LBB9_2949:
	s_movk_i32 s4, 0x80
	v_cmp_eq_u16_sdwa s[12:13], v2, s4 src0_sel:BYTE_0 src1_sel:DWORD
	s_mov_b64 s[4:5], -1
                                        ; implicit-def: $sgpr10
	s_and_saveexec_b64 s[8:9], s[12:13]
; %bb.2950:
	s_mov_b32 s10, 0x7f800001
	s_xor_b64 s[4:5], exec, -1
; %bb.2951:
	s_or_b64 exec, exec, s[8:9]
	s_and_b64 s[4:5], s[4:5], exec
	s_or_saveexec_b64 s[6:7], s[6:7]
	v_mov_b32_e32 v13, s10
	s_xor_b64 exec, exec, s[6:7]
	s_cbranch_execz .LBB9_902
.LBB9_2952:
	v_mov_b32_e32 v13, 0
	v_cmp_ne_u16_sdwa s[8:9], v2, v13 src0_sel:BYTE_0 src1_sel:DWORD
	s_andn2_b64 s[4:5], s[4:5], exec
	s_and_b64 s[8:9], s[8:9], exec
	s_or_b64 s[4:5], s[4:5], s[8:9]
	s_or_b64 exec, exec, s[6:7]
	s_and_saveexec_b64 s[6:7], s[4:5]
	s_cbranch_execnz .LBB9_903
	s_branch .LBB9_904
.LBB9_2953:
	s_movk_i32 s4, 0x80
	v_cmp_eq_u16_sdwa s[12:13], v13, s4 src0_sel:BYTE_0 src1_sel:DWORD
	s_mov_b64 s[4:5], -1
                                        ; implicit-def: $sgpr10
	s_and_saveexec_b64 s[8:9], s[12:13]
; %bb.2954:
	s_mov_b32 s10, 0x7f800001
	s_xor_b64 s[4:5], exec, -1
; %bb.2955:
	s_or_b64 exec, exec, s[8:9]
	s_and_b64 s[4:5], s[4:5], exec
	s_or_saveexec_b64 s[6:7], s[6:7]
	v_mov_b32_e32 v12, s10
	s_xor_b64 exec, exec, s[6:7]
	s_cbranch_execz .LBB9_906
.LBB9_2956:
	v_mov_b32_e32 v12, 0
	v_cmp_ne_u16_sdwa s[8:9], v13, v12 src0_sel:BYTE_0 src1_sel:DWORD
	s_andn2_b64 s[4:5], s[4:5], exec
	s_and_b64 s[8:9], s[8:9], exec
	s_or_b64 s[4:5], s[4:5], s[8:9]
	s_or_b64 exec, exec, s[6:7]
	s_and_saveexec_b64 s[6:7], s[4:5]
	s_cbranch_execnz .LBB9_907
	s_branch .LBB9_908
.LBB9_2957:
	s_movk_i32 s4, 0x80
	v_cmp_eq_u16_sdwa s[12:13], v13, s4 src0_sel:BYTE_0 src1_sel:DWORD
	s_mov_b64 s[4:5], -1
                                        ; implicit-def: $sgpr10
	s_and_saveexec_b64 s[8:9], s[12:13]
; %bb.2958:
	s_mov_b32 s10, 0x7f800001
	s_xor_b64 s[4:5], exec, -1
; %bb.2959:
	s_or_b64 exec, exec, s[8:9]
	s_and_b64 s[4:5], s[4:5], exec
	s_or_saveexec_b64 s[6:7], s[6:7]
	v_mov_b32_e32 v14, s10
	s_xor_b64 exec, exec, s[6:7]
	s_cbranch_execz .LBB9_910
.LBB9_2960:
	v_mov_b32_e32 v14, 0
	v_cmp_ne_u16_sdwa s[8:9], v13, v14 src0_sel:BYTE_0 src1_sel:DWORD
	s_andn2_b64 s[4:5], s[4:5], exec
	s_and_b64 s[8:9], s[8:9], exec
	s_or_b64 s[4:5], s[4:5], s[8:9]
	s_or_b64 exec, exec, s[6:7]
	s_and_saveexec_b64 s[6:7], s[4:5]
	s_cbranch_execnz .LBB9_911
	s_branch .LBB9_912
.LBB9_2961:
	s_movk_i32 s4, 0x80
	v_cmp_eq_u16_e32 vcc, s4, v13
	s_mov_b64 s[4:5], -1
                                        ; implicit-def: $sgpr10
	s_and_saveexec_b64 s[8:9], vcc
; %bb.2962:
	s_mov_b32 s10, 0x7f800001
	s_xor_b64 s[4:5], exec, -1
; %bb.2963:
	s_or_b64 exec, exec, s[8:9]
	s_and_b64 s[4:5], s[4:5], exec
                                        ; implicit-def: $vgpr13
	s_or_saveexec_b64 s[6:7], s[6:7]
	v_mov_b32_e32 v12, s10
	s_xor_b64 exec, exec, s[6:7]
	s_cbranch_execz .LBB9_914
.LBB9_2964:
	v_cmp_ne_u16_e32 vcc, 0, v13
	s_andn2_b64 s[4:5], s[4:5], exec
	s_and_b64 s[8:9], vcc, exec
	v_mov_b32_e32 v12, 0
	s_or_b64 s[4:5], s[4:5], s[8:9]
	s_or_b64 exec, exec, s[6:7]
	s_and_saveexec_b64 s[6:7], s[4:5]
	s_cbranch_execnz .LBB9_915
	s_branch .LBB9_916
.LBB9_2965:
	s_movk_i32 s4, 0x80
	v_cmp_eq_u16_e32 vcc, s4, v13
	s_mov_b64 s[4:5], -1
                                        ; implicit-def: $sgpr10
	s_and_saveexec_b64 s[8:9], vcc
; %bb.2966:
	s_mov_b32 s10, 0x7f800001
	s_xor_b64 s[4:5], exec, -1
; %bb.2967:
	s_or_b64 exec, exec, s[8:9]
	s_and_b64 s[4:5], s[4:5], exec
                                        ; implicit-def: $vgpr13
	s_or_saveexec_b64 s[6:7], s[6:7]
	v_mov_b32_e32 v14, s10
	s_xor_b64 exec, exec, s[6:7]
	s_cbranch_execz .LBB9_918
.LBB9_2968:
	v_cmp_ne_u16_e32 vcc, 0, v13
	s_andn2_b64 s[4:5], s[4:5], exec
	s_and_b64 s[8:9], vcc, exec
	v_mov_b32_e32 v14, 0
	s_or_b64 s[4:5], s[4:5], s[8:9]
	s_or_b64 exec, exec, s[6:7]
	s_and_saveexec_b64 s[6:7], s[4:5]
	s_cbranch_execnz .LBB9_919
	s_branch .LBB9_920
.LBB9_2969:
	s_movk_i32 s4, 0x80
	v_cmp_eq_u16_sdwa s[12:13], v6, s4 src0_sel:BYTE_3 src1_sel:DWORD
	s_mov_b64 s[4:5], -1
                                        ; implicit-def: $sgpr10
	s_and_saveexec_b64 s[8:9], s[12:13]
; %bb.2970:
	s_mov_b32 s10, 0x7f800001
	s_xor_b64 s[4:5], exec, -1
; %bb.2971:
	s_or_b64 exec, exec, s[8:9]
	s_and_b64 s[4:5], s[4:5], exec
	s_or_saveexec_b64 s[6:7], s[6:7]
	v_mov_b32_e32 v12, s10
	s_xor_b64 exec, exec, s[6:7]
	s_cbranch_execz .LBB9_922
.LBB9_2972:
	v_mov_b32_e32 v12, 0
	v_cmp_ne_u16_sdwa s[8:9], v6, v12 src0_sel:BYTE_3 src1_sel:DWORD
	s_andn2_b64 s[4:5], s[4:5], exec
	s_and_b64 s[8:9], s[8:9], exec
	s_or_b64 s[4:5], s[4:5], s[8:9]
	s_or_b64 exec, exec, s[6:7]
	s_and_saveexec_b64 s[6:7], s[4:5]
	s_cbranch_execnz .LBB9_923
	s_branch .LBB9_924
.LBB9_2973:
	s_movk_i32 s4, 0x80
	v_cmp_eq_u16_sdwa s[12:13], v2, s4 src0_sel:BYTE_3 src1_sel:DWORD
	s_mov_b64 s[4:5], -1
                                        ; implicit-def: $sgpr10
	s_and_saveexec_b64 s[8:9], s[12:13]
; %bb.2974:
	s_mov_b32 s10, 0x7f800001
	s_xor_b64 s[4:5], exec, -1
; %bb.2975:
	s_or_b64 exec, exec, s[8:9]
	s_and_b64 s[4:5], s[4:5], exec
	s_or_saveexec_b64 s[6:7], s[6:7]
	v_mov_b32_e32 v6, s10
	s_xor_b64 exec, exec, s[6:7]
	s_cbranch_execz .LBB9_926
.LBB9_2976:
	v_mov_b32_e32 v6, 0
	v_cmp_ne_u16_sdwa s[8:9], v2, v6 src0_sel:BYTE_3 src1_sel:DWORD
	s_andn2_b64 s[4:5], s[4:5], exec
	s_and_b64 s[8:9], s[8:9], exec
	s_or_b64 s[4:5], s[4:5], s[8:9]
	s_or_b64 exec, exec, s[6:7]
	s_and_saveexec_b64 s[6:7], s[4:5]
	s_cbranch_execnz .LBB9_927
	s_branch .LBB9_928
.LBB9_2977:
	s_movk_i32 s4, 0x80
	v_cmp_eq_u16_sdwa s[12:13], v7, s4 src0_sel:BYTE_0 src1_sel:DWORD
	s_mov_b64 s[4:5], -1
                                        ; implicit-def: $sgpr10
	s_and_saveexec_b64 s[8:9], s[12:13]
; %bb.2978:
	s_mov_b32 s10, 0x7f800001
	s_xor_b64 s[4:5], exec, -1
; %bb.2979:
	s_or_b64 exec, exec, s[8:9]
	s_and_b64 s[4:5], s[4:5], exec
	s_or_saveexec_b64 s[6:7], s[6:7]
	v_mov_b32_e32 v2, s10
	s_xor_b64 exec, exec, s[6:7]
	s_cbranch_execz .LBB9_930
.LBB9_2980:
	v_mov_b32_e32 v2, 0
	v_cmp_ne_u16_sdwa s[8:9], v7, v2 src0_sel:BYTE_0 src1_sel:DWORD
	s_andn2_b64 s[4:5], s[4:5], exec
	s_and_b64 s[8:9], s[8:9], exec
	s_or_b64 s[4:5], s[4:5], s[8:9]
	s_or_b64 exec, exec, s[6:7]
	s_and_saveexec_b64 s[6:7], s[4:5]
	s_cbranch_execnz .LBB9_931
	s_branch .LBB9_932
.LBB9_2981:
	s_movk_i32 s4, 0x80
	v_cmp_eq_u16_sdwa s[12:13], v3, s4 src0_sel:BYTE_0 src1_sel:DWORD
	s_mov_b64 s[4:5], -1
                                        ; implicit-def: $sgpr10
	s_and_saveexec_b64 s[8:9], s[12:13]
; %bb.2982:
	s_mov_b32 s10, 0x7f800001
	s_xor_b64 s[4:5], exec, -1
; %bb.2983:
	s_or_b64 exec, exec, s[8:9]
	s_and_b64 s[4:5], s[4:5], exec
	s_or_saveexec_b64 s[6:7], s[6:7]
	v_mov_b32_e32 v6, s10
	s_xor_b64 exec, exec, s[6:7]
	s_cbranch_execz .LBB9_934
.LBB9_2984:
	v_mov_b32_e32 v6, 0
	v_cmp_ne_u16_sdwa s[8:9], v3, v6 src0_sel:BYTE_0 src1_sel:DWORD
	s_andn2_b64 s[4:5], s[4:5], exec
	s_and_b64 s[8:9], s[8:9], exec
	s_or_b64 s[4:5], s[4:5], s[8:9]
	s_or_b64 exec, exec, s[6:7]
	s_and_saveexec_b64 s[6:7], s[4:5]
	s_cbranch_execnz .LBB9_935
	s_branch .LBB9_936
.LBB9_2985:
	s_movk_i32 s4, 0x80
	v_cmp_eq_u16_sdwa s[12:13], v6, s4 src0_sel:BYTE_0 src1_sel:DWORD
	s_mov_b64 s[4:5], -1
                                        ; implicit-def: $sgpr10
	s_and_saveexec_b64 s[8:9], s[12:13]
; %bb.2986:
	s_mov_b32 s10, 0x7f800001
	s_xor_b64 s[4:5], exec, -1
; %bb.2987:
	s_or_b64 exec, exec, s[8:9]
	s_and_b64 s[4:5], s[4:5], exec
	s_or_saveexec_b64 s[6:7], s[6:7]
	v_mov_b32_e32 v2, s10
	s_xor_b64 exec, exec, s[6:7]
	s_cbranch_execz .LBB9_938
.LBB9_2988:
	v_mov_b32_e32 v2, 0
	v_cmp_ne_u16_sdwa s[8:9], v6, v2 src0_sel:BYTE_0 src1_sel:DWORD
	s_andn2_b64 s[4:5], s[4:5], exec
	s_and_b64 s[8:9], s[8:9], exec
	s_or_b64 s[4:5], s[4:5], s[8:9]
	s_or_b64 exec, exec, s[6:7]
	s_and_saveexec_b64 s[6:7], s[4:5]
	s_cbranch_execnz .LBB9_939
	s_branch .LBB9_940
.LBB9_2989:
	s_movk_i32 s4, 0x80
	v_cmp_eq_u16_sdwa s[12:13], v6, s4 src0_sel:BYTE_0 src1_sel:DWORD
	s_mov_b64 s[4:5], -1
                                        ; implicit-def: $sgpr10
	s_and_saveexec_b64 s[8:9], s[12:13]
; %bb.2990:
	s_mov_b32 s10, 0x7f800001
	s_xor_b64 s[4:5], exec, -1
; %bb.2991:
	s_or_b64 exec, exec, s[8:9]
	s_and_b64 s[4:5], s[4:5], exec
	s_or_saveexec_b64 s[6:7], s[6:7]
	v_mov_b32_e32 v12, s10
	s_xor_b64 exec, exec, s[6:7]
	s_cbranch_execz .LBB9_942
.LBB9_2992:
	v_mov_b32_e32 v12, 0
	v_cmp_ne_u16_sdwa s[8:9], v6, v12 src0_sel:BYTE_0 src1_sel:DWORD
	s_andn2_b64 s[4:5], s[4:5], exec
	s_and_b64 s[8:9], s[8:9], exec
	s_or_b64 s[4:5], s[4:5], s[8:9]
	s_or_b64 exec, exec, s[6:7]
	s_and_saveexec_b64 s[6:7], s[4:5]
	s_cbranch_execnz .LBB9_943
	s_branch .LBB9_944
.LBB9_2993:
	s_movk_i32 s4, 0x80
	v_cmp_eq_u16_e32 vcc, s4, v6
	s_mov_b64 s[4:5], -1
                                        ; implicit-def: $sgpr10
	s_and_saveexec_b64 s[8:9], vcc
; %bb.2994:
	s_mov_b32 s10, 0x7f800001
	s_xor_b64 s[4:5], exec, -1
; %bb.2995:
	s_or_b64 exec, exec, s[8:9]
	s_and_b64 s[4:5], s[4:5], exec
                                        ; implicit-def: $vgpr6
	s_or_saveexec_b64 s[6:7], s[6:7]
	v_mov_b32_e32 v2, s10
	s_xor_b64 exec, exec, s[6:7]
	s_cbranch_execz .LBB9_946
.LBB9_2996:
	v_cmp_ne_u16_e32 vcc, 0, v6
	s_andn2_b64 s[4:5], s[4:5], exec
	s_and_b64 s[8:9], vcc, exec
	v_mov_b32_e32 v2, 0
	s_or_b64 s[4:5], s[4:5], s[8:9]
	s_or_b64 exec, exec, s[6:7]
	s_and_saveexec_b64 s[6:7], s[4:5]
	s_cbranch_execnz .LBB9_947
	s_branch .LBB9_948
.LBB9_2997:
	s_movk_i32 s4, 0x80
	v_cmp_eq_u16_e32 vcc, s4, v6
	s_mov_b64 s[4:5], -1
                                        ; implicit-def: $sgpr10
	s_and_saveexec_b64 s[8:9], vcc
; %bb.2998:
	s_mov_b32 s10, 0x7f800001
	s_xor_b64 s[4:5], exec, -1
; %bb.2999:
	s_or_b64 exec, exec, s[8:9]
	s_and_b64 s[4:5], s[4:5], exec
                                        ; implicit-def: $vgpr6
	s_or_saveexec_b64 s[6:7], s[6:7]
	v_mov_b32_e32 v12, s10
	s_xor_b64 exec, exec, s[6:7]
	s_cbranch_execz .LBB9_950
.LBB9_3000:
	v_cmp_ne_u16_e32 vcc, 0, v6
	s_andn2_b64 s[4:5], s[4:5], exec
	s_and_b64 s[8:9], vcc, exec
	v_mov_b32_e32 v12, 0
	s_or_b64 s[4:5], s[4:5], s[8:9]
	s_or_b64 exec, exec, s[6:7]
	s_and_saveexec_b64 s[6:7], s[4:5]
	s_cbranch_execnz .LBB9_951
	s_branch .LBB9_952
.LBB9_3001:
	s_movk_i32 s4, 0x80
	v_cmp_eq_u16_sdwa s[12:13], v7, s4 src0_sel:BYTE_3 src1_sel:DWORD
	s_mov_b64 s[4:5], -1
                                        ; implicit-def: $sgpr10
	s_and_saveexec_b64 s[8:9], s[12:13]
; %bb.3002:
	s_mov_b32 s10, 0x7f800001
	s_xor_b64 s[4:5], exec, -1
; %bb.3003:
	s_or_b64 exec, exec, s[8:9]
	s_and_b64 s[4:5], s[4:5], exec
	s_or_saveexec_b64 s[6:7], s[6:7]
	v_mov_b32_e32 v2, s10
	s_xor_b64 exec, exec, s[6:7]
	s_cbranch_execz .LBB9_954
.LBB9_3004:
	v_mov_b32_e32 v2, 0
	v_cmp_ne_u16_sdwa s[8:9], v7, v2 src0_sel:BYTE_3 src1_sel:DWORD
	s_andn2_b64 s[4:5], s[4:5], exec
	s_and_b64 s[8:9], s[8:9], exec
	s_or_b64 s[4:5], s[4:5], s[8:9]
	s_or_b64 exec, exec, s[6:7]
	s_and_saveexec_b64 s[6:7], s[4:5]
	s_cbranch_execnz .LBB9_955
	s_branch .LBB9_956
.LBB9_3005:
	s_movk_i32 s4, 0x80
	v_cmp_eq_u16_sdwa s[12:13], v3, s4 src0_sel:BYTE_3 src1_sel:DWORD
	s_mov_b64 s[4:5], -1
                                        ; implicit-def: $sgpr10
	s_and_saveexec_b64 s[8:9], s[12:13]
; %bb.3006:
	s_mov_b32 s10, 0x7f800001
	s_xor_b64 s[4:5], exec, -1
; %bb.3007:
	s_or_b64 exec, exec, s[8:9]
	s_and_b64 s[4:5], s[4:5], exec
	s_or_saveexec_b64 s[6:7], s[6:7]
	v_mov_b32_e32 v6, s10
	s_xor_b64 exec, exec, s[6:7]
	s_cbranch_execz .LBB9_958
.LBB9_3008:
	v_mov_b32_e32 v6, 0
	v_cmp_ne_u16_sdwa s[8:9], v3, v6 src0_sel:BYTE_3 src1_sel:DWORD
	s_andn2_b64 s[4:5], s[4:5], exec
	s_and_b64 s[8:9], s[8:9], exec
	s_or_b64 s[4:5], s[4:5], s[8:9]
	s_or_b64 exec, exec, s[6:7]
	s_and_saveexec_b64 s[6:7], s[4:5]
	s_cbranch_execnz .LBB9_959
	s_branch .LBB9_960
.LBB9_3009:
	s_movk_i32 s4, 0x80
	v_cmp_eq_u16_sdwa s[12:13], v8, s4 src0_sel:BYTE_0 src1_sel:DWORD
	s_mov_b64 s[4:5], -1
                                        ; implicit-def: $sgpr10
	s_and_saveexec_b64 s[8:9], s[12:13]
; %bb.3010:
	s_mov_b32 s10, 0x7f800001
	s_xor_b64 s[4:5], exec, -1
; %bb.3011:
	s_or_b64 exec, exec, s[8:9]
	s_and_b64 s[4:5], s[4:5], exec
	s_or_saveexec_b64 s[6:7], s[6:7]
	v_mov_b32_e32 v2, s10
	s_xor_b64 exec, exec, s[6:7]
	s_cbranch_execz .LBB9_962
.LBB9_3012:
	v_mov_b32_e32 v2, 0
	v_cmp_ne_u16_sdwa s[8:9], v8, v2 src0_sel:BYTE_0 src1_sel:DWORD
	s_andn2_b64 s[4:5], s[4:5], exec
	s_and_b64 s[8:9], s[8:9], exec
	s_or_b64 s[4:5], s[4:5], s[8:9]
	s_or_b64 exec, exec, s[6:7]
	s_and_saveexec_b64 s[6:7], s[4:5]
	s_cbranch_execnz .LBB9_963
	s_branch .LBB9_964
.LBB9_3013:
	s_movk_i32 s4, 0x80
	v_cmp_eq_u16_sdwa s[12:13], v4, s4 src0_sel:BYTE_0 src1_sel:DWORD
	s_mov_b64 s[4:5], -1
                                        ; implicit-def: $sgpr10
	s_and_saveexec_b64 s[8:9], s[12:13]
; %bb.3014:
	s_mov_b32 s10, 0x7f800001
	s_xor_b64 s[4:5], exec, -1
; %bb.3015:
	s_or_b64 exec, exec, s[8:9]
	s_and_b64 s[4:5], s[4:5], exec
	s_or_saveexec_b64 s[6:7], s[6:7]
	v_mov_b32_e32 v3, s10
	s_xor_b64 exec, exec, s[6:7]
	s_cbranch_execz .LBB9_966
.LBB9_3016:
	v_mov_b32_e32 v3, 0
	v_cmp_ne_u16_sdwa s[8:9], v4, v3 src0_sel:BYTE_0 src1_sel:DWORD
	s_andn2_b64 s[4:5], s[4:5], exec
	s_and_b64 s[8:9], s[8:9], exec
	s_or_b64 s[4:5], s[4:5], s[8:9]
	s_or_b64 exec, exec, s[6:7]
	s_and_saveexec_b64 s[6:7], s[4:5]
	s_cbranch_execnz .LBB9_967
	s_branch .LBB9_968
.LBB9_3017:
	s_movk_i32 s4, 0x80
	v_cmp_eq_u16_sdwa s[12:13], v3, s4 src0_sel:BYTE_0 src1_sel:DWORD
	s_mov_b64 s[4:5], -1
                                        ; implicit-def: $sgpr10
	s_and_saveexec_b64 s[8:9], s[12:13]
; %bb.3018:
	s_mov_b32 s10, 0x7f800001
	s_xor_b64 s[4:5], exec, -1
; %bb.3019:
	s_or_b64 exec, exec, s[8:9]
	s_and_b64 s[4:5], s[4:5], exec
	s_or_saveexec_b64 s[6:7], s[6:7]
	v_mov_b32_e32 v2, s10
	s_xor_b64 exec, exec, s[6:7]
	s_cbranch_execz .LBB9_970
.LBB9_3020:
	v_mov_b32_e32 v2, 0
	v_cmp_ne_u16_sdwa s[8:9], v3, v2 src0_sel:BYTE_0 src1_sel:DWORD
	s_andn2_b64 s[4:5], s[4:5], exec
	s_and_b64 s[8:9], s[8:9], exec
	s_or_b64 s[4:5], s[4:5], s[8:9]
	s_or_b64 exec, exec, s[6:7]
	s_and_saveexec_b64 s[6:7], s[4:5]
	s_cbranch_execnz .LBB9_971
	s_branch .LBB9_972
.LBB9_3021:
	s_movk_i32 s4, 0x80
	v_cmp_eq_u16_sdwa s[12:13], v3, s4 src0_sel:BYTE_0 src1_sel:DWORD
	s_mov_b64 s[4:5], -1
                                        ; implicit-def: $sgpr10
	s_and_saveexec_b64 s[8:9], s[12:13]
; %bb.3022:
	s_mov_b32 s10, 0x7f800001
	s_xor_b64 s[4:5], exec, -1
; %bb.3023:
	s_or_b64 exec, exec, s[8:9]
	s_and_b64 s[4:5], s[4:5], exec
	s_or_saveexec_b64 s[6:7], s[6:7]
	v_mov_b32_e32 v6, s10
	s_xor_b64 exec, exec, s[6:7]
	s_cbranch_execz .LBB9_974
.LBB9_3024:
	v_mov_b32_e32 v6, 0
	v_cmp_ne_u16_sdwa s[8:9], v3, v6 src0_sel:BYTE_0 src1_sel:DWORD
	s_andn2_b64 s[4:5], s[4:5], exec
	s_and_b64 s[8:9], s[8:9], exec
	s_or_b64 s[4:5], s[4:5], s[8:9]
	s_or_b64 exec, exec, s[6:7]
	s_and_saveexec_b64 s[6:7], s[4:5]
	s_cbranch_execnz .LBB9_975
	s_branch .LBB9_976
.LBB9_3025:
	s_movk_i32 s4, 0x80
	v_cmp_eq_u16_e32 vcc, s4, v3
	s_mov_b64 s[4:5], -1
                                        ; implicit-def: $sgpr10
	s_and_saveexec_b64 s[8:9], vcc
; %bb.3026:
	s_mov_b32 s10, 0x7f800001
	s_xor_b64 s[4:5], exec, -1
; %bb.3027:
	s_or_b64 exec, exec, s[8:9]
	s_and_b64 s[4:5], s[4:5], exec
                                        ; implicit-def: $vgpr3
	s_or_saveexec_b64 s[6:7], s[6:7]
	v_mov_b32_e32 v2, s10
	s_xor_b64 exec, exec, s[6:7]
	s_cbranch_execz .LBB9_978
.LBB9_3028:
	v_cmp_ne_u16_e32 vcc, 0, v3
	s_andn2_b64 s[4:5], s[4:5], exec
	s_and_b64 s[8:9], vcc, exec
	v_mov_b32_e32 v2, 0
	s_or_b64 s[4:5], s[4:5], s[8:9]
	s_or_b64 exec, exec, s[6:7]
	s_and_saveexec_b64 s[6:7], s[4:5]
	s_cbranch_execnz .LBB9_979
	s_branch .LBB9_980
.LBB9_3029:
	s_movk_i32 s4, 0x80
	v_cmp_eq_u16_e32 vcc, s4, v3
	s_mov_b64 s[4:5], -1
                                        ; implicit-def: $sgpr10
	s_and_saveexec_b64 s[8:9], vcc
; %bb.3030:
	s_mov_b32 s10, 0x7f800001
	s_xor_b64 s[4:5], exec, -1
; %bb.3031:
	s_or_b64 exec, exec, s[8:9]
	s_and_b64 s[4:5], s[4:5], exec
                                        ; implicit-def: $vgpr3
	s_or_saveexec_b64 s[6:7], s[6:7]
	v_mov_b32_e32 v6, s10
	s_xor_b64 exec, exec, s[6:7]
	s_cbranch_execz .LBB9_982
.LBB9_3032:
	v_cmp_ne_u16_e32 vcc, 0, v3
	s_andn2_b64 s[4:5], s[4:5], exec
	s_and_b64 s[8:9], vcc, exec
	v_mov_b32_e32 v6, 0
	s_or_b64 s[4:5], s[4:5], s[8:9]
	s_or_b64 exec, exec, s[6:7]
	s_and_saveexec_b64 s[6:7], s[4:5]
	s_cbranch_execnz .LBB9_983
	s_branch .LBB9_984
.LBB9_3033:
	s_movk_i32 s4, 0x80
	v_cmp_eq_u16_sdwa s[12:13], v8, s4 src0_sel:BYTE_3 src1_sel:DWORD
	s_mov_b64 s[4:5], -1
                                        ; implicit-def: $sgpr10
	s_and_saveexec_b64 s[8:9], s[12:13]
; %bb.3034:
	s_mov_b32 s10, 0x7f800001
	s_xor_b64 s[4:5], exec, -1
; %bb.3035:
	s_or_b64 exec, exec, s[8:9]
	s_and_b64 s[4:5], s[4:5], exec
	s_or_saveexec_b64 s[6:7], s[6:7]
	v_mov_b32_e32 v2, s10
	s_xor_b64 exec, exec, s[6:7]
	s_cbranch_execz .LBB9_986
.LBB9_3036:
	v_mov_b32_e32 v2, 0
	v_cmp_ne_u16_sdwa s[8:9], v8, v2 src0_sel:BYTE_3 src1_sel:DWORD
	s_andn2_b64 s[4:5], s[4:5], exec
	s_and_b64 s[8:9], s[8:9], exec
	s_or_b64 s[4:5], s[4:5], s[8:9]
	s_or_b64 exec, exec, s[6:7]
	s_and_saveexec_b64 s[6:7], s[4:5]
	s_cbranch_execnz .LBB9_987
	s_branch .LBB9_988
.LBB9_3037:
	s_movk_i32 s4, 0x80
	v_cmp_eq_u16_sdwa s[12:13], v4, s4 src0_sel:BYTE_3 src1_sel:DWORD
	s_mov_b64 s[4:5], -1
                                        ; implicit-def: $sgpr10
	s_and_saveexec_b64 s[8:9], s[12:13]
; %bb.3038:
	s_mov_b32 s10, 0x7f800001
	s_xor_b64 s[4:5], exec, -1
; %bb.3039:
	s_or_b64 exec, exec, s[8:9]
	s_and_b64 s[4:5], s[4:5], exec
	s_or_saveexec_b64 s[6:7], s[6:7]
	v_mov_b32_e32 v3, s10
	s_xor_b64 exec, exec, s[6:7]
	s_cbranch_execz .LBB9_990
.LBB9_3040:
	v_mov_b32_e32 v3, 0
	v_cmp_ne_u16_sdwa s[8:9], v4, v3 src0_sel:BYTE_3 src1_sel:DWORD
	s_andn2_b64 s[4:5], s[4:5], exec
	s_and_b64 s[8:9], s[8:9], exec
	s_or_b64 s[4:5], s[4:5], s[8:9]
	s_or_b64 exec, exec, s[6:7]
	s_and_saveexec_b64 s[6:7], s[4:5]
	s_cbranch_execnz .LBB9_991
	s_branch .LBB9_992
.LBB9_3041:
	s_movk_i32 s4, 0x80
	v_cmp_eq_u16_sdwa s[12:13], v9, s4 src0_sel:BYTE_0 src1_sel:DWORD
	s_mov_b64 s[4:5], -1
                                        ; implicit-def: $sgpr10
	s_and_saveexec_b64 s[8:9], s[12:13]
; %bb.3042:
	s_mov_b32 s10, 0x7f800001
	s_xor_b64 s[4:5], exec, -1
; %bb.3043:
	s_or_b64 exec, exec, s[8:9]
	s_and_b64 s[4:5], s[4:5], exec
	s_or_saveexec_b64 s[6:7], s[6:7]
	v_mov_b32_e32 v2, s10
	s_xor_b64 exec, exec, s[6:7]
	s_cbranch_execz .LBB9_994
.LBB9_3044:
	v_mov_b32_e32 v2, 0
	v_cmp_ne_u16_sdwa s[8:9], v9, v2 src0_sel:BYTE_0 src1_sel:DWORD
	s_andn2_b64 s[4:5], s[4:5], exec
	s_and_b64 s[8:9], s[8:9], exec
	s_or_b64 s[4:5], s[4:5], s[8:9]
	s_or_b64 exec, exec, s[6:7]
	s_and_saveexec_b64 s[6:7], s[4:5]
	s_cbranch_execnz .LBB9_995
	s_branch .LBB9_996
.LBB9_3045:
	s_movk_i32 s4, 0x80
	v_cmp_eq_u16_sdwa s[12:13], v5, s4 src0_sel:BYTE_0 src1_sel:DWORD
	s_mov_b64 s[4:5], -1
                                        ; implicit-def: $sgpr10
	s_and_saveexec_b64 s[8:9], s[12:13]
; %bb.3046:
	s_mov_b32 s10, 0x7f800001
	s_xor_b64 s[4:5], exec, -1
; %bb.3047:
	s_or_b64 exec, exec, s[8:9]
	s_and_b64 s[4:5], s[4:5], exec
	s_or_saveexec_b64 s[6:7], s[6:7]
	v_mov_b32_e32 v3, s10
	s_xor_b64 exec, exec, s[6:7]
	s_cbranch_execz .LBB9_998
.LBB9_3048:
	v_mov_b32_e32 v3, 0
	v_cmp_ne_u16_sdwa s[8:9], v5, v3 src0_sel:BYTE_0 src1_sel:DWORD
	s_andn2_b64 s[4:5], s[4:5], exec
	s_and_b64 s[8:9], s[8:9], exec
	s_or_b64 s[4:5], s[4:5], s[8:9]
	s_or_b64 exec, exec, s[6:7]
	s_and_saveexec_b64 s[6:7], s[4:5]
	s_cbranch_execnz .LBB9_999
	s_branch .LBB9_1000
.LBB9_3049:
	s_movk_i32 s4, 0x80
	v_cmp_eq_u16_sdwa s[12:13], v3, s4 src0_sel:BYTE_0 src1_sel:DWORD
	s_mov_b64 s[4:5], -1
                                        ; implicit-def: $sgpr10
	s_and_saveexec_b64 s[8:9], s[12:13]
; %bb.3050:
	s_mov_b32 s10, 0x7f800001
	s_xor_b64 s[4:5], exec, -1
; %bb.3051:
	s_or_b64 exec, exec, s[8:9]
	s_and_b64 s[4:5], s[4:5], exec
	s_or_saveexec_b64 s[6:7], s[6:7]
	v_mov_b32_e32 v2, s10
	s_xor_b64 exec, exec, s[6:7]
	s_cbranch_execz .LBB9_1002
.LBB9_3052:
	v_mov_b32_e32 v2, 0
	v_cmp_ne_u16_sdwa s[8:9], v3, v2 src0_sel:BYTE_0 src1_sel:DWORD
	s_andn2_b64 s[4:5], s[4:5], exec
	s_and_b64 s[8:9], s[8:9], exec
	s_or_b64 s[4:5], s[4:5], s[8:9]
	s_or_b64 exec, exec, s[6:7]
	s_and_saveexec_b64 s[6:7], s[4:5]
	s_cbranch_execnz .LBB9_1003
	s_branch .LBB9_1004
.LBB9_3053:
	s_movk_i32 s4, 0x80
	v_cmp_eq_u16_sdwa s[12:13], v3, s4 src0_sel:BYTE_0 src1_sel:DWORD
	s_mov_b64 s[4:5], -1
                                        ; implicit-def: $sgpr10
	s_and_saveexec_b64 s[8:9], s[12:13]
; %bb.3054:
	s_mov_b32 s10, 0x7f800001
	s_xor_b64 s[4:5], exec, -1
; %bb.3055:
	s_or_b64 exec, exec, s[8:9]
	s_and_b64 s[4:5], s[4:5], exec
	s_or_saveexec_b64 s[6:7], s[6:7]
	v_mov_b32_e32 v4, s10
	s_xor_b64 exec, exec, s[6:7]
	s_cbranch_execz .LBB9_1006
.LBB9_3056:
	v_mov_b32_e32 v4, 0
	v_cmp_ne_u16_sdwa s[8:9], v3, v4 src0_sel:BYTE_0 src1_sel:DWORD
	s_andn2_b64 s[4:5], s[4:5], exec
	s_and_b64 s[8:9], s[8:9], exec
	s_or_b64 s[4:5], s[4:5], s[8:9]
	s_or_b64 exec, exec, s[6:7]
	s_and_saveexec_b64 s[6:7], s[4:5]
	s_cbranch_execnz .LBB9_1007
	s_branch .LBB9_1008
.LBB9_3057:
	s_movk_i32 s4, 0x80
	v_cmp_eq_u16_e32 vcc, s4, v3
	s_mov_b64 s[4:5], -1
                                        ; implicit-def: $sgpr10
	s_and_saveexec_b64 s[8:9], vcc
; %bb.3058:
	s_mov_b32 s10, 0x7f800001
	s_xor_b64 s[4:5], exec, -1
; %bb.3059:
	s_or_b64 exec, exec, s[8:9]
	s_and_b64 s[4:5], s[4:5], exec
                                        ; implicit-def: $vgpr3
	s_or_saveexec_b64 s[6:7], s[6:7]
	v_mov_b32_e32 v2, s10
	s_xor_b64 exec, exec, s[6:7]
	s_cbranch_execz .LBB9_1010
.LBB9_3060:
	v_cmp_ne_u16_e32 vcc, 0, v3
	s_andn2_b64 s[4:5], s[4:5], exec
	s_and_b64 s[8:9], vcc, exec
	v_mov_b32_e32 v2, 0
	s_or_b64 s[4:5], s[4:5], s[8:9]
	s_or_b64 exec, exec, s[6:7]
	s_and_saveexec_b64 s[6:7], s[4:5]
	s_cbranch_execnz .LBB9_1011
	s_branch .LBB9_1012
.LBB9_3061:
	s_movk_i32 s4, 0x80
	v_cmp_eq_u16_e32 vcc, s4, v3
	s_mov_b64 s[4:5], -1
                                        ; implicit-def: $sgpr10
	s_and_saveexec_b64 s[8:9], vcc
; %bb.3062:
	s_mov_b32 s10, 0x7f800001
	s_xor_b64 s[4:5], exec, -1
; %bb.3063:
	s_or_b64 exec, exec, s[8:9]
	s_and_b64 s[4:5], s[4:5], exec
                                        ; implicit-def: $vgpr3
	s_or_saveexec_b64 s[6:7], s[6:7]
	v_mov_b32_e32 v4, s10
	s_xor_b64 exec, exec, s[6:7]
	s_cbranch_execz .LBB9_1014
.LBB9_3064:
	v_cmp_ne_u16_e32 vcc, 0, v3
	s_andn2_b64 s[4:5], s[4:5], exec
	s_and_b64 s[8:9], vcc, exec
	v_mov_b32_e32 v4, 0
	s_or_b64 s[4:5], s[4:5], s[8:9]
	s_or_b64 exec, exec, s[6:7]
	s_and_saveexec_b64 s[6:7], s[4:5]
	s_cbranch_execnz .LBB9_1015
	s_branch .LBB9_1016
.LBB9_3065:
	s_movk_i32 s4, 0x80
	v_cmp_eq_u16_sdwa s[12:13], v9, s4 src0_sel:BYTE_3 src1_sel:DWORD
	s_mov_b64 s[4:5], -1
                                        ; implicit-def: $sgpr10
	s_and_saveexec_b64 s[8:9], s[12:13]
; %bb.3066:
	s_mov_b32 s10, 0x7f800001
	s_xor_b64 s[4:5], exec, -1
; %bb.3067:
	s_or_b64 exec, exec, s[8:9]
	s_and_b64 s[4:5], s[4:5], exec
	s_or_saveexec_b64 s[6:7], s[6:7]
	v_mov_b32_e32 v2, s10
	s_xor_b64 exec, exec, s[6:7]
	s_cbranch_execz .LBB9_1018
.LBB9_3068:
	v_mov_b32_e32 v2, 0
	v_cmp_ne_u16_sdwa s[8:9], v9, v2 src0_sel:BYTE_3 src1_sel:DWORD
	s_andn2_b64 s[4:5], s[4:5], exec
	s_and_b64 s[8:9], s[8:9], exec
	s_or_b64 s[4:5], s[4:5], s[8:9]
	s_or_b64 exec, exec, s[6:7]
	s_and_saveexec_b64 s[6:7], s[4:5]
	s_cbranch_execnz .LBB9_1019
	s_branch .LBB9_1020
.LBB9_3069:
	s_movk_i32 s4, 0x80
	v_cmp_eq_u16_sdwa s[12:13], v5, s4 src0_sel:BYTE_3 src1_sel:DWORD
	s_mov_b64 s[4:5], -1
                                        ; implicit-def: $sgpr10
	s_and_saveexec_b64 s[8:9], s[12:13]
; %bb.3070:
	s_mov_b32 s10, 0x7f800001
	s_xor_b64 s[4:5], exec, -1
; %bb.3071:
	s_or_b64 exec, exec, s[8:9]
	s_and_b64 s[4:5], s[4:5], exec
	s_or_saveexec_b64 s[6:7], s[6:7]
	v_mov_b32_e32 v3, s10
	s_xor_b64 exec, exec, s[6:7]
	s_cbranch_execz .LBB9_1022
.LBB9_3072:
	v_mov_b32_e32 v3, 0
	v_cmp_ne_u16_sdwa s[8:9], v5, v3 src0_sel:BYTE_3 src1_sel:DWORD
	s_andn2_b64 s[4:5], s[4:5], exec
	s_and_b64 s[8:9], s[8:9], exec
	s_or_b64 s[4:5], s[4:5], s[8:9]
	s_or_b64 exec, exec, s[6:7]
	s_and_saveexec_b64 s[6:7], s[4:5]
	s_cbranch_execnz .LBB9_1023
	s_branch .LBB9_1024
.LBB9_3073:
	s_movk_i32 s4, 0x80
	v_cmp_eq_u16_sdwa s[12:13], v6, s4 src0_sel:BYTE_0 src1_sel:DWORD
	s_mov_b64 s[4:5], -1
                                        ; implicit-def: $sgpr10
	s_and_saveexec_b64 s[8:9], s[12:13]
; %bb.3074:
	s_mov_b32 s10, 0x7f800001
	s_xor_b64 s[4:5], exec, -1
; %bb.3075:
	s_or_b64 exec, exec, s[8:9]
	s_and_b64 s[4:5], s[4:5], exec
	s_or_saveexec_b64 s[6:7], s[6:7]
	v_mov_b32_e32 v12, s10
	s_xor_b64 exec, exec, s[6:7]
	s_cbranch_execz .LBB9_1026
.LBB9_3076:
	v_mov_b32_e32 v12, 0
	v_cmp_ne_u16_sdwa s[8:9], v6, v12 src0_sel:BYTE_0 src1_sel:DWORD
	s_andn2_b64 s[4:5], s[4:5], exec
	s_and_b64 s[8:9], s[8:9], exec
	s_or_b64 s[4:5], s[4:5], s[8:9]
	s_or_b64 exec, exec, s[6:7]
	s_and_saveexec_b64 s[6:7], s[4:5]
	s_cbranch_execnz .LBB9_1027
	s_branch .LBB9_1028
.LBB9_3077:
	s_movk_i32 s4, 0x80
	v_cmp_eq_u16_sdwa s[12:13], v2, s4 src0_sel:BYTE_0 src1_sel:DWORD
	s_mov_b64 s[4:5], -1
                                        ; implicit-def: $sgpr10
	s_and_saveexec_b64 s[8:9], s[12:13]
; %bb.3078:
	s_mov_b32 s10, 0x7f800001
	s_xor_b64 s[4:5], exec, -1
; %bb.3079:
	s_or_b64 exec, exec, s[8:9]
	s_and_b64 s[4:5], s[4:5], exec
	s_or_saveexec_b64 s[6:7], s[6:7]
	v_mov_b32_e32 v13, s10
	s_xor_b64 exec, exec, s[6:7]
	s_cbranch_execz .LBB9_1030
.LBB9_3080:
	v_mov_b32_e32 v13, 0
	v_cmp_ne_u16_sdwa s[8:9], v2, v13 src0_sel:BYTE_0 src1_sel:DWORD
	s_andn2_b64 s[4:5], s[4:5], exec
	s_and_b64 s[8:9], s[8:9], exec
	s_or_b64 s[4:5], s[4:5], s[8:9]
	s_or_b64 exec, exec, s[6:7]
	s_and_saveexec_b64 s[6:7], s[4:5]
	s_cbranch_execnz .LBB9_1031
	s_branch .LBB9_1032
.LBB9_3081:
	s_movk_i32 s4, 0x80
	v_cmp_eq_u16_sdwa s[12:13], v13, s4 src0_sel:BYTE_0 src1_sel:DWORD
	s_mov_b64 s[4:5], -1
                                        ; implicit-def: $sgpr10
	s_and_saveexec_b64 s[8:9], s[12:13]
; %bb.3082:
	s_mov_b32 s10, 0x7f800001
	s_xor_b64 s[4:5], exec, -1
; %bb.3083:
	s_or_b64 exec, exec, s[8:9]
	s_and_b64 s[4:5], s[4:5], exec
	s_or_saveexec_b64 s[6:7], s[6:7]
	v_mov_b32_e32 v12, s10
	s_xor_b64 exec, exec, s[6:7]
	s_cbranch_execz .LBB9_1034
.LBB9_3084:
	v_mov_b32_e32 v12, 0
	v_cmp_ne_u16_sdwa s[8:9], v13, v12 src0_sel:BYTE_0 src1_sel:DWORD
	s_andn2_b64 s[4:5], s[4:5], exec
	s_and_b64 s[8:9], s[8:9], exec
	s_or_b64 s[4:5], s[4:5], s[8:9]
	s_or_b64 exec, exec, s[6:7]
	s_and_saveexec_b64 s[6:7], s[4:5]
	s_cbranch_execnz .LBB9_1035
	s_branch .LBB9_1036
.LBB9_3085:
	s_movk_i32 s4, 0x80
	v_cmp_eq_u16_sdwa s[12:13], v13, s4 src0_sel:BYTE_0 src1_sel:DWORD
	s_mov_b64 s[4:5], -1
                                        ; implicit-def: $sgpr10
	s_and_saveexec_b64 s[8:9], s[12:13]
; %bb.3086:
	s_mov_b32 s10, 0x7f800001
	s_xor_b64 s[4:5], exec, -1
; %bb.3087:
	s_or_b64 exec, exec, s[8:9]
	s_and_b64 s[4:5], s[4:5], exec
	s_or_saveexec_b64 s[6:7], s[6:7]
	v_mov_b32_e32 v14, s10
	s_xor_b64 exec, exec, s[6:7]
	s_cbranch_execz .LBB9_1038
.LBB9_3088:
	v_mov_b32_e32 v14, 0
	v_cmp_ne_u16_sdwa s[8:9], v13, v14 src0_sel:BYTE_0 src1_sel:DWORD
	s_andn2_b64 s[4:5], s[4:5], exec
	s_and_b64 s[8:9], s[8:9], exec
	s_or_b64 s[4:5], s[4:5], s[8:9]
	s_or_b64 exec, exec, s[6:7]
	s_and_saveexec_b64 s[6:7], s[4:5]
	s_cbranch_execnz .LBB9_1039
	s_branch .LBB9_1040
.LBB9_3089:
	s_movk_i32 s4, 0x80
	v_cmp_eq_u16_e32 vcc, s4, v13
	s_mov_b64 s[4:5], -1
                                        ; implicit-def: $sgpr10
	s_and_saveexec_b64 s[8:9], vcc
; %bb.3090:
	s_mov_b32 s10, 0x7f800001
	s_xor_b64 s[4:5], exec, -1
; %bb.3091:
	s_or_b64 exec, exec, s[8:9]
	s_and_b64 s[4:5], s[4:5], exec
                                        ; implicit-def: $vgpr13
	s_or_saveexec_b64 s[6:7], s[6:7]
	v_mov_b32_e32 v12, s10
	s_xor_b64 exec, exec, s[6:7]
	s_cbranch_execz .LBB9_1042
.LBB9_3092:
	v_cmp_ne_u16_e32 vcc, 0, v13
	s_andn2_b64 s[4:5], s[4:5], exec
	s_and_b64 s[8:9], vcc, exec
	v_mov_b32_e32 v12, 0
	s_or_b64 s[4:5], s[4:5], s[8:9]
	s_or_b64 exec, exec, s[6:7]
	s_and_saveexec_b64 s[6:7], s[4:5]
	s_cbranch_execnz .LBB9_1043
	s_branch .LBB9_1044
.LBB9_3093:
	s_movk_i32 s4, 0x80
	v_cmp_eq_u16_e32 vcc, s4, v13
	s_mov_b64 s[4:5], -1
                                        ; implicit-def: $sgpr10
	s_and_saveexec_b64 s[8:9], vcc
; %bb.3094:
	s_mov_b32 s10, 0x7f800001
	s_xor_b64 s[4:5], exec, -1
; %bb.3095:
	s_or_b64 exec, exec, s[8:9]
	s_and_b64 s[4:5], s[4:5], exec
                                        ; implicit-def: $vgpr13
	s_or_saveexec_b64 s[6:7], s[6:7]
	v_mov_b32_e32 v14, s10
	s_xor_b64 exec, exec, s[6:7]
	s_cbranch_execz .LBB9_1046
.LBB9_3096:
	v_cmp_ne_u16_e32 vcc, 0, v13
	s_andn2_b64 s[4:5], s[4:5], exec
	s_and_b64 s[8:9], vcc, exec
	v_mov_b32_e32 v14, 0
	s_or_b64 s[4:5], s[4:5], s[8:9]
	s_or_b64 exec, exec, s[6:7]
	s_and_saveexec_b64 s[6:7], s[4:5]
	s_cbranch_execnz .LBB9_1047
	s_branch .LBB9_1048
.LBB9_3097:
	s_movk_i32 s4, 0x80
	v_cmp_eq_u16_sdwa s[12:13], v6, s4 src0_sel:BYTE_3 src1_sel:DWORD
	s_mov_b64 s[4:5], -1
                                        ; implicit-def: $sgpr10
	s_and_saveexec_b64 s[8:9], s[12:13]
; %bb.3098:
	s_mov_b32 s10, 0x7f800001
	s_xor_b64 s[4:5], exec, -1
; %bb.3099:
	s_or_b64 exec, exec, s[8:9]
	s_and_b64 s[4:5], s[4:5], exec
	s_or_saveexec_b64 s[6:7], s[6:7]
	v_mov_b32_e32 v12, s10
	s_xor_b64 exec, exec, s[6:7]
	s_cbranch_execz .LBB9_1050
.LBB9_3100:
	v_mov_b32_e32 v12, 0
	v_cmp_ne_u16_sdwa s[8:9], v6, v12 src0_sel:BYTE_3 src1_sel:DWORD
	s_andn2_b64 s[4:5], s[4:5], exec
	s_and_b64 s[8:9], s[8:9], exec
	s_or_b64 s[4:5], s[4:5], s[8:9]
	s_or_b64 exec, exec, s[6:7]
	s_and_saveexec_b64 s[6:7], s[4:5]
	s_cbranch_execnz .LBB9_1051
	s_branch .LBB9_1052
.LBB9_3101:
	s_movk_i32 s4, 0x80
	v_cmp_eq_u16_sdwa s[12:13], v2, s4 src0_sel:BYTE_3 src1_sel:DWORD
	s_mov_b64 s[4:5], -1
                                        ; implicit-def: $sgpr10
	s_and_saveexec_b64 s[8:9], s[12:13]
; %bb.3102:
	s_mov_b32 s10, 0x7f800001
	s_xor_b64 s[4:5], exec, -1
; %bb.3103:
	s_or_b64 exec, exec, s[8:9]
	s_and_b64 s[4:5], s[4:5], exec
	s_or_saveexec_b64 s[6:7], s[6:7]
	v_mov_b32_e32 v6, s10
	s_xor_b64 exec, exec, s[6:7]
	s_cbranch_execz .LBB9_1054
.LBB9_3104:
	v_mov_b32_e32 v6, 0
	v_cmp_ne_u16_sdwa s[8:9], v2, v6 src0_sel:BYTE_3 src1_sel:DWORD
	s_andn2_b64 s[4:5], s[4:5], exec
	s_and_b64 s[8:9], s[8:9], exec
	s_or_b64 s[4:5], s[4:5], s[8:9]
	s_or_b64 exec, exec, s[6:7]
	s_and_saveexec_b64 s[6:7], s[4:5]
	s_cbranch_execnz .LBB9_1055
	s_branch .LBB9_1056
.LBB9_3105:
	s_movk_i32 s4, 0x80
	v_cmp_eq_u16_sdwa s[12:13], v7, s4 src0_sel:BYTE_0 src1_sel:DWORD
	s_mov_b64 s[4:5], -1
                                        ; implicit-def: $sgpr10
	s_and_saveexec_b64 s[8:9], s[12:13]
; %bb.3106:
	s_mov_b32 s10, 0x7f800001
	s_xor_b64 s[4:5], exec, -1
; %bb.3107:
	s_or_b64 exec, exec, s[8:9]
	s_and_b64 s[4:5], s[4:5], exec
	s_or_saveexec_b64 s[6:7], s[6:7]
	v_mov_b32_e32 v2, s10
	s_xor_b64 exec, exec, s[6:7]
	s_cbranch_execz .LBB9_1058
.LBB9_3108:
	v_mov_b32_e32 v2, 0
	v_cmp_ne_u16_sdwa s[8:9], v7, v2 src0_sel:BYTE_0 src1_sel:DWORD
	s_andn2_b64 s[4:5], s[4:5], exec
	s_and_b64 s[8:9], s[8:9], exec
	s_or_b64 s[4:5], s[4:5], s[8:9]
	s_or_b64 exec, exec, s[6:7]
	s_and_saveexec_b64 s[6:7], s[4:5]
	s_cbranch_execnz .LBB9_1059
	s_branch .LBB9_1060
.LBB9_3109:
	s_movk_i32 s4, 0x80
	v_cmp_eq_u16_sdwa s[12:13], v3, s4 src0_sel:BYTE_0 src1_sel:DWORD
	s_mov_b64 s[4:5], -1
                                        ; implicit-def: $sgpr10
	s_and_saveexec_b64 s[8:9], s[12:13]
; %bb.3110:
	s_mov_b32 s10, 0x7f800001
	s_xor_b64 s[4:5], exec, -1
; %bb.3111:
	s_or_b64 exec, exec, s[8:9]
	s_and_b64 s[4:5], s[4:5], exec
	s_or_saveexec_b64 s[6:7], s[6:7]
	v_mov_b32_e32 v6, s10
	s_xor_b64 exec, exec, s[6:7]
	s_cbranch_execz .LBB9_1062
.LBB9_3112:
	v_mov_b32_e32 v6, 0
	v_cmp_ne_u16_sdwa s[8:9], v3, v6 src0_sel:BYTE_0 src1_sel:DWORD
	s_andn2_b64 s[4:5], s[4:5], exec
	s_and_b64 s[8:9], s[8:9], exec
	s_or_b64 s[4:5], s[4:5], s[8:9]
	s_or_b64 exec, exec, s[6:7]
	s_and_saveexec_b64 s[6:7], s[4:5]
	s_cbranch_execnz .LBB9_1063
	s_branch .LBB9_1064
.LBB9_3113:
	s_movk_i32 s4, 0x80
	v_cmp_eq_u16_sdwa s[12:13], v6, s4 src0_sel:BYTE_0 src1_sel:DWORD
	s_mov_b64 s[4:5], -1
                                        ; implicit-def: $sgpr10
	s_and_saveexec_b64 s[8:9], s[12:13]
; %bb.3114:
	s_mov_b32 s10, 0x7f800001
	s_xor_b64 s[4:5], exec, -1
; %bb.3115:
	s_or_b64 exec, exec, s[8:9]
	s_and_b64 s[4:5], s[4:5], exec
	s_or_saveexec_b64 s[6:7], s[6:7]
	v_mov_b32_e32 v2, s10
	s_xor_b64 exec, exec, s[6:7]
	s_cbranch_execz .LBB9_1066
.LBB9_3116:
	v_mov_b32_e32 v2, 0
	v_cmp_ne_u16_sdwa s[8:9], v6, v2 src0_sel:BYTE_0 src1_sel:DWORD
	s_andn2_b64 s[4:5], s[4:5], exec
	s_and_b64 s[8:9], s[8:9], exec
	s_or_b64 s[4:5], s[4:5], s[8:9]
	s_or_b64 exec, exec, s[6:7]
	s_and_saveexec_b64 s[6:7], s[4:5]
	s_cbranch_execnz .LBB9_1067
	s_branch .LBB9_1068
.LBB9_3117:
	s_movk_i32 s4, 0x80
	v_cmp_eq_u16_sdwa s[12:13], v6, s4 src0_sel:BYTE_0 src1_sel:DWORD
	s_mov_b64 s[4:5], -1
                                        ; implicit-def: $sgpr10
	s_and_saveexec_b64 s[8:9], s[12:13]
; %bb.3118:
	s_mov_b32 s10, 0x7f800001
	s_xor_b64 s[4:5], exec, -1
; %bb.3119:
	s_or_b64 exec, exec, s[8:9]
	s_and_b64 s[4:5], s[4:5], exec
	s_or_saveexec_b64 s[6:7], s[6:7]
	v_mov_b32_e32 v12, s10
	s_xor_b64 exec, exec, s[6:7]
	s_cbranch_execz .LBB9_1070
.LBB9_3120:
	v_mov_b32_e32 v12, 0
	v_cmp_ne_u16_sdwa s[8:9], v6, v12 src0_sel:BYTE_0 src1_sel:DWORD
	s_andn2_b64 s[4:5], s[4:5], exec
	s_and_b64 s[8:9], s[8:9], exec
	s_or_b64 s[4:5], s[4:5], s[8:9]
	s_or_b64 exec, exec, s[6:7]
	s_and_saveexec_b64 s[6:7], s[4:5]
	s_cbranch_execnz .LBB9_1071
	s_branch .LBB9_1072
.LBB9_3121:
	s_movk_i32 s4, 0x80
	v_cmp_eq_u16_e32 vcc, s4, v6
	s_mov_b64 s[4:5], -1
                                        ; implicit-def: $sgpr10
	s_and_saveexec_b64 s[8:9], vcc
; %bb.3122:
	s_mov_b32 s10, 0x7f800001
	s_xor_b64 s[4:5], exec, -1
; %bb.3123:
	s_or_b64 exec, exec, s[8:9]
	s_and_b64 s[4:5], s[4:5], exec
                                        ; implicit-def: $vgpr6
	s_or_saveexec_b64 s[6:7], s[6:7]
	v_mov_b32_e32 v2, s10
	s_xor_b64 exec, exec, s[6:7]
	s_cbranch_execz .LBB9_1074
.LBB9_3124:
	v_cmp_ne_u16_e32 vcc, 0, v6
	s_andn2_b64 s[4:5], s[4:5], exec
	s_and_b64 s[8:9], vcc, exec
	v_mov_b32_e32 v2, 0
	s_or_b64 s[4:5], s[4:5], s[8:9]
	s_or_b64 exec, exec, s[6:7]
	s_and_saveexec_b64 s[6:7], s[4:5]
	s_cbranch_execnz .LBB9_1075
	s_branch .LBB9_1076
.LBB9_3125:
	s_movk_i32 s4, 0x80
	v_cmp_eq_u16_e32 vcc, s4, v6
	s_mov_b64 s[4:5], -1
                                        ; implicit-def: $sgpr10
	s_and_saveexec_b64 s[8:9], vcc
; %bb.3126:
	s_mov_b32 s10, 0x7f800001
	s_xor_b64 s[4:5], exec, -1
; %bb.3127:
	s_or_b64 exec, exec, s[8:9]
	s_and_b64 s[4:5], s[4:5], exec
                                        ; implicit-def: $vgpr6
	s_or_saveexec_b64 s[6:7], s[6:7]
	v_mov_b32_e32 v12, s10
	s_xor_b64 exec, exec, s[6:7]
	s_cbranch_execz .LBB9_1078
.LBB9_3128:
	v_cmp_ne_u16_e32 vcc, 0, v6
	s_andn2_b64 s[4:5], s[4:5], exec
	s_and_b64 s[8:9], vcc, exec
	v_mov_b32_e32 v12, 0
	s_or_b64 s[4:5], s[4:5], s[8:9]
	s_or_b64 exec, exec, s[6:7]
	s_and_saveexec_b64 s[6:7], s[4:5]
	s_cbranch_execnz .LBB9_1079
	s_branch .LBB9_1080
.LBB9_3129:
	s_movk_i32 s4, 0x80
	v_cmp_eq_u16_sdwa s[12:13], v7, s4 src0_sel:BYTE_3 src1_sel:DWORD
	s_mov_b64 s[4:5], -1
                                        ; implicit-def: $sgpr10
	s_and_saveexec_b64 s[8:9], s[12:13]
; %bb.3130:
	s_mov_b32 s10, 0x7f800001
	s_xor_b64 s[4:5], exec, -1
; %bb.3131:
	s_or_b64 exec, exec, s[8:9]
	s_and_b64 s[4:5], s[4:5], exec
	s_or_saveexec_b64 s[6:7], s[6:7]
	v_mov_b32_e32 v2, s10
	s_xor_b64 exec, exec, s[6:7]
	s_cbranch_execz .LBB9_1082
.LBB9_3132:
	v_mov_b32_e32 v2, 0
	v_cmp_ne_u16_sdwa s[8:9], v7, v2 src0_sel:BYTE_3 src1_sel:DWORD
	s_andn2_b64 s[4:5], s[4:5], exec
	s_and_b64 s[8:9], s[8:9], exec
	s_or_b64 s[4:5], s[4:5], s[8:9]
	s_or_b64 exec, exec, s[6:7]
	s_and_saveexec_b64 s[6:7], s[4:5]
	s_cbranch_execnz .LBB9_1083
	s_branch .LBB9_1084
.LBB9_3133:
	s_movk_i32 s4, 0x80
	v_cmp_eq_u16_sdwa s[12:13], v3, s4 src0_sel:BYTE_3 src1_sel:DWORD
	s_mov_b64 s[4:5], -1
                                        ; implicit-def: $sgpr10
	s_and_saveexec_b64 s[8:9], s[12:13]
; %bb.3134:
	s_mov_b32 s10, 0x7f800001
	s_xor_b64 s[4:5], exec, -1
; %bb.3135:
	s_or_b64 exec, exec, s[8:9]
	s_and_b64 s[4:5], s[4:5], exec
	s_or_saveexec_b64 s[6:7], s[6:7]
	v_mov_b32_e32 v6, s10
	s_xor_b64 exec, exec, s[6:7]
	s_cbranch_execz .LBB9_1086
.LBB9_3136:
	v_mov_b32_e32 v6, 0
	v_cmp_ne_u16_sdwa s[8:9], v3, v6 src0_sel:BYTE_3 src1_sel:DWORD
	s_andn2_b64 s[4:5], s[4:5], exec
	s_and_b64 s[8:9], s[8:9], exec
	s_or_b64 s[4:5], s[4:5], s[8:9]
	s_or_b64 exec, exec, s[6:7]
	s_and_saveexec_b64 s[6:7], s[4:5]
	s_cbranch_execnz .LBB9_1087
	s_branch .LBB9_1088
.LBB9_3137:
	s_movk_i32 s4, 0x80
	v_cmp_eq_u16_sdwa s[12:13], v8, s4 src0_sel:BYTE_0 src1_sel:DWORD
	s_mov_b64 s[4:5], -1
                                        ; implicit-def: $sgpr10
	s_and_saveexec_b64 s[8:9], s[12:13]
; %bb.3138:
	s_mov_b32 s10, 0x7f800001
	s_xor_b64 s[4:5], exec, -1
; %bb.3139:
	s_or_b64 exec, exec, s[8:9]
	s_and_b64 s[4:5], s[4:5], exec
	s_or_saveexec_b64 s[6:7], s[6:7]
	v_mov_b32_e32 v2, s10
	s_xor_b64 exec, exec, s[6:7]
	s_cbranch_execz .LBB9_1090
.LBB9_3140:
	v_mov_b32_e32 v2, 0
	v_cmp_ne_u16_sdwa s[8:9], v8, v2 src0_sel:BYTE_0 src1_sel:DWORD
	s_andn2_b64 s[4:5], s[4:5], exec
	s_and_b64 s[8:9], s[8:9], exec
	s_or_b64 s[4:5], s[4:5], s[8:9]
	s_or_b64 exec, exec, s[6:7]
	s_and_saveexec_b64 s[6:7], s[4:5]
	s_cbranch_execnz .LBB9_1091
	s_branch .LBB9_1092
.LBB9_3141:
	s_movk_i32 s4, 0x80
	v_cmp_eq_u16_sdwa s[12:13], v4, s4 src0_sel:BYTE_0 src1_sel:DWORD
	s_mov_b64 s[4:5], -1
                                        ; implicit-def: $sgpr10
	s_and_saveexec_b64 s[8:9], s[12:13]
; %bb.3142:
	s_mov_b32 s10, 0x7f800001
	s_xor_b64 s[4:5], exec, -1
; %bb.3143:
	s_or_b64 exec, exec, s[8:9]
	s_and_b64 s[4:5], s[4:5], exec
	s_or_saveexec_b64 s[6:7], s[6:7]
	v_mov_b32_e32 v3, s10
	s_xor_b64 exec, exec, s[6:7]
	s_cbranch_execz .LBB9_1094
.LBB9_3144:
	v_mov_b32_e32 v3, 0
	v_cmp_ne_u16_sdwa s[8:9], v4, v3 src0_sel:BYTE_0 src1_sel:DWORD
	s_andn2_b64 s[4:5], s[4:5], exec
	s_and_b64 s[8:9], s[8:9], exec
	s_or_b64 s[4:5], s[4:5], s[8:9]
	s_or_b64 exec, exec, s[6:7]
	s_and_saveexec_b64 s[6:7], s[4:5]
	s_cbranch_execnz .LBB9_1095
	s_branch .LBB9_1096
.LBB9_3145:
	s_movk_i32 s4, 0x80
	v_cmp_eq_u16_sdwa s[12:13], v3, s4 src0_sel:BYTE_0 src1_sel:DWORD
	s_mov_b64 s[4:5], -1
                                        ; implicit-def: $sgpr10
	s_and_saveexec_b64 s[8:9], s[12:13]
; %bb.3146:
	s_mov_b32 s10, 0x7f800001
	s_xor_b64 s[4:5], exec, -1
; %bb.3147:
	s_or_b64 exec, exec, s[8:9]
	s_and_b64 s[4:5], s[4:5], exec
	s_or_saveexec_b64 s[6:7], s[6:7]
	v_mov_b32_e32 v2, s10
	s_xor_b64 exec, exec, s[6:7]
	s_cbranch_execz .LBB9_1098
.LBB9_3148:
	v_mov_b32_e32 v2, 0
	v_cmp_ne_u16_sdwa s[8:9], v3, v2 src0_sel:BYTE_0 src1_sel:DWORD
	s_andn2_b64 s[4:5], s[4:5], exec
	s_and_b64 s[8:9], s[8:9], exec
	s_or_b64 s[4:5], s[4:5], s[8:9]
	s_or_b64 exec, exec, s[6:7]
	s_and_saveexec_b64 s[6:7], s[4:5]
	s_cbranch_execnz .LBB9_1099
	s_branch .LBB9_1100
.LBB9_3149:
	s_movk_i32 s4, 0x80
	v_cmp_eq_u16_sdwa s[12:13], v3, s4 src0_sel:BYTE_0 src1_sel:DWORD
	s_mov_b64 s[4:5], -1
                                        ; implicit-def: $sgpr10
	s_and_saveexec_b64 s[8:9], s[12:13]
; %bb.3150:
	s_mov_b32 s10, 0x7f800001
	s_xor_b64 s[4:5], exec, -1
; %bb.3151:
	s_or_b64 exec, exec, s[8:9]
	s_and_b64 s[4:5], s[4:5], exec
	s_or_saveexec_b64 s[6:7], s[6:7]
	v_mov_b32_e32 v6, s10
	s_xor_b64 exec, exec, s[6:7]
	s_cbranch_execz .LBB9_1102
.LBB9_3152:
	v_mov_b32_e32 v6, 0
	v_cmp_ne_u16_sdwa s[8:9], v3, v6 src0_sel:BYTE_0 src1_sel:DWORD
	s_andn2_b64 s[4:5], s[4:5], exec
	s_and_b64 s[8:9], s[8:9], exec
	s_or_b64 s[4:5], s[4:5], s[8:9]
	s_or_b64 exec, exec, s[6:7]
	s_and_saveexec_b64 s[6:7], s[4:5]
	s_cbranch_execnz .LBB9_1103
	s_branch .LBB9_1104
.LBB9_3153:
	s_movk_i32 s4, 0x80
	v_cmp_eq_u16_e32 vcc, s4, v3
	s_mov_b64 s[4:5], -1
                                        ; implicit-def: $sgpr10
	s_and_saveexec_b64 s[8:9], vcc
; %bb.3154:
	s_mov_b32 s10, 0x7f800001
	s_xor_b64 s[4:5], exec, -1
; %bb.3155:
	s_or_b64 exec, exec, s[8:9]
	s_and_b64 s[4:5], s[4:5], exec
                                        ; implicit-def: $vgpr3
	s_or_saveexec_b64 s[6:7], s[6:7]
	v_mov_b32_e32 v2, s10
	s_xor_b64 exec, exec, s[6:7]
	s_cbranch_execz .LBB9_1106
.LBB9_3156:
	v_cmp_ne_u16_e32 vcc, 0, v3
	s_andn2_b64 s[4:5], s[4:5], exec
	s_and_b64 s[8:9], vcc, exec
	v_mov_b32_e32 v2, 0
	s_or_b64 s[4:5], s[4:5], s[8:9]
	s_or_b64 exec, exec, s[6:7]
	s_and_saveexec_b64 s[6:7], s[4:5]
	s_cbranch_execnz .LBB9_1107
	s_branch .LBB9_1108
.LBB9_3157:
	s_movk_i32 s4, 0x80
	v_cmp_eq_u16_e32 vcc, s4, v3
	s_mov_b64 s[4:5], -1
                                        ; implicit-def: $sgpr10
	s_and_saveexec_b64 s[8:9], vcc
; %bb.3158:
	s_mov_b32 s10, 0x7f800001
	s_xor_b64 s[4:5], exec, -1
; %bb.3159:
	s_or_b64 exec, exec, s[8:9]
	s_and_b64 s[4:5], s[4:5], exec
                                        ; implicit-def: $vgpr3
	s_or_saveexec_b64 s[6:7], s[6:7]
	v_mov_b32_e32 v6, s10
	s_xor_b64 exec, exec, s[6:7]
	s_cbranch_execz .LBB9_1110
.LBB9_3160:
	v_cmp_ne_u16_e32 vcc, 0, v3
	s_andn2_b64 s[4:5], s[4:5], exec
	s_and_b64 s[8:9], vcc, exec
	v_mov_b32_e32 v6, 0
	s_or_b64 s[4:5], s[4:5], s[8:9]
	s_or_b64 exec, exec, s[6:7]
	s_and_saveexec_b64 s[6:7], s[4:5]
	s_cbranch_execnz .LBB9_1111
	s_branch .LBB9_1112
.LBB9_3161:
	s_movk_i32 s4, 0x80
	v_cmp_eq_u16_sdwa s[12:13], v8, s4 src0_sel:BYTE_3 src1_sel:DWORD
	s_mov_b64 s[4:5], -1
                                        ; implicit-def: $sgpr10
	s_and_saveexec_b64 s[8:9], s[12:13]
; %bb.3162:
	s_mov_b32 s10, 0x7f800001
	s_xor_b64 s[4:5], exec, -1
; %bb.3163:
	s_or_b64 exec, exec, s[8:9]
	s_and_b64 s[4:5], s[4:5], exec
	s_or_saveexec_b64 s[6:7], s[6:7]
	v_mov_b32_e32 v2, s10
	s_xor_b64 exec, exec, s[6:7]
	s_cbranch_execz .LBB9_1114
.LBB9_3164:
	v_mov_b32_e32 v2, 0
	v_cmp_ne_u16_sdwa s[8:9], v8, v2 src0_sel:BYTE_3 src1_sel:DWORD
	s_andn2_b64 s[4:5], s[4:5], exec
	s_and_b64 s[8:9], s[8:9], exec
	s_or_b64 s[4:5], s[4:5], s[8:9]
	s_or_b64 exec, exec, s[6:7]
	s_and_saveexec_b64 s[6:7], s[4:5]
	s_cbranch_execnz .LBB9_1115
	s_branch .LBB9_1116
.LBB9_3165:
	s_movk_i32 s4, 0x80
	v_cmp_eq_u16_sdwa s[12:13], v4, s4 src0_sel:BYTE_3 src1_sel:DWORD
	s_mov_b64 s[4:5], -1
                                        ; implicit-def: $sgpr10
	s_and_saveexec_b64 s[8:9], s[12:13]
; %bb.3166:
	s_mov_b32 s10, 0x7f800001
	s_xor_b64 s[4:5], exec, -1
; %bb.3167:
	s_or_b64 exec, exec, s[8:9]
	s_and_b64 s[4:5], s[4:5], exec
	s_or_saveexec_b64 s[6:7], s[6:7]
	v_mov_b32_e32 v3, s10
	s_xor_b64 exec, exec, s[6:7]
	s_cbranch_execz .LBB9_1118
.LBB9_3168:
	v_mov_b32_e32 v3, 0
	v_cmp_ne_u16_sdwa s[8:9], v4, v3 src0_sel:BYTE_3 src1_sel:DWORD
	s_andn2_b64 s[4:5], s[4:5], exec
	s_and_b64 s[8:9], s[8:9], exec
	s_or_b64 s[4:5], s[4:5], s[8:9]
	s_or_b64 exec, exec, s[6:7]
	s_and_saveexec_b64 s[6:7], s[4:5]
	s_cbranch_execnz .LBB9_1119
	s_branch .LBB9_1120
.LBB9_3169:
	s_movk_i32 s4, 0x80
	v_cmp_eq_u16_sdwa s[12:13], v9, s4 src0_sel:BYTE_0 src1_sel:DWORD
	s_mov_b64 s[4:5], -1
                                        ; implicit-def: $sgpr10
	s_and_saveexec_b64 s[8:9], s[12:13]
; %bb.3170:
	s_mov_b32 s10, 0x7f800001
	s_xor_b64 s[4:5], exec, -1
; %bb.3171:
	s_or_b64 exec, exec, s[8:9]
	s_and_b64 s[4:5], s[4:5], exec
	s_or_saveexec_b64 s[6:7], s[6:7]
	v_mov_b32_e32 v2, s10
	s_xor_b64 exec, exec, s[6:7]
	s_cbranch_execz .LBB9_1122
.LBB9_3172:
	v_mov_b32_e32 v2, 0
	v_cmp_ne_u16_sdwa s[8:9], v9, v2 src0_sel:BYTE_0 src1_sel:DWORD
	s_andn2_b64 s[4:5], s[4:5], exec
	s_and_b64 s[8:9], s[8:9], exec
	s_or_b64 s[4:5], s[4:5], s[8:9]
	s_or_b64 exec, exec, s[6:7]
	s_and_saveexec_b64 s[6:7], s[4:5]
	s_cbranch_execnz .LBB9_1123
	s_branch .LBB9_1124
.LBB9_3173:
	s_movk_i32 s4, 0x80
	v_cmp_eq_u16_sdwa s[12:13], v5, s4 src0_sel:BYTE_0 src1_sel:DWORD
	s_mov_b64 s[4:5], -1
                                        ; implicit-def: $sgpr10
	s_and_saveexec_b64 s[8:9], s[12:13]
; %bb.3174:
	s_mov_b32 s10, 0x7f800001
	s_xor_b64 s[4:5], exec, -1
; %bb.3175:
	s_or_b64 exec, exec, s[8:9]
	s_and_b64 s[4:5], s[4:5], exec
	s_or_saveexec_b64 s[6:7], s[6:7]
	v_mov_b32_e32 v3, s10
	s_xor_b64 exec, exec, s[6:7]
	s_cbranch_execz .LBB9_1126
.LBB9_3176:
	v_mov_b32_e32 v3, 0
	v_cmp_ne_u16_sdwa s[8:9], v5, v3 src0_sel:BYTE_0 src1_sel:DWORD
	s_andn2_b64 s[4:5], s[4:5], exec
	s_and_b64 s[8:9], s[8:9], exec
	s_or_b64 s[4:5], s[4:5], s[8:9]
	s_or_b64 exec, exec, s[6:7]
	s_and_saveexec_b64 s[6:7], s[4:5]
	s_cbranch_execnz .LBB9_1127
	s_branch .LBB9_1128
.LBB9_3177:
	s_movk_i32 s4, 0x80
	v_cmp_eq_u16_sdwa s[12:13], v3, s4 src0_sel:BYTE_0 src1_sel:DWORD
	s_mov_b64 s[4:5], -1
                                        ; implicit-def: $sgpr10
	s_and_saveexec_b64 s[8:9], s[12:13]
; %bb.3178:
	s_mov_b32 s10, 0x7f800001
	s_xor_b64 s[4:5], exec, -1
; %bb.3179:
	s_or_b64 exec, exec, s[8:9]
	s_and_b64 s[4:5], s[4:5], exec
	s_or_saveexec_b64 s[6:7], s[6:7]
	v_mov_b32_e32 v2, s10
	s_xor_b64 exec, exec, s[6:7]
	s_cbranch_execz .LBB9_1130
.LBB9_3180:
	v_mov_b32_e32 v2, 0
	v_cmp_ne_u16_sdwa s[8:9], v3, v2 src0_sel:BYTE_0 src1_sel:DWORD
	s_andn2_b64 s[4:5], s[4:5], exec
	s_and_b64 s[8:9], s[8:9], exec
	s_or_b64 s[4:5], s[4:5], s[8:9]
	s_or_b64 exec, exec, s[6:7]
	s_and_saveexec_b64 s[6:7], s[4:5]
	s_cbranch_execnz .LBB9_1131
	s_branch .LBB9_1132
.LBB9_3181:
	s_movk_i32 s4, 0x80
	v_cmp_eq_u16_sdwa s[12:13], v3, s4 src0_sel:BYTE_0 src1_sel:DWORD
	s_mov_b64 s[4:5], -1
                                        ; implicit-def: $sgpr10
	s_and_saveexec_b64 s[8:9], s[12:13]
; %bb.3182:
	s_mov_b32 s10, 0x7f800001
	s_xor_b64 s[4:5], exec, -1
; %bb.3183:
	s_or_b64 exec, exec, s[8:9]
	s_and_b64 s[4:5], s[4:5], exec
	s_or_saveexec_b64 s[6:7], s[6:7]
	v_mov_b32_e32 v4, s10
	s_xor_b64 exec, exec, s[6:7]
	s_cbranch_execz .LBB9_1134
.LBB9_3184:
	v_mov_b32_e32 v4, 0
	v_cmp_ne_u16_sdwa s[8:9], v3, v4 src0_sel:BYTE_0 src1_sel:DWORD
	s_andn2_b64 s[4:5], s[4:5], exec
	s_and_b64 s[8:9], s[8:9], exec
	s_or_b64 s[4:5], s[4:5], s[8:9]
	s_or_b64 exec, exec, s[6:7]
	s_and_saveexec_b64 s[6:7], s[4:5]
	s_cbranch_execnz .LBB9_1135
	s_branch .LBB9_1136
.LBB9_3185:
	s_movk_i32 s4, 0x80
	v_cmp_eq_u16_e32 vcc, s4, v3
	s_mov_b64 s[4:5], -1
                                        ; implicit-def: $sgpr10
	s_and_saveexec_b64 s[8:9], vcc
; %bb.3186:
	s_mov_b32 s10, 0x7f800001
	s_xor_b64 s[4:5], exec, -1
; %bb.3187:
	s_or_b64 exec, exec, s[8:9]
	s_and_b64 s[4:5], s[4:5], exec
                                        ; implicit-def: $vgpr3
	s_or_saveexec_b64 s[6:7], s[6:7]
	v_mov_b32_e32 v2, s10
	s_xor_b64 exec, exec, s[6:7]
	s_cbranch_execz .LBB9_1138
.LBB9_3188:
	v_cmp_ne_u16_e32 vcc, 0, v3
	s_andn2_b64 s[4:5], s[4:5], exec
	s_and_b64 s[8:9], vcc, exec
	v_mov_b32_e32 v2, 0
	s_or_b64 s[4:5], s[4:5], s[8:9]
	s_or_b64 exec, exec, s[6:7]
	s_and_saveexec_b64 s[6:7], s[4:5]
	s_cbranch_execnz .LBB9_1139
	s_branch .LBB9_1140
.LBB9_3189:
	s_movk_i32 s4, 0x80
	v_cmp_eq_u16_e32 vcc, s4, v3
	s_mov_b64 s[4:5], -1
                                        ; implicit-def: $sgpr10
	s_and_saveexec_b64 s[8:9], vcc
; %bb.3190:
	s_mov_b32 s10, 0x7f800001
	s_xor_b64 s[4:5], exec, -1
; %bb.3191:
	s_or_b64 exec, exec, s[8:9]
	s_and_b64 s[4:5], s[4:5], exec
                                        ; implicit-def: $vgpr3
	s_or_saveexec_b64 s[6:7], s[6:7]
	v_mov_b32_e32 v4, s10
	s_xor_b64 exec, exec, s[6:7]
	s_cbranch_execz .LBB9_1142
.LBB9_3192:
	v_cmp_ne_u16_e32 vcc, 0, v3
	s_andn2_b64 s[4:5], s[4:5], exec
	s_and_b64 s[8:9], vcc, exec
	v_mov_b32_e32 v4, 0
	s_or_b64 s[4:5], s[4:5], s[8:9]
	s_or_b64 exec, exec, s[6:7]
	s_and_saveexec_b64 s[6:7], s[4:5]
	s_cbranch_execnz .LBB9_1143
	s_branch .LBB9_1144
.LBB9_3193:
	s_movk_i32 s4, 0x80
	v_cmp_eq_u16_sdwa s[12:13], v9, s4 src0_sel:BYTE_3 src1_sel:DWORD
	s_mov_b64 s[4:5], -1
                                        ; implicit-def: $sgpr10
	s_and_saveexec_b64 s[8:9], s[12:13]
; %bb.3194:
	s_mov_b32 s10, 0x7f800001
	s_xor_b64 s[4:5], exec, -1
; %bb.3195:
	s_or_b64 exec, exec, s[8:9]
	s_and_b64 s[4:5], s[4:5], exec
	s_or_saveexec_b64 s[6:7], s[6:7]
	v_mov_b32_e32 v2, s10
	s_xor_b64 exec, exec, s[6:7]
	s_cbranch_execz .LBB9_1146
.LBB9_3196:
	v_mov_b32_e32 v2, 0
	v_cmp_ne_u16_sdwa s[8:9], v9, v2 src0_sel:BYTE_3 src1_sel:DWORD
	s_andn2_b64 s[4:5], s[4:5], exec
	s_and_b64 s[8:9], s[8:9], exec
	s_or_b64 s[4:5], s[4:5], s[8:9]
	s_or_b64 exec, exec, s[6:7]
	s_and_saveexec_b64 s[6:7], s[4:5]
	s_cbranch_execnz .LBB9_1147
	s_branch .LBB9_1148
.LBB9_3197:
	s_movk_i32 s4, 0x80
	v_cmp_eq_u16_sdwa s[12:13], v5, s4 src0_sel:BYTE_3 src1_sel:DWORD
	s_mov_b64 s[4:5], -1
                                        ; implicit-def: $sgpr10
	s_and_saveexec_b64 s[8:9], s[12:13]
; %bb.3198:
	s_mov_b32 s10, 0x7f800001
	s_xor_b64 s[4:5], exec, -1
; %bb.3199:
	s_or_b64 exec, exec, s[8:9]
	s_and_b64 s[4:5], s[4:5], exec
	s_or_saveexec_b64 s[6:7], s[6:7]
	v_mov_b32_e32 v3, s10
	s_xor_b64 exec, exec, s[6:7]
	s_cbranch_execz .LBB9_1150
.LBB9_3200:
	v_mov_b32_e32 v3, 0
	v_cmp_ne_u16_sdwa s[8:9], v5, v3 src0_sel:BYTE_3 src1_sel:DWORD
	s_andn2_b64 s[4:5], s[4:5], exec
	s_and_b64 s[8:9], s[8:9], exec
	s_or_b64 s[4:5], s[4:5], s[8:9]
	s_or_b64 exec, exec, s[6:7]
	s_and_saveexec_b64 s[6:7], s[4:5]
	s_cbranch_execnz .LBB9_1151
	s_branch .LBB9_1152
.LBB9_3201:
	s_movk_i32 s4, 0x80
	v_cmp_eq_u16_sdwa s[12:13], v6, s4 src0_sel:BYTE_0 src1_sel:DWORD
	s_mov_b64 s[4:5], -1
                                        ; implicit-def: $sgpr10
	s_and_saveexec_b64 s[8:9], s[12:13]
; %bb.3202:
	s_mov_b32 s10, 0x7f800001
	s_xor_b64 s[4:5], exec, -1
; %bb.3203:
	s_or_b64 exec, exec, s[8:9]
	s_and_b64 s[4:5], s[4:5], exec
	s_or_saveexec_b64 s[6:7], s[6:7]
	v_mov_b32_e32 v12, s10
	s_xor_b64 exec, exec, s[6:7]
	s_cbranch_execz .LBB9_1154
.LBB9_3204:
	v_mov_b32_e32 v12, 0
	v_cmp_ne_u16_sdwa s[8:9], v6, v12 src0_sel:BYTE_0 src1_sel:DWORD
	s_andn2_b64 s[4:5], s[4:5], exec
	s_and_b64 s[8:9], s[8:9], exec
	s_or_b64 s[4:5], s[4:5], s[8:9]
	s_or_b64 exec, exec, s[6:7]
	s_and_saveexec_b64 s[6:7], s[4:5]
	s_cbranch_execnz .LBB9_1155
	s_branch .LBB9_1156
.LBB9_3205:
	s_movk_i32 s4, 0x80
	v_cmp_eq_u16_sdwa s[12:13], v2, s4 src0_sel:BYTE_0 src1_sel:DWORD
	s_mov_b64 s[4:5], -1
                                        ; implicit-def: $sgpr10
	s_and_saveexec_b64 s[8:9], s[12:13]
; %bb.3206:
	s_mov_b32 s10, 0x7f800001
	s_xor_b64 s[4:5], exec, -1
; %bb.3207:
	s_or_b64 exec, exec, s[8:9]
	s_and_b64 s[4:5], s[4:5], exec
	s_or_saveexec_b64 s[6:7], s[6:7]
	v_mov_b32_e32 v13, s10
	s_xor_b64 exec, exec, s[6:7]
	s_cbranch_execz .LBB9_1158
.LBB9_3208:
	v_mov_b32_e32 v13, 0
	v_cmp_ne_u16_sdwa s[8:9], v2, v13 src0_sel:BYTE_0 src1_sel:DWORD
	s_andn2_b64 s[4:5], s[4:5], exec
	s_and_b64 s[8:9], s[8:9], exec
	s_or_b64 s[4:5], s[4:5], s[8:9]
	s_or_b64 exec, exec, s[6:7]
	s_and_saveexec_b64 s[6:7], s[4:5]
	s_cbranch_execnz .LBB9_1159
	s_branch .LBB9_1160
.LBB9_3209:
	s_movk_i32 s4, 0x80
	v_cmp_eq_u16_sdwa s[12:13], v13, s4 src0_sel:BYTE_0 src1_sel:DWORD
	s_mov_b64 s[4:5], -1
                                        ; implicit-def: $sgpr10
	s_and_saveexec_b64 s[8:9], s[12:13]
; %bb.3210:
	s_mov_b32 s10, 0x7f800001
	s_xor_b64 s[4:5], exec, -1
; %bb.3211:
	s_or_b64 exec, exec, s[8:9]
	s_and_b64 s[4:5], s[4:5], exec
	s_or_saveexec_b64 s[6:7], s[6:7]
	v_mov_b32_e32 v12, s10
	s_xor_b64 exec, exec, s[6:7]
	s_cbranch_execz .LBB9_1162
.LBB9_3212:
	v_mov_b32_e32 v12, 0
	v_cmp_ne_u16_sdwa s[8:9], v13, v12 src0_sel:BYTE_0 src1_sel:DWORD
	s_andn2_b64 s[4:5], s[4:5], exec
	s_and_b64 s[8:9], s[8:9], exec
	s_or_b64 s[4:5], s[4:5], s[8:9]
	s_or_b64 exec, exec, s[6:7]
	s_and_saveexec_b64 s[6:7], s[4:5]
	s_cbranch_execnz .LBB9_1163
	s_branch .LBB9_1164
.LBB9_3213:
	s_movk_i32 s4, 0x80
	v_cmp_eq_u16_sdwa s[12:13], v13, s4 src0_sel:BYTE_0 src1_sel:DWORD
	s_mov_b64 s[4:5], -1
                                        ; implicit-def: $sgpr10
	s_and_saveexec_b64 s[8:9], s[12:13]
; %bb.3214:
	s_mov_b32 s10, 0x7f800001
	s_xor_b64 s[4:5], exec, -1
; %bb.3215:
	s_or_b64 exec, exec, s[8:9]
	s_and_b64 s[4:5], s[4:5], exec
	s_or_saveexec_b64 s[6:7], s[6:7]
	v_mov_b32_e32 v14, s10
	s_xor_b64 exec, exec, s[6:7]
	s_cbranch_execz .LBB9_1166
.LBB9_3216:
	v_mov_b32_e32 v14, 0
	v_cmp_ne_u16_sdwa s[8:9], v13, v14 src0_sel:BYTE_0 src1_sel:DWORD
	s_andn2_b64 s[4:5], s[4:5], exec
	s_and_b64 s[8:9], s[8:9], exec
	s_or_b64 s[4:5], s[4:5], s[8:9]
	s_or_b64 exec, exec, s[6:7]
	s_and_saveexec_b64 s[6:7], s[4:5]
	s_cbranch_execnz .LBB9_1167
	s_branch .LBB9_1168
.LBB9_3217:
	s_movk_i32 s4, 0x80
	v_cmp_eq_u16_e32 vcc, s4, v13
	s_mov_b64 s[4:5], -1
                                        ; implicit-def: $sgpr10
	s_and_saveexec_b64 s[8:9], vcc
; %bb.3218:
	s_mov_b32 s10, 0x7f800001
	s_xor_b64 s[4:5], exec, -1
; %bb.3219:
	s_or_b64 exec, exec, s[8:9]
	s_and_b64 s[4:5], s[4:5], exec
                                        ; implicit-def: $vgpr13
	s_or_saveexec_b64 s[6:7], s[6:7]
	v_mov_b32_e32 v12, s10
	s_xor_b64 exec, exec, s[6:7]
	s_cbranch_execz .LBB9_1170
.LBB9_3220:
	v_cmp_ne_u16_e32 vcc, 0, v13
	s_andn2_b64 s[4:5], s[4:5], exec
	s_and_b64 s[8:9], vcc, exec
	v_mov_b32_e32 v12, 0
	s_or_b64 s[4:5], s[4:5], s[8:9]
	s_or_b64 exec, exec, s[6:7]
	s_and_saveexec_b64 s[6:7], s[4:5]
	s_cbranch_execnz .LBB9_1171
	s_branch .LBB9_1172
.LBB9_3221:
	s_movk_i32 s4, 0x80
	v_cmp_eq_u16_e32 vcc, s4, v13
	s_mov_b64 s[4:5], -1
                                        ; implicit-def: $sgpr10
	s_and_saveexec_b64 s[8:9], vcc
; %bb.3222:
	s_mov_b32 s10, 0x7f800001
	s_xor_b64 s[4:5], exec, -1
; %bb.3223:
	s_or_b64 exec, exec, s[8:9]
	s_and_b64 s[4:5], s[4:5], exec
                                        ; implicit-def: $vgpr13
	s_or_saveexec_b64 s[6:7], s[6:7]
	v_mov_b32_e32 v14, s10
	s_xor_b64 exec, exec, s[6:7]
	s_cbranch_execz .LBB9_1174
.LBB9_3224:
	v_cmp_ne_u16_e32 vcc, 0, v13
	s_andn2_b64 s[4:5], s[4:5], exec
	s_and_b64 s[8:9], vcc, exec
	v_mov_b32_e32 v14, 0
	s_or_b64 s[4:5], s[4:5], s[8:9]
	s_or_b64 exec, exec, s[6:7]
	s_and_saveexec_b64 s[6:7], s[4:5]
	s_cbranch_execnz .LBB9_1175
	s_branch .LBB9_1176
.LBB9_3225:
	s_movk_i32 s4, 0x80
	v_cmp_eq_u16_sdwa s[12:13], v6, s4 src0_sel:BYTE_3 src1_sel:DWORD
	s_mov_b64 s[4:5], -1
                                        ; implicit-def: $sgpr10
	s_and_saveexec_b64 s[8:9], s[12:13]
; %bb.3226:
	s_mov_b32 s10, 0x7f800001
	s_xor_b64 s[4:5], exec, -1
; %bb.3227:
	s_or_b64 exec, exec, s[8:9]
	s_and_b64 s[4:5], s[4:5], exec
	s_or_saveexec_b64 s[6:7], s[6:7]
	v_mov_b32_e32 v12, s10
	s_xor_b64 exec, exec, s[6:7]
	s_cbranch_execz .LBB9_1178
.LBB9_3228:
	v_mov_b32_e32 v12, 0
	v_cmp_ne_u16_sdwa s[8:9], v6, v12 src0_sel:BYTE_3 src1_sel:DWORD
	s_andn2_b64 s[4:5], s[4:5], exec
	s_and_b64 s[8:9], s[8:9], exec
	s_or_b64 s[4:5], s[4:5], s[8:9]
	s_or_b64 exec, exec, s[6:7]
	s_and_saveexec_b64 s[6:7], s[4:5]
	s_cbranch_execnz .LBB9_1179
	s_branch .LBB9_1180
.LBB9_3229:
	s_movk_i32 s4, 0x80
	v_cmp_eq_u16_sdwa s[12:13], v2, s4 src0_sel:BYTE_3 src1_sel:DWORD
	s_mov_b64 s[4:5], -1
                                        ; implicit-def: $sgpr10
	s_and_saveexec_b64 s[8:9], s[12:13]
; %bb.3230:
	s_mov_b32 s10, 0x7f800001
	s_xor_b64 s[4:5], exec, -1
; %bb.3231:
	s_or_b64 exec, exec, s[8:9]
	s_and_b64 s[4:5], s[4:5], exec
	s_or_saveexec_b64 s[6:7], s[6:7]
	v_mov_b32_e32 v6, s10
	s_xor_b64 exec, exec, s[6:7]
	s_cbranch_execz .LBB9_1182
.LBB9_3232:
	v_mov_b32_e32 v6, 0
	v_cmp_ne_u16_sdwa s[8:9], v2, v6 src0_sel:BYTE_3 src1_sel:DWORD
	s_andn2_b64 s[4:5], s[4:5], exec
	s_and_b64 s[8:9], s[8:9], exec
	s_or_b64 s[4:5], s[4:5], s[8:9]
	s_or_b64 exec, exec, s[6:7]
	s_and_saveexec_b64 s[6:7], s[4:5]
	s_cbranch_execnz .LBB9_1183
	s_branch .LBB9_1184
.LBB9_3233:
	s_movk_i32 s4, 0x80
	v_cmp_eq_u16_sdwa s[12:13], v7, s4 src0_sel:BYTE_0 src1_sel:DWORD
	s_mov_b64 s[4:5], -1
                                        ; implicit-def: $sgpr10
	s_and_saveexec_b64 s[8:9], s[12:13]
; %bb.3234:
	s_mov_b32 s10, 0x7f800001
	s_xor_b64 s[4:5], exec, -1
; %bb.3235:
	s_or_b64 exec, exec, s[8:9]
	s_and_b64 s[4:5], s[4:5], exec
	s_or_saveexec_b64 s[6:7], s[6:7]
	v_mov_b32_e32 v2, s10
	s_xor_b64 exec, exec, s[6:7]
	s_cbranch_execz .LBB9_1186
.LBB9_3236:
	v_mov_b32_e32 v2, 0
	v_cmp_ne_u16_sdwa s[8:9], v7, v2 src0_sel:BYTE_0 src1_sel:DWORD
	s_andn2_b64 s[4:5], s[4:5], exec
	s_and_b64 s[8:9], s[8:9], exec
	s_or_b64 s[4:5], s[4:5], s[8:9]
	s_or_b64 exec, exec, s[6:7]
	s_and_saveexec_b64 s[6:7], s[4:5]
	s_cbranch_execnz .LBB9_1187
	s_branch .LBB9_1188
.LBB9_3237:
	s_movk_i32 s4, 0x80
	v_cmp_eq_u16_sdwa s[12:13], v3, s4 src0_sel:BYTE_0 src1_sel:DWORD
	s_mov_b64 s[4:5], -1
                                        ; implicit-def: $sgpr10
	s_and_saveexec_b64 s[8:9], s[12:13]
; %bb.3238:
	s_mov_b32 s10, 0x7f800001
	s_xor_b64 s[4:5], exec, -1
; %bb.3239:
	s_or_b64 exec, exec, s[8:9]
	s_and_b64 s[4:5], s[4:5], exec
	s_or_saveexec_b64 s[6:7], s[6:7]
	v_mov_b32_e32 v6, s10
	s_xor_b64 exec, exec, s[6:7]
	s_cbranch_execz .LBB9_1190
.LBB9_3240:
	v_mov_b32_e32 v6, 0
	v_cmp_ne_u16_sdwa s[8:9], v3, v6 src0_sel:BYTE_0 src1_sel:DWORD
	s_andn2_b64 s[4:5], s[4:5], exec
	s_and_b64 s[8:9], s[8:9], exec
	s_or_b64 s[4:5], s[4:5], s[8:9]
	s_or_b64 exec, exec, s[6:7]
	s_and_saveexec_b64 s[6:7], s[4:5]
	s_cbranch_execnz .LBB9_1191
	s_branch .LBB9_1192
.LBB9_3241:
	s_movk_i32 s4, 0x80
	v_cmp_eq_u16_sdwa s[12:13], v6, s4 src0_sel:BYTE_0 src1_sel:DWORD
	s_mov_b64 s[4:5], -1
                                        ; implicit-def: $sgpr10
	s_and_saveexec_b64 s[8:9], s[12:13]
; %bb.3242:
	s_mov_b32 s10, 0x7f800001
	s_xor_b64 s[4:5], exec, -1
; %bb.3243:
	s_or_b64 exec, exec, s[8:9]
	s_and_b64 s[4:5], s[4:5], exec
	s_or_saveexec_b64 s[6:7], s[6:7]
	v_mov_b32_e32 v2, s10
	s_xor_b64 exec, exec, s[6:7]
	s_cbranch_execz .LBB9_1194
.LBB9_3244:
	v_mov_b32_e32 v2, 0
	v_cmp_ne_u16_sdwa s[8:9], v6, v2 src0_sel:BYTE_0 src1_sel:DWORD
	s_andn2_b64 s[4:5], s[4:5], exec
	s_and_b64 s[8:9], s[8:9], exec
	s_or_b64 s[4:5], s[4:5], s[8:9]
	s_or_b64 exec, exec, s[6:7]
	s_and_saveexec_b64 s[6:7], s[4:5]
	s_cbranch_execnz .LBB9_1195
	s_branch .LBB9_1196
.LBB9_3245:
	s_movk_i32 s4, 0x80
	v_cmp_eq_u16_sdwa s[12:13], v6, s4 src0_sel:BYTE_0 src1_sel:DWORD
	s_mov_b64 s[4:5], -1
                                        ; implicit-def: $sgpr10
	s_and_saveexec_b64 s[8:9], s[12:13]
; %bb.3246:
	s_mov_b32 s10, 0x7f800001
	s_xor_b64 s[4:5], exec, -1
; %bb.3247:
	s_or_b64 exec, exec, s[8:9]
	s_and_b64 s[4:5], s[4:5], exec
	s_or_saveexec_b64 s[6:7], s[6:7]
	v_mov_b32_e32 v12, s10
	s_xor_b64 exec, exec, s[6:7]
	s_cbranch_execz .LBB9_1198
.LBB9_3248:
	v_mov_b32_e32 v12, 0
	v_cmp_ne_u16_sdwa s[8:9], v6, v12 src0_sel:BYTE_0 src1_sel:DWORD
	s_andn2_b64 s[4:5], s[4:5], exec
	s_and_b64 s[8:9], s[8:9], exec
	s_or_b64 s[4:5], s[4:5], s[8:9]
	s_or_b64 exec, exec, s[6:7]
	s_and_saveexec_b64 s[6:7], s[4:5]
	s_cbranch_execnz .LBB9_1199
	s_branch .LBB9_1200
.LBB9_3249:
	s_movk_i32 s4, 0x80
	v_cmp_eq_u16_e32 vcc, s4, v6
	s_mov_b64 s[4:5], -1
                                        ; implicit-def: $sgpr10
	s_and_saveexec_b64 s[8:9], vcc
; %bb.3250:
	s_mov_b32 s10, 0x7f800001
	s_xor_b64 s[4:5], exec, -1
; %bb.3251:
	s_or_b64 exec, exec, s[8:9]
	s_and_b64 s[4:5], s[4:5], exec
                                        ; implicit-def: $vgpr6
	s_or_saveexec_b64 s[6:7], s[6:7]
	v_mov_b32_e32 v2, s10
	s_xor_b64 exec, exec, s[6:7]
	s_cbranch_execz .LBB9_1202
.LBB9_3252:
	v_cmp_ne_u16_e32 vcc, 0, v6
	s_andn2_b64 s[4:5], s[4:5], exec
	s_and_b64 s[8:9], vcc, exec
	v_mov_b32_e32 v2, 0
	s_or_b64 s[4:5], s[4:5], s[8:9]
	s_or_b64 exec, exec, s[6:7]
	s_and_saveexec_b64 s[6:7], s[4:5]
	s_cbranch_execnz .LBB9_1203
	s_branch .LBB9_1204
.LBB9_3253:
	s_movk_i32 s4, 0x80
	v_cmp_eq_u16_e32 vcc, s4, v6
	s_mov_b64 s[4:5], -1
                                        ; implicit-def: $sgpr10
	s_and_saveexec_b64 s[8:9], vcc
; %bb.3254:
	s_mov_b32 s10, 0x7f800001
	s_xor_b64 s[4:5], exec, -1
; %bb.3255:
	s_or_b64 exec, exec, s[8:9]
	s_and_b64 s[4:5], s[4:5], exec
                                        ; implicit-def: $vgpr6
	s_or_saveexec_b64 s[6:7], s[6:7]
	v_mov_b32_e32 v12, s10
	s_xor_b64 exec, exec, s[6:7]
	s_cbranch_execz .LBB9_1206
.LBB9_3256:
	v_cmp_ne_u16_e32 vcc, 0, v6
	s_andn2_b64 s[4:5], s[4:5], exec
	s_and_b64 s[8:9], vcc, exec
	v_mov_b32_e32 v12, 0
	s_or_b64 s[4:5], s[4:5], s[8:9]
	s_or_b64 exec, exec, s[6:7]
	s_and_saveexec_b64 s[6:7], s[4:5]
	s_cbranch_execnz .LBB9_1207
	s_branch .LBB9_1208
.LBB9_3257:
	s_movk_i32 s4, 0x80
	v_cmp_eq_u16_sdwa s[12:13], v7, s4 src0_sel:BYTE_3 src1_sel:DWORD
	s_mov_b64 s[4:5], -1
                                        ; implicit-def: $sgpr10
	s_and_saveexec_b64 s[8:9], s[12:13]
; %bb.3258:
	s_mov_b32 s10, 0x7f800001
	s_xor_b64 s[4:5], exec, -1
; %bb.3259:
	s_or_b64 exec, exec, s[8:9]
	s_and_b64 s[4:5], s[4:5], exec
	s_or_saveexec_b64 s[6:7], s[6:7]
	v_mov_b32_e32 v2, s10
	s_xor_b64 exec, exec, s[6:7]
	s_cbranch_execz .LBB9_1210
.LBB9_3260:
	v_mov_b32_e32 v2, 0
	v_cmp_ne_u16_sdwa s[8:9], v7, v2 src0_sel:BYTE_3 src1_sel:DWORD
	s_andn2_b64 s[4:5], s[4:5], exec
	s_and_b64 s[8:9], s[8:9], exec
	s_or_b64 s[4:5], s[4:5], s[8:9]
	s_or_b64 exec, exec, s[6:7]
	s_and_saveexec_b64 s[6:7], s[4:5]
	s_cbranch_execnz .LBB9_1211
	s_branch .LBB9_1212
.LBB9_3261:
	s_movk_i32 s4, 0x80
	v_cmp_eq_u16_sdwa s[12:13], v3, s4 src0_sel:BYTE_3 src1_sel:DWORD
	s_mov_b64 s[4:5], -1
                                        ; implicit-def: $sgpr10
	s_and_saveexec_b64 s[8:9], s[12:13]
; %bb.3262:
	s_mov_b32 s10, 0x7f800001
	s_xor_b64 s[4:5], exec, -1
; %bb.3263:
	s_or_b64 exec, exec, s[8:9]
	s_and_b64 s[4:5], s[4:5], exec
	s_or_saveexec_b64 s[6:7], s[6:7]
	v_mov_b32_e32 v6, s10
	s_xor_b64 exec, exec, s[6:7]
	s_cbranch_execz .LBB9_1214
.LBB9_3264:
	v_mov_b32_e32 v6, 0
	v_cmp_ne_u16_sdwa s[8:9], v3, v6 src0_sel:BYTE_3 src1_sel:DWORD
	s_andn2_b64 s[4:5], s[4:5], exec
	s_and_b64 s[8:9], s[8:9], exec
	s_or_b64 s[4:5], s[4:5], s[8:9]
	s_or_b64 exec, exec, s[6:7]
	s_and_saveexec_b64 s[6:7], s[4:5]
	s_cbranch_execnz .LBB9_1215
	s_branch .LBB9_1216
.LBB9_3265:
	s_movk_i32 s4, 0x80
	v_cmp_eq_u16_sdwa s[12:13], v8, s4 src0_sel:BYTE_0 src1_sel:DWORD
	s_mov_b64 s[4:5], -1
                                        ; implicit-def: $sgpr10
	s_and_saveexec_b64 s[8:9], s[12:13]
; %bb.3266:
	s_mov_b32 s10, 0x7f800001
	s_xor_b64 s[4:5], exec, -1
; %bb.3267:
	s_or_b64 exec, exec, s[8:9]
	s_and_b64 s[4:5], s[4:5], exec
	s_or_saveexec_b64 s[6:7], s[6:7]
	v_mov_b32_e32 v2, s10
	s_xor_b64 exec, exec, s[6:7]
	s_cbranch_execz .LBB9_1218
.LBB9_3268:
	v_mov_b32_e32 v2, 0
	v_cmp_ne_u16_sdwa s[8:9], v8, v2 src0_sel:BYTE_0 src1_sel:DWORD
	s_andn2_b64 s[4:5], s[4:5], exec
	s_and_b64 s[8:9], s[8:9], exec
	s_or_b64 s[4:5], s[4:5], s[8:9]
	s_or_b64 exec, exec, s[6:7]
	s_and_saveexec_b64 s[6:7], s[4:5]
	s_cbranch_execnz .LBB9_1219
	s_branch .LBB9_1220
.LBB9_3269:
	s_movk_i32 s4, 0x80
	v_cmp_eq_u16_sdwa s[12:13], v4, s4 src0_sel:BYTE_0 src1_sel:DWORD
	s_mov_b64 s[4:5], -1
                                        ; implicit-def: $sgpr10
	s_and_saveexec_b64 s[8:9], s[12:13]
; %bb.3270:
	s_mov_b32 s10, 0x7f800001
	s_xor_b64 s[4:5], exec, -1
; %bb.3271:
	s_or_b64 exec, exec, s[8:9]
	s_and_b64 s[4:5], s[4:5], exec
	s_or_saveexec_b64 s[6:7], s[6:7]
	v_mov_b32_e32 v3, s10
	s_xor_b64 exec, exec, s[6:7]
	s_cbranch_execz .LBB9_1222
.LBB9_3272:
	v_mov_b32_e32 v3, 0
	v_cmp_ne_u16_sdwa s[8:9], v4, v3 src0_sel:BYTE_0 src1_sel:DWORD
	s_andn2_b64 s[4:5], s[4:5], exec
	s_and_b64 s[8:9], s[8:9], exec
	s_or_b64 s[4:5], s[4:5], s[8:9]
	s_or_b64 exec, exec, s[6:7]
	s_and_saveexec_b64 s[6:7], s[4:5]
	s_cbranch_execnz .LBB9_1223
	s_branch .LBB9_1224
.LBB9_3273:
	s_movk_i32 s4, 0x80
	v_cmp_eq_u16_sdwa s[12:13], v3, s4 src0_sel:BYTE_0 src1_sel:DWORD
	s_mov_b64 s[4:5], -1
                                        ; implicit-def: $sgpr10
	s_and_saveexec_b64 s[8:9], s[12:13]
; %bb.3274:
	s_mov_b32 s10, 0x7f800001
	s_xor_b64 s[4:5], exec, -1
; %bb.3275:
	s_or_b64 exec, exec, s[8:9]
	s_and_b64 s[4:5], s[4:5], exec
	s_or_saveexec_b64 s[6:7], s[6:7]
	v_mov_b32_e32 v2, s10
	s_xor_b64 exec, exec, s[6:7]
	s_cbranch_execz .LBB9_1226
.LBB9_3276:
	v_mov_b32_e32 v2, 0
	v_cmp_ne_u16_sdwa s[8:9], v3, v2 src0_sel:BYTE_0 src1_sel:DWORD
	s_andn2_b64 s[4:5], s[4:5], exec
	s_and_b64 s[8:9], s[8:9], exec
	s_or_b64 s[4:5], s[4:5], s[8:9]
	s_or_b64 exec, exec, s[6:7]
	s_and_saveexec_b64 s[6:7], s[4:5]
	s_cbranch_execnz .LBB9_1227
	s_branch .LBB9_1228
.LBB9_3277:
	s_movk_i32 s4, 0x80
	v_cmp_eq_u16_sdwa s[12:13], v3, s4 src0_sel:BYTE_0 src1_sel:DWORD
	s_mov_b64 s[4:5], -1
                                        ; implicit-def: $sgpr10
	s_and_saveexec_b64 s[8:9], s[12:13]
; %bb.3278:
	s_mov_b32 s10, 0x7f800001
	s_xor_b64 s[4:5], exec, -1
; %bb.3279:
	s_or_b64 exec, exec, s[8:9]
	s_and_b64 s[4:5], s[4:5], exec
	s_or_saveexec_b64 s[6:7], s[6:7]
	v_mov_b32_e32 v6, s10
	s_xor_b64 exec, exec, s[6:7]
	s_cbranch_execz .LBB9_1230
.LBB9_3280:
	v_mov_b32_e32 v6, 0
	v_cmp_ne_u16_sdwa s[8:9], v3, v6 src0_sel:BYTE_0 src1_sel:DWORD
	s_andn2_b64 s[4:5], s[4:5], exec
	s_and_b64 s[8:9], s[8:9], exec
	s_or_b64 s[4:5], s[4:5], s[8:9]
	s_or_b64 exec, exec, s[6:7]
	s_and_saveexec_b64 s[6:7], s[4:5]
	s_cbranch_execnz .LBB9_1231
	s_branch .LBB9_1232
.LBB9_3281:
	s_movk_i32 s4, 0x80
	v_cmp_eq_u16_e32 vcc, s4, v3
	s_mov_b64 s[4:5], -1
                                        ; implicit-def: $sgpr10
	s_and_saveexec_b64 s[8:9], vcc
; %bb.3282:
	s_mov_b32 s10, 0x7f800001
	s_xor_b64 s[4:5], exec, -1
; %bb.3283:
	s_or_b64 exec, exec, s[8:9]
	s_and_b64 s[4:5], s[4:5], exec
                                        ; implicit-def: $vgpr3
	s_or_saveexec_b64 s[6:7], s[6:7]
	v_mov_b32_e32 v2, s10
	s_xor_b64 exec, exec, s[6:7]
	s_cbranch_execz .LBB9_1234
.LBB9_3284:
	v_cmp_ne_u16_e32 vcc, 0, v3
	s_andn2_b64 s[4:5], s[4:5], exec
	s_and_b64 s[8:9], vcc, exec
	v_mov_b32_e32 v2, 0
	s_or_b64 s[4:5], s[4:5], s[8:9]
	s_or_b64 exec, exec, s[6:7]
	s_and_saveexec_b64 s[6:7], s[4:5]
	s_cbranch_execnz .LBB9_1235
	s_branch .LBB9_1236
.LBB9_3285:
	s_movk_i32 s4, 0x80
	v_cmp_eq_u16_e32 vcc, s4, v3
	s_mov_b64 s[4:5], -1
                                        ; implicit-def: $sgpr10
	s_and_saveexec_b64 s[8:9], vcc
; %bb.3286:
	s_mov_b32 s10, 0x7f800001
	s_xor_b64 s[4:5], exec, -1
; %bb.3287:
	s_or_b64 exec, exec, s[8:9]
	s_and_b64 s[4:5], s[4:5], exec
                                        ; implicit-def: $vgpr3
	s_or_saveexec_b64 s[6:7], s[6:7]
	v_mov_b32_e32 v6, s10
	s_xor_b64 exec, exec, s[6:7]
	s_cbranch_execz .LBB9_1238
.LBB9_3288:
	v_cmp_ne_u16_e32 vcc, 0, v3
	s_andn2_b64 s[4:5], s[4:5], exec
	s_and_b64 s[8:9], vcc, exec
	v_mov_b32_e32 v6, 0
	s_or_b64 s[4:5], s[4:5], s[8:9]
	s_or_b64 exec, exec, s[6:7]
	s_and_saveexec_b64 s[6:7], s[4:5]
	s_cbranch_execnz .LBB9_1239
	s_branch .LBB9_1240
.LBB9_3289:
	s_movk_i32 s4, 0x80
	v_cmp_eq_u16_sdwa s[12:13], v8, s4 src0_sel:BYTE_3 src1_sel:DWORD
	s_mov_b64 s[4:5], -1
                                        ; implicit-def: $sgpr10
	s_and_saveexec_b64 s[8:9], s[12:13]
; %bb.3290:
	s_mov_b32 s10, 0x7f800001
	s_xor_b64 s[4:5], exec, -1
; %bb.3291:
	s_or_b64 exec, exec, s[8:9]
	s_and_b64 s[4:5], s[4:5], exec
	s_or_saveexec_b64 s[6:7], s[6:7]
	v_mov_b32_e32 v2, s10
	s_xor_b64 exec, exec, s[6:7]
	s_cbranch_execz .LBB9_1242
.LBB9_3292:
	v_mov_b32_e32 v2, 0
	v_cmp_ne_u16_sdwa s[8:9], v8, v2 src0_sel:BYTE_3 src1_sel:DWORD
	s_andn2_b64 s[4:5], s[4:5], exec
	s_and_b64 s[8:9], s[8:9], exec
	s_or_b64 s[4:5], s[4:5], s[8:9]
	s_or_b64 exec, exec, s[6:7]
	s_and_saveexec_b64 s[6:7], s[4:5]
	s_cbranch_execnz .LBB9_1243
	s_branch .LBB9_1244
.LBB9_3293:
	s_movk_i32 s4, 0x80
	v_cmp_eq_u16_sdwa s[12:13], v4, s4 src0_sel:BYTE_3 src1_sel:DWORD
	s_mov_b64 s[4:5], -1
                                        ; implicit-def: $sgpr10
	s_and_saveexec_b64 s[8:9], s[12:13]
; %bb.3294:
	s_mov_b32 s10, 0x7f800001
	s_xor_b64 s[4:5], exec, -1
; %bb.3295:
	s_or_b64 exec, exec, s[8:9]
	s_and_b64 s[4:5], s[4:5], exec
	s_or_saveexec_b64 s[6:7], s[6:7]
	v_mov_b32_e32 v3, s10
	s_xor_b64 exec, exec, s[6:7]
	s_cbranch_execz .LBB9_1246
.LBB9_3296:
	v_mov_b32_e32 v3, 0
	v_cmp_ne_u16_sdwa s[8:9], v4, v3 src0_sel:BYTE_3 src1_sel:DWORD
	s_andn2_b64 s[4:5], s[4:5], exec
	s_and_b64 s[8:9], s[8:9], exec
	s_or_b64 s[4:5], s[4:5], s[8:9]
	s_or_b64 exec, exec, s[6:7]
	s_and_saveexec_b64 s[6:7], s[4:5]
	s_cbranch_execnz .LBB9_1247
	s_branch .LBB9_1248
.LBB9_3297:
	s_movk_i32 s4, 0x80
	v_cmp_eq_u16_sdwa s[12:13], v9, s4 src0_sel:BYTE_0 src1_sel:DWORD
	s_mov_b64 s[4:5], -1
                                        ; implicit-def: $sgpr10
	s_and_saveexec_b64 s[8:9], s[12:13]
; %bb.3298:
	s_mov_b32 s10, 0x7f800001
	s_xor_b64 s[4:5], exec, -1
; %bb.3299:
	s_or_b64 exec, exec, s[8:9]
	s_and_b64 s[4:5], s[4:5], exec
	s_or_saveexec_b64 s[6:7], s[6:7]
	v_mov_b32_e32 v2, s10
	s_xor_b64 exec, exec, s[6:7]
	s_cbranch_execz .LBB9_1250
.LBB9_3300:
	v_mov_b32_e32 v2, 0
	v_cmp_ne_u16_sdwa s[8:9], v9, v2 src0_sel:BYTE_0 src1_sel:DWORD
	s_andn2_b64 s[4:5], s[4:5], exec
	s_and_b64 s[8:9], s[8:9], exec
	s_or_b64 s[4:5], s[4:5], s[8:9]
	s_or_b64 exec, exec, s[6:7]
	s_and_saveexec_b64 s[6:7], s[4:5]
	s_cbranch_execnz .LBB9_1251
	s_branch .LBB9_1252
.LBB9_3301:
	s_movk_i32 s4, 0x80
	v_cmp_eq_u16_sdwa s[12:13], v5, s4 src0_sel:BYTE_0 src1_sel:DWORD
	s_mov_b64 s[4:5], -1
                                        ; implicit-def: $sgpr10
	s_and_saveexec_b64 s[8:9], s[12:13]
; %bb.3302:
	s_mov_b32 s10, 0x7f800001
	s_xor_b64 s[4:5], exec, -1
; %bb.3303:
	s_or_b64 exec, exec, s[8:9]
	s_and_b64 s[4:5], s[4:5], exec
	s_or_saveexec_b64 s[6:7], s[6:7]
	v_mov_b32_e32 v3, s10
	s_xor_b64 exec, exec, s[6:7]
	s_cbranch_execz .LBB9_1254
.LBB9_3304:
	v_mov_b32_e32 v3, 0
	v_cmp_ne_u16_sdwa s[8:9], v5, v3 src0_sel:BYTE_0 src1_sel:DWORD
	s_andn2_b64 s[4:5], s[4:5], exec
	s_and_b64 s[8:9], s[8:9], exec
	s_or_b64 s[4:5], s[4:5], s[8:9]
	s_or_b64 exec, exec, s[6:7]
	s_and_saveexec_b64 s[6:7], s[4:5]
	s_cbranch_execnz .LBB9_1255
	s_branch .LBB9_1256
.LBB9_3305:
	s_movk_i32 s4, 0x80
	v_cmp_eq_u16_sdwa s[12:13], v3, s4 src0_sel:BYTE_0 src1_sel:DWORD
	s_mov_b64 s[4:5], -1
                                        ; implicit-def: $sgpr10
	s_and_saveexec_b64 s[8:9], s[12:13]
; %bb.3306:
	s_mov_b32 s10, 0x7f800001
	s_xor_b64 s[4:5], exec, -1
; %bb.3307:
	s_or_b64 exec, exec, s[8:9]
	s_and_b64 s[4:5], s[4:5], exec
	s_or_saveexec_b64 s[6:7], s[6:7]
	v_mov_b32_e32 v2, s10
	s_xor_b64 exec, exec, s[6:7]
	s_cbranch_execz .LBB9_1258
.LBB9_3308:
	v_mov_b32_e32 v2, 0
	v_cmp_ne_u16_sdwa s[8:9], v3, v2 src0_sel:BYTE_0 src1_sel:DWORD
	s_andn2_b64 s[4:5], s[4:5], exec
	s_and_b64 s[8:9], s[8:9], exec
	s_or_b64 s[4:5], s[4:5], s[8:9]
	s_or_b64 exec, exec, s[6:7]
	s_and_saveexec_b64 s[6:7], s[4:5]
	s_cbranch_execnz .LBB9_1259
	s_branch .LBB9_1260
.LBB9_3309:
	s_movk_i32 s4, 0x80
	v_cmp_eq_u16_sdwa s[12:13], v3, s4 src0_sel:BYTE_0 src1_sel:DWORD
	s_mov_b64 s[4:5], -1
                                        ; implicit-def: $sgpr10
	s_and_saveexec_b64 s[8:9], s[12:13]
; %bb.3310:
	s_mov_b32 s10, 0x7f800001
	s_xor_b64 s[4:5], exec, -1
; %bb.3311:
	s_or_b64 exec, exec, s[8:9]
	s_and_b64 s[4:5], s[4:5], exec
	s_or_saveexec_b64 s[6:7], s[6:7]
	v_mov_b32_e32 v4, s10
	s_xor_b64 exec, exec, s[6:7]
	s_cbranch_execz .LBB9_1262
.LBB9_3312:
	v_mov_b32_e32 v4, 0
	v_cmp_ne_u16_sdwa s[8:9], v3, v4 src0_sel:BYTE_0 src1_sel:DWORD
	s_andn2_b64 s[4:5], s[4:5], exec
	s_and_b64 s[8:9], s[8:9], exec
	s_or_b64 s[4:5], s[4:5], s[8:9]
	s_or_b64 exec, exec, s[6:7]
	s_and_saveexec_b64 s[6:7], s[4:5]
	s_cbranch_execnz .LBB9_1263
	s_branch .LBB9_1264
.LBB9_3313:
	s_movk_i32 s4, 0x80
	v_cmp_eq_u16_e32 vcc, s4, v3
	s_mov_b64 s[4:5], -1
                                        ; implicit-def: $sgpr10
	s_and_saveexec_b64 s[8:9], vcc
; %bb.3314:
	s_mov_b32 s10, 0x7f800001
	s_xor_b64 s[4:5], exec, -1
; %bb.3315:
	s_or_b64 exec, exec, s[8:9]
	s_and_b64 s[4:5], s[4:5], exec
                                        ; implicit-def: $vgpr3
	s_or_saveexec_b64 s[6:7], s[6:7]
	v_mov_b32_e32 v2, s10
	s_xor_b64 exec, exec, s[6:7]
	s_cbranch_execz .LBB9_1266
.LBB9_3316:
	v_cmp_ne_u16_e32 vcc, 0, v3
	s_andn2_b64 s[4:5], s[4:5], exec
	s_and_b64 s[8:9], vcc, exec
	v_mov_b32_e32 v2, 0
	s_or_b64 s[4:5], s[4:5], s[8:9]
	s_or_b64 exec, exec, s[6:7]
	s_and_saveexec_b64 s[6:7], s[4:5]
	s_cbranch_execnz .LBB9_1267
	s_branch .LBB9_1268
.LBB9_3317:
	s_movk_i32 s4, 0x80
	v_cmp_eq_u16_e32 vcc, s4, v3
	s_mov_b64 s[4:5], -1
                                        ; implicit-def: $sgpr10
	s_and_saveexec_b64 s[8:9], vcc
; %bb.3318:
	s_mov_b32 s10, 0x7f800001
	s_xor_b64 s[4:5], exec, -1
; %bb.3319:
	s_or_b64 exec, exec, s[8:9]
	s_and_b64 s[4:5], s[4:5], exec
                                        ; implicit-def: $vgpr3
	s_or_saveexec_b64 s[6:7], s[6:7]
	v_mov_b32_e32 v4, s10
	s_xor_b64 exec, exec, s[6:7]
	s_cbranch_execz .LBB9_1270
.LBB9_3320:
	v_cmp_ne_u16_e32 vcc, 0, v3
	s_andn2_b64 s[4:5], s[4:5], exec
	s_and_b64 s[8:9], vcc, exec
	v_mov_b32_e32 v4, 0
	s_or_b64 s[4:5], s[4:5], s[8:9]
	s_or_b64 exec, exec, s[6:7]
	s_and_saveexec_b64 s[6:7], s[4:5]
	s_cbranch_execnz .LBB9_1271
	s_branch .LBB9_1272
.LBB9_3321:
	s_movk_i32 s4, 0x80
	v_cmp_eq_u16_sdwa s[12:13], v9, s4 src0_sel:BYTE_3 src1_sel:DWORD
	s_mov_b64 s[4:5], -1
                                        ; implicit-def: $sgpr10
	s_and_saveexec_b64 s[8:9], s[12:13]
; %bb.3322:
	s_mov_b32 s10, 0x7f800001
	s_xor_b64 s[4:5], exec, -1
; %bb.3323:
	s_or_b64 exec, exec, s[8:9]
	s_and_b64 s[4:5], s[4:5], exec
	s_or_saveexec_b64 s[6:7], s[6:7]
	v_mov_b32_e32 v2, s10
	s_xor_b64 exec, exec, s[6:7]
	s_cbranch_execz .LBB9_1274
.LBB9_3324:
	v_mov_b32_e32 v2, 0
	v_cmp_ne_u16_sdwa s[8:9], v9, v2 src0_sel:BYTE_3 src1_sel:DWORD
	s_andn2_b64 s[4:5], s[4:5], exec
	s_and_b64 s[8:9], s[8:9], exec
	s_or_b64 s[4:5], s[4:5], s[8:9]
	s_or_b64 exec, exec, s[6:7]
	s_and_saveexec_b64 s[6:7], s[4:5]
	s_cbranch_execnz .LBB9_1275
	s_branch .LBB9_1276
.LBB9_3325:
	s_movk_i32 s4, 0x80
	v_cmp_eq_u16_sdwa s[12:13], v5, s4 src0_sel:BYTE_3 src1_sel:DWORD
	s_mov_b64 s[4:5], -1
                                        ; implicit-def: $sgpr10
	s_and_saveexec_b64 s[8:9], s[12:13]
; %bb.3326:
	s_mov_b32 s10, 0x7f800001
	s_xor_b64 s[4:5], exec, -1
; %bb.3327:
	s_or_b64 exec, exec, s[8:9]
	s_and_b64 s[4:5], s[4:5], exec
	s_or_saveexec_b64 s[6:7], s[6:7]
	v_mov_b32_e32 v3, s10
	s_xor_b64 exec, exec, s[6:7]
	s_cbranch_execz .LBB9_1278
.LBB9_3328:
	v_mov_b32_e32 v3, 0
	v_cmp_ne_u16_sdwa s[8:9], v5, v3 src0_sel:BYTE_3 src1_sel:DWORD
	s_andn2_b64 s[4:5], s[4:5], exec
	s_and_b64 s[8:9], s[8:9], exec
	s_or_b64 s[4:5], s[4:5], s[8:9]
	s_or_b64 exec, exec, s[6:7]
	s_and_saveexec_b64 s[6:7], s[4:5]
	s_cbranch_execnz .LBB9_1279
	s_branch .LBB9_1280
.LBB9_3329:
	s_movk_i32 s4, 0x80
	v_cmp_eq_u16_sdwa s[12:13], v6, s4 src0_sel:BYTE_0 src1_sel:DWORD
	s_mov_b64 s[4:5], -1
                                        ; implicit-def: $sgpr10
	s_and_saveexec_b64 s[8:9], s[12:13]
; %bb.3330:
	s_mov_b32 s10, 0x7f800001
	s_xor_b64 s[4:5], exec, -1
; %bb.3331:
	s_or_b64 exec, exec, s[8:9]
	s_and_b64 s[4:5], s[4:5], exec
	s_or_saveexec_b64 s[6:7], s[6:7]
	v_mov_b32_e32 v12, s10
	s_xor_b64 exec, exec, s[6:7]
	s_cbranch_execz .LBB9_1282
.LBB9_3332:
	v_mov_b32_e32 v12, 0
	v_cmp_ne_u16_sdwa s[8:9], v6, v12 src0_sel:BYTE_0 src1_sel:DWORD
	s_andn2_b64 s[4:5], s[4:5], exec
	s_and_b64 s[8:9], s[8:9], exec
	s_or_b64 s[4:5], s[4:5], s[8:9]
	s_or_b64 exec, exec, s[6:7]
	s_and_saveexec_b64 s[6:7], s[4:5]
	s_cbranch_execnz .LBB9_1283
	s_branch .LBB9_1284
.LBB9_3333:
	s_movk_i32 s4, 0x80
	v_cmp_eq_u16_sdwa s[12:13], v2, s4 src0_sel:BYTE_0 src1_sel:DWORD
	s_mov_b64 s[4:5], -1
                                        ; implicit-def: $sgpr10
	s_and_saveexec_b64 s[8:9], s[12:13]
; %bb.3334:
	s_mov_b32 s10, 0x7f800001
	s_xor_b64 s[4:5], exec, -1
; %bb.3335:
	s_or_b64 exec, exec, s[8:9]
	s_and_b64 s[4:5], s[4:5], exec
	s_or_saveexec_b64 s[6:7], s[6:7]
	v_mov_b32_e32 v13, s10
	s_xor_b64 exec, exec, s[6:7]
	s_cbranch_execz .LBB9_1286
.LBB9_3336:
	v_mov_b32_e32 v13, 0
	v_cmp_ne_u16_sdwa s[8:9], v2, v13 src0_sel:BYTE_0 src1_sel:DWORD
	s_andn2_b64 s[4:5], s[4:5], exec
	s_and_b64 s[8:9], s[8:9], exec
	s_or_b64 s[4:5], s[4:5], s[8:9]
	s_or_b64 exec, exec, s[6:7]
	s_and_saveexec_b64 s[6:7], s[4:5]
	s_cbranch_execnz .LBB9_1287
	s_branch .LBB9_1288
.LBB9_3337:
	s_movk_i32 s4, 0x80
	v_cmp_eq_u16_sdwa s[12:13], v13, s4 src0_sel:BYTE_0 src1_sel:DWORD
	s_mov_b64 s[4:5], -1
                                        ; implicit-def: $sgpr10
	s_and_saveexec_b64 s[8:9], s[12:13]
; %bb.3338:
	s_mov_b32 s10, 0x7f800001
	s_xor_b64 s[4:5], exec, -1
; %bb.3339:
	s_or_b64 exec, exec, s[8:9]
	s_and_b64 s[4:5], s[4:5], exec
	s_or_saveexec_b64 s[6:7], s[6:7]
	v_mov_b32_e32 v12, s10
	s_xor_b64 exec, exec, s[6:7]
	s_cbranch_execz .LBB9_1290
.LBB9_3340:
	v_mov_b32_e32 v12, 0
	v_cmp_ne_u16_sdwa s[8:9], v13, v12 src0_sel:BYTE_0 src1_sel:DWORD
	s_andn2_b64 s[4:5], s[4:5], exec
	s_and_b64 s[8:9], s[8:9], exec
	s_or_b64 s[4:5], s[4:5], s[8:9]
	s_or_b64 exec, exec, s[6:7]
	s_and_saveexec_b64 s[6:7], s[4:5]
	s_cbranch_execnz .LBB9_1291
	s_branch .LBB9_1292
.LBB9_3341:
	s_movk_i32 s4, 0x80
	v_cmp_eq_u16_sdwa s[12:13], v13, s4 src0_sel:BYTE_0 src1_sel:DWORD
	s_mov_b64 s[4:5], -1
                                        ; implicit-def: $sgpr10
	s_and_saveexec_b64 s[8:9], s[12:13]
; %bb.3342:
	s_mov_b32 s10, 0x7f800001
	s_xor_b64 s[4:5], exec, -1
; %bb.3343:
	s_or_b64 exec, exec, s[8:9]
	s_and_b64 s[4:5], s[4:5], exec
	s_or_saveexec_b64 s[6:7], s[6:7]
	v_mov_b32_e32 v14, s10
	s_xor_b64 exec, exec, s[6:7]
	s_cbranch_execz .LBB9_1294
.LBB9_3344:
	v_mov_b32_e32 v14, 0
	v_cmp_ne_u16_sdwa s[8:9], v13, v14 src0_sel:BYTE_0 src1_sel:DWORD
	s_andn2_b64 s[4:5], s[4:5], exec
	s_and_b64 s[8:9], s[8:9], exec
	s_or_b64 s[4:5], s[4:5], s[8:9]
	s_or_b64 exec, exec, s[6:7]
	s_and_saveexec_b64 s[6:7], s[4:5]
	s_cbranch_execnz .LBB9_1295
	s_branch .LBB9_1296
.LBB9_3345:
	s_movk_i32 s4, 0x80
	v_cmp_eq_u16_e32 vcc, s4, v13
	s_mov_b64 s[4:5], -1
                                        ; implicit-def: $sgpr10
	s_and_saveexec_b64 s[8:9], vcc
; %bb.3346:
	s_mov_b32 s10, 0x7f800001
	s_xor_b64 s[4:5], exec, -1
; %bb.3347:
	s_or_b64 exec, exec, s[8:9]
	s_and_b64 s[4:5], s[4:5], exec
                                        ; implicit-def: $vgpr13
	s_or_saveexec_b64 s[6:7], s[6:7]
	v_mov_b32_e32 v12, s10
	s_xor_b64 exec, exec, s[6:7]
	s_cbranch_execz .LBB9_1298
.LBB9_3348:
	v_cmp_ne_u16_e32 vcc, 0, v13
	s_andn2_b64 s[4:5], s[4:5], exec
	s_and_b64 s[8:9], vcc, exec
	v_mov_b32_e32 v12, 0
	s_or_b64 s[4:5], s[4:5], s[8:9]
	s_or_b64 exec, exec, s[6:7]
	s_and_saveexec_b64 s[6:7], s[4:5]
	s_cbranch_execnz .LBB9_1299
	s_branch .LBB9_1300
.LBB9_3349:
	s_movk_i32 s4, 0x80
	v_cmp_eq_u16_e32 vcc, s4, v13
	s_mov_b64 s[4:5], -1
                                        ; implicit-def: $sgpr10
	s_and_saveexec_b64 s[8:9], vcc
; %bb.3350:
	s_mov_b32 s10, 0x7f800001
	s_xor_b64 s[4:5], exec, -1
; %bb.3351:
	s_or_b64 exec, exec, s[8:9]
	s_and_b64 s[4:5], s[4:5], exec
                                        ; implicit-def: $vgpr13
	s_or_saveexec_b64 s[6:7], s[6:7]
	v_mov_b32_e32 v14, s10
	s_xor_b64 exec, exec, s[6:7]
	s_cbranch_execz .LBB9_1302
.LBB9_3352:
	v_cmp_ne_u16_e32 vcc, 0, v13
	s_andn2_b64 s[4:5], s[4:5], exec
	s_and_b64 s[8:9], vcc, exec
	v_mov_b32_e32 v14, 0
	s_or_b64 s[4:5], s[4:5], s[8:9]
	s_or_b64 exec, exec, s[6:7]
	s_and_saveexec_b64 s[6:7], s[4:5]
	s_cbranch_execnz .LBB9_1303
	s_branch .LBB9_1304
.LBB9_3353:
	s_movk_i32 s4, 0x80
	v_cmp_eq_u16_sdwa s[12:13], v6, s4 src0_sel:BYTE_3 src1_sel:DWORD
	s_mov_b64 s[4:5], -1
                                        ; implicit-def: $sgpr10
	s_and_saveexec_b64 s[8:9], s[12:13]
; %bb.3354:
	s_mov_b32 s10, 0x7f800001
	s_xor_b64 s[4:5], exec, -1
; %bb.3355:
	s_or_b64 exec, exec, s[8:9]
	s_and_b64 s[4:5], s[4:5], exec
	s_or_saveexec_b64 s[6:7], s[6:7]
	v_mov_b32_e32 v12, s10
	s_xor_b64 exec, exec, s[6:7]
	s_cbranch_execz .LBB9_1306
.LBB9_3356:
	v_mov_b32_e32 v12, 0
	v_cmp_ne_u16_sdwa s[8:9], v6, v12 src0_sel:BYTE_3 src1_sel:DWORD
	s_andn2_b64 s[4:5], s[4:5], exec
	s_and_b64 s[8:9], s[8:9], exec
	s_or_b64 s[4:5], s[4:5], s[8:9]
	s_or_b64 exec, exec, s[6:7]
	s_and_saveexec_b64 s[6:7], s[4:5]
	s_cbranch_execnz .LBB9_1307
	s_branch .LBB9_1308
.LBB9_3357:
	s_movk_i32 s4, 0x80
	v_cmp_eq_u16_sdwa s[12:13], v2, s4 src0_sel:BYTE_3 src1_sel:DWORD
	s_mov_b64 s[4:5], -1
                                        ; implicit-def: $sgpr10
	s_and_saveexec_b64 s[8:9], s[12:13]
; %bb.3358:
	s_mov_b32 s10, 0x7f800001
	s_xor_b64 s[4:5], exec, -1
; %bb.3359:
	s_or_b64 exec, exec, s[8:9]
	s_and_b64 s[4:5], s[4:5], exec
	s_or_saveexec_b64 s[6:7], s[6:7]
	v_mov_b32_e32 v6, s10
	s_xor_b64 exec, exec, s[6:7]
	s_cbranch_execz .LBB9_1310
.LBB9_3360:
	v_mov_b32_e32 v6, 0
	v_cmp_ne_u16_sdwa s[8:9], v2, v6 src0_sel:BYTE_3 src1_sel:DWORD
	s_andn2_b64 s[4:5], s[4:5], exec
	s_and_b64 s[8:9], s[8:9], exec
	s_or_b64 s[4:5], s[4:5], s[8:9]
	s_or_b64 exec, exec, s[6:7]
	s_and_saveexec_b64 s[6:7], s[4:5]
	s_cbranch_execnz .LBB9_1311
	s_branch .LBB9_1312
.LBB9_3361:
	s_movk_i32 s4, 0x80
	v_cmp_eq_u16_sdwa s[12:13], v7, s4 src0_sel:BYTE_0 src1_sel:DWORD
	s_mov_b64 s[4:5], -1
                                        ; implicit-def: $sgpr10
	s_and_saveexec_b64 s[8:9], s[12:13]
; %bb.3362:
	s_mov_b32 s10, 0x7f800001
	s_xor_b64 s[4:5], exec, -1
; %bb.3363:
	s_or_b64 exec, exec, s[8:9]
	s_and_b64 s[4:5], s[4:5], exec
	s_or_saveexec_b64 s[6:7], s[6:7]
	v_mov_b32_e32 v2, s10
	s_xor_b64 exec, exec, s[6:7]
	s_cbranch_execz .LBB9_1314
.LBB9_3364:
	v_mov_b32_e32 v2, 0
	v_cmp_ne_u16_sdwa s[8:9], v7, v2 src0_sel:BYTE_0 src1_sel:DWORD
	s_andn2_b64 s[4:5], s[4:5], exec
	s_and_b64 s[8:9], s[8:9], exec
	s_or_b64 s[4:5], s[4:5], s[8:9]
	s_or_b64 exec, exec, s[6:7]
	s_and_saveexec_b64 s[6:7], s[4:5]
	s_cbranch_execnz .LBB9_1315
	s_branch .LBB9_1316
.LBB9_3365:
	s_movk_i32 s4, 0x80
	v_cmp_eq_u16_sdwa s[12:13], v3, s4 src0_sel:BYTE_0 src1_sel:DWORD
	s_mov_b64 s[4:5], -1
                                        ; implicit-def: $sgpr10
	s_and_saveexec_b64 s[8:9], s[12:13]
; %bb.3366:
	s_mov_b32 s10, 0x7f800001
	s_xor_b64 s[4:5], exec, -1
; %bb.3367:
	s_or_b64 exec, exec, s[8:9]
	s_and_b64 s[4:5], s[4:5], exec
	s_or_saveexec_b64 s[6:7], s[6:7]
	v_mov_b32_e32 v6, s10
	s_xor_b64 exec, exec, s[6:7]
	s_cbranch_execz .LBB9_1318
.LBB9_3368:
	v_mov_b32_e32 v6, 0
	v_cmp_ne_u16_sdwa s[8:9], v3, v6 src0_sel:BYTE_0 src1_sel:DWORD
	s_andn2_b64 s[4:5], s[4:5], exec
	s_and_b64 s[8:9], s[8:9], exec
	s_or_b64 s[4:5], s[4:5], s[8:9]
	s_or_b64 exec, exec, s[6:7]
	s_and_saveexec_b64 s[6:7], s[4:5]
	s_cbranch_execnz .LBB9_1319
	s_branch .LBB9_1320
.LBB9_3369:
	s_movk_i32 s4, 0x80
	v_cmp_eq_u16_sdwa s[12:13], v6, s4 src0_sel:BYTE_0 src1_sel:DWORD
	s_mov_b64 s[4:5], -1
                                        ; implicit-def: $sgpr10
	s_and_saveexec_b64 s[8:9], s[12:13]
; %bb.3370:
	s_mov_b32 s10, 0x7f800001
	s_xor_b64 s[4:5], exec, -1
; %bb.3371:
	s_or_b64 exec, exec, s[8:9]
	s_and_b64 s[4:5], s[4:5], exec
	s_or_saveexec_b64 s[6:7], s[6:7]
	v_mov_b32_e32 v2, s10
	s_xor_b64 exec, exec, s[6:7]
	s_cbranch_execz .LBB9_1322
.LBB9_3372:
	v_mov_b32_e32 v2, 0
	v_cmp_ne_u16_sdwa s[8:9], v6, v2 src0_sel:BYTE_0 src1_sel:DWORD
	s_andn2_b64 s[4:5], s[4:5], exec
	s_and_b64 s[8:9], s[8:9], exec
	s_or_b64 s[4:5], s[4:5], s[8:9]
	s_or_b64 exec, exec, s[6:7]
	s_and_saveexec_b64 s[6:7], s[4:5]
	s_cbranch_execnz .LBB9_1323
	s_branch .LBB9_1324
.LBB9_3373:
	s_movk_i32 s4, 0x80
	v_cmp_eq_u16_sdwa s[12:13], v6, s4 src0_sel:BYTE_0 src1_sel:DWORD
	s_mov_b64 s[4:5], -1
                                        ; implicit-def: $sgpr10
	s_and_saveexec_b64 s[8:9], s[12:13]
; %bb.3374:
	s_mov_b32 s10, 0x7f800001
	s_xor_b64 s[4:5], exec, -1
; %bb.3375:
	s_or_b64 exec, exec, s[8:9]
	s_and_b64 s[4:5], s[4:5], exec
	s_or_saveexec_b64 s[6:7], s[6:7]
	v_mov_b32_e32 v12, s10
	s_xor_b64 exec, exec, s[6:7]
	s_cbranch_execz .LBB9_1326
.LBB9_3376:
	v_mov_b32_e32 v12, 0
	v_cmp_ne_u16_sdwa s[8:9], v6, v12 src0_sel:BYTE_0 src1_sel:DWORD
	s_andn2_b64 s[4:5], s[4:5], exec
	s_and_b64 s[8:9], s[8:9], exec
	s_or_b64 s[4:5], s[4:5], s[8:9]
	s_or_b64 exec, exec, s[6:7]
	s_and_saveexec_b64 s[6:7], s[4:5]
	s_cbranch_execnz .LBB9_1327
	s_branch .LBB9_1328
.LBB9_3377:
	s_movk_i32 s4, 0x80
	v_cmp_eq_u16_e32 vcc, s4, v6
	s_mov_b64 s[4:5], -1
                                        ; implicit-def: $sgpr10
	s_and_saveexec_b64 s[8:9], vcc
; %bb.3378:
	s_mov_b32 s10, 0x7f800001
	s_xor_b64 s[4:5], exec, -1
; %bb.3379:
	s_or_b64 exec, exec, s[8:9]
	s_and_b64 s[4:5], s[4:5], exec
                                        ; implicit-def: $vgpr6
	s_or_saveexec_b64 s[6:7], s[6:7]
	v_mov_b32_e32 v2, s10
	s_xor_b64 exec, exec, s[6:7]
	s_cbranch_execz .LBB9_1330
.LBB9_3380:
	v_cmp_ne_u16_e32 vcc, 0, v6
	s_andn2_b64 s[4:5], s[4:5], exec
	s_and_b64 s[8:9], vcc, exec
	v_mov_b32_e32 v2, 0
	s_or_b64 s[4:5], s[4:5], s[8:9]
	s_or_b64 exec, exec, s[6:7]
	s_and_saveexec_b64 s[6:7], s[4:5]
	s_cbranch_execnz .LBB9_1331
	s_branch .LBB9_1332
.LBB9_3381:
	s_movk_i32 s4, 0x80
	v_cmp_eq_u16_e32 vcc, s4, v6
	s_mov_b64 s[4:5], -1
                                        ; implicit-def: $sgpr10
	s_and_saveexec_b64 s[8:9], vcc
; %bb.3382:
	s_mov_b32 s10, 0x7f800001
	s_xor_b64 s[4:5], exec, -1
; %bb.3383:
	s_or_b64 exec, exec, s[8:9]
	s_and_b64 s[4:5], s[4:5], exec
                                        ; implicit-def: $vgpr6
	s_or_saveexec_b64 s[6:7], s[6:7]
	v_mov_b32_e32 v12, s10
	s_xor_b64 exec, exec, s[6:7]
	s_cbranch_execz .LBB9_1334
.LBB9_3384:
	v_cmp_ne_u16_e32 vcc, 0, v6
	s_andn2_b64 s[4:5], s[4:5], exec
	s_and_b64 s[8:9], vcc, exec
	v_mov_b32_e32 v12, 0
	s_or_b64 s[4:5], s[4:5], s[8:9]
	s_or_b64 exec, exec, s[6:7]
	s_and_saveexec_b64 s[6:7], s[4:5]
	s_cbranch_execnz .LBB9_1335
	s_branch .LBB9_1336
.LBB9_3385:
	s_movk_i32 s4, 0x80
	v_cmp_eq_u16_sdwa s[12:13], v7, s4 src0_sel:BYTE_3 src1_sel:DWORD
	s_mov_b64 s[4:5], -1
                                        ; implicit-def: $sgpr10
	s_and_saveexec_b64 s[8:9], s[12:13]
; %bb.3386:
	s_mov_b32 s10, 0x7f800001
	s_xor_b64 s[4:5], exec, -1
; %bb.3387:
	s_or_b64 exec, exec, s[8:9]
	s_and_b64 s[4:5], s[4:5], exec
	s_or_saveexec_b64 s[6:7], s[6:7]
	v_mov_b32_e32 v2, s10
	s_xor_b64 exec, exec, s[6:7]
	s_cbranch_execz .LBB9_1338
.LBB9_3388:
	v_mov_b32_e32 v2, 0
	v_cmp_ne_u16_sdwa s[8:9], v7, v2 src0_sel:BYTE_3 src1_sel:DWORD
	s_andn2_b64 s[4:5], s[4:5], exec
	s_and_b64 s[8:9], s[8:9], exec
	s_or_b64 s[4:5], s[4:5], s[8:9]
	s_or_b64 exec, exec, s[6:7]
	s_and_saveexec_b64 s[6:7], s[4:5]
	s_cbranch_execnz .LBB9_1339
	s_branch .LBB9_1340
.LBB9_3389:
	s_movk_i32 s4, 0x80
	v_cmp_eq_u16_sdwa s[12:13], v3, s4 src0_sel:BYTE_3 src1_sel:DWORD
	s_mov_b64 s[4:5], -1
                                        ; implicit-def: $sgpr10
	s_and_saveexec_b64 s[8:9], s[12:13]
; %bb.3390:
	s_mov_b32 s10, 0x7f800001
	s_xor_b64 s[4:5], exec, -1
; %bb.3391:
	s_or_b64 exec, exec, s[8:9]
	s_and_b64 s[4:5], s[4:5], exec
	s_or_saveexec_b64 s[6:7], s[6:7]
	v_mov_b32_e32 v6, s10
	s_xor_b64 exec, exec, s[6:7]
	s_cbranch_execz .LBB9_1342
.LBB9_3392:
	v_mov_b32_e32 v6, 0
	v_cmp_ne_u16_sdwa s[8:9], v3, v6 src0_sel:BYTE_3 src1_sel:DWORD
	s_andn2_b64 s[4:5], s[4:5], exec
	s_and_b64 s[8:9], s[8:9], exec
	s_or_b64 s[4:5], s[4:5], s[8:9]
	s_or_b64 exec, exec, s[6:7]
	s_and_saveexec_b64 s[6:7], s[4:5]
	s_cbranch_execnz .LBB9_1343
	s_branch .LBB9_1344
.LBB9_3393:
	s_movk_i32 s4, 0x80
	v_cmp_eq_u16_sdwa s[12:13], v8, s4 src0_sel:BYTE_0 src1_sel:DWORD
	s_mov_b64 s[4:5], -1
                                        ; implicit-def: $sgpr10
	s_and_saveexec_b64 s[8:9], s[12:13]
; %bb.3394:
	s_mov_b32 s10, 0x7f800001
	s_xor_b64 s[4:5], exec, -1
; %bb.3395:
	s_or_b64 exec, exec, s[8:9]
	s_and_b64 s[4:5], s[4:5], exec
	s_or_saveexec_b64 s[6:7], s[6:7]
	v_mov_b32_e32 v2, s10
	s_xor_b64 exec, exec, s[6:7]
	s_cbranch_execz .LBB9_1346
.LBB9_3396:
	v_mov_b32_e32 v2, 0
	v_cmp_ne_u16_sdwa s[8:9], v8, v2 src0_sel:BYTE_0 src1_sel:DWORD
	s_andn2_b64 s[4:5], s[4:5], exec
	s_and_b64 s[8:9], s[8:9], exec
	s_or_b64 s[4:5], s[4:5], s[8:9]
	s_or_b64 exec, exec, s[6:7]
	s_and_saveexec_b64 s[6:7], s[4:5]
	s_cbranch_execnz .LBB9_1347
	s_branch .LBB9_1348
.LBB9_3397:
	s_movk_i32 s4, 0x80
	v_cmp_eq_u16_sdwa s[12:13], v4, s4 src0_sel:BYTE_0 src1_sel:DWORD
	s_mov_b64 s[4:5], -1
                                        ; implicit-def: $sgpr10
	s_and_saveexec_b64 s[8:9], s[12:13]
; %bb.3398:
	s_mov_b32 s10, 0x7f800001
	s_xor_b64 s[4:5], exec, -1
; %bb.3399:
	s_or_b64 exec, exec, s[8:9]
	s_and_b64 s[4:5], s[4:5], exec
	s_or_saveexec_b64 s[6:7], s[6:7]
	v_mov_b32_e32 v3, s10
	s_xor_b64 exec, exec, s[6:7]
	s_cbranch_execz .LBB9_1350
.LBB9_3400:
	v_mov_b32_e32 v3, 0
	v_cmp_ne_u16_sdwa s[8:9], v4, v3 src0_sel:BYTE_0 src1_sel:DWORD
	s_andn2_b64 s[4:5], s[4:5], exec
	s_and_b64 s[8:9], s[8:9], exec
	s_or_b64 s[4:5], s[4:5], s[8:9]
	s_or_b64 exec, exec, s[6:7]
	s_and_saveexec_b64 s[6:7], s[4:5]
	s_cbranch_execnz .LBB9_1351
	s_branch .LBB9_1352
.LBB9_3401:
	s_movk_i32 s4, 0x80
	v_cmp_eq_u16_sdwa s[12:13], v3, s4 src0_sel:BYTE_0 src1_sel:DWORD
	s_mov_b64 s[4:5], -1
                                        ; implicit-def: $sgpr10
	s_and_saveexec_b64 s[8:9], s[12:13]
; %bb.3402:
	s_mov_b32 s10, 0x7f800001
	s_xor_b64 s[4:5], exec, -1
; %bb.3403:
	s_or_b64 exec, exec, s[8:9]
	s_and_b64 s[4:5], s[4:5], exec
	s_or_saveexec_b64 s[6:7], s[6:7]
	v_mov_b32_e32 v2, s10
	s_xor_b64 exec, exec, s[6:7]
	s_cbranch_execz .LBB9_1354
.LBB9_3404:
	v_mov_b32_e32 v2, 0
	v_cmp_ne_u16_sdwa s[8:9], v3, v2 src0_sel:BYTE_0 src1_sel:DWORD
	s_andn2_b64 s[4:5], s[4:5], exec
	s_and_b64 s[8:9], s[8:9], exec
	s_or_b64 s[4:5], s[4:5], s[8:9]
	s_or_b64 exec, exec, s[6:7]
	s_and_saveexec_b64 s[6:7], s[4:5]
	s_cbranch_execnz .LBB9_1355
	s_branch .LBB9_1356
.LBB9_3405:
	s_movk_i32 s4, 0x80
	v_cmp_eq_u16_sdwa s[12:13], v3, s4 src0_sel:BYTE_0 src1_sel:DWORD
	s_mov_b64 s[4:5], -1
                                        ; implicit-def: $sgpr10
	s_and_saveexec_b64 s[8:9], s[12:13]
; %bb.3406:
	s_mov_b32 s10, 0x7f800001
	s_xor_b64 s[4:5], exec, -1
; %bb.3407:
	s_or_b64 exec, exec, s[8:9]
	s_and_b64 s[4:5], s[4:5], exec
	s_or_saveexec_b64 s[6:7], s[6:7]
	v_mov_b32_e32 v6, s10
	s_xor_b64 exec, exec, s[6:7]
	s_cbranch_execz .LBB9_1358
.LBB9_3408:
	v_mov_b32_e32 v6, 0
	v_cmp_ne_u16_sdwa s[8:9], v3, v6 src0_sel:BYTE_0 src1_sel:DWORD
	s_andn2_b64 s[4:5], s[4:5], exec
	s_and_b64 s[8:9], s[8:9], exec
	s_or_b64 s[4:5], s[4:5], s[8:9]
	s_or_b64 exec, exec, s[6:7]
	s_and_saveexec_b64 s[6:7], s[4:5]
	s_cbranch_execnz .LBB9_1359
	s_branch .LBB9_1360
.LBB9_3409:
	s_movk_i32 s4, 0x80
	v_cmp_eq_u16_e32 vcc, s4, v3
	s_mov_b64 s[4:5], -1
                                        ; implicit-def: $sgpr10
	s_and_saveexec_b64 s[8:9], vcc
; %bb.3410:
	s_mov_b32 s10, 0x7f800001
	s_xor_b64 s[4:5], exec, -1
; %bb.3411:
	s_or_b64 exec, exec, s[8:9]
	s_and_b64 s[4:5], s[4:5], exec
                                        ; implicit-def: $vgpr3
	s_or_saveexec_b64 s[6:7], s[6:7]
	v_mov_b32_e32 v2, s10
	s_xor_b64 exec, exec, s[6:7]
	s_cbranch_execz .LBB9_1362
.LBB9_3412:
	v_cmp_ne_u16_e32 vcc, 0, v3
	s_andn2_b64 s[4:5], s[4:5], exec
	s_and_b64 s[8:9], vcc, exec
	v_mov_b32_e32 v2, 0
	s_or_b64 s[4:5], s[4:5], s[8:9]
	s_or_b64 exec, exec, s[6:7]
	s_and_saveexec_b64 s[6:7], s[4:5]
	s_cbranch_execnz .LBB9_1363
	s_branch .LBB9_1364
.LBB9_3413:
	s_movk_i32 s4, 0x80
	v_cmp_eq_u16_e32 vcc, s4, v3
	s_mov_b64 s[4:5], -1
                                        ; implicit-def: $sgpr10
	s_and_saveexec_b64 s[8:9], vcc
; %bb.3414:
	s_mov_b32 s10, 0x7f800001
	s_xor_b64 s[4:5], exec, -1
; %bb.3415:
	s_or_b64 exec, exec, s[8:9]
	s_and_b64 s[4:5], s[4:5], exec
                                        ; implicit-def: $vgpr3
	s_or_saveexec_b64 s[6:7], s[6:7]
	v_mov_b32_e32 v6, s10
	s_xor_b64 exec, exec, s[6:7]
	s_cbranch_execz .LBB9_1366
.LBB9_3416:
	v_cmp_ne_u16_e32 vcc, 0, v3
	s_andn2_b64 s[4:5], s[4:5], exec
	s_and_b64 s[8:9], vcc, exec
	v_mov_b32_e32 v6, 0
	s_or_b64 s[4:5], s[4:5], s[8:9]
	s_or_b64 exec, exec, s[6:7]
	s_and_saveexec_b64 s[6:7], s[4:5]
	s_cbranch_execnz .LBB9_1367
	s_branch .LBB9_1368
.LBB9_3417:
	s_movk_i32 s4, 0x80
	v_cmp_eq_u16_sdwa s[12:13], v8, s4 src0_sel:BYTE_3 src1_sel:DWORD
	s_mov_b64 s[4:5], -1
                                        ; implicit-def: $sgpr10
	s_and_saveexec_b64 s[8:9], s[12:13]
; %bb.3418:
	s_mov_b32 s10, 0x7f800001
	s_xor_b64 s[4:5], exec, -1
; %bb.3419:
	s_or_b64 exec, exec, s[8:9]
	s_and_b64 s[4:5], s[4:5], exec
	s_or_saveexec_b64 s[6:7], s[6:7]
	v_mov_b32_e32 v2, s10
	s_xor_b64 exec, exec, s[6:7]
	s_cbranch_execz .LBB9_1370
.LBB9_3420:
	v_mov_b32_e32 v2, 0
	v_cmp_ne_u16_sdwa s[8:9], v8, v2 src0_sel:BYTE_3 src1_sel:DWORD
	s_andn2_b64 s[4:5], s[4:5], exec
	s_and_b64 s[8:9], s[8:9], exec
	s_or_b64 s[4:5], s[4:5], s[8:9]
	s_or_b64 exec, exec, s[6:7]
	s_and_saveexec_b64 s[6:7], s[4:5]
	s_cbranch_execnz .LBB9_1371
	s_branch .LBB9_1372
.LBB9_3421:
	s_movk_i32 s4, 0x80
	v_cmp_eq_u16_sdwa s[12:13], v4, s4 src0_sel:BYTE_3 src1_sel:DWORD
	s_mov_b64 s[4:5], -1
                                        ; implicit-def: $sgpr10
	s_and_saveexec_b64 s[8:9], s[12:13]
; %bb.3422:
	s_mov_b32 s10, 0x7f800001
	s_xor_b64 s[4:5], exec, -1
; %bb.3423:
	s_or_b64 exec, exec, s[8:9]
	s_and_b64 s[4:5], s[4:5], exec
	s_or_saveexec_b64 s[6:7], s[6:7]
	v_mov_b32_e32 v3, s10
	s_xor_b64 exec, exec, s[6:7]
	s_cbranch_execz .LBB9_1374
.LBB9_3424:
	v_mov_b32_e32 v3, 0
	v_cmp_ne_u16_sdwa s[8:9], v4, v3 src0_sel:BYTE_3 src1_sel:DWORD
	s_andn2_b64 s[4:5], s[4:5], exec
	s_and_b64 s[8:9], s[8:9], exec
	s_or_b64 s[4:5], s[4:5], s[8:9]
	s_or_b64 exec, exec, s[6:7]
	s_and_saveexec_b64 s[6:7], s[4:5]
	s_cbranch_execnz .LBB9_1375
	s_branch .LBB9_1376
.LBB9_3425:
	s_movk_i32 s4, 0x80
	v_cmp_eq_u16_sdwa s[12:13], v9, s4 src0_sel:BYTE_0 src1_sel:DWORD
	s_mov_b64 s[4:5], -1
                                        ; implicit-def: $sgpr10
	s_and_saveexec_b64 s[8:9], s[12:13]
; %bb.3426:
	s_mov_b32 s10, 0x7f800001
	s_xor_b64 s[4:5], exec, -1
; %bb.3427:
	s_or_b64 exec, exec, s[8:9]
	s_and_b64 s[4:5], s[4:5], exec
	s_or_saveexec_b64 s[6:7], s[6:7]
	v_mov_b32_e32 v2, s10
	s_xor_b64 exec, exec, s[6:7]
	s_cbranch_execz .LBB9_1378
.LBB9_3428:
	v_mov_b32_e32 v2, 0
	v_cmp_ne_u16_sdwa s[8:9], v9, v2 src0_sel:BYTE_0 src1_sel:DWORD
	s_andn2_b64 s[4:5], s[4:5], exec
	s_and_b64 s[8:9], s[8:9], exec
	s_or_b64 s[4:5], s[4:5], s[8:9]
	s_or_b64 exec, exec, s[6:7]
	s_and_saveexec_b64 s[6:7], s[4:5]
	s_cbranch_execnz .LBB9_1379
	s_branch .LBB9_1380
.LBB9_3429:
	s_movk_i32 s4, 0x80
	v_cmp_eq_u16_sdwa s[12:13], v5, s4 src0_sel:BYTE_0 src1_sel:DWORD
	s_mov_b64 s[4:5], -1
                                        ; implicit-def: $sgpr10
	s_and_saveexec_b64 s[8:9], s[12:13]
; %bb.3430:
	s_mov_b32 s10, 0x7f800001
	s_xor_b64 s[4:5], exec, -1
; %bb.3431:
	s_or_b64 exec, exec, s[8:9]
	s_and_b64 s[4:5], s[4:5], exec
	s_or_saveexec_b64 s[6:7], s[6:7]
	v_mov_b32_e32 v3, s10
	s_xor_b64 exec, exec, s[6:7]
	s_cbranch_execz .LBB9_1382
.LBB9_3432:
	v_mov_b32_e32 v3, 0
	v_cmp_ne_u16_sdwa s[8:9], v5, v3 src0_sel:BYTE_0 src1_sel:DWORD
	s_andn2_b64 s[4:5], s[4:5], exec
	s_and_b64 s[8:9], s[8:9], exec
	s_or_b64 s[4:5], s[4:5], s[8:9]
	s_or_b64 exec, exec, s[6:7]
	s_and_saveexec_b64 s[6:7], s[4:5]
	s_cbranch_execnz .LBB9_1383
	s_branch .LBB9_1384
.LBB9_3433:
	s_movk_i32 s4, 0x80
	v_cmp_eq_u16_sdwa s[12:13], v3, s4 src0_sel:BYTE_0 src1_sel:DWORD
	s_mov_b64 s[4:5], -1
                                        ; implicit-def: $sgpr10
	s_and_saveexec_b64 s[8:9], s[12:13]
; %bb.3434:
	s_mov_b32 s10, 0x7f800001
	s_xor_b64 s[4:5], exec, -1
; %bb.3435:
	s_or_b64 exec, exec, s[8:9]
	s_and_b64 s[4:5], s[4:5], exec
	s_or_saveexec_b64 s[6:7], s[6:7]
	v_mov_b32_e32 v2, s10
	s_xor_b64 exec, exec, s[6:7]
	s_cbranch_execz .LBB9_1386
.LBB9_3436:
	v_mov_b32_e32 v2, 0
	v_cmp_ne_u16_sdwa s[8:9], v3, v2 src0_sel:BYTE_0 src1_sel:DWORD
	s_andn2_b64 s[4:5], s[4:5], exec
	s_and_b64 s[8:9], s[8:9], exec
	s_or_b64 s[4:5], s[4:5], s[8:9]
	s_or_b64 exec, exec, s[6:7]
	s_and_saveexec_b64 s[6:7], s[4:5]
	s_cbranch_execnz .LBB9_1387
	s_branch .LBB9_1388
.LBB9_3437:
	s_movk_i32 s4, 0x80
	v_cmp_eq_u16_sdwa s[12:13], v3, s4 src0_sel:BYTE_0 src1_sel:DWORD
	s_mov_b64 s[4:5], -1
                                        ; implicit-def: $sgpr10
	s_and_saveexec_b64 s[8:9], s[12:13]
; %bb.3438:
	s_mov_b32 s10, 0x7f800001
	s_xor_b64 s[4:5], exec, -1
; %bb.3439:
	s_or_b64 exec, exec, s[8:9]
	s_and_b64 s[4:5], s[4:5], exec
	s_or_saveexec_b64 s[6:7], s[6:7]
	v_mov_b32_e32 v4, s10
	s_xor_b64 exec, exec, s[6:7]
	s_cbranch_execz .LBB9_1390
.LBB9_3440:
	v_mov_b32_e32 v4, 0
	v_cmp_ne_u16_sdwa s[8:9], v3, v4 src0_sel:BYTE_0 src1_sel:DWORD
	s_andn2_b64 s[4:5], s[4:5], exec
	s_and_b64 s[8:9], s[8:9], exec
	s_or_b64 s[4:5], s[4:5], s[8:9]
	s_or_b64 exec, exec, s[6:7]
	s_and_saveexec_b64 s[6:7], s[4:5]
	s_cbranch_execnz .LBB9_1391
	s_branch .LBB9_1392
.LBB9_3441:
	s_movk_i32 s4, 0x80
	v_cmp_eq_u16_e32 vcc, s4, v3
	s_mov_b64 s[4:5], -1
                                        ; implicit-def: $sgpr10
	s_and_saveexec_b64 s[8:9], vcc
; %bb.3442:
	s_mov_b32 s10, 0x7f800001
	s_xor_b64 s[4:5], exec, -1
; %bb.3443:
	s_or_b64 exec, exec, s[8:9]
	s_and_b64 s[4:5], s[4:5], exec
                                        ; implicit-def: $vgpr3
	s_or_saveexec_b64 s[6:7], s[6:7]
	v_mov_b32_e32 v2, s10
	s_xor_b64 exec, exec, s[6:7]
	s_cbranch_execz .LBB9_1394
.LBB9_3444:
	v_cmp_ne_u16_e32 vcc, 0, v3
	s_andn2_b64 s[4:5], s[4:5], exec
	s_and_b64 s[8:9], vcc, exec
	v_mov_b32_e32 v2, 0
	s_or_b64 s[4:5], s[4:5], s[8:9]
	s_or_b64 exec, exec, s[6:7]
	s_and_saveexec_b64 s[6:7], s[4:5]
	s_cbranch_execnz .LBB9_1395
	s_branch .LBB9_1396
.LBB9_3445:
	s_movk_i32 s4, 0x80
	v_cmp_eq_u16_e32 vcc, s4, v3
	s_mov_b64 s[4:5], -1
                                        ; implicit-def: $sgpr10
	s_and_saveexec_b64 s[8:9], vcc
; %bb.3446:
	s_mov_b32 s10, 0x7f800001
	s_xor_b64 s[4:5], exec, -1
; %bb.3447:
	s_or_b64 exec, exec, s[8:9]
	s_and_b64 s[4:5], s[4:5], exec
                                        ; implicit-def: $vgpr3
	s_or_saveexec_b64 s[6:7], s[6:7]
	v_mov_b32_e32 v4, s10
	s_xor_b64 exec, exec, s[6:7]
	s_cbranch_execz .LBB9_1398
.LBB9_3448:
	v_cmp_ne_u16_e32 vcc, 0, v3
	s_andn2_b64 s[4:5], s[4:5], exec
	s_and_b64 s[8:9], vcc, exec
	v_mov_b32_e32 v4, 0
	s_or_b64 s[4:5], s[4:5], s[8:9]
	s_or_b64 exec, exec, s[6:7]
	s_and_saveexec_b64 s[6:7], s[4:5]
	s_cbranch_execnz .LBB9_1399
	s_branch .LBB9_1400
.LBB9_3449:
	s_movk_i32 s4, 0x80
	v_cmp_eq_u16_sdwa s[12:13], v9, s4 src0_sel:BYTE_3 src1_sel:DWORD
	s_mov_b64 s[4:5], -1
                                        ; implicit-def: $sgpr10
	s_and_saveexec_b64 s[8:9], s[12:13]
; %bb.3450:
	s_mov_b32 s10, 0x7f800001
	s_xor_b64 s[4:5], exec, -1
; %bb.3451:
	s_or_b64 exec, exec, s[8:9]
	s_and_b64 s[4:5], s[4:5], exec
	s_or_saveexec_b64 s[6:7], s[6:7]
	v_mov_b32_e32 v2, s10
	s_xor_b64 exec, exec, s[6:7]
	s_cbranch_execz .LBB9_1402
.LBB9_3452:
	v_mov_b32_e32 v2, 0
	v_cmp_ne_u16_sdwa s[8:9], v9, v2 src0_sel:BYTE_3 src1_sel:DWORD
	s_andn2_b64 s[4:5], s[4:5], exec
	s_and_b64 s[8:9], s[8:9], exec
	s_or_b64 s[4:5], s[4:5], s[8:9]
	s_or_b64 exec, exec, s[6:7]
	s_and_saveexec_b64 s[6:7], s[4:5]
	s_cbranch_execnz .LBB9_1403
	s_branch .LBB9_1404
.LBB9_3453:
	s_movk_i32 s4, 0x80
	v_cmp_eq_u16_sdwa s[12:13], v5, s4 src0_sel:BYTE_3 src1_sel:DWORD
	s_mov_b64 s[4:5], -1
                                        ; implicit-def: $sgpr10
	s_and_saveexec_b64 s[8:9], s[12:13]
; %bb.3454:
	s_mov_b32 s10, 0x7f800001
	s_xor_b64 s[4:5], exec, -1
; %bb.3455:
	s_or_b64 exec, exec, s[8:9]
	s_and_b64 s[4:5], s[4:5], exec
	s_or_saveexec_b64 s[6:7], s[6:7]
	v_mov_b32_e32 v3, s10
	s_xor_b64 exec, exec, s[6:7]
	s_cbranch_execz .LBB9_1406
.LBB9_3456:
	v_mov_b32_e32 v3, 0
	v_cmp_ne_u16_sdwa s[8:9], v5, v3 src0_sel:BYTE_3 src1_sel:DWORD
	s_andn2_b64 s[4:5], s[4:5], exec
	s_and_b64 s[8:9], s[8:9], exec
	s_or_b64 s[4:5], s[4:5], s[8:9]
	s_or_b64 exec, exec, s[6:7]
	s_and_saveexec_b64 s[6:7], s[4:5]
	s_cbranch_execnz .LBB9_1407
	s_branch .LBB9_1408
.LBB9_3457:
	s_movk_i32 s4, 0x80
	v_cmp_eq_u16_sdwa s[12:13], v6, s4 src0_sel:BYTE_0 src1_sel:DWORD
	s_mov_b64 s[4:5], -1
                                        ; implicit-def: $sgpr10
	s_and_saveexec_b64 s[8:9], s[12:13]
; %bb.3458:
	s_mov_b32 s10, 0x7f800001
	s_xor_b64 s[4:5], exec, -1
; %bb.3459:
	s_or_b64 exec, exec, s[8:9]
	s_and_b64 s[4:5], s[4:5], exec
	s_or_saveexec_b64 s[6:7], s[6:7]
	v_mov_b32_e32 v12, s10
	s_xor_b64 exec, exec, s[6:7]
	s_cbranch_execz .LBB9_1410
.LBB9_3460:
	v_mov_b32_e32 v12, 0
	v_cmp_ne_u16_sdwa s[8:9], v6, v12 src0_sel:BYTE_0 src1_sel:DWORD
	s_andn2_b64 s[4:5], s[4:5], exec
	s_and_b64 s[8:9], s[8:9], exec
	s_or_b64 s[4:5], s[4:5], s[8:9]
	s_or_b64 exec, exec, s[6:7]
	s_and_saveexec_b64 s[6:7], s[4:5]
	s_cbranch_execnz .LBB9_1411
	s_branch .LBB9_1412
.LBB9_3461:
	s_movk_i32 s4, 0x80
	v_cmp_eq_u16_sdwa s[12:13], v2, s4 src0_sel:BYTE_0 src1_sel:DWORD
	s_mov_b64 s[4:5], -1
                                        ; implicit-def: $sgpr10
	s_and_saveexec_b64 s[8:9], s[12:13]
; %bb.3462:
	s_mov_b32 s10, 0x7f800001
	s_xor_b64 s[4:5], exec, -1
; %bb.3463:
	s_or_b64 exec, exec, s[8:9]
	s_and_b64 s[4:5], s[4:5], exec
	s_or_saveexec_b64 s[6:7], s[6:7]
	v_mov_b32_e32 v13, s10
	s_xor_b64 exec, exec, s[6:7]
	s_cbranch_execz .LBB9_1414
.LBB9_3464:
	v_mov_b32_e32 v13, 0
	v_cmp_ne_u16_sdwa s[8:9], v2, v13 src0_sel:BYTE_0 src1_sel:DWORD
	s_andn2_b64 s[4:5], s[4:5], exec
	s_and_b64 s[8:9], s[8:9], exec
	s_or_b64 s[4:5], s[4:5], s[8:9]
	s_or_b64 exec, exec, s[6:7]
	s_and_saveexec_b64 s[6:7], s[4:5]
	s_cbranch_execnz .LBB9_1415
	s_branch .LBB9_1416
.LBB9_3465:
	s_movk_i32 s4, 0x80
	v_cmp_eq_u16_sdwa s[12:13], v13, s4 src0_sel:BYTE_0 src1_sel:DWORD
	s_mov_b64 s[4:5], -1
                                        ; implicit-def: $sgpr10
	s_and_saveexec_b64 s[8:9], s[12:13]
; %bb.3466:
	s_mov_b32 s10, 0x7f800001
	s_xor_b64 s[4:5], exec, -1
; %bb.3467:
	s_or_b64 exec, exec, s[8:9]
	s_and_b64 s[4:5], s[4:5], exec
	s_or_saveexec_b64 s[6:7], s[6:7]
	v_mov_b32_e32 v12, s10
	s_xor_b64 exec, exec, s[6:7]
	s_cbranch_execz .LBB9_1418
.LBB9_3468:
	v_mov_b32_e32 v12, 0
	v_cmp_ne_u16_sdwa s[8:9], v13, v12 src0_sel:BYTE_0 src1_sel:DWORD
	s_andn2_b64 s[4:5], s[4:5], exec
	s_and_b64 s[8:9], s[8:9], exec
	s_or_b64 s[4:5], s[4:5], s[8:9]
	s_or_b64 exec, exec, s[6:7]
	s_and_saveexec_b64 s[6:7], s[4:5]
	s_cbranch_execnz .LBB9_1419
	s_branch .LBB9_1420
.LBB9_3469:
	s_movk_i32 s4, 0x80
	v_cmp_eq_u16_sdwa s[12:13], v13, s4 src0_sel:BYTE_0 src1_sel:DWORD
	s_mov_b64 s[4:5], -1
                                        ; implicit-def: $sgpr10
	s_and_saveexec_b64 s[8:9], s[12:13]
; %bb.3470:
	s_mov_b32 s10, 0x7f800001
	s_xor_b64 s[4:5], exec, -1
; %bb.3471:
	s_or_b64 exec, exec, s[8:9]
	s_and_b64 s[4:5], s[4:5], exec
	s_or_saveexec_b64 s[6:7], s[6:7]
	v_mov_b32_e32 v14, s10
	s_xor_b64 exec, exec, s[6:7]
	s_cbranch_execz .LBB9_1422
.LBB9_3472:
	v_mov_b32_e32 v14, 0
	v_cmp_ne_u16_sdwa s[8:9], v13, v14 src0_sel:BYTE_0 src1_sel:DWORD
	s_andn2_b64 s[4:5], s[4:5], exec
	s_and_b64 s[8:9], s[8:9], exec
	s_or_b64 s[4:5], s[4:5], s[8:9]
	s_or_b64 exec, exec, s[6:7]
	s_and_saveexec_b64 s[6:7], s[4:5]
	s_cbranch_execnz .LBB9_1423
	s_branch .LBB9_1424
.LBB9_3473:
	s_movk_i32 s4, 0x80
	v_cmp_eq_u16_e32 vcc, s4, v13
	s_mov_b64 s[4:5], -1
                                        ; implicit-def: $sgpr10
	s_and_saveexec_b64 s[8:9], vcc
; %bb.3474:
	s_mov_b32 s10, 0x7f800001
	s_xor_b64 s[4:5], exec, -1
; %bb.3475:
	s_or_b64 exec, exec, s[8:9]
	s_and_b64 s[4:5], s[4:5], exec
                                        ; implicit-def: $vgpr13
	s_or_saveexec_b64 s[6:7], s[6:7]
	v_mov_b32_e32 v12, s10
	s_xor_b64 exec, exec, s[6:7]
	s_cbranch_execz .LBB9_1426
.LBB9_3476:
	v_cmp_ne_u16_e32 vcc, 0, v13
	s_andn2_b64 s[4:5], s[4:5], exec
	s_and_b64 s[8:9], vcc, exec
	v_mov_b32_e32 v12, 0
	s_or_b64 s[4:5], s[4:5], s[8:9]
	s_or_b64 exec, exec, s[6:7]
	s_and_saveexec_b64 s[6:7], s[4:5]
	s_cbranch_execnz .LBB9_1427
	s_branch .LBB9_1428
.LBB9_3477:
	s_movk_i32 s4, 0x80
	v_cmp_eq_u16_e32 vcc, s4, v13
	s_mov_b64 s[4:5], -1
                                        ; implicit-def: $sgpr10
	s_and_saveexec_b64 s[8:9], vcc
; %bb.3478:
	s_mov_b32 s10, 0x7f800001
	s_xor_b64 s[4:5], exec, -1
; %bb.3479:
	s_or_b64 exec, exec, s[8:9]
	s_and_b64 s[4:5], s[4:5], exec
                                        ; implicit-def: $vgpr13
	s_or_saveexec_b64 s[6:7], s[6:7]
	v_mov_b32_e32 v14, s10
	s_xor_b64 exec, exec, s[6:7]
	s_cbranch_execz .LBB9_1430
.LBB9_3480:
	v_cmp_ne_u16_e32 vcc, 0, v13
	s_andn2_b64 s[4:5], s[4:5], exec
	s_and_b64 s[8:9], vcc, exec
	v_mov_b32_e32 v14, 0
	s_or_b64 s[4:5], s[4:5], s[8:9]
	s_or_b64 exec, exec, s[6:7]
	s_and_saveexec_b64 s[6:7], s[4:5]
	s_cbranch_execnz .LBB9_1431
	s_branch .LBB9_1432
.LBB9_3481:
	s_movk_i32 s4, 0x80
	v_cmp_eq_u16_sdwa s[12:13], v6, s4 src0_sel:BYTE_3 src1_sel:DWORD
	s_mov_b64 s[4:5], -1
                                        ; implicit-def: $sgpr10
	s_and_saveexec_b64 s[8:9], s[12:13]
; %bb.3482:
	s_mov_b32 s10, 0x7f800001
	s_xor_b64 s[4:5], exec, -1
; %bb.3483:
	s_or_b64 exec, exec, s[8:9]
	s_and_b64 s[4:5], s[4:5], exec
	s_or_saveexec_b64 s[6:7], s[6:7]
	v_mov_b32_e32 v12, s10
	s_xor_b64 exec, exec, s[6:7]
	s_cbranch_execz .LBB9_1434
.LBB9_3484:
	v_mov_b32_e32 v12, 0
	v_cmp_ne_u16_sdwa s[8:9], v6, v12 src0_sel:BYTE_3 src1_sel:DWORD
	s_andn2_b64 s[4:5], s[4:5], exec
	s_and_b64 s[8:9], s[8:9], exec
	s_or_b64 s[4:5], s[4:5], s[8:9]
	s_or_b64 exec, exec, s[6:7]
	s_and_saveexec_b64 s[6:7], s[4:5]
	s_cbranch_execnz .LBB9_1435
	s_branch .LBB9_1436
.LBB9_3485:
	s_movk_i32 s4, 0x80
	v_cmp_eq_u16_sdwa s[12:13], v2, s4 src0_sel:BYTE_3 src1_sel:DWORD
	s_mov_b64 s[4:5], -1
                                        ; implicit-def: $sgpr10
	s_and_saveexec_b64 s[8:9], s[12:13]
; %bb.3486:
	s_mov_b32 s10, 0x7f800001
	s_xor_b64 s[4:5], exec, -1
; %bb.3487:
	s_or_b64 exec, exec, s[8:9]
	s_and_b64 s[4:5], s[4:5], exec
	s_or_saveexec_b64 s[6:7], s[6:7]
	v_mov_b32_e32 v6, s10
	s_xor_b64 exec, exec, s[6:7]
	s_cbranch_execz .LBB9_1438
.LBB9_3488:
	v_mov_b32_e32 v6, 0
	v_cmp_ne_u16_sdwa s[8:9], v2, v6 src0_sel:BYTE_3 src1_sel:DWORD
	s_andn2_b64 s[4:5], s[4:5], exec
	s_and_b64 s[8:9], s[8:9], exec
	s_or_b64 s[4:5], s[4:5], s[8:9]
	s_or_b64 exec, exec, s[6:7]
	s_and_saveexec_b64 s[6:7], s[4:5]
	s_cbranch_execnz .LBB9_1439
	s_branch .LBB9_1440
.LBB9_3489:
	s_movk_i32 s4, 0x80
	v_cmp_eq_u16_sdwa s[12:13], v7, s4 src0_sel:BYTE_0 src1_sel:DWORD
	s_mov_b64 s[4:5], -1
                                        ; implicit-def: $sgpr10
	s_and_saveexec_b64 s[8:9], s[12:13]
; %bb.3490:
	s_mov_b32 s10, 0x7f800001
	s_xor_b64 s[4:5], exec, -1
; %bb.3491:
	s_or_b64 exec, exec, s[8:9]
	s_and_b64 s[4:5], s[4:5], exec
	s_or_saveexec_b64 s[6:7], s[6:7]
	v_mov_b32_e32 v2, s10
	s_xor_b64 exec, exec, s[6:7]
	s_cbranch_execz .LBB9_1442
.LBB9_3492:
	v_mov_b32_e32 v2, 0
	v_cmp_ne_u16_sdwa s[8:9], v7, v2 src0_sel:BYTE_0 src1_sel:DWORD
	s_andn2_b64 s[4:5], s[4:5], exec
	s_and_b64 s[8:9], s[8:9], exec
	s_or_b64 s[4:5], s[4:5], s[8:9]
	s_or_b64 exec, exec, s[6:7]
	s_and_saveexec_b64 s[6:7], s[4:5]
	s_cbranch_execnz .LBB9_1443
	s_branch .LBB9_1444
.LBB9_3493:
	s_movk_i32 s4, 0x80
	v_cmp_eq_u16_sdwa s[12:13], v3, s4 src0_sel:BYTE_0 src1_sel:DWORD
	s_mov_b64 s[4:5], -1
                                        ; implicit-def: $sgpr10
	s_and_saveexec_b64 s[8:9], s[12:13]
; %bb.3494:
	s_mov_b32 s10, 0x7f800001
	s_xor_b64 s[4:5], exec, -1
; %bb.3495:
	s_or_b64 exec, exec, s[8:9]
	s_and_b64 s[4:5], s[4:5], exec
	s_or_saveexec_b64 s[6:7], s[6:7]
	v_mov_b32_e32 v6, s10
	s_xor_b64 exec, exec, s[6:7]
	s_cbranch_execz .LBB9_1446
.LBB9_3496:
	v_mov_b32_e32 v6, 0
	v_cmp_ne_u16_sdwa s[8:9], v3, v6 src0_sel:BYTE_0 src1_sel:DWORD
	s_andn2_b64 s[4:5], s[4:5], exec
	s_and_b64 s[8:9], s[8:9], exec
	s_or_b64 s[4:5], s[4:5], s[8:9]
	s_or_b64 exec, exec, s[6:7]
	s_and_saveexec_b64 s[6:7], s[4:5]
	s_cbranch_execnz .LBB9_1447
	s_branch .LBB9_1448
.LBB9_3497:
	s_movk_i32 s4, 0x80
	v_cmp_eq_u16_sdwa s[12:13], v6, s4 src0_sel:BYTE_0 src1_sel:DWORD
	s_mov_b64 s[4:5], -1
                                        ; implicit-def: $sgpr10
	s_and_saveexec_b64 s[8:9], s[12:13]
; %bb.3498:
	s_mov_b32 s10, 0x7f800001
	s_xor_b64 s[4:5], exec, -1
; %bb.3499:
	s_or_b64 exec, exec, s[8:9]
	s_and_b64 s[4:5], s[4:5], exec
	s_or_saveexec_b64 s[6:7], s[6:7]
	v_mov_b32_e32 v2, s10
	s_xor_b64 exec, exec, s[6:7]
	s_cbranch_execz .LBB9_1450
.LBB9_3500:
	v_mov_b32_e32 v2, 0
	v_cmp_ne_u16_sdwa s[8:9], v6, v2 src0_sel:BYTE_0 src1_sel:DWORD
	s_andn2_b64 s[4:5], s[4:5], exec
	s_and_b64 s[8:9], s[8:9], exec
	s_or_b64 s[4:5], s[4:5], s[8:9]
	s_or_b64 exec, exec, s[6:7]
	s_and_saveexec_b64 s[6:7], s[4:5]
	s_cbranch_execnz .LBB9_1451
	s_branch .LBB9_1452
.LBB9_3501:
	s_movk_i32 s4, 0x80
	v_cmp_eq_u16_sdwa s[12:13], v6, s4 src0_sel:BYTE_0 src1_sel:DWORD
	s_mov_b64 s[4:5], -1
                                        ; implicit-def: $sgpr10
	s_and_saveexec_b64 s[8:9], s[12:13]
; %bb.3502:
	s_mov_b32 s10, 0x7f800001
	s_xor_b64 s[4:5], exec, -1
; %bb.3503:
	s_or_b64 exec, exec, s[8:9]
	s_and_b64 s[4:5], s[4:5], exec
	s_or_saveexec_b64 s[6:7], s[6:7]
	v_mov_b32_e32 v12, s10
	s_xor_b64 exec, exec, s[6:7]
	s_cbranch_execz .LBB9_1454
.LBB9_3504:
	v_mov_b32_e32 v12, 0
	v_cmp_ne_u16_sdwa s[8:9], v6, v12 src0_sel:BYTE_0 src1_sel:DWORD
	s_andn2_b64 s[4:5], s[4:5], exec
	s_and_b64 s[8:9], s[8:9], exec
	s_or_b64 s[4:5], s[4:5], s[8:9]
	s_or_b64 exec, exec, s[6:7]
	s_and_saveexec_b64 s[6:7], s[4:5]
	s_cbranch_execnz .LBB9_1455
	s_branch .LBB9_1456
.LBB9_3505:
	s_movk_i32 s4, 0x80
	v_cmp_eq_u16_e32 vcc, s4, v6
	s_mov_b64 s[4:5], -1
                                        ; implicit-def: $sgpr10
	s_and_saveexec_b64 s[8:9], vcc
; %bb.3506:
	s_mov_b32 s10, 0x7f800001
	s_xor_b64 s[4:5], exec, -1
; %bb.3507:
	s_or_b64 exec, exec, s[8:9]
	s_and_b64 s[4:5], s[4:5], exec
                                        ; implicit-def: $vgpr6
	s_or_saveexec_b64 s[6:7], s[6:7]
	v_mov_b32_e32 v2, s10
	s_xor_b64 exec, exec, s[6:7]
	s_cbranch_execz .LBB9_1458
.LBB9_3508:
	v_cmp_ne_u16_e32 vcc, 0, v6
	s_andn2_b64 s[4:5], s[4:5], exec
	s_and_b64 s[8:9], vcc, exec
	v_mov_b32_e32 v2, 0
	s_or_b64 s[4:5], s[4:5], s[8:9]
	s_or_b64 exec, exec, s[6:7]
	s_and_saveexec_b64 s[6:7], s[4:5]
	s_cbranch_execnz .LBB9_1459
	s_branch .LBB9_1460
.LBB9_3509:
	s_movk_i32 s4, 0x80
	v_cmp_eq_u16_e32 vcc, s4, v6
	s_mov_b64 s[4:5], -1
                                        ; implicit-def: $sgpr10
	s_and_saveexec_b64 s[8:9], vcc
; %bb.3510:
	s_mov_b32 s10, 0x7f800001
	s_xor_b64 s[4:5], exec, -1
; %bb.3511:
	s_or_b64 exec, exec, s[8:9]
	s_and_b64 s[4:5], s[4:5], exec
                                        ; implicit-def: $vgpr6
	s_or_saveexec_b64 s[6:7], s[6:7]
	v_mov_b32_e32 v12, s10
	s_xor_b64 exec, exec, s[6:7]
	s_cbranch_execz .LBB9_1462
.LBB9_3512:
	v_cmp_ne_u16_e32 vcc, 0, v6
	s_andn2_b64 s[4:5], s[4:5], exec
	s_and_b64 s[8:9], vcc, exec
	v_mov_b32_e32 v12, 0
	s_or_b64 s[4:5], s[4:5], s[8:9]
	s_or_b64 exec, exec, s[6:7]
	s_and_saveexec_b64 s[6:7], s[4:5]
	s_cbranch_execnz .LBB9_1463
	s_branch .LBB9_1464
.LBB9_3513:
	s_movk_i32 s4, 0x80
	v_cmp_eq_u16_sdwa s[12:13], v7, s4 src0_sel:BYTE_3 src1_sel:DWORD
	s_mov_b64 s[4:5], -1
                                        ; implicit-def: $sgpr10
	s_and_saveexec_b64 s[8:9], s[12:13]
; %bb.3514:
	s_mov_b32 s10, 0x7f800001
	s_xor_b64 s[4:5], exec, -1
; %bb.3515:
	s_or_b64 exec, exec, s[8:9]
	s_and_b64 s[4:5], s[4:5], exec
	s_or_saveexec_b64 s[6:7], s[6:7]
	v_mov_b32_e32 v2, s10
	s_xor_b64 exec, exec, s[6:7]
	s_cbranch_execz .LBB9_1466
.LBB9_3516:
	v_mov_b32_e32 v2, 0
	v_cmp_ne_u16_sdwa s[8:9], v7, v2 src0_sel:BYTE_3 src1_sel:DWORD
	s_andn2_b64 s[4:5], s[4:5], exec
	s_and_b64 s[8:9], s[8:9], exec
	s_or_b64 s[4:5], s[4:5], s[8:9]
	s_or_b64 exec, exec, s[6:7]
	s_and_saveexec_b64 s[6:7], s[4:5]
	s_cbranch_execnz .LBB9_1467
	s_branch .LBB9_1468
.LBB9_3517:
	s_movk_i32 s4, 0x80
	v_cmp_eq_u16_sdwa s[12:13], v3, s4 src0_sel:BYTE_3 src1_sel:DWORD
	s_mov_b64 s[4:5], -1
                                        ; implicit-def: $sgpr10
	s_and_saveexec_b64 s[8:9], s[12:13]
; %bb.3518:
	s_mov_b32 s10, 0x7f800001
	s_xor_b64 s[4:5], exec, -1
; %bb.3519:
	s_or_b64 exec, exec, s[8:9]
	s_and_b64 s[4:5], s[4:5], exec
	s_or_saveexec_b64 s[6:7], s[6:7]
	v_mov_b32_e32 v6, s10
	s_xor_b64 exec, exec, s[6:7]
	s_cbranch_execz .LBB9_1470
.LBB9_3520:
	v_mov_b32_e32 v6, 0
	v_cmp_ne_u16_sdwa s[8:9], v3, v6 src0_sel:BYTE_3 src1_sel:DWORD
	s_andn2_b64 s[4:5], s[4:5], exec
	s_and_b64 s[8:9], s[8:9], exec
	s_or_b64 s[4:5], s[4:5], s[8:9]
	s_or_b64 exec, exec, s[6:7]
	s_and_saveexec_b64 s[6:7], s[4:5]
	s_cbranch_execnz .LBB9_1471
	s_branch .LBB9_1472
.LBB9_3521:
	s_movk_i32 s4, 0x80
	v_cmp_eq_u16_sdwa s[12:13], v8, s4 src0_sel:BYTE_0 src1_sel:DWORD
	s_mov_b64 s[4:5], -1
                                        ; implicit-def: $sgpr10
	s_and_saveexec_b64 s[8:9], s[12:13]
; %bb.3522:
	s_mov_b32 s10, 0x7f800001
	s_xor_b64 s[4:5], exec, -1
; %bb.3523:
	s_or_b64 exec, exec, s[8:9]
	s_and_b64 s[4:5], s[4:5], exec
	s_or_saveexec_b64 s[6:7], s[6:7]
	v_mov_b32_e32 v2, s10
	s_xor_b64 exec, exec, s[6:7]
	s_cbranch_execz .LBB9_1474
.LBB9_3524:
	v_mov_b32_e32 v2, 0
	v_cmp_ne_u16_sdwa s[8:9], v8, v2 src0_sel:BYTE_0 src1_sel:DWORD
	s_andn2_b64 s[4:5], s[4:5], exec
	s_and_b64 s[8:9], s[8:9], exec
	s_or_b64 s[4:5], s[4:5], s[8:9]
	s_or_b64 exec, exec, s[6:7]
	s_and_saveexec_b64 s[6:7], s[4:5]
	s_cbranch_execnz .LBB9_1475
	s_branch .LBB9_1476
.LBB9_3525:
	s_movk_i32 s4, 0x80
	v_cmp_eq_u16_sdwa s[12:13], v4, s4 src0_sel:BYTE_0 src1_sel:DWORD
	s_mov_b64 s[4:5], -1
                                        ; implicit-def: $sgpr10
	s_and_saveexec_b64 s[8:9], s[12:13]
; %bb.3526:
	s_mov_b32 s10, 0x7f800001
	s_xor_b64 s[4:5], exec, -1
; %bb.3527:
	s_or_b64 exec, exec, s[8:9]
	s_and_b64 s[4:5], s[4:5], exec
	s_or_saveexec_b64 s[6:7], s[6:7]
	v_mov_b32_e32 v3, s10
	s_xor_b64 exec, exec, s[6:7]
	s_cbranch_execz .LBB9_1478
.LBB9_3528:
	v_mov_b32_e32 v3, 0
	v_cmp_ne_u16_sdwa s[8:9], v4, v3 src0_sel:BYTE_0 src1_sel:DWORD
	s_andn2_b64 s[4:5], s[4:5], exec
	s_and_b64 s[8:9], s[8:9], exec
	s_or_b64 s[4:5], s[4:5], s[8:9]
	s_or_b64 exec, exec, s[6:7]
	s_and_saveexec_b64 s[6:7], s[4:5]
	s_cbranch_execnz .LBB9_1479
	s_branch .LBB9_1480
.LBB9_3529:
	s_movk_i32 s4, 0x80
	v_cmp_eq_u16_sdwa s[12:13], v3, s4 src0_sel:BYTE_0 src1_sel:DWORD
	s_mov_b64 s[4:5], -1
                                        ; implicit-def: $sgpr10
	s_and_saveexec_b64 s[8:9], s[12:13]
; %bb.3530:
	s_mov_b32 s10, 0x7f800001
	s_xor_b64 s[4:5], exec, -1
; %bb.3531:
	s_or_b64 exec, exec, s[8:9]
	s_and_b64 s[4:5], s[4:5], exec
	s_or_saveexec_b64 s[6:7], s[6:7]
	v_mov_b32_e32 v2, s10
	s_xor_b64 exec, exec, s[6:7]
	s_cbranch_execz .LBB9_1482
.LBB9_3532:
	v_mov_b32_e32 v2, 0
	v_cmp_ne_u16_sdwa s[8:9], v3, v2 src0_sel:BYTE_0 src1_sel:DWORD
	s_andn2_b64 s[4:5], s[4:5], exec
	s_and_b64 s[8:9], s[8:9], exec
	s_or_b64 s[4:5], s[4:5], s[8:9]
	s_or_b64 exec, exec, s[6:7]
	s_and_saveexec_b64 s[6:7], s[4:5]
	s_cbranch_execnz .LBB9_1483
	s_branch .LBB9_1484
.LBB9_3533:
	s_movk_i32 s4, 0x80
	v_cmp_eq_u16_sdwa s[12:13], v3, s4 src0_sel:BYTE_0 src1_sel:DWORD
	s_mov_b64 s[4:5], -1
                                        ; implicit-def: $sgpr10
	s_and_saveexec_b64 s[8:9], s[12:13]
; %bb.3534:
	s_mov_b32 s10, 0x7f800001
	s_xor_b64 s[4:5], exec, -1
; %bb.3535:
	s_or_b64 exec, exec, s[8:9]
	s_and_b64 s[4:5], s[4:5], exec
	s_or_saveexec_b64 s[6:7], s[6:7]
	v_mov_b32_e32 v6, s10
	s_xor_b64 exec, exec, s[6:7]
	s_cbranch_execz .LBB9_1486
.LBB9_3536:
	v_mov_b32_e32 v6, 0
	v_cmp_ne_u16_sdwa s[8:9], v3, v6 src0_sel:BYTE_0 src1_sel:DWORD
	s_andn2_b64 s[4:5], s[4:5], exec
	s_and_b64 s[8:9], s[8:9], exec
	s_or_b64 s[4:5], s[4:5], s[8:9]
	s_or_b64 exec, exec, s[6:7]
	s_and_saveexec_b64 s[6:7], s[4:5]
	s_cbranch_execnz .LBB9_1487
	s_branch .LBB9_1488
.LBB9_3537:
	s_movk_i32 s4, 0x80
	v_cmp_eq_u16_e32 vcc, s4, v3
	s_mov_b64 s[4:5], -1
                                        ; implicit-def: $sgpr10
	s_and_saveexec_b64 s[8:9], vcc
; %bb.3538:
	s_mov_b32 s10, 0x7f800001
	s_xor_b64 s[4:5], exec, -1
; %bb.3539:
	s_or_b64 exec, exec, s[8:9]
	s_and_b64 s[4:5], s[4:5], exec
                                        ; implicit-def: $vgpr3
	s_or_saveexec_b64 s[6:7], s[6:7]
	v_mov_b32_e32 v2, s10
	s_xor_b64 exec, exec, s[6:7]
	s_cbranch_execz .LBB9_1490
.LBB9_3540:
	v_cmp_ne_u16_e32 vcc, 0, v3
	s_andn2_b64 s[4:5], s[4:5], exec
	s_and_b64 s[8:9], vcc, exec
	v_mov_b32_e32 v2, 0
	s_or_b64 s[4:5], s[4:5], s[8:9]
	s_or_b64 exec, exec, s[6:7]
	s_and_saveexec_b64 s[6:7], s[4:5]
	s_cbranch_execnz .LBB9_1491
	s_branch .LBB9_1492
.LBB9_3541:
	s_movk_i32 s4, 0x80
	v_cmp_eq_u16_e32 vcc, s4, v3
	s_mov_b64 s[4:5], -1
                                        ; implicit-def: $sgpr10
	s_and_saveexec_b64 s[8:9], vcc
; %bb.3542:
	s_mov_b32 s10, 0x7f800001
	s_xor_b64 s[4:5], exec, -1
; %bb.3543:
	s_or_b64 exec, exec, s[8:9]
	s_and_b64 s[4:5], s[4:5], exec
                                        ; implicit-def: $vgpr3
	s_or_saveexec_b64 s[6:7], s[6:7]
	v_mov_b32_e32 v6, s10
	s_xor_b64 exec, exec, s[6:7]
	s_cbranch_execz .LBB9_1494
.LBB9_3544:
	v_cmp_ne_u16_e32 vcc, 0, v3
	s_andn2_b64 s[4:5], s[4:5], exec
	s_and_b64 s[8:9], vcc, exec
	v_mov_b32_e32 v6, 0
	s_or_b64 s[4:5], s[4:5], s[8:9]
	s_or_b64 exec, exec, s[6:7]
	s_and_saveexec_b64 s[6:7], s[4:5]
	s_cbranch_execnz .LBB9_1495
	s_branch .LBB9_1496
.LBB9_3545:
	s_movk_i32 s4, 0x80
	v_cmp_eq_u16_sdwa s[12:13], v8, s4 src0_sel:BYTE_3 src1_sel:DWORD
	s_mov_b64 s[4:5], -1
                                        ; implicit-def: $sgpr10
	s_and_saveexec_b64 s[8:9], s[12:13]
; %bb.3546:
	s_mov_b32 s10, 0x7f800001
	s_xor_b64 s[4:5], exec, -1
; %bb.3547:
	s_or_b64 exec, exec, s[8:9]
	s_and_b64 s[4:5], s[4:5], exec
	s_or_saveexec_b64 s[6:7], s[6:7]
	v_mov_b32_e32 v2, s10
	s_xor_b64 exec, exec, s[6:7]
	s_cbranch_execz .LBB9_1498
.LBB9_3548:
	v_mov_b32_e32 v2, 0
	v_cmp_ne_u16_sdwa s[8:9], v8, v2 src0_sel:BYTE_3 src1_sel:DWORD
	s_andn2_b64 s[4:5], s[4:5], exec
	s_and_b64 s[8:9], s[8:9], exec
	s_or_b64 s[4:5], s[4:5], s[8:9]
	s_or_b64 exec, exec, s[6:7]
	s_and_saveexec_b64 s[6:7], s[4:5]
	s_cbranch_execnz .LBB9_1499
	s_branch .LBB9_1500
.LBB9_3549:
	s_movk_i32 s4, 0x80
	v_cmp_eq_u16_sdwa s[12:13], v4, s4 src0_sel:BYTE_3 src1_sel:DWORD
	s_mov_b64 s[4:5], -1
                                        ; implicit-def: $sgpr10
	s_and_saveexec_b64 s[8:9], s[12:13]
; %bb.3550:
	s_mov_b32 s10, 0x7f800001
	s_xor_b64 s[4:5], exec, -1
; %bb.3551:
	s_or_b64 exec, exec, s[8:9]
	s_and_b64 s[4:5], s[4:5], exec
	s_or_saveexec_b64 s[6:7], s[6:7]
	v_mov_b32_e32 v3, s10
	s_xor_b64 exec, exec, s[6:7]
	s_cbranch_execz .LBB9_1502
.LBB9_3552:
	v_mov_b32_e32 v3, 0
	v_cmp_ne_u16_sdwa s[8:9], v4, v3 src0_sel:BYTE_3 src1_sel:DWORD
	s_andn2_b64 s[4:5], s[4:5], exec
	s_and_b64 s[8:9], s[8:9], exec
	s_or_b64 s[4:5], s[4:5], s[8:9]
	s_or_b64 exec, exec, s[6:7]
	s_and_saveexec_b64 s[6:7], s[4:5]
	s_cbranch_execnz .LBB9_1503
	s_branch .LBB9_1504
.LBB9_3553:
	s_movk_i32 s4, 0x80
	v_cmp_eq_u16_sdwa s[12:13], v9, s4 src0_sel:BYTE_0 src1_sel:DWORD
	s_mov_b64 s[4:5], -1
                                        ; implicit-def: $sgpr10
	s_and_saveexec_b64 s[8:9], s[12:13]
; %bb.3554:
	s_mov_b32 s10, 0x7f800001
	s_xor_b64 s[4:5], exec, -1
; %bb.3555:
	s_or_b64 exec, exec, s[8:9]
	s_and_b64 s[4:5], s[4:5], exec
	s_or_saveexec_b64 s[6:7], s[6:7]
	v_mov_b32_e32 v2, s10
	s_xor_b64 exec, exec, s[6:7]
	s_cbranch_execz .LBB9_1506
.LBB9_3556:
	v_mov_b32_e32 v2, 0
	v_cmp_ne_u16_sdwa s[8:9], v9, v2 src0_sel:BYTE_0 src1_sel:DWORD
	s_andn2_b64 s[4:5], s[4:5], exec
	s_and_b64 s[8:9], s[8:9], exec
	s_or_b64 s[4:5], s[4:5], s[8:9]
	s_or_b64 exec, exec, s[6:7]
	s_and_saveexec_b64 s[6:7], s[4:5]
	s_cbranch_execnz .LBB9_1507
	s_branch .LBB9_1508
.LBB9_3557:
	s_movk_i32 s4, 0x80
	v_cmp_eq_u16_sdwa s[12:13], v5, s4 src0_sel:BYTE_0 src1_sel:DWORD
	s_mov_b64 s[4:5], -1
                                        ; implicit-def: $sgpr10
	s_and_saveexec_b64 s[8:9], s[12:13]
; %bb.3558:
	s_mov_b32 s10, 0x7f800001
	s_xor_b64 s[4:5], exec, -1
; %bb.3559:
	s_or_b64 exec, exec, s[8:9]
	s_and_b64 s[4:5], s[4:5], exec
	s_or_saveexec_b64 s[6:7], s[6:7]
	v_mov_b32_e32 v3, s10
	s_xor_b64 exec, exec, s[6:7]
	s_cbranch_execz .LBB9_1510
.LBB9_3560:
	v_mov_b32_e32 v3, 0
	v_cmp_ne_u16_sdwa s[8:9], v5, v3 src0_sel:BYTE_0 src1_sel:DWORD
	s_andn2_b64 s[4:5], s[4:5], exec
	s_and_b64 s[8:9], s[8:9], exec
	s_or_b64 s[4:5], s[4:5], s[8:9]
	s_or_b64 exec, exec, s[6:7]
	s_and_saveexec_b64 s[6:7], s[4:5]
	s_cbranch_execnz .LBB9_1511
	s_branch .LBB9_1512
.LBB9_3561:
	s_movk_i32 s4, 0x80
	v_cmp_eq_u16_sdwa s[12:13], v3, s4 src0_sel:BYTE_0 src1_sel:DWORD
	s_mov_b64 s[4:5], -1
                                        ; implicit-def: $sgpr10
	s_and_saveexec_b64 s[8:9], s[12:13]
; %bb.3562:
	s_mov_b32 s10, 0x7f800001
	s_xor_b64 s[4:5], exec, -1
; %bb.3563:
	s_or_b64 exec, exec, s[8:9]
	s_and_b64 s[4:5], s[4:5], exec
	s_or_saveexec_b64 s[6:7], s[6:7]
	v_mov_b32_e32 v2, s10
	s_xor_b64 exec, exec, s[6:7]
	s_cbranch_execz .LBB9_1514
.LBB9_3564:
	v_mov_b32_e32 v2, 0
	v_cmp_ne_u16_sdwa s[8:9], v3, v2 src0_sel:BYTE_0 src1_sel:DWORD
	s_andn2_b64 s[4:5], s[4:5], exec
	s_and_b64 s[8:9], s[8:9], exec
	s_or_b64 s[4:5], s[4:5], s[8:9]
	s_or_b64 exec, exec, s[6:7]
	s_and_saveexec_b64 s[6:7], s[4:5]
	s_cbranch_execnz .LBB9_1515
	s_branch .LBB9_1516
.LBB9_3565:
	s_movk_i32 s4, 0x80
	v_cmp_eq_u16_sdwa s[12:13], v3, s4 src0_sel:BYTE_0 src1_sel:DWORD
	s_mov_b64 s[4:5], -1
                                        ; implicit-def: $sgpr10
	s_and_saveexec_b64 s[8:9], s[12:13]
; %bb.3566:
	s_mov_b32 s10, 0x7f800001
	s_xor_b64 s[4:5], exec, -1
; %bb.3567:
	s_or_b64 exec, exec, s[8:9]
	s_and_b64 s[4:5], s[4:5], exec
	s_or_saveexec_b64 s[6:7], s[6:7]
	v_mov_b32_e32 v4, s10
	s_xor_b64 exec, exec, s[6:7]
	s_cbranch_execz .LBB9_1518
.LBB9_3568:
	v_mov_b32_e32 v4, 0
	v_cmp_ne_u16_sdwa s[8:9], v3, v4 src0_sel:BYTE_0 src1_sel:DWORD
	s_andn2_b64 s[4:5], s[4:5], exec
	s_and_b64 s[8:9], s[8:9], exec
	s_or_b64 s[4:5], s[4:5], s[8:9]
	s_or_b64 exec, exec, s[6:7]
	s_and_saveexec_b64 s[6:7], s[4:5]
	s_cbranch_execnz .LBB9_1519
	s_branch .LBB9_1520
.LBB9_3569:
	s_movk_i32 s4, 0x80
	v_cmp_eq_u16_e32 vcc, s4, v3
	s_mov_b64 s[4:5], -1
                                        ; implicit-def: $sgpr10
	s_and_saveexec_b64 s[8:9], vcc
; %bb.3570:
	s_mov_b32 s10, 0x7f800001
	s_xor_b64 s[4:5], exec, -1
; %bb.3571:
	s_or_b64 exec, exec, s[8:9]
	s_and_b64 s[4:5], s[4:5], exec
                                        ; implicit-def: $vgpr3
	s_or_saveexec_b64 s[6:7], s[6:7]
	v_mov_b32_e32 v2, s10
	s_xor_b64 exec, exec, s[6:7]
	s_cbranch_execz .LBB9_1522
.LBB9_3572:
	v_cmp_ne_u16_e32 vcc, 0, v3
	s_andn2_b64 s[4:5], s[4:5], exec
	s_and_b64 s[8:9], vcc, exec
	v_mov_b32_e32 v2, 0
	s_or_b64 s[4:5], s[4:5], s[8:9]
	s_or_b64 exec, exec, s[6:7]
	s_and_saveexec_b64 s[6:7], s[4:5]
	s_cbranch_execnz .LBB9_1523
	s_branch .LBB9_1524
.LBB9_3573:
	s_movk_i32 s4, 0x80
	v_cmp_eq_u16_e32 vcc, s4, v3
	s_mov_b64 s[4:5], -1
                                        ; implicit-def: $sgpr10
	s_and_saveexec_b64 s[8:9], vcc
; %bb.3574:
	s_mov_b32 s10, 0x7f800001
	s_xor_b64 s[4:5], exec, -1
; %bb.3575:
	s_or_b64 exec, exec, s[8:9]
	s_and_b64 s[4:5], s[4:5], exec
                                        ; implicit-def: $vgpr3
	s_or_saveexec_b64 s[6:7], s[6:7]
	v_mov_b32_e32 v4, s10
	s_xor_b64 exec, exec, s[6:7]
	s_cbranch_execz .LBB9_1526
.LBB9_3576:
	v_cmp_ne_u16_e32 vcc, 0, v3
	s_andn2_b64 s[4:5], s[4:5], exec
	s_and_b64 s[8:9], vcc, exec
	v_mov_b32_e32 v4, 0
	s_or_b64 s[4:5], s[4:5], s[8:9]
	s_or_b64 exec, exec, s[6:7]
	s_and_saveexec_b64 s[6:7], s[4:5]
	s_cbranch_execnz .LBB9_1527
	s_branch .LBB9_1528
.LBB9_3577:
	s_movk_i32 s4, 0x80
	v_cmp_eq_u16_sdwa s[12:13], v9, s4 src0_sel:BYTE_3 src1_sel:DWORD
	s_mov_b64 s[4:5], -1
                                        ; implicit-def: $sgpr10
	s_and_saveexec_b64 s[8:9], s[12:13]
; %bb.3578:
	s_mov_b32 s10, 0x7f800001
	s_xor_b64 s[4:5], exec, -1
; %bb.3579:
	s_or_b64 exec, exec, s[8:9]
	s_and_b64 s[4:5], s[4:5], exec
	s_or_saveexec_b64 s[6:7], s[6:7]
	v_mov_b32_e32 v2, s10
	s_xor_b64 exec, exec, s[6:7]
	s_cbranch_execz .LBB9_1530
.LBB9_3580:
	v_mov_b32_e32 v2, 0
	v_cmp_ne_u16_sdwa s[8:9], v9, v2 src0_sel:BYTE_3 src1_sel:DWORD
	s_andn2_b64 s[4:5], s[4:5], exec
	s_and_b64 s[8:9], s[8:9], exec
	s_or_b64 s[4:5], s[4:5], s[8:9]
	s_or_b64 exec, exec, s[6:7]
	s_and_saveexec_b64 s[6:7], s[4:5]
	s_cbranch_execnz .LBB9_1531
	s_branch .LBB9_1532
.LBB9_3581:
	s_movk_i32 s4, 0x80
	v_cmp_eq_u16_sdwa s[12:13], v5, s4 src0_sel:BYTE_3 src1_sel:DWORD
	s_mov_b64 s[4:5], -1
                                        ; implicit-def: $sgpr10
	s_and_saveexec_b64 s[8:9], s[12:13]
; %bb.3582:
	s_mov_b32 s10, 0x7f800001
	s_xor_b64 s[4:5], exec, -1
; %bb.3583:
	s_or_b64 exec, exec, s[8:9]
	s_and_b64 s[4:5], s[4:5], exec
	s_or_saveexec_b64 s[6:7], s[6:7]
	v_mov_b32_e32 v3, s10
	s_xor_b64 exec, exec, s[6:7]
	s_cbranch_execz .LBB9_1534
.LBB9_3584:
	v_mov_b32_e32 v3, 0
	v_cmp_ne_u16_sdwa s[8:9], v5, v3 src0_sel:BYTE_3 src1_sel:DWORD
	s_andn2_b64 s[4:5], s[4:5], exec
	s_and_b64 s[8:9], s[8:9], exec
	s_or_b64 s[4:5], s[4:5], s[8:9]
	s_or_b64 exec, exec, s[6:7]
	s_and_saveexec_b64 s[6:7], s[4:5]
	s_cbranch_execnz .LBB9_1535
	s_branch .LBB9_1536
.LBB9_3585:
	s_movk_i32 s4, 0x80
	v_cmp_eq_u16_sdwa s[12:13], v6, s4 src0_sel:BYTE_0 src1_sel:DWORD
	s_mov_b64 s[4:5], -1
                                        ; implicit-def: $sgpr10
	s_and_saveexec_b64 s[8:9], s[12:13]
; %bb.3586:
	s_mov_b32 s10, 0x7f800001
	s_xor_b64 s[4:5], exec, -1
; %bb.3587:
	s_or_b64 exec, exec, s[8:9]
	s_and_b64 s[4:5], s[4:5], exec
	s_or_saveexec_b64 s[6:7], s[6:7]
	v_mov_b32_e32 v12, s10
	s_xor_b64 exec, exec, s[6:7]
	s_cbranch_execz .LBB9_1538
.LBB9_3588:
	v_mov_b32_e32 v12, 0
	v_cmp_ne_u16_sdwa s[8:9], v6, v12 src0_sel:BYTE_0 src1_sel:DWORD
	s_andn2_b64 s[4:5], s[4:5], exec
	s_and_b64 s[8:9], s[8:9], exec
	s_or_b64 s[4:5], s[4:5], s[8:9]
	s_or_b64 exec, exec, s[6:7]
	s_and_saveexec_b64 s[6:7], s[4:5]
	s_cbranch_execnz .LBB9_1539
	s_branch .LBB9_1540
.LBB9_3589:
	s_movk_i32 s4, 0x80
	v_cmp_eq_u16_sdwa s[12:13], v2, s4 src0_sel:BYTE_0 src1_sel:DWORD
	s_mov_b64 s[4:5], -1
                                        ; implicit-def: $sgpr10
	s_and_saveexec_b64 s[8:9], s[12:13]
; %bb.3590:
	s_mov_b32 s10, 0x7f800001
	s_xor_b64 s[4:5], exec, -1
; %bb.3591:
	s_or_b64 exec, exec, s[8:9]
	s_and_b64 s[4:5], s[4:5], exec
	s_or_saveexec_b64 s[6:7], s[6:7]
	v_mov_b32_e32 v13, s10
	s_xor_b64 exec, exec, s[6:7]
	s_cbranch_execz .LBB9_1542
.LBB9_3592:
	v_mov_b32_e32 v13, 0
	v_cmp_ne_u16_sdwa s[8:9], v2, v13 src0_sel:BYTE_0 src1_sel:DWORD
	s_andn2_b64 s[4:5], s[4:5], exec
	s_and_b64 s[8:9], s[8:9], exec
	s_or_b64 s[4:5], s[4:5], s[8:9]
	s_or_b64 exec, exec, s[6:7]
	s_and_saveexec_b64 s[6:7], s[4:5]
	s_cbranch_execnz .LBB9_1543
	s_branch .LBB9_1544
.LBB9_3593:
	s_movk_i32 s4, 0x80
	v_cmp_eq_u16_sdwa s[12:13], v13, s4 src0_sel:BYTE_0 src1_sel:DWORD
	s_mov_b64 s[4:5], -1
                                        ; implicit-def: $sgpr10
	s_and_saveexec_b64 s[8:9], s[12:13]
; %bb.3594:
	s_mov_b32 s10, 0x7f800001
	s_xor_b64 s[4:5], exec, -1
; %bb.3595:
	s_or_b64 exec, exec, s[8:9]
	s_and_b64 s[4:5], s[4:5], exec
	s_or_saveexec_b64 s[6:7], s[6:7]
	v_mov_b32_e32 v12, s10
	s_xor_b64 exec, exec, s[6:7]
	s_cbranch_execz .LBB9_1546
.LBB9_3596:
	v_mov_b32_e32 v12, 0
	v_cmp_ne_u16_sdwa s[8:9], v13, v12 src0_sel:BYTE_0 src1_sel:DWORD
	s_andn2_b64 s[4:5], s[4:5], exec
	s_and_b64 s[8:9], s[8:9], exec
	s_or_b64 s[4:5], s[4:5], s[8:9]
	s_or_b64 exec, exec, s[6:7]
	s_and_saveexec_b64 s[6:7], s[4:5]
	s_cbranch_execnz .LBB9_1547
	s_branch .LBB9_1548
.LBB9_3597:
	s_movk_i32 s4, 0x80
	v_cmp_eq_u16_sdwa s[12:13], v13, s4 src0_sel:BYTE_0 src1_sel:DWORD
	s_mov_b64 s[4:5], -1
                                        ; implicit-def: $sgpr10
	s_and_saveexec_b64 s[8:9], s[12:13]
; %bb.3598:
	s_mov_b32 s10, 0x7f800001
	s_xor_b64 s[4:5], exec, -1
; %bb.3599:
	s_or_b64 exec, exec, s[8:9]
	s_and_b64 s[4:5], s[4:5], exec
	s_or_saveexec_b64 s[6:7], s[6:7]
	v_mov_b32_e32 v14, s10
	s_xor_b64 exec, exec, s[6:7]
	s_cbranch_execz .LBB9_1550
.LBB9_3600:
	v_mov_b32_e32 v14, 0
	v_cmp_ne_u16_sdwa s[8:9], v13, v14 src0_sel:BYTE_0 src1_sel:DWORD
	s_andn2_b64 s[4:5], s[4:5], exec
	s_and_b64 s[8:9], s[8:9], exec
	s_or_b64 s[4:5], s[4:5], s[8:9]
	s_or_b64 exec, exec, s[6:7]
	s_and_saveexec_b64 s[6:7], s[4:5]
	s_cbranch_execnz .LBB9_1551
	s_branch .LBB9_1552
.LBB9_3601:
	s_movk_i32 s4, 0x80
	v_cmp_eq_u16_e32 vcc, s4, v13
	s_mov_b64 s[4:5], -1
                                        ; implicit-def: $sgpr10
	s_and_saveexec_b64 s[8:9], vcc
; %bb.3602:
	s_mov_b32 s10, 0x7f800001
	s_xor_b64 s[4:5], exec, -1
; %bb.3603:
	s_or_b64 exec, exec, s[8:9]
	s_and_b64 s[4:5], s[4:5], exec
                                        ; implicit-def: $vgpr13
	s_or_saveexec_b64 s[6:7], s[6:7]
	v_mov_b32_e32 v12, s10
	s_xor_b64 exec, exec, s[6:7]
	s_cbranch_execz .LBB9_1554
.LBB9_3604:
	v_cmp_ne_u16_e32 vcc, 0, v13
	s_andn2_b64 s[4:5], s[4:5], exec
	s_and_b64 s[8:9], vcc, exec
	v_mov_b32_e32 v12, 0
	s_or_b64 s[4:5], s[4:5], s[8:9]
	s_or_b64 exec, exec, s[6:7]
	s_and_saveexec_b64 s[6:7], s[4:5]
	s_cbranch_execnz .LBB9_1555
	s_branch .LBB9_1556
.LBB9_3605:
	s_movk_i32 s4, 0x80
	v_cmp_eq_u16_e32 vcc, s4, v13
	s_mov_b64 s[4:5], -1
                                        ; implicit-def: $sgpr10
	s_and_saveexec_b64 s[8:9], vcc
; %bb.3606:
	s_mov_b32 s10, 0x7f800001
	s_xor_b64 s[4:5], exec, -1
; %bb.3607:
	s_or_b64 exec, exec, s[8:9]
	s_and_b64 s[4:5], s[4:5], exec
                                        ; implicit-def: $vgpr13
	s_or_saveexec_b64 s[6:7], s[6:7]
	v_mov_b32_e32 v14, s10
	s_xor_b64 exec, exec, s[6:7]
	s_cbranch_execz .LBB9_1558
.LBB9_3608:
	v_cmp_ne_u16_e32 vcc, 0, v13
	s_andn2_b64 s[4:5], s[4:5], exec
	s_and_b64 s[8:9], vcc, exec
	v_mov_b32_e32 v14, 0
	s_or_b64 s[4:5], s[4:5], s[8:9]
	s_or_b64 exec, exec, s[6:7]
	s_and_saveexec_b64 s[6:7], s[4:5]
	s_cbranch_execnz .LBB9_1559
	s_branch .LBB9_1560
.LBB9_3609:
	s_movk_i32 s4, 0x80
	v_cmp_eq_u16_sdwa s[12:13], v6, s4 src0_sel:BYTE_3 src1_sel:DWORD
	s_mov_b64 s[4:5], -1
                                        ; implicit-def: $sgpr10
	s_and_saveexec_b64 s[8:9], s[12:13]
; %bb.3610:
	s_mov_b32 s10, 0x7f800001
	s_xor_b64 s[4:5], exec, -1
; %bb.3611:
	s_or_b64 exec, exec, s[8:9]
	s_and_b64 s[4:5], s[4:5], exec
	s_or_saveexec_b64 s[6:7], s[6:7]
	v_mov_b32_e32 v12, s10
	s_xor_b64 exec, exec, s[6:7]
	s_cbranch_execz .LBB9_1562
.LBB9_3612:
	v_mov_b32_e32 v12, 0
	v_cmp_ne_u16_sdwa s[8:9], v6, v12 src0_sel:BYTE_3 src1_sel:DWORD
	s_andn2_b64 s[4:5], s[4:5], exec
	s_and_b64 s[8:9], s[8:9], exec
	s_or_b64 s[4:5], s[4:5], s[8:9]
	s_or_b64 exec, exec, s[6:7]
	s_and_saveexec_b64 s[6:7], s[4:5]
	s_cbranch_execnz .LBB9_1563
	s_branch .LBB9_1564
.LBB9_3613:
	s_movk_i32 s4, 0x80
	v_cmp_eq_u16_sdwa s[12:13], v2, s4 src0_sel:BYTE_3 src1_sel:DWORD
	s_mov_b64 s[4:5], -1
                                        ; implicit-def: $sgpr10
	s_and_saveexec_b64 s[8:9], s[12:13]
; %bb.3614:
	s_mov_b32 s10, 0x7f800001
	s_xor_b64 s[4:5], exec, -1
; %bb.3615:
	s_or_b64 exec, exec, s[8:9]
	s_and_b64 s[4:5], s[4:5], exec
	s_or_saveexec_b64 s[6:7], s[6:7]
	v_mov_b32_e32 v6, s10
	s_xor_b64 exec, exec, s[6:7]
	s_cbranch_execz .LBB9_1566
.LBB9_3616:
	v_mov_b32_e32 v6, 0
	v_cmp_ne_u16_sdwa s[8:9], v2, v6 src0_sel:BYTE_3 src1_sel:DWORD
	s_andn2_b64 s[4:5], s[4:5], exec
	s_and_b64 s[8:9], s[8:9], exec
	s_or_b64 s[4:5], s[4:5], s[8:9]
	s_or_b64 exec, exec, s[6:7]
	s_and_saveexec_b64 s[6:7], s[4:5]
	s_cbranch_execnz .LBB9_1567
	s_branch .LBB9_1568
.LBB9_3617:
	s_movk_i32 s4, 0x80
	v_cmp_eq_u16_sdwa s[12:13], v7, s4 src0_sel:BYTE_0 src1_sel:DWORD
	s_mov_b64 s[4:5], -1
                                        ; implicit-def: $sgpr10
	s_and_saveexec_b64 s[8:9], s[12:13]
; %bb.3618:
	s_mov_b32 s10, 0x7f800001
	s_xor_b64 s[4:5], exec, -1
; %bb.3619:
	s_or_b64 exec, exec, s[8:9]
	s_and_b64 s[4:5], s[4:5], exec
	s_or_saveexec_b64 s[6:7], s[6:7]
	v_mov_b32_e32 v2, s10
	s_xor_b64 exec, exec, s[6:7]
	s_cbranch_execz .LBB9_1570
.LBB9_3620:
	v_mov_b32_e32 v2, 0
	v_cmp_ne_u16_sdwa s[8:9], v7, v2 src0_sel:BYTE_0 src1_sel:DWORD
	s_andn2_b64 s[4:5], s[4:5], exec
	s_and_b64 s[8:9], s[8:9], exec
	s_or_b64 s[4:5], s[4:5], s[8:9]
	s_or_b64 exec, exec, s[6:7]
	s_and_saveexec_b64 s[6:7], s[4:5]
	s_cbranch_execnz .LBB9_1571
	s_branch .LBB9_1572
.LBB9_3621:
	s_movk_i32 s4, 0x80
	v_cmp_eq_u16_sdwa s[12:13], v3, s4 src0_sel:BYTE_0 src1_sel:DWORD
	s_mov_b64 s[4:5], -1
                                        ; implicit-def: $sgpr10
	s_and_saveexec_b64 s[8:9], s[12:13]
; %bb.3622:
	s_mov_b32 s10, 0x7f800001
	s_xor_b64 s[4:5], exec, -1
; %bb.3623:
	s_or_b64 exec, exec, s[8:9]
	s_and_b64 s[4:5], s[4:5], exec
	s_or_saveexec_b64 s[6:7], s[6:7]
	v_mov_b32_e32 v6, s10
	s_xor_b64 exec, exec, s[6:7]
	s_cbranch_execz .LBB9_1574
.LBB9_3624:
	v_mov_b32_e32 v6, 0
	v_cmp_ne_u16_sdwa s[8:9], v3, v6 src0_sel:BYTE_0 src1_sel:DWORD
	s_andn2_b64 s[4:5], s[4:5], exec
	s_and_b64 s[8:9], s[8:9], exec
	s_or_b64 s[4:5], s[4:5], s[8:9]
	s_or_b64 exec, exec, s[6:7]
	s_and_saveexec_b64 s[6:7], s[4:5]
	s_cbranch_execnz .LBB9_1575
	s_branch .LBB9_1576
.LBB9_3625:
	s_movk_i32 s4, 0x80
	v_cmp_eq_u16_sdwa s[12:13], v6, s4 src0_sel:BYTE_0 src1_sel:DWORD
	s_mov_b64 s[4:5], -1
                                        ; implicit-def: $sgpr10
	s_and_saveexec_b64 s[8:9], s[12:13]
; %bb.3626:
	s_mov_b32 s10, 0x7f800001
	s_xor_b64 s[4:5], exec, -1
; %bb.3627:
	s_or_b64 exec, exec, s[8:9]
	s_and_b64 s[4:5], s[4:5], exec
	s_or_saveexec_b64 s[6:7], s[6:7]
	v_mov_b32_e32 v2, s10
	s_xor_b64 exec, exec, s[6:7]
	s_cbranch_execz .LBB9_1578
.LBB9_3628:
	v_mov_b32_e32 v2, 0
	v_cmp_ne_u16_sdwa s[8:9], v6, v2 src0_sel:BYTE_0 src1_sel:DWORD
	s_andn2_b64 s[4:5], s[4:5], exec
	s_and_b64 s[8:9], s[8:9], exec
	s_or_b64 s[4:5], s[4:5], s[8:9]
	s_or_b64 exec, exec, s[6:7]
	s_and_saveexec_b64 s[6:7], s[4:5]
	s_cbranch_execnz .LBB9_1579
	s_branch .LBB9_1580
.LBB9_3629:
	s_movk_i32 s4, 0x80
	v_cmp_eq_u16_sdwa s[12:13], v6, s4 src0_sel:BYTE_0 src1_sel:DWORD
	s_mov_b64 s[4:5], -1
                                        ; implicit-def: $sgpr10
	s_and_saveexec_b64 s[8:9], s[12:13]
; %bb.3630:
	s_mov_b32 s10, 0x7f800001
	s_xor_b64 s[4:5], exec, -1
; %bb.3631:
	s_or_b64 exec, exec, s[8:9]
	s_and_b64 s[4:5], s[4:5], exec
	s_or_saveexec_b64 s[6:7], s[6:7]
	v_mov_b32_e32 v12, s10
	s_xor_b64 exec, exec, s[6:7]
	s_cbranch_execz .LBB9_1582
.LBB9_3632:
	v_mov_b32_e32 v12, 0
	v_cmp_ne_u16_sdwa s[8:9], v6, v12 src0_sel:BYTE_0 src1_sel:DWORD
	s_andn2_b64 s[4:5], s[4:5], exec
	s_and_b64 s[8:9], s[8:9], exec
	s_or_b64 s[4:5], s[4:5], s[8:9]
	s_or_b64 exec, exec, s[6:7]
	s_and_saveexec_b64 s[6:7], s[4:5]
	s_cbranch_execnz .LBB9_1583
	s_branch .LBB9_1584
.LBB9_3633:
	s_movk_i32 s4, 0x80
	v_cmp_eq_u16_e32 vcc, s4, v6
	s_mov_b64 s[4:5], -1
                                        ; implicit-def: $sgpr10
	s_and_saveexec_b64 s[8:9], vcc
; %bb.3634:
	s_mov_b32 s10, 0x7f800001
	s_xor_b64 s[4:5], exec, -1
; %bb.3635:
	s_or_b64 exec, exec, s[8:9]
	s_and_b64 s[4:5], s[4:5], exec
                                        ; implicit-def: $vgpr6
	s_or_saveexec_b64 s[6:7], s[6:7]
	v_mov_b32_e32 v2, s10
	s_xor_b64 exec, exec, s[6:7]
	s_cbranch_execz .LBB9_1586
.LBB9_3636:
	v_cmp_ne_u16_e32 vcc, 0, v6
	s_andn2_b64 s[4:5], s[4:5], exec
	s_and_b64 s[8:9], vcc, exec
	v_mov_b32_e32 v2, 0
	s_or_b64 s[4:5], s[4:5], s[8:9]
	s_or_b64 exec, exec, s[6:7]
	s_and_saveexec_b64 s[6:7], s[4:5]
	s_cbranch_execnz .LBB9_1587
	s_branch .LBB9_1588
.LBB9_3637:
	s_movk_i32 s4, 0x80
	v_cmp_eq_u16_e32 vcc, s4, v6
	s_mov_b64 s[4:5], -1
                                        ; implicit-def: $sgpr10
	s_and_saveexec_b64 s[8:9], vcc
; %bb.3638:
	s_mov_b32 s10, 0x7f800001
	s_xor_b64 s[4:5], exec, -1
; %bb.3639:
	s_or_b64 exec, exec, s[8:9]
	s_and_b64 s[4:5], s[4:5], exec
                                        ; implicit-def: $vgpr6
	s_or_saveexec_b64 s[6:7], s[6:7]
	v_mov_b32_e32 v12, s10
	s_xor_b64 exec, exec, s[6:7]
	s_cbranch_execz .LBB9_1590
.LBB9_3640:
	v_cmp_ne_u16_e32 vcc, 0, v6
	s_andn2_b64 s[4:5], s[4:5], exec
	s_and_b64 s[8:9], vcc, exec
	v_mov_b32_e32 v12, 0
	s_or_b64 s[4:5], s[4:5], s[8:9]
	s_or_b64 exec, exec, s[6:7]
	s_and_saveexec_b64 s[6:7], s[4:5]
	s_cbranch_execnz .LBB9_1591
	s_branch .LBB9_1592
.LBB9_3641:
	s_movk_i32 s4, 0x80
	v_cmp_eq_u16_sdwa s[12:13], v7, s4 src0_sel:BYTE_3 src1_sel:DWORD
	s_mov_b64 s[4:5], -1
                                        ; implicit-def: $sgpr10
	s_and_saveexec_b64 s[8:9], s[12:13]
; %bb.3642:
	s_mov_b32 s10, 0x7f800001
	s_xor_b64 s[4:5], exec, -1
; %bb.3643:
	s_or_b64 exec, exec, s[8:9]
	s_and_b64 s[4:5], s[4:5], exec
	s_or_saveexec_b64 s[6:7], s[6:7]
	v_mov_b32_e32 v2, s10
	s_xor_b64 exec, exec, s[6:7]
	s_cbranch_execz .LBB9_1594
.LBB9_3644:
	v_mov_b32_e32 v2, 0
	v_cmp_ne_u16_sdwa s[8:9], v7, v2 src0_sel:BYTE_3 src1_sel:DWORD
	s_andn2_b64 s[4:5], s[4:5], exec
	s_and_b64 s[8:9], s[8:9], exec
	s_or_b64 s[4:5], s[4:5], s[8:9]
	s_or_b64 exec, exec, s[6:7]
	s_and_saveexec_b64 s[6:7], s[4:5]
	s_cbranch_execnz .LBB9_1595
	s_branch .LBB9_1596
.LBB9_3645:
	s_movk_i32 s4, 0x80
	v_cmp_eq_u16_sdwa s[12:13], v3, s4 src0_sel:BYTE_3 src1_sel:DWORD
	s_mov_b64 s[4:5], -1
                                        ; implicit-def: $sgpr10
	s_and_saveexec_b64 s[8:9], s[12:13]
; %bb.3646:
	s_mov_b32 s10, 0x7f800001
	s_xor_b64 s[4:5], exec, -1
; %bb.3647:
	s_or_b64 exec, exec, s[8:9]
	s_and_b64 s[4:5], s[4:5], exec
	s_or_saveexec_b64 s[6:7], s[6:7]
	v_mov_b32_e32 v6, s10
	s_xor_b64 exec, exec, s[6:7]
	s_cbranch_execz .LBB9_1598
.LBB9_3648:
	v_mov_b32_e32 v6, 0
	v_cmp_ne_u16_sdwa s[8:9], v3, v6 src0_sel:BYTE_3 src1_sel:DWORD
	s_andn2_b64 s[4:5], s[4:5], exec
	s_and_b64 s[8:9], s[8:9], exec
	s_or_b64 s[4:5], s[4:5], s[8:9]
	s_or_b64 exec, exec, s[6:7]
	s_and_saveexec_b64 s[6:7], s[4:5]
	s_cbranch_execnz .LBB9_1599
	s_branch .LBB9_1600
.LBB9_3649:
	s_movk_i32 s4, 0x80
	v_cmp_eq_u16_sdwa s[12:13], v8, s4 src0_sel:BYTE_0 src1_sel:DWORD
	s_mov_b64 s[4:5], -1
                                        ; implicit-def: $sgpr10
	s_and_saveexec_b64 s[8:9], s[12:13]
; %bb.3650:
	s_mov_b32 s10, 0x7f800001
	s_xor_b64 s[4:5], exec, -1
; %bb.3651:
	s_or_b64 exec, exec, s[8:9]
	s_and_b64 s[4:5], s[4:5], exec
	s_or_saveexec_b64 s[6:7], s[6:7]
	v_mov_b32_e32 v2, s10
	s_xor_b64 exec, exec, s[6:7]
	s_cbranch_execz .LBB9_1602
.LBB9_3652:
	v_mov_b32_e32 v2, 0
	v_cmp_ne_u16_sdwa s[8:9], v8, v2 src0_sel:BYTE_0 src1_sel:DWORD
	s_andn2_b64 s[4:5], s[4:5], exec
	s_and_b64 s[8:9], s[8:9], exec
	s_or_b64 s[4:5], s[4:5], s[8:9]
	s_or_b64 exec, exec, s[6:7]
	s_and_saveexec_b64 s[6:7], s[4:5]
	s_cbranch_execnz .LBB9_1603
	s_branch .LBB9_1604
.LBB9_3653:
	s_movk_i32 s4, 0x80
	v_cmp_eq_u16_sdwa s[12:13], v4, s4 src0_sel:BYTE_0 src1_sel:DWORD
	s_mov_b64 s[4:5], -1
                                        ; implicit-def: $sgpr10
	s_and_saveexec_b64 s[8:9], s[12:13]
; %bb.3654:
	s_mov_b32 s10, 0x7f800001
	s_xor_b64 s[4:5], exec, -1
; %bb.3655:
	s_or_b64 exec, exec, s[8:9]
	s_and_b64 s[4:5], s[4:5], exec
	s_or_saveexec_b64 s[6:7], s[6:7]
	v_mov_b32_e32 v3, s10
	s_xor_b64 exec, exec, s[6:7]
	s_cbranch_execz .LBB9_1606
.LBB9_3656:
	v_mov_b32_e32 v3, 0
	v_cmp_ne_u16_sdwa s[8:9], v4, v3 src0_sel:BYTE_0 src1_sel:DWORD
	s_andn2_b64 s[4:5], s[4:5], exec
	s_and_b64 s[8:9], s[8:9], exec
	s_or_b64 s[4:5], s[4:5], s[8:9]
	s_or_b64 exec, exec, s[6:7]
	s_and_saveexec_b64 s[6:7], s[4:5]
	s_cbranch_execnz .LBB9_1607
	s_branch .LBB9_1608
.LBB9_3657:
	s_movk_i32 s4, 0x80
	v_cmp_eq_u16_sdwa s[12:13], v3, s4 src0_sel:BYTE_0 src1_sel:DWORD
	s_mov_b64 s[4:5], -1
                                        ; implicit-def: $sgpr10
	s_and_saveexec_b64 s[8:9], s[12:13]
; %bb.3658:
	s_mov_b32 s10, 0x7f800001
	s_xor_b64 s[4:5], exec, -1
; %bb.3659:
	s_or_b64 exec, exec, s[8:9]
	s_and_b64 s[4:5], s[4:5], exec
	s_or_saveexec_b64 s[6:7], s[6:7]
	v_mov_b32_e32 v2, s10
	s_xor_b64 exec, exec, s[6:7]
	s_cbranch_execz .LBB9_1610
.LBB9_3660:
	v_mov_b32_e32 v2, 0
	v_cmp_ne_u16_sdwa s[8:9], v3, v2 src0_sel:BYTE_0 src1_sel:DWORD
	s_andn2_b64 s[4:5], s[4:5], exec
	s_and_b64 s[8:9], s[8:9], exec
	s_or_b64 s[4:5], s[4:5], s[8:9]
	s_or_b64 exec, exec, s[6:7]
	s_and_saveexec_b64 s[6:7], s[4:5]
	s_cbranch_execnz .LBB9_1611
	s_branch .LBB9_1612
.LBB9_3661:
	s_movk_i32 s4, 0x80
	v_cmp_eq_u16_sdwa s[12:13], v3, s4 src0_sel:BYTE_0 src1_sel:DWORD
	s_mov_b64 s[4:5], -1
                                        ; implicit-def: $sgpr10
	s_and_saveexec_b64 s[8:9], s[12:13]
; %bb.3662:
	s_mov_b32 s10, 0x7f800001
	s_xor_b64 s[4:5], exec, -1
; %bb.3663:
	s_or_b64 exec, exec, s[8:9]
	s_and_b64 s[4:5], s[4:5], exec
	s_or_saveexec_b64 s[6:7], s[6:7]
	v_mov_b32_e32 v6, s10
	s_xor_b64 exec, exec, s[6:7]
	s_cbranch_execz .LBB9_1614
.LBB9_3664:
	v_mov_b32_e32 v6, 0
	v_cmp_ne_u16_sdwa s[8:9], v3, v6 src0_sel:BYTE_0 src1_sel:DWORD
	s_andn2_b64 s[4:5], s[4:5], exec
	s_and_b64 s[8:9], s[8:9], exec
	s_or_b64 s[4:5], s[4:5], s[8:9]
	s_or_b64 exec, exec, s[6:7]
	s_and_saveexec_b64 s[6:7], s[4:5]
	s_cbranch_execnz .LBB9_1615
	s_branch .LBB9_1616
.LBB9_3665:
	s_movk_i32 s4, 0x80
	v_cmp_eq_u16_e32 vcc, s4, v3
	s_mov_b64 s[4:5], -1
                                        ; implicit-def: $sgpr10
	s_and_saveexec_b64 s[8:9], vcc
; %bb.3666:
	s_mov_b32 s10, 0x7f800001
	s_xor_b64 s[4:5], exec, -1
; %bb.3667:
	s_or_b64 exec, exec, s[8:9]
	s_and_b64 s[4:5], s[4:5], exec
                                        ; implicit-def: $vgpr3
	s_or_saveexec_b64 s[6:7], s[6:7]
	v_mov_b32_e32 v2, s10
	s_xor_b64 exec, exec, s[6:7]
	s_cbranch_execz .LBB9_1618
.LBB9_3668:
	v_cmp_ne_u16_e32 vcc, 0, v3
	s_andn2_b64 s[4:5], s[4:5], exec
	s_and_b64 s[8:9], vcc, exec
	v_mov_b32_e32 v2, 0
	s_or_b64 s[4:5], s[4:5], s[8:9]
	s_or_b64 exec, exec, s[6:7]
	s_and_saveexec_b64 s[6:7], s[4:5]
	s_cbranch_execnz .LBB9_1619
	s_branch .LBB9_1620
.LBB9_3669:
	s_movk_i32 s4, 0x80
	v_cmp_eq_u16_e32 vcc, s4, v3
	s_mov_b64 s[4:5], -1
                                        ; implicit-def: $sgpr10
	s_and_saveexec_b64 s[8:9], vcc
; %bb.3670:
	s_mov_b32 s10, 0x7f800001
	s_xor_b64 s[4:5], exec, -1
; %bb.3671:
	s_or_b64 exec, exec, s[8:9]
	s_and_b64 s[4:5], s[4:5], exec
                                        ; implicit-def: $vgpr3
	s_or_saveexec_b64 s[6:7], s[6:7]
	v_mov_b32_e32 v6, s10
	s_xor_b64 exec, exec, s[6:7]
	s_cbranch_execz .LBB9_1622
.LBB9_3672:
	v_cmp_ne_u16_e32 vcc, 0, v3
	s_andn2_b64 s[4:5], s[4:5], exec
	s_and_b64 s[8:9], vcc, exec
	v_mov_b32_e32 v6, 0
	s_or_b64 s[4:5], s[4:5], s[8:9]
	s_or_b64 exec, exec, s[6:7]
	s_and_saveexec_b64 s[6:7], s[4:5]
	s_cbranch_execnz .LBB9_1623
	s_branch .LBB9_1624
.LBB9_3673:
	s_movk_i32 s4, 0x80
	v_cmp_eq_u16_sdwa s[12:13], v8, s4 src0_sel:BYTE_3 src1_sel:DWORD
	s_mov_b64 s[4:5], -1
                                        ; implicit-def: $sgpr10
	s_and_saveexec_b64 s[8:9], s[12:13]
; %bb.3674:
	s_mov_b32 s10, 0x7f800001
	s_xor_b64 s[4:5], exec, -1
; %bb.3675:
	s_or_b64 exec, exec, s[8:9]
	s_and_b64 s[4:5], s[4:5], exec
	s_or_saveexec_b64 s[6:7], s[6:7]
	v_mov_b32_e32 v2, s10
	s_xor_b64 exec, exec, s[6:7]
	s_cbranch_execz .LBB9_1626
.LBB9_3676:
	v_mov_b32_e32 v2, 0
	v_cmp_ne_u16_sdwa s[8:9], v8, v2 src0_sel:BYTE_3 src1_sel:DWORD
	s_andn2_b64 s[4:5], s[4:5], exec
	s_and_b64 s[8:9], s[8:9], exec
	s_or_b64 s[4:5], s[4:5], s[8:9]
	s_or_b64 exec, exec, s[6:7]
	s_and_saveexec_b64 s[6:7], s[4:5]
	s_cbranch_execnz .LBB9_1627
	s_branch .LBB9_1628
.LBB9_3677:
	s_movk_i32 s4, 0x80
	v_cmp_eq_u16_sdwa s[12:13], v4, s4 src0_sel:BYTE_3 src1_sel:DWORD
	s_mov_b64 s[4:5], -1
                                        ; implicit-def: $sgpr10
	s_and_saveexec_b64 s[8:9], s[12:13]
; %bb.3678:
	s_mov_b32 s10, 0x7f800001
	s_xor_b64 s[4:5], exec, -1
; %bb.3679:
	s_or_b64 exec, exec, s[8:9]
	s_and_b64 s[4:5], s[4:5], exec
	s_or_saveexec_b64 s[6:7], s[6:7]
	v_mov_b32_e32 v3, s10
	s_xor_b64 exec, exec, s[6:7]
	s_cbranch_execz .LBB9_1630
.LBB9_3680:
	v_mov_b32_e32 v3, 0
	v_cmp_ne_u16_sdwa s[8:9], v4, v3 src0_sel:BYTE_3 src1_sel:DWORD
	s_andn2_b64 s[4:5], s[4:5], exec
	s_and_b64 s[8:9], s[8:9], exec
	s_or_b64 s[4:5], s[4:5], s[8:9]
	s_or_b64 exec, exec, s[6:7]
	s_and_saveexec_b64 s[6:7], s[4:5]
	s_cbranch_execnz .LBB9_1631
	s_branch .LBB9_1632
.LBB9_3681:
	s_movk_i32 s4, 0x80
	v_cmp_eq_u16_sdwa s[12:13], v9, s4 src0_sel:BYTE_0 src1_sel:DWORD
	s_mov_b64 s[4:5], -1
                                        ; implicit-def: $sgpr10
	s_and_saveexec_b64 s[8:9], s[12:13]
; %bb.3682:
	s_mov_b32 s10, 0x7f800001
	s_xor_b64 s[4:5], exec, -1
; %bb.3683:
	s_or_b64 exec, exec, s[8:9]
	s_and_b64 s[4:5], s[4:5], exec
	s_or_saveexec_b64 s[6:7], s[6:7]
	v_mov_b32_e32 v2, s10
	s_xor_b64 exec, exec, s[6:7]
	s_cbranch_execz .LBB9_1634
.LBB9_3684:
	v_mov_b32_e32 v2, 0
	v_cmp_ne_u16_sdwa s[8:9], v9, v2 src0_sel:BYTE_0 src1_sel:DWORD
	s_andn2_b64 s[4:5], s[4:5], exec
	s_and_b64 s[8:9], s[8:9], exec
	s_or_b64 s[4:5], s[4:5], s[8:9]
	s_or_b64 exec, exec, s[6:7]
	s_and_saveexec_b64 s[6:7], s[4:5]
	s_cbranch_execnz .LBB9_1635
	s_branch .LBB9_1636
.LBB9_3685:
	s_movk_i32 s4, 0x80
	v_cmp_eq_u16_sdwa s[12:13], v5, s4 src0_sel:BYTE_0 src1_sel:DWORD
	s_mov_b64 s[4:5], -1
                                        ; implicit-def: $sgpr10
	s_and_saveexec_b64 s[8:9], s[12:13]
; %bb.3686:
	s_mov_b32 s10, 0x7f800001
	s_xor_b64 s[4:5], exec, -1
; %bb.3687:
	s_or_b64 exec, exec, s[8:9]
	s_and_b64 s[4:5], s[4:5], exec
	s_or_saveexec_b64 s[6:7], s[6:7]
	v_mov_b32_e32 v3, s10
	s_xor_b64 exec, exec, s[6:7]
	s_cbranch_execz .LBB9_1638
.LBB9_3688:
	v_mov_b32_e32 v3, 0
	v_cmp_ne_u16_sdwa s[8:9], v5, v3 src0_sel:BYTE_0 src1_sel:DWORD
	s_andn2_b64 s[4:5], s[4:5], exec
	s_and_b64 s[8:9], s[8:9], exec
	s_or_b64 s[4:5], s[4:5], s[8:9]
	s_or_b64 exec, exec, s[6:7]
	s_and_saveexec_b64 s[6:7], s[4:5]
	s_cbranch_execnz .LBB9_1639
	s_branch .LBB9_1640
.LBB9_3689:
	s_movk_i32 s4, 0x80
	v_cmp_eq_u16_sdwa s[12:13], v3, s4 src0_sel:BYTE_0 src1_sel:DWORD
	s_mov_b64 s[4:5], -1
                                        ; implicit-def: $sgpr10
	s_and_saveexec_b64 s[8:9], s[12:13]
; %bb.3690:
	s_mov_b32 s10, 0x7f800001
	s_xor_b64 s[4:5], exec, -1
; %bb.3691:
	s_or_b64 exec, exec, s[8:9]
	s_and_b64 s[4:5], s[4:5], exec
	s_or_saveexec_b64 s[6:7], s[6:7]
	v_mov_b32_e32 v2, s10
	s_xor_b64 exec, exec, s[6:7]
	s_cbranch_execz .LBB9_1642
.LBB9_3692:
	v_mov_b32_e32 v2, 0
	v_cmp_ne_u16_sdwa s[8:9], v3, v2 src0_sel:BYTE_0 src1_sel:DWORD
	s_andn2_b64 s[4:5], s[4:5], exec
	s_and_b64 s[8:9], s[8:9], exec
	s_or_b64 s[4:5], s[4:5], s[8:9]
	s_or_b64 exec, exec, s[6:7]
	s_and_saveexec_b64 s[6:7], s[4:5]
	s_cbranch_execnz .LBB9_1643
	s_branch .LBB9_1644
.LBB9_3693:
	s_movk_i32 s4, 0x80
	v_cmp_eq_u16_sdwa s[12:13], v3, s4 src0_sel:BYTE_0 src1_sel:DWORD
	s_mov_b64 s[4:5], -1
                                        ; implicit-def: $sgpr10
	s_and_saveexec_b64 s[8:9], s[12:13]
; %bb.3694:
	s_mov_b32 s10, 0x7f800001
	s_xor_b64 s[4:5], exec, -1
; %bb.3695:
	s_or_b64 exec, exec, s[8:9]
	s_and_b64 s[4:5], s[4:5], exec
	s_or_saveexec_b64 s[6:7], s[6:7]
	v_mov_b32_e32 v4, s10
	s_xor_b64 exec, exec, s[6:7]
	s_cbranch_execz .LBB9_1646
.LBB9_3696:
	v_mov_b32_e32 v4, 0
	v_cmp_ne_u16_sdwa s[8:9], v3, v4 src0_sel:BYTE_0 src1_sel:DWORD
	s_andn2_b64 s[4:5], s[4:5], exec
	s_and_b64 s[8:9], s[8:9], exec
	s_or_b64 s[4:5], s[4:5], s[8:9]
	s_or_b64 exec, exec, s[6:7]
	s_and_saveexec_b64 s[6:7], s[4:5]
	s_cbranch_execnz .LBB9_1647
	s_branch .LBB9_1648
.LBB9_3697:
	s_movk_i32 s4, 0x80
	v_cmp_eq_u16_e32 vcc, s4, v3
	s_mov_b64 s[4:5], -1
                                        ; implicit-def: $sgpr10
	s_and_saveexec_b64 s[8:9], vcc
; %bb.3698:
	s_mov_b32 s10, 0x7f800001
	s_xor_b64 s[4:5], exec, -1
; %bb.3699:
	s_or_b64 exec, exec, s[8:9]
	s_and_b64 s[4:5], s[4:5], exec
                                        ; implicit-def: $vgpr3
	s_or_saveexec_b64 s[6:7], s[6:7]
	v_mov_b32_e32 v2, s10
	s_xor_b64 exec, exec, s[6:7]
	s_cbranch_execz .LBB9_1650
.LBB9_3700:
	v_cmp_ne_u16_e32 vcc, 0, v3
	s_andn2_b64 s[4:5], s[4:5], exec
	s_and_b64 s[8:9], vcc, exec
	v_mov_b32_e32 v2, 0
	s_or_b64 s[4:5], s[4:5], s[8:9]
	s_or_b64 exec, exec, s[6:7]
	s_and_saveexec_b64 s[6:7], s[4:5]
	s_cbranch_execnz .LBB9_1651
	s_branch .LBB9_1652
.LBB9_3701:
	s_movk_i32 s4, 0x80
	v_cmp_eq_u16_e32 vcc, s4, v3
	s_mov_b64 s[4:5], -1
                                        ; implicit-def: $sgpr10
	s_and_saveexec_b64 s[8:9], vcc
; %bb.3702:
	s_mov_b32 s10, 0x7f800001
	s_xor_b64 s[4:5], exec, -1
; %bb.3703:
	s_or_b64 exec, exec, s[8:9]
	s_and_b64 s[4:5], s[4:5], exec
                                        ; implicit-def: $vgpr3
	s_or_saveexec_b64 s[6:7], s[6:7]
	v_mov_b32_e32 v4, s10
	s_xor_b64 exec, exec, s[6:7]
	s_cbranch_execz .LBB9_1654
.LBB9_3704:
	v_cmp_ne_u16_e32 vcc, 0, v3
	s_andn2_b64 s[4:5], s[4:5], exec
	s_and_b64 s[8:9], vcc, exec
	v_mov_b32_e32 v4, 0
	s_or_b64 s[4:5], s[4:5], s[8:9]
	s_or_b64 exec, exec, s[6:7]
	s_and_saveexec_b64 s[6:7], s[4:5]
	s_cbranch_execnz .LBB9_1655
	s_branch .LBB9_1656
.LBB9_3705:
	s_movk_i32 s4, 0x80
	v_cmp_eq_u16_sdwa s[12:13], v9, s4 src0_sel:BYTE_3 src1_sel:DWORD
	s_mov_b64 s[4:5], -1
                                        ; implicit-def: $sgpr10
	s_and_saveexec_b64 s[8:9], s[12:13]
; %bb.3706:
	s_mov_b32 s10, 0x7f800001
	s_xor_b64 s[4:5], exec, -1
; %bb.3707:
	s_or_b64 exec, exec, s[8:9]
	s_and_b64 s[4:5], s[4:5], exec
	s_or_saveexec_b64 s[6:7], s[6:7]
	v_mov_b32_e32 v2, s10
	s_xor_b64 exec, exec, s[6:7]
	s_cbranch_execz .LBB9_1658
.LBB9_3708:
	v_mov_b32_e32 v2, 0
	v_cmp_ne_u16_sdwa s[8:9], v9, v2 src0_sel:BYTE_3 src1_sel:DWORD
	s_andn2_b64 s[4:5], s[4:5], exec
	s_and_b64 s[8:9], s[8:9], exec
	s_or_b64 s[4:5], s[4:5], s[8:9]
	s_or_b64 exec, exec, s[6:7]
	s_and_saveexec_b64 s[6:7], s[4:5]
	s_cbranch_execnz .LBB9_1659
	s_branch .LBB9_1660
.LBB9_3709:
	s_movk_i32 s4, 0x80
	v_cmp_eq_u16_sdwa s[12:13], v5, s4 src0_sel:BYTE_3 src1_sel:DWORD
	s_mov_b64 s[4:5], -1
                                        ; implicit-def: $sgpr10
	s_and_saveexec_b64 s[8:9], s[12:13]
; %bb.3710:
	s_mov_b32 s10, 0x7f800001
	s_xor_b64 s[4:5], exec, -1
; %bb.3711:
	s_or_b64 exec, exec, s[8:9]
	s_and_b64 s[4:5], s[4:5], exec
	s_or_saveexec_b64 s[6:7], s[6:7]
	v_mov_b32_e32 v3, s10
	s_xor_b64 exec, exec, s[6:7]
	s_cbranch_execz .LBB9_1662
.LBB9_3712:
	v_mov_b32_e32 v3, 0
	v_cmp_ne_u16_sdwa s[8:9], v5, v3 src0_sel:BYTE_3 src1_sel:DWORD
	s_andn2_b64 s[4:5], s[4:5], exec
	s_and_b64 s[8:9], s[8:9], exec
	s_or_b64 s[4:5], s[4:5], s[8:9]
	s_or_b64 exec, exec, s[6:7]
	s_and_saveexec_b64 s[6:7], s[4:5]
	s_cbranch_execnz .LBB9_1663
	s_branch .LBB9_1664
.LBB9_3713:
	s_movk_i32 s4, 0x80
	v_cmp_eq_u16_sdwa s[12:13], v6, s4 src0_sel:BYTE_0 src1_sel:DWORD
	s_mov_b64 s[4:5], -1
                                        ; implicit-def: $sgpr10
	s_and_saveexec_b64 s[8:9], s[12:13]
; %bb.3714:
	s_mov_b32 s10, 0x7f800001
	s_xor_b64 s[4:5], exec, -1
; %bb.3715:
	s_or_b64 exec, exec, s[8:9]
	s_and_b64 s[4:5], s[4:5], exec
	s_or_saveexec_b64 s[6:7], s[6:7]
	v_mov_b32_e32 v12, s10
	s_xor_b64 exec, exec, s[6:7]
	s_cbranch_execz .LBB9_1666
.LBB9_3716:
	v_mov_b32_e32 v12, 0
	v_cmp_ne_u16_sdwa s[8:9], v6, v12 src0_sel:BYTE_0 src1_sel:DWORD
	s_andn2_b64 s[4:5], s[4:5], exec
	s_and_b64 s[8:9], s[8:9], exec
	s_or_b64 s[4:5], s[4:5], s[8:9]
	s_or_b64 exec, exec, s[6:7]
	s_and_saveexec_b64 s[6:7], s[4:5]
	s_cbranch_execnz .LBB9_1667
	s_branch .LBB9_1668
.LBB9_3717:
	s_movk_i32 s4, 0x80
	v_cmp_eq_u16_sdwa s[12:13], v2, s4 src0_sel:BYTE_0 src1_sel:DWORD
	s_mov_b64 s[4:5], -1
                                        ; implicit-def: $sgpr10
	s_and_saveexec_b64 s[8:9], s[12:13]
; %bb.3718:
	s_mov_b32 s10, 0x7f800001
	s_xor_b64 s[4:5], exec, -1
; %bb.3719:
	s_or_b64 exec, exec, s[8:9]
	s_and_b64 s[4:5], s[4:5], exec
	s_or_saveexec_b64 s[6:7], s[6:7]
	v_mov_b32_e32 v13, s10
	s_xor_b64 exec, exec, s[6:7]
	s_cbranch_execz .LBB9_1670
.LBB9_3720:
	v_mov_b32_e32 v13, 0
	v_cmp_ne_u16_sdwa s[8:9], v2, v13 src0_sel:BYTE_0 src1_sel:DWORD
	s_andn2_b64 s[4:5], s[4:5], exec
	s_and_b64 s[8:9], s[8:9], exec
	s_or_b64 s[4:5], s[4:5], s[8:9]
	s_or_b64 exec, exec, s[6:7]
	s_and_saveexec_b64 s[6:7], s[4:5]
	s_cbranch_execnz .LBB9_1671
	s_branch .LBB9_1672
.LBB9_3721:
	s_movk_i32 s4, 0x80
	v_cmp_eq_u16_sdwa s[12:13], v13, s4 src0_sel:BYTE_0 src1_sel:DWORD
	s_mov_b64 s[4:5], -1
                                        ; implicit-def: $sgpr10
	s_and_saveexec_b64 s[8:9], s[12:13]
; %bb.3722:
	s_mov_b32 s10, 0x7f800001
	s_xor_b64 s[4:5], exec, -1
; %bb.3723:
	s_or_b64 exec, exec, s[8:9]
	s_and_b64 s[4:5], s[4:5], exec
	s_or_saveexec_b64 s[6:7], s[6:7]
	v_mov_b32_e32 v12, s10
	s_xor_b64 exec, exec, s[6:7]
	s_cbranch_execz .LBB9_1674
.LBB9_3724:
	v_mov_b32_e32 v12, 0
	v_cmp_ne_u16_sdwa s[8:9], v13, v12 src0_sel:BYTE_0 src1_sel:DWORD
	s_andn2_b64 s[4:5], s[4:5], exec
	s_and_b64 s[8:9], s[8:9], exec
	s_or_b64 s[4:5], s[4:5], s[8:9]
	s_or_b64 exec, exec, s[6:7]
	s_and_saveexec_b64 s[6:7], s[4:5]
	s_cbranch_execnz .LBB9_1675
	s_branch .LBB9_1676
.LBB9_3725:
	s_movk_i32 s4, 0x80
	v_cmp_eq_u16_sdwa s[12:13], v13, s4 src0_sel:BYTE_0 src1_sel:DWORD
	s_mov_b64 s[4:5], -1
                                        ; implicit-def: $sgpr10
	s_and_saveexec_b64 s[8:9], s[12:13]
; %bb.3726:
	s_mov_b32 s10, 0x7f800001
	s_xor_b64 s[4:5], exec, -1
; %bb.3727:
	s_or_b64 exec, exec, s[8:9]
	s_and_b64 s[4:5], s[4:5], exec
	s_or_saveexec_b64 s[6:7], s[6:7]
	v_mov_b32_e32 v14, s10
	s_xor_b64 exec, exec, s[6:7]
	s_cbranch_execz .LBB9_1678
.LBB9_3728:
	v_mov_b32_e32 v14, 0
	v_cmp_ne_u16_sdwa s[8:9], v13, v14 src0_sel:BYTE_0 src1_sel:DWORD
	s_andn2_b64 s[4:5], s[4:5], exec
	s_and_b64 s[8:9], s[8:9], exec
	s_or_b64 s[4:5], s[4:5], s[8:9]
	s_or_b64 exec, exec, s[6:7]
	s_and_saveexec_b64 s[6:7], s[4:5]
	s_cbranch_execnz .LBB9_1679
	s_branch .LBB9_1680
.LBB9_3729:
	s_movk_i32 s4, 0x80
	v_cmp_eq_u16_e32 vcc, s4, v13
	s_mov_b64 s[4:5], -1
                                        ; implicit-def: $sgpr10
	s_and_saveexec_b64 s[8:9], vcc
; %bb.3730:
	s_mov_b32 s10, 0x7f800001
	s_xor_b64 s[4:5], exec, -1
; %bb.3731:
	s_or_b64 exec, exec, s[8:9]
	s_and_b64 s[4:5], s[4:5], exec
                                        ; implicit-def: $vgpr13
	s_or_saveexec_b64 s[6:7], s[6:7]
	v_mov_b32_e32 v12, s10
	s_xor_b64 exec, exec, s[6:7]
	s_cbranch_execz .LBB9_1682
.LBB9_3732:
	v_cmp_ne_u16_e32 vcc, 0, v13
	s_andn2_b64 s[4:5], s[4:5], exec
	s_and_b64 s[8:9], vcc, exec
	v_mov_b32_e32 v12, 0
	s_or_b64 s[4:5], s[4:5], s[8:9]
	s_or_b64 exec, exec, s[6:7]
	s_and_saveexec_b64 s[6:7], s[4:5]
	s_cbranch_execnz .LBB9_1683
	s_branch .LBB9_1684
.LBB9_3733:
	s_movk_i32 s4, 0x80
	v_cmp_eq_u16_e32 vcc, s4, v13
	s_mov_b64 s[4:5], -1
                                        ; implicit-def: $sgpr10
	s_and_saveexec_b64 s[8:9], vcc
; %bb.3734:
	s_mov_b32 s10, 0x7f800001
	s_xor_b64 s[4:5], exec, -1
; %bb.3735:
	s_or_b64 exec, exec, s[8:9]
	s_and_b64 s[4:5], s[4:5], exec
                                        ; implicit-def: $vgpr13
	s_or_saveexec_b64 s[6:7], s[6:7]
	v_mov_b32_e32 v14, s10
	s_xor_b64 exec, exec, s[6:7]
	s_cbranch_execz .LBB9_1686
.LBB9_3736:
	v_cmp_ne_u16_e32 vcc, 0, v13
	s_andn2_b64 s[4:5], s[4:5], exec
	s_and_b64 s[8:9], vcc, exec
	v_mov_b32_e32 v14, 0
	s_or_b64 s[4:5], s[4:5], s[8:9]
	s_or_b64 exec, exec, s[6:7]
	s_and_saveexec_b64 s[6:7], s[4:5]
	s_cbranch_execnz .LBB9_1687
	s_branch .LBB9_1688
.LBB9_3737:
	s_movk_i32 s4, 0x80
	v_cmp_eq_u16_sdwa s[12:13], v6, s4 src0_sel:BYTE_3 src1_sel:DWORD
	s_mov_b64 s[4:5], -1
                                        ; implicit-def: $sgpr10
	s_and_saveexec_b64 s[8:9], s[12:13]
; %bb.3738:
	s_mov_b32 s10, 0x7f800001
	s_xor_b64 s[4:5], exec, -1
; %bb.3739:
	s_or_b64 exec, exec, s[8:9]
	s_and_b64 s[4:5], s[4:5], exec
	s_or_saveexec_b64 s[6:7], s[6:7]
	v_mov_b32_e32 v12, s10
	s_xor_b64 exec, exec, s[6:7]
	s_cbranch_execz .LBB9_1690
.LBB9_3740:
	v_mov_b32_e32 v12, 0
	v_cmp_ne_u16_sdwa s[8:9], v6, v12 src0_sel:BYTE_3 src1_sel:DWORD
	s_andn2_b64 s[4:5], s[4:5], exec
	s_and_b64 s[8:9], s[8:9], exec
	s_or_b64 s[4:5], s[4:5], s[8:9]
	s_or_b64 exec, exec, s[6:7]
	s_and_saveexec_b64 s[6:7], s[4:5]
	s_cbranch_execnz .LBB9_1691
	s_branch .LBB9_1692
.LBB9_3741:
	s_movk_i32 s4, 0x80
	v_cmp_eq_u16_sdwa s[12:13], v2, s4 src0_sel:BYTE_3 src1_sel:DWORD
	s_mov_b64 s[4:5], -1
                                        ; implicit-def: $sgpr10
	s_and_saveexec_b64 s[8:9], s[12:13]
; %bb.3742:
	s_mov_b32 s10, 0x7f800001
	s_xor_b64 s[4:5], exec, -1
; %bb.3743:
	s_or_b64 exec, exec, s[8:9]
	s_and_b64 s[4:5], s[4:5], exec
	s_or_saveexec_b64 s[6:7], s[6:7]
	v_mov_b32_e32 v6, s10
	s_xor_b64 exec, exec, s[6:7]
	s_cbranch_execz .LBB9_1694
.LBB9_3744:
	v_mov_b32_e32 v6, 0
	v_cmp_ne_u16_sdwa s[8:9], v2, v6 src0_sel:BYTE_3 src1_sel:DWORD
	s_andn2_b64 s[4:5], s[4:5], exec
	s_and_b64 s[8:9], s[8:9], exec
	s_or_b64 s[4:5], s[4:5], s[8:9]
	s_or_b64 exec, exec, s[6:7]
	s_and_saveexec_b64 s[6:7], s[4:5]
	s_cbranch_execnz .LBB9_1695
	s_branch .LBB9_1696
.LBB9_3745:
	s_movk_i32 s4, 0x80
	v_cmp_eq_u16_sdwa s[12:13], v7, s4 src0_sel:BYTE_0 src1_sel:DWORD
	s_mov_b64 s[4:5], -1
                                        ; implicit-def: $sgpr10
	s_and_saveexec_b64 s[8:9], s[12:13]
; %bb.3746:
	s_mov_b32 s10, 0x7f800001
	s_xor_b64 s[4:5], exec, -1
; %bb.3747:
	s_or_b64 exec, exec, s[8:9]
	s_and_b64 s[4:5], s[4:5], exec
	s_or_saveexec_b64 s[6:7], s[6:7]
	v_mov_b32_e32 v2, s10
	s_xor_b64 exec, exec, s[6:7]
	s_cbranch_execz .LBB9_1698
.LBB9_3748:
	v_mov_b32_e32 v2, 0
	v_cmp_ne_u16_sdwa s[8:9], v7, v2 src0_sel:BYTE_0 src1_sel:DWORD
	s_andn2_b64 s[4:5], s[4:5], exec
	s_and_b64 s[8:9], s[8:9], exec
	s_or_b64 s[4:5], s[4:5], s[8:9]
	s_or_b64 exec, exec, s[6:7]
	s_and_saveexec_b64 s[6:7], s[4:5]
	s_cbranch_execnz .LBB9_1699
	s_branch .LBB9_1700
.LBB9_3749:
	s_movk_i32 s4, 0x80
	v_cmp_eq_u16_sdwa s[12:13], v3, s4 src0_sel:BYTE_0 src1_sel:DWORD
	s_mov_b64 s[4:5], -1
                                        ; implicit-def: $sgpr10
	s_and_saveexec_b64 s[8:9], s[12:13]
; %bb.3750:
	s_mov_b32 s10, 0x7f800001
	s_xor_b64 s[4:5], exec, -1
; %bb.3751:
	s_or_b64 exec, exec, s[8:9]
	s_and_b64 s[4:5], s[4:5], exec
	s_or_saveexec_b64 s[6:7], s[6:7]
	v_mov_b32_e32 v6, s10
	s_xor_b64 exec, exec, s[6:7]
	s_cbranch_execz .LBB9_1702
.LBB9_3752:
	v_mov_b32_e32 v6, 0
	v_cmp_ne_u16_sdwa s[8:9], v3, v6 src0_sel:BYTE_0 src1_sel:DWORD
	s_andn2_b64 s[4:5], s[4:5], exec
	s_and_b64 s[8:9], s[8:9], exec
	s_or_b64 s[4:5], s[4:5], s[8:9]
	s_or_b64 exec, exec, s[6:7]
	s_and_saveexec_b64 s[6:7], s[4:5]
	s_cbranch_execnz .LBB9_1703
	s_branch .LBB9_1704
.LBB9_3753:
	s_movk_i32 s4, 0x80
	v_cmp_eq_u16_sdwa s[12:13], v6, s4 src0_sel:BYTE_0 src1_sel:DWORD
	s_mov_b64 s[4:5], -1
                                        ; implicit-def: $sgpr10
	s_and_saveexec_b64 s[8:9], s[12:13]
; %bb.3754:
	s_mov_b32 s10, 0x7f800001
	s_xor_b64 s[4:5], exec, -1
; %bb.3755:
	s_or_b64 exec, exec, s[8:9]
	s_and_b64 s[4:5], s[4:5], exec
	s_or_saveexec_b64 s[6:7], s[6:7]
	v_mov_b32_e32 v2, s10
	s_xor_b64 exec, exec, s[6:7]
	s_cbranch_execz .LBB9_1706
.LBB9_3756:
	v_mov_b32_e32 v2, 0
	v_cmp_ne_u16_sdwa s[8:9], v6, v2 src0_sel:BYTE_0 src1_sel:DWORD
	s_andn2_b64 s[4:5], s[4:5], exec
	s_and_b64 s[8:9], s[8:9], exec
	s_or_b64 s[4:5], s[4:5], s[8:9]
	s_or_b64 exec, exec, s[6:7]
	s_and_saveexec_b64 s[6:7], s[4:5]
	s_cbranch_execnz .LBB9_1707
	s_branch .LBB9_1708
.LBB9_3757:
	s_movk_i32 s4, 0x80
	v_cmp_eq_u16_sdwa s[12:13], v6, s4 src0_sel:BYTE_0 src1_sel:DWORD
	s_mov_b64 s[4:5], -1
                                        ; implicit-def: $sgpr10
	s_and_saveexec_b64 s[8:9], s[12:13]
; %bb.3758:
	s_mov_b32 s10, 0x7f800001
	s_xor_b64 s[4:5], exec, -1
; %bb.3759:
	s_or_b64 exec, exec, s[8:9]
	s_and_b64 s[4:5], s[4:5], exec
	s_or_saveexec_b64 s[6:7], s[6:7]
	v_mov_b32_e32 v12, s10
	s_xor_b64 exec, exec, s[6:7]
	s_cbranch_execz .LBB9_1710
.LBB9_3760:
	v_mov_b32_e32 v12, 0
	v_cmp_ne_u16_sdwa s[8:9], v6, v12 src0_sel:BYTE_0 src1_sel:DWORD
	s_andn2_b64 s[4:5], s[4:5], exec
	s_and_b64 s[8:9], s[8:9], exec
	s_or_b64 s[4:5], s[4:5], s[8:9]
	s_or_b64 exec, exec, s[6:7]
	s_and_saveexec_b64 s[6:7], s[4:5]
	s_cbranch_execnz .LBB9_1711
	s_branch .LBB9_1712
.LBB9_3761:
	s_movk_i32 s4, 0x80
	v_cmp_eq_u16_e32 vcc, s4, v6
	s_mov_b64 s[4:5], -1
                                        ; implicit-def: $sgpr10
	s_and_saveexec_b64 s[8:9], vcc
; %bb.3762:
	s_mov_b32 s10, 0x7f800001
	s_xor_b64 s[4:5], exec, -1
; %bb.3763:
	s_or_b64 exec, exec, s[8:9]
	s_and_b64 s[4:5], s[4:5], exec
                                        ; implicit-def: $vgpr6
	s_or_saveexec_b64 s[6:7], s[6:7]
	v_mov_b32_e32 v2, s10
	s_xor_b64 exec, exec, s[6:7]
	s_cbranch_execz .LBB9_1714
.LBB9_3764:
	v_cmp_ne_u16_e32 vcc, 0, v6
	s_andn2_b64 s[4:5], s[4:5], exec
	s_and_b64 s[8:9], vcc, exec
	v_mov_b32_e32 v2, 0
	s_or_b64 s[4:5], s[4:5], s[8:9]
	s_or_b64 exec, exec, s[6:7]
	s_and_saveexec_b64 s[6:7], s[4:5]
	s_cbranch_execnz .LBB9_1715
	s_branch .LBB9_1716
.LBB9_3765:
	s_movk_i32 s4, 0x80
	v_cmp_eq_u16_e32 vcc, s4, v6
	s_mov_b64 s[4:5], -1
                                        ; implicit-def: $sgpr10
	s_and_saveexec_b64 s[8:9], vcc
; %bb.3766:
	s_mov_b32 s10, 0x7f800001
	s_xor_b64 s[4:5], exec, -1
; %bb.3767:
	s_or_b64 exec, exec, s[8:9]
	s_and_b64 s[4:5], s[4:5], exec
                                        ; implicit-def: $vgpr6
	s_or_saveexec_b64 s[6:7], s[6:7]
	v_mov_b32_e32 v12, s10
	s_xor_b64 exec, exec, s[6:7]
	s_cbranch_execz .LBB9_1718
.LBB9_3768:
	v_cmp_ne_u16_e32 vcc, 0, v6
	s_andn2_b64 s[4:5], s[4:5], exec
	s_and_b64 s[8:9], vcc, exec
	v_mov_b32_e32 v12, 0
	s_or_b64 s[4:5], s[4:5], s[8:9]
	s_or_b64 exec, exec, s[6:7]
	s_and_saveexec_b64 s[6:7], s[4:5]
	s_cbranch_execnz .LBB9_1719
	s_branch .LBB9_1720
.LBB9_3769:
	s_movk_i32 s4, 0x80
	v_cmp_eq_u16_sdwa s[12:13], v7, s4 src0_sel:BYTE_3 src1_sel:DWORD
	s_mov_b64 s[4:5], -1
                                        ; implicit-def: $sgpr10
	s_and_saveexec_b64 s[8:9], s[12:13]
; %bb.3770:
	s_mov_b32 s10, 0x7f800001
	s_xor_b64 s[4:5], exec, -1
; %bb.3771:
	s_or_b64 exec, exec, s[8:9]
	s_and_b64 s[4:5], s[4:5], exec
	s_or_saveexec_b64 s[6:7], s[6:7]
	v_mov_b32_e32 v2, s10
	s_xor_b64 exec, exec, s[6:7]
	s_cbranch_execz .LBB9_1722
.LBB9_3772:
	v_mov_b32_e32 v2, 0
	v_cmp_ne_u16_sdwa s[8:9], v7, v2 src0_sel:BYTE_3 src1_sel:DWORD
	s_andn2_b64 s[4:5], s[4:5], exec
	s_and_b64 s[8:9], s[8:9], exec
	s_or_b64 s[4:5], s[4:5], s[8:9]
	s_or_b64 exec, exec, s[6:7]
	s_and_saveexec_b64 s[6:7], s[4:5]
	s_cbranch_execnz .LBB9_1723
	s_branch .LBB9_1724
.LBB9_3773:
	s_movk_i32 s4, 0x80
	v_cmp_eq_u16_sdwa s[12:13], v3, s4 src0_sel:BYTE_3 src1_sel:DWORD
	s_mov_b64 s[4:5], -1
                                        ; implicit-def: $sgpr10
	s_and_saveexec_b64 s[8:9], s[12:13]
; %bb.3774:
	s_mov_b32 s10, 0x7f800001
	s_xor_b64 s[4:5], exec, -1
; %bb.3775:
	s_or_b64 exec, exec, s[8:9]
	s_and_b64 s[4:5], s[4:5], exec
	s_or_saveexec_b64 s[6:7], s[6:7]
	v_mov_b32_e32 v6, s10
	s_xor_b64 exec, exec, s[6:7]
	s_cbranch_execz .LBB9_1726
.LBB9_3776:
	v_mov_b32_e32 v6, 0
	v_cmp_ne_u16_sdwa s[8:9], v3, v6 src0_sel:BYTE_3 src1_sel:DWORD
	s_andn2_b64 s[4:5], s[4:5], exec
	s_and_b64 s[8:9], s[8:9], exec
	s_or_b64 s[4:5], s[4:5], s[8:9]
	s_or_b64 exec, exec, s[6:7]
	s_and_saveexec_b64 s[6:7], s[4:5]
	s_cbranch_execnz .LBB9_1727
	s_branch .LBB9_1728
.LBB9_3777:
	s_movk_i32 s4, 0x80
	v_cmp_eq_u16_sdwa s[12:13], v8, s4 src0_sel:BYTE_0 src1_sel:DWORD
	s_mov_b64 s[4:5], -1
                                        ; implicit-def: $sgpr10
	s_and_saveexec_b64 s[8:9], s[12:13]
; %bb.3778:
	s_mov_b32 s10, 0x7f800001
	s_xor_b64 s[4:5], exec, -1
; %bb.3779:
	s_or_b64 exec, exec, s[8:9]
	s_and_b64 s[4:5], s[4:5], exec
	s_or_saveexec_b64 s[6:7], s[6:7]
	v_mov_b32_e32 v2, s10
	s_xor_b64 exec, exec, s[6:7]
	s_cbranch_execz .LBB9_1730
.LBB9_3780:
	v_mov_b32_e32 v2, 0
	v_cmp_ne_u16_sdwa s[8:9], v8, v2 src0_sel:BYTE_0 src1_sel:DWORD
	s_andn2_b64 s[4:5], s[4:5], exec
	s_and_b64 s[8:9], s[8:9], exec
	s_or_b64 s[4:5], s[4:5], s[8:9]
	s_or_b64 exec, exec, s[6:7]
	s_and_saveexec_b64 s[6:7], s[4:5]
	s_cbranch_execnz .LBB9_1731
	s_branch .LBB9_1732
.LBB9_3781:
	s_movk_i32 s4, 0x80
	v_cmp_eq_u16_sdwa s[12:13], v4, s4 src0_sel:BYTE_0 src1_sel:DWORD
	s_mov_b64 s[4:5], -1
                                        ; implicit-def: $sgpr10
	s_and_saveexec_b64 s[8:9], s[12:13]
; %bb.3782:
	s_mov_b32 s10, 0x7f800001
	s_xor_b64 s[4:5], exec, -1
; %bb.3783:
	s_or_b64 exec, exec, s[8:9]
	s_and_b64 s[4:5], s[4:5], exec
	s_or_saveexec_b64 s[6:7], s[6:7]
	v_mov_b32_e32 v3, s10
	s_xor_b64 exec, exec, s[6:7]
	s_cbranch_execz .LBB9_1734
.LBB9_3784:
	v_mov_b32_e32 v3, 0
	v_cmp_ne_u16_sdwa s[8:9], v4, v3 src0_sel:BYTE_0 src1_sel:DWORD
	s_andn2_b64 s[4:5], s[4:5], exec
	s_and_b64 s[8:9], s[8:9], exec
	s_or_b64 s[4:5], s[4:5], s[8:9]
	s_or_b64 exec, exec, s[6:7]
	s_and_saveexec_b64 s[6:7], s[4:5]
	s_cbranch_execnz .LBB9_1735
	s_branch .LBB9_1736
.LBB9_3785:
	s_movk_i32 s4, 0x80
	v_cmp_eq_u16_sdwa s[12:13], v3, s4 src0_sel:BYTE_0 src1_sel:DWORD
	s_mov_b64 s[4:5], -1
                                        ; implicit-def: $sgpr10
	s_and_saveexec_b64 s[8:9], s[12:13]
; %bb.3786:
	s_mov_b32 s10, 0x7f800001
	s_xor_b64 s[4:5], exec, -1
; %bb.3787:
	s_or_b64 exec, exec, s[8:9]
	s_and_b64 s[4:5], s[4:5], exec
	s_or_saveexec_b64 s[6:7], s[6:7]
	v_mov_b32_e32 v2, s10
	s_xor_b64 exec, exec, s[6:7]
	s_cbranch_execz .LBB9_1738
.LBB9_3788:
	v_mov_b32_e32 v2, 0
	v_cmp_ne_u16_sdwa s[8:9], v3, v2 src0_sel:BYTE_0 src1_sel:DWORD
	s_andn2_b64 s[4:5], s[4:5], exec
	s_and_b64 s[8:9], s[8:9], exec
	s_or_b64 s[4:5], s[4:5], s[8:9]
	s_or_b64 exec, exec, s[6:7]
	s_and_saveexec_b64 s[6:7], s[4:5]
	s_cbranch_execnz .LBB9_1739
	s_branch .LBB9_1740
.LBB9_3789:
	s_movk_i32 s4, 0x80
	v_cmp_eq_u16_sdwa s[12:13], v3, s4 src0_sel:BYTE_0 src1_sel:DWORD
	s_mov_b64 s[4:5], -1
                                        ; implicit-def: $sgpr10
	s_and_saveexec_b64 s[8:9], s[12:13]
; %bb.3790:
	s_mov_b32 s10, 0x7f800001
	s_xor_b64 s[4:5], exec, -1
; %bb.3791:
	s_or_b64 exec, exec, s[8:9]
	s_and_b64 s[4:5], s[4:5], exec
	s_or_saveexec_b64 s[6:7], s[6:7]
	v_mov_b32_e32 v6, s10
	s_xor_b64 exec, exec, s[6:7]
	s_cbranch_execz .LBB9_1742
.LBB9_3792:
	v_mov_b32_e32 v6, 0
	v_cmp_ne_u16_sdwa s[8:9], v3, v6 src0_sel:BYTE_0 src1_sel:DWORD
	s_andn2_b64 s[4:5], s[4:5], exec
	s_and_b64 s[8:9], s[8:9], exec
	s_or_b64 s[4:5], s[4:5], s[8:9]
	s_or_b64 exec, exec, s[6:7]
	s_and_saveexec_b64 s[6:7], s[4:5]
	s_cbranch_execnz .LBB9_1743
	s_branch .LBB9_1744
.LBB9_3793:
	s_movk_i32 s4, 0x80
	v_cmp_eq_u16_e32 vcc, s4, v3
	s_mov_b64 s[4:5], -1
                                        ; implicit-def: $sgpr10
	s_and_saveexec_b64 s[8:9], vcc
; %bb.3794:
	s_mov_b32 s10, 0x7f800001
	s_xor_b64 s[4:5], exec, -1
; %bb.3795:
	s_or_b64 exec, exec, s[8:9]
	s_and_b64 s[4:5], s[4:5], exec
                                        ; implicit-def: $vgpr3
	s_or_saveexec_b64 s[6:7], s[6:7]
	v_mov_b32_e32 v2, s10
	s_xor_b64 exec, exec, s[6:7]
	s_cbranch_execz .LBB9_1746
.LBB9_3796:
	v_cmp_ne_u16_e32 vcc, 0, v3
	s_andn2_b64 s[4:5], s[4:5], exec
	s_and_b64 s[8:9], vcc, exec
	v_mov_b32_e32 v2, 0
	s_or_b64 s[4:5], s[4:5], s[8:9]
	s_or_b64 exec, exec, s[6:7]
	s_and_saveexec_b64 s[6:7], s[4:5]
	s_cbranch_execnz .LBB9_1747
	s_branch .LBB9_1748
.LBB9_3797:
	s_movk_i32 s4, 0x80
	v_cmp_eq_u16_e32 vcc, s4, v3
	s_mov_b64 s[4:5], -1
                                        ; implicit-def: $sgpr10
	s_and_saveexec_b64 s[8:9], vcc
; %bb.3798:
	s_mov_b32 s10, 0x7f800001
	s_xor_b64 s[4:5], exec, -1
; %bb.3799:
	s_or_b64 exec, exec, s[8:9]
	s_and_b64 s[4:5], s[4:5], exec
                                        ; implicit-def: $vgpr3
	s_or_saveexec_b64 s[6:7], s[6:7]
	v_mov_b32_e32 v6, s10
	s_xor_b64 exec, exec, s[6:7]
	s_cbranch_execz .LBB9_1750
.LBB9_3800:
	v_cmp_ne_u16_e32 vcc, 0, v3
	s_andn2_b64 s[4:5], s[4:5], exec
	s_and_b64 s[8:9], vcc, exec
	v_mov_b32_e32 v6, 0
	s_or_b64 s[4:5], s[4:5], s[8:9]
	s_or_b64 exec, exec, s[6:7]
	s_and_saveexec_b64 s[6:7], s[4:5]
	s_cbranch_execnz .LBB9_1751
	s_branch .LBB9_1752
.LBB9_3801:
	s_movk_i32 s4, 0x80
	v_cmp_eq_u16_sdwa s[12:13], v8, s4 src0_sel:BYTE_3 src1_sel:DWORD
	s_mov_b64 s[4:5], -1
                                        ; implicit-def: $sgpr10
	s_and_saveexec_b64 s[8:9], s[12:13]
; %bb.3802:
	s_mov_b32 s10, 0x7f800001
	s_xor_b64 s[4:5], exec, -1
; %bb.3803:
	s_or_b64 exec, exec, s[8:9]
	s_and_b64 s[4:5], s[4:5], exec
	s_or_saveexec_b64 s[6:7], s[6:7]
	v_mov_b32_e32 v2, s10
	s_xor_b64 exec, exec, s[6:7]
	s_cbranch_execz .LBB9_1754
.LBB9_3804:
	v_mov_b32_e32 v2, 0
	v_cmp_ne_u16_sdwa s[8:9], v8, v2 src0_sel:BYTE_3 src1_sel:DWORD
	s_andn2_b64 s[4:5], s[4:5], exec
	s_and_b64 s[8:9], s[8:9], exec
	s_or_b64 s[4:5], s[4:5], s[8:9]
	s_or_b64 exec, exec, s[6:7]
	s_and_saveexec_b64 s[6:7], s[4:5]
	s_cbranch_execnz .LBB9_1755
	s_branch .LBB9_1756
.LBB9_3805:
	s_movk_i32 s4, 0x80
	v_cmp_eq_u16_sdwa s[12:13], v4, s4 src0_sel:BYTE_3 src1_sel:DWORD
	s_mov_b64 s[4:5], -1
                                        ; implicit-def: $sgpr10
	s_and_saveexec_b64 s[8:9], s[12:13]
; %bb.3806:
	s_mov_b32 s10, 0x7f800001
	s_xor_b64 s[4:5], exec, -1
; %bb.3807:
	s_or_b64 exec, exec, s[8:9]
	s_and_b64 s[4:5], s[4:5], exec
	s_or_saveexec_b64 s[6:7], s[6:7]
	v_mov_b32_e32 v3, s10
	s_xor_b64 exec, exec, s[6:7]
	s_cbranch_execz .LBB9_1758
.LBB9_3808:
	v_mov_b32_e32 v3, 0
	v_cmp_ne_u16_sdwa s[8:9], v4, v3 src0_sel:BYTE_3 src1_sel:DWORD
	s_andn2_b64 s[4:5], s[4:5], exec
	s_and_b64 s[8:9], s[8:9], exec
	s_or_b64 s[4:5], s[4:5], s[8:9]
	s_or_b64 exec, exec, s[6:7]
	s_and_saveexec_b64 s[6:7], s[4:5]
	s_cbranch_execnz .LBB9_1759
	s_branch .LBB9_1760
.LBB9_3809:
	s_movk_i32 s4, 0x80
	v_cmp_eq_u16_sdwa s[12:13], v9, s4 src0_sel:BYTE_0 src1_sel:DWORD
	s_mov_b64 s[4:5], -1
                                        ; implicit-def: $sgpr10
	s_and_saveexec_b64 s[8:9], s[12:13]
; %bb.3810:
	s_mov_b32 s10, 0x7f800001
	s_xor_b64 s[4:5], exec, -1
; %bb.3811:
	s_or_b64 exec, exec, s[8:9]
	s_and_b64 s[4:5], s[4:5], exec
	s_or_saveexec_b64 s[6:7], s[6:7]
	v_mov_b32_e32 v2, s10
	s_xor_b64 exec, exec, s[6:7]
	s_cbranch_execz .LBB9_1762
.LBB9_3812:
	v_mov_b32_e32 v2, 0
	v_cmp_ne_u16_sdwa s[8:9], v9, v2 src0_sel:BYTE_0 src1_sel:DWORD
	s_andn2_b64 s[4:5], s[4:5], exec
	s_and_b64 s[8:9], s[8:9], exec
	s_or_b64 s[4:5], s[4:5], s[8:9]
	s_or_b64 exec, exec, s[6:7]
	s_and_saveexec_b64 s[6:7], s[4:5]
	s_cbranch_execnz .LBB9_1763
	s_branch .LBB9_1764
.LBB9_3813:
	s_movk_i32 s4, 0x80
	v_cmp_eq_u16_sdwa s[12:13], v5, s4 src0_sel:BYTE_0 src1_sel:DWORD
	s_mov_b64 s[4:5], -1
                                        ; implicit-def: $sgpr10
	s_and_saveexec_b64 s[8:9], s[12:13]
; %bb.3814:
	s_mov_b32 s10, 0x7f800001
	s_xor_b64 s[4:5], exec, -1
; %bb.3815:
	s_or_b64 exec, exec, s[8:9]
	s_and_b64 s[4:5], s[4:5], exec
	s_or_saveexec_b64 s[6:7], s[6:7]
	v_mov_b32_e32 v3, s10
	s_xor_b64 exec, exec, s[6:7]
	s_cbranch_execz .LBB9_1766
.LBB9_3816:
	v_mov_b32_e32 v3, 0
	v_cmp_ne_u16_sdwa s[8:9], v5, v3 src0_sel:BYTE_0 src1_sel:DWORD
	s_andn2_b64 s[4:5], s[4:5], exec
	s_and_b64 s[8:9], s[8:9], exec
	s_or_b64 s[4:5], s[4:5], s[8:9]
	s_or_b64 exec, exec, s[6:7]
	s_and_saveexec_b64 s[6:7], s[4:5]
	s_cbranch_execnz .LBB9_1767
	s_branch .LBB9_1768
.LBB9_3817:
	s_movk_i32 s4, 0x80
	v_cmp_eq_u16_sdwa s[12:13], v3, s4 src0_sel:BYTE_0 src1_sel:DWORD
	s_mov_b64 s[4:5], -1
                                        ; implicit-def: $sgpr10
	s_and_saveexec_b64 s[8:9], s[12:13]
; %bb.3818:
	s_mov_b32 s10, 0x7f800001
	s_xor_b64 s[4:5], exec, -1
; %bb.3819:
	s_or_b64 exec, exec, s[8:9]
	s_and_b64 s[4:5], s[4:5], exec
	s_or_saveexec_b64 s[6:7], s[6:7]
	v_mov_b32_e32 v2, s10
	s_xor_b64 exec, exec, s[6:7]
	s_cbranch_execz .LBB9_1770
.LBB9_3820:
	v_mov_b32_e32 v2, 0
	v_cmp_ne_u16_sdwa s[8:9], v3, v2 src0_sel:BYTE_0 src1_sel:DWORD
	s_andn2_b64 s[4:5], s[4:5], exec
	s_and_b64 s[8:9], s[8:9], exec
	s_or_b64 s[4:5], s[4:5], s[8:9]
	s_or_b64 exec, exec, s[6:7]
	s_and_saveexec_b64 s[6:7], s[4:5]
	s_cbranch_execnz .LBB9_1771
	s_branch .LBB9_1772
.LBB9_3821:
	s_movk_i32 s4, 0x80
	v_cmp_eq_u16_sdwa s[12:13], v3, s4 src0_sel:BYTE_0 src1_sel:DWORD
	s_mov_b64 s[4:5], -1
                                        ; implicit-def: $sgpr10
	s_and_saveexec_b64 s[8:9], s[12:13]
; %bb.3822:
	s_mov_b32 s10, 0x7f800001
	s_xor_b64 s[4:5], exec, -1
; %bb.3823:
	s_or_b64 exec, exec, s[8:9]
	s_and_b64 s[4:5], s[4:5], exec
	s_or_saveexec_b64 s[6:7], s[6:7]
	v_mov_b32_e32 v4, s10
	s_xor_b64 exec, exec, s[6:7]
	s_cbranch_execz .LBB9_1774
.LBB9_3824:
	v_mov_b32_e32 v4, 0
	v_cmp_ne_u16_sdwa s[8:9], v3, v4 src0_sel:BYTE_0 src1_sel:DWORD
	s_andn2_b64 s[4:5], s[4:5], exec
	s_and_b64 s[8:9], s[8:9], exec
	s_or_b64 s[4:5], s[4:5], s[8:9]
	s_or_b64 exec, exec, s[6:7]
	s_and_saveexec_b64 s[6:7], s[4:5]
	s_cbranch_execnz .LBB9_1775
	s_branch .LBB9_1776
.LBB9_3825:
	s_movk_i32 s4, 0x80
	v_cmp_eq_u16_e32 vcc, s4, v3
	s_mov_b64 s[4:5], -1
                                        ; implicit-def: $sgpr10
	s_and_saveexec_b64 s[8:9], vcc
; %bb.3826:
	s_mov_b32 s10, 0x7f800001
	s_xor_b64 s[4:5], exec, -1
; %bb.3827:
	s_or_b64 exec, exec, s[8:9]
	s_and_b64 s[4:5], s[4:5], exec
                                        ; implicit-def: $vgpr3
	s_or_saveexec_b64 s[6:7], s[6:7]
	v_mov_b32_e32 v2, s10
	s_xor_b64 exec, exec, s[6:7]
	s_cbranch_execz .LBB9_1778
.LBB9_3828:
	v_cmp_ne_u16_e32 vcc, 0, v3
	s_andn2_b64 s[4:5], s[4:5], exec
	s_and_b64 s[8:9], vcc, exec
	v_mov_b32_e32 v2, 0
	s_or_b64 s[4:5], s[4:5], s[8:9]
	s_or_b64 exec, exec, s[6:7]
	s_and_saveexec_b64 s[6:7], s[4:5]
	s_cbranch_execnz .LBB9_1779
	s_branch .LBB9_1780
.LBB9_3829:
	s_movk_i32 s4, 0x80
	v_cmp_eq_u16_e32 vcc, s4, v3
	s_mov_b64 s[4:5], -1
                                        ; implicit-def: $sgpr10
	s_and_saveexec_b64 s[8:9], vcc
; %bb.3830:
	s_mov_b32 s10, 0x7f800001
	s_xor_b64 s[4:5], exec, -1
; %bb.3831:
	s_or_b64 exec, exec, s[8:9]
	s_and_b64 s[4:5], s[4:5], exec
                                        ; implicit-def: $vgpr3
	s_or_saveexec_b64 s[6:7], s[6:7]
	v_mov_b32_e32 v4, s10
	s_xor_b64 exec, exec, s[6:7]
	s_cbranch_execz .LBB9_1782
.LBB9_3832:
	v_cmp_ne_u16_e32 vcc, 0, v3
	s_andn2_b64 s[4:5], s[4:5], exec
	s_and_b64 s[8:9], vcc, exec
	v_mov_b32_e32 v4, 0
	s_or_b64 s[4:5], s[4:5], s[8:9]
	s_or_b64 exec, exec, s[6:7]
	s_and_saveexec_b64 s[6:7], s[4:5]
	s_cbranch_execnz .LBB9_1783
	s_branch .LBB9_1784
.LBB9_3833:
	s_movk_i32 s4, 0x80
	v_cmp_eq_u16_sdwa s[12:13], v9, s4 src0_sel:BYTE_3 src1_sel:DWORD
	s_mov_b64 s[4:5], -1
                                        ; implicit-def: $sgpr10
	s_and_saveexec_b64 s[8:9], s[12:13]
; %bb.3834:
	s_mov_b32 s10, 0x7f800001
	s_xor_b64 s[4:5], exec, -1
; %bb.3835:
	s_or_b64 exec, exec, s[8:9]
	s_and_b64 s[4:5], s[4:5], exec
	s_or_saveexec_b64 s[6:7], s[6:7]
	v_mov_b32_e32 v2, s10
	s_xor_b64 exec, exec, s[6:7]
	s_cbranch_execz .LBB9_1786
.LBB9_3836:
	v_mov_b32_e32 v2, 0
	v_cmp_ne_u16_sdwa s[8:9], v9, v2 src0_sel:BYTE_3 src1_sel:DWORD
	s_andn2_b64 s[4:5], s[4:5], exec
	s_and_b64 s[8:9], s[8:9], exec
	s_or_b64 s[4:5], s[4:5], s[8:9]
	s_or_b64 exec, exec, s[6:7]
	s_and_saveexec_b64 s[6:7], s[4:5]
	s_cbranch_execnz .LBB9_1787
	s_branch .LBB9_1788
.LBB9_3837:
	s_movk_i32 s4, 0x80
	v_cmp_eq_u16_sdwa s[12:13], v5, s4 src0_sel:BYTE_3 src1_sel:DWORD
	s_mov_b64 s[4:5], -1
                                        ; implicit-def: $sgpr10
	s_and_saveexec_b64 s[8:9], s[12:13]
; %bb.3838:
	s_mov_b32 s10, 0x7f800001
	s_xor_b64 s[4:5], exec, -1
; %bb.3839:
	s_or_b64 exec, exec, s[8:9]
	s_and_b64 s[4:5], s[4:5], exec
	s_or_saveexec_b64 s[6:7], s[6:7]
	v_mov_b32_e32 v3, s10
	s_xor_b64 exec, exec, s[6:7]
	s_cbranch_execz .LBB9_1790
.LBB9_3840:
	v_mov_b32_e32 v3, 0
	v_cmp_ne_u16_sdwa s[8:9], v5, v3 src0_sel:BYTE_3 src1_sel:DWORD
	s_andn2_b64 s[4:5], s[4:5], exec
	s_and_b64 s[8:9], s[8:9], exec
	s_or_b64 s[4:5], s[4:5], s[8:9]
	s_or_b64 exec, exec, s[6:7]
	s_and_saveexec_b64 s[6:7], s[4:5]
	s_cbranch_execnz .LBB9_1791
	s_branch .LBB9_1792
.LBB9_3841:
	s_movk_i32 s4, 0x80
	v_cmp_eq_u16_sdwa s[12:13], v6, s4 src0_sel:BYTE_0 src1_sel:DWORD
	s_mov_b64 s[4:5], -1
                                        ; implicit-def: $sgpr10
	s_and_saveexec_b64 s[8:9], s[12:13]
; %bb.3842:
	s_mov_b32 s10, 0x7f800001
	s_xor_b64 s[4:5], exec, -1
; %bb.3843:
	s_or_b64 exec, exec, s[8:9]
	s_and_b64 s[4:5], s[4:5], exec
	s_or_saveexec_b64 s[6:7], s[6:7]
	v_mov_b32_e32 v12, s10
	s_xor_b64 exec, exec, s[6:7]
	s_cbranch_execz .LBB9_1794
.LBB9_3844:
	v_mov_b32_e32 v12, 0
	v_cmp_ne_u16_sdwa s[8:9], v6, v12 src0_sel:BYTE_0 src1_sel:DWORD
	s_andn2_b64 s[4:5], s[4:5], exec
	s_and_b64 s[8:9], s[8:9], exec
	s_or_b64 s[4:5], s[4:5], s[8:9]
	s_or_b64 exec, exec, s[6:7]
	s_and_saveexec_b64 s[6:7], s[4:5]
	s_cbranch_execnz .LBB9_1795
	s_branch .LBB9_1796
.LBB9_3845:
	s_movk_i32 s4, 0x80
	v_cmp_eq_u16_sdwa s[12:13], v2, s4 src0_sel:BYTE_0 src1_sel:DWORD
	s_mov_b64 s[4:5], -1
                                        ; implicit-def: $sgpr10
	s_and_saveexec_b64 s[8:9], s[12:13]
; %bb.3846:
	s_mov_b32 s10, 0x7f800001
	s_xor_b64 s[4:5], exec, -1
; %bb.3847:
	s_or_b64 exec, exec, s[8:9]
	s_and_b64 s[4:5], s[4:5], exec
	s_or_saveexec_b64 s[6:7], s[6:7]
	v_mov_b32_e32 v13, s10
	s_xor_b64 exec, exec, s[6:7]
	s_cbranch_execz .LBB9_1798
.LBB9_3848:
	v_mov_b32_e32 v13, 0
	v_cmp_ne_u16_sdwa s[8:9], v2, v13 src0_sel:BYTE_0 src1_sel:DWORD
	s_andn2_b64 s[4:5], s[4:5], exec
	s_and_b64 s[8:9], s[8:9], exec
	s_or_b64 s[4:5], s[4:5], s[8:9]
	s_or_b64 exec, exec, s[6:7]
	s_and_saveexec_b64 s[6:7], s[4:5]
	s_cbranch_execnz .LBB9_1799
	s_branch .LBB9_1800
.LBB9_3849:
	s_movk_i32 s4, 0x80
	v_cmp_eq_u16_sdwa s[12:13], v13, s4 src0_sel:BYTE_0 src1_sel:DWORD
	s_mov_b64 s[4:5], -1
                                        ; implicit-def: $sgpr10
	s_and_saveexec_b64 s[8:9], s[12:13]
; %bb.3850:
	s_mov_b32 s10, 0x7f800001
	s_xor_b64 s[4:5], exec, -1
; %bb.3851:
	s_or_b64 exec, exec, s[8:9]
	s_and_b64 s[4:5], s[4:5], exec
	s_or_saveexec_b64 s[6:7], s[6:7]
	v_mov_b32_e32 v12, s10
	s_xor_b64 exec, exec, s[6:7]
	s_cbranch_execz .LBB9_1802
.LBB9_3852:
	v_mov_b32_e32 v12, 0
	v_cmp_ne_u16_sdwa s[8:9], v13, v12 src0_sel:BYTE_0 src1_sel:DWORD
	s_andn2_b64 s[4:5], s[4:5], exec
	s_and_b64 s[8:9], s[8:9], exec
	s_or_b64 s[4:5], s[4:5], s[8:9]
	s_or_b64 exec, exec, s[6:7]
	s_and_saveexec_b64 s[6:7], s[4:5]
	s_cbranch_execnz .LBB9_1803
	s_branch .LBB9_1804
.LBB9_3853:
	s_movk_i32 s4, 0x80
	v_cmp_eq_u16_sdwa s[12:13], v13, s4 src0_sel:BYTE_0 src1_sel:DWORD
	s_mov_b64 s[4:5], -1
                                        ; implicit-def: $sgpr10
	s_and_saveexec_b64 s[8:9], s[12:13]
; %bb.3854:
	s_mov_b32 s10, 0x7f800001
	s_xor_b64 s[4:5], exec, -1
; %bb.3855:
	s_or_b64 exec, exec, s[8:9]
	s_and_b64 s[4:5], s[4:5], exec
	s_or_saveexec_b64 s[6:7], s[6:7]
	v_mov_b32_e32 v14, s10
	s_xor_b64 exec, exec, s[6:7]
	s_cbranch_execz .LBB9_1806
.LBB9_3856:
	v_mov_b32_e32 v14, 0
	v_cmp_ne_u16_sdwa s[8:9], v13, v14 src0_sel:BYTE_0 src1_sel:DWORD
	s_andn2_b64 s[4:5], s[4:5], exec
	s_and_b64 s[8:9], s[8:9], exec
	s_or_b64 s[4:5], s[4:5], s[8:9]
	s_or_b64 exec, exec, s[6:7]
	s_and_saveexec_b64 s[6:7], s[4:5]
	s_cbranch_execnz .LBB9_1807
	s_branch .LBB9_1808
.LBB9_3857:
	s_movk_i32 s4, 0x80
	v_cmp_eq_u16_e32 vcc, s4, v13
	s_mov_b64 s[4:5], -1
                                        ; implicit-def: $sgpr10
	s_and_saveexec_b64 s[8:9], vcc
; %bb.3858:
	s_mov_b32 s10, 0x7f800001
	s_xor_b64 s[4:5], exec, -1
; %bb.3859:
	s_or_b64 exec, exec, s[8:9]
	s_and_b64 s[4:5], s[4:5], exec
                                        ; implicit-def: $vgpr13
	s_or_saveexec_b64 s[6:7], s[6:7]
	v_mov_b32_e32 v12, s10
	s_xor_b64 exec, exec, s[6:7]
	s_cbranch_execz .LBB9_1810
.LBB9_3860:
	v_cmp_ne_u16_e32 vcc, 0, v13
	s_andn2_b64 s[4:5], s[4:5], exec
	s_and_b64 s[8:9], vcc, exec
	v_mov_b32_e32 v12, 0
	s_or_b64 s[4:5], s[4:5], s[8:9]
	s_or_b64 exec, exec, s[6:7]
	s_and_saveexec_b64 s[6:7], s[4:5]
	s_cbranch_execnz .LBB9_1811
	s_branch .LBB9_1812
.LBB9_3861:
	s_movk_i32 s4, 0x80
	v_cmp_eq_u16_e32 vcc, s4, v13
	s_mov_b64 s[4:5], -1
                                        ; implicit-def: $sgpr10
	s_and_saveexec_b64 s[8:9], vcc
; %bb.3862:
	s_mov_b32 s10, 0x7f800001
	s_xor_b64 s[4:5], exec, -1
; %bb.3863:
	s_or_b64 exec, exec, s[8:9]
	s_and_b64 s[4:5], s[4:5], exec
                                        ; implicit-def: $vgpr13
	s_or_saveexec_b64 s[6:7], s[6:7]
	v_mov_b32_e32 v14, s10
	s_xor_b64 exec, exec, s[6:7]
	s_cbranch_execz .LBB9_1814
.LBB9_3864:
	v_cmp_ne_u16_e32 vcc, 0, v13
	s_andn2_b64 s[4:5], s[4:5], exec
	s_and_b64 s[8:9], vcc, exec
	v_mov_b32_e32 v14, 0
	s_or_b64 s[4:5], s[4:5], s[8:9]
	s_or_b64 exec, exec, s[6:7]
	s_and_saveexec_b64 s[6:7], s[4:5]
	s_cbranch_execnz .LBB9_1815
	s_branch .LBB9_1816
.LBB9_3865:
	s_movk_i32 s4, 0x80
	v_cmp_eq_u16_sdwa s[12:13], v6, s4 src0_sel:BYTE_3 src1_sel:DWORD
	s_mov_b64 s[4:5], -1
                                        ; implicit-def: $sgpr10
	s_and_saveexec_b64 s[8:9], s[12:13]
; %bb.3866:
	s_mov_b32 s10, 0x7f800001
	s_xor_b64 s[4:5], exec, -1
; %bb.3867:
	s_or_b64 exec, exec, s[8:9]
	s_and_b64 s[4:5], s[4:5], exec
	s_or_saveexec_b64 s[6:7], s[6:7]
	v_mov_b32_e32 v12, s10
	s_xor_b64 exec, exec, s[6:7]
	s_cbranch_execz .LBB9_1818
.LBB9_3868:
	v_mov_b32_e32 v12, 0
	v_cmp_ne_u16_sdwa s[8:9], v6, v12 src0_sel:BYTE_3 src1_sel:DWORD
	s_andn2_b64 s[4:5], s[4:5], exec
	s_and_b64 s[8:9], s[8:9], exec
	s_or_b64 s[4:5], s[4:5], s[8:9]
	s_or_b64 exec, exec, s[6:7]
	s_and_saveexec_b64 s[6:7], s[4:5]
	s_cbranch_execnz .LBB9_1819
	s_branch .LBB9_1820
.LBB9_3869:
	s_movk_i32 s4, 0x80
	v_cmp_eq_u16_sdwa s[12:13], v2, s4 src0_sel:BYTE_3 src1_sel:DWORD
	s_mov_b64 s[4:5], -1
                                        ; implicit-def: $sgpr10
	s_and_saveexec_b64 s[8:9], s[12:13]
; %bb.3870:
	s_mov_b32 s10, 0x7f800001
	s_xor_b64 s[4:5], exec, -1
; %bb.3871:
	s_or_b64 exec, exec, s[8:9]
	s_and_b64 s[4:5], s[4:5], exec
	s_or_saveexec_b64 s[6:7], s[6:7]
	v_mov_b32_e32 v6, s10
	s_xor_b64 exec, exec, s[6:7]
	s_cbranch_execz .LBB9_1822
.LBB9_3872:
	v_mov_b32_e32 v6, 0
	v_cmp_ne_u16_sdwa s[8:9], v2, v6 src0_sel:BYTE_3 src1_sel:DWORD
	s_andn2_b64 s[4:5], s[4:5], exec
	s_and_b64 s[8:9], s[8:9], exec
	s_or_b64 s[4:5], s[4:5], s[8:9]
	s_or_b64 exec, exec, s[6:7]
	s_and_saveexec_b64 s[6:7], s[4:5]
	s_cbranch_execnz .LBB9_1823
	s_branch .LBB9_1824
.LBB9_3873:
	s_movk_i32 s4, 0x80
	v_cmp_eq_u16_sdwa s[12:13], v7, s4 src0_sel:BYTE_0 src1_sel:DWORD
	s_mov_b64 s[4:5], -1
                                        ; implicit-def: $sgpr10
	s_and_saveexec_b64 s[8:9], s[12:13]
; %bb.3874:
	s_mov_b32 s10, 0x7f800001
	s_xor_b64 s[4:5], exec, -1
; %bb.3875:
	s_or_b64 exec, exec, s[8:9]
	s_and_b64 s[4:5], s[4:5], exec
	s_or_saveexec_b64 s[6:7], s[6:7]
	v_mov_b32_e32 v2, s10
	s_xor_b64 exec, exec, s[6:7]
	s_cbranch_execz .LBB9_1826
.LBB9_3876:
	v_mov_b32_e32 v2, 0
	v_cmp_ne_u16_sdwa s[8:9], v7, v2 src0_sel:BYTE_0 src1_sel:DWORD
	s_andn2_b64 s[4:5], s[4:5], exec
	s_and_b64 s[8:9], s[8:9], exec
	s_or_b64 s[4:5], s[4:5], s[8:9]
	s_or_b64 exec, exec, s[6:7]
	s_and_saveexec_b64 s[6:7], s[4:5]
	s_cbranch_execnz .LBB9_1827
	s_branch .LBB9_1828
.LBB9_3877:
	s_movk_i32 s4, 0x80
	v_cmp_eq_u16_sdwa s[12:13], v3, s4 src0_sel:BYTE_0 src1_sel:DWORD
	s_mov_b64 s[4:5], -1
                                        ; implicit-def: $sgpr10
	s_and_saveexec_b64 s[8:9], s[12:13]
; %bb.3878:
	s_mov_b32 s10, 0x7f800001
	s_xor_b64 s[4:5], exec, -1
; %bb.3879:
	s_or_b64 exec, exec, s[8:9]
	s_and_b64 s[4:5], s[4:5], exec
	s_or_saveexec_b64 s[6:7], s[6:7]
	v_mov_b32_e32 v6, s10
	s_xor_b64 exec, exec, s[6:7]
	s_cbranch_execz .LBB9_1830
.LBB9_3880:
	v_mov_b32_e32 v6, 0
	v_cmp_ne_u16_sdwa s[8:9], v3, v6 src0_sel:BYTE_0 src1_sel:DWORD
	s_andn2_b64 s[4:5], s[4:5], exec
	s_and_b64 s[8:9], s[8:9], exec
	s_or_b64 s[4:5], s[4:5], s[8:9]
	s_or_b64 exec, exec, s[6:7]
	s_and_saveexec_b64 s[6:7], s[4:5]
	s_cbranch_execnz .LBB9_1831
	s_branch .LBB9_1832
.LBB9_3881:
	s_movk_i32 s4, 0x80
	v_cmp_eq_u16_sdwa s[12:13], v6, s4 src0_sel:BYTE_0 src1_sel:DWORD
	s_mov_b64 s[4:5], -1
                                        ; implicit-def: $sgpr10
	s_and_saveexec_b64 s[8:9], s[12:13]
; %bb.3882:
	s_mov_b32 s10, 0x7f800001
	s_xor_b64 s[4:5], exec, -1
; %bb.3883:
	s_or_b64 exec, exec, s[8:9]
	s_and_b64 s[4:5], s[4:5], exec
	s_or_saveexec_b64 s[6:7], s[6:7]
	v_mov_b32_e32 v2, s10
	s_xor_b64 exec, exec, s[6:7]
	s_cbranch_execz .LBB9_1834
.LBB9_3884:
	v_mov_b32_e32 v2, 0
	v_cmp_ne_u16_sdwa s[8:9], v6, v2 src0_sel:BYTE_0 src1_sel:DWORD
	s_andn2_b64 s[4:5], s[4:5], exec
	s_and_b64 s[8:9], s[8:9], exec
	s_or_b64 s[4:5], s[4:5], s[8:9]
	s_or_b64 exec, exec, s[6:7]
	s_and_saveexec_b64 s[6:7], s[4:5]
	s_cbranch_execnz .LBB9_1835
	s_branch .LBB9_1836
.LBB9_3885:
	s_movk_i32 s4, 0x80
	v_cmp_eq_u16_sdwa s[12:13], v6, s4 src0_sel:BYTE_0 src1_sel:DWORD
	s_mov_b64 s[4:5], -1
                                        ; implicit-def: $sgpr10
	s_and_saveexec_b64 s[8:9], s[12:13]
; %bb.3886:
	s_mov_b32 s10, 0x7f800001
	s_xor_b64 s[4:5], exec, -1
; %bb.3887:
	s_or_b64 exec, exec, s[8:9]
	s_and_b64 s[4:5], s[4:5], exec
	s_or_saveexec_b64 s[6:7], s[6:7]
	v_mov_b32_e32 v12, s10
	s_xor_b64 exec, exec, s[6:7]
	s_cbranch_execz .LBB9_1838
.LBB9_3888:
	v_mov_b32_e32 v12, 0
	v_cmp_ne_u16_sdwa s[8:9], v6, v12 src0_sel:BYTE_0 src1_sel:DWORD
	s_andn2_b64 s[4:5], s[4:5], exec
	s_and_b64 s[8:9], s[8:9], exec
	s_or_b64 s[4:5], s[4:5], s[8:9]
	s_or_b64 exec, exec, s[6:7]
	s_and_saveexec_b64 s[6:7], s[4:5]
	s_cbranch_execnz .LBB9_1839
	s_branch .LBB9_1840
.LBB9_3889:
	s_movk_i32 s4, 0x80
	v_cmp_eq_u16_e32 vcc, s4, v6
	s_mov_b64 s[4:5], -1
                                        ; implicit-def: $sgpr10
	s_and_saveexec_b64 s[8:9], vcc
; %bb.3890:
	s_mov_b32 s10, 0x7f800001
	s_xor_b64 s[4:5], exec, -1
; %bb.3891:
	s_or_b64 exec, exec, s[8:9]
	s_and_b64 s[4:5], s[4:5], exec
                                        ; implicit-def: $vgpr6
	s_or_saveexec_b64 s[6:7], s[6:7]
	v_mov_b32_e32 v2, s10
	s_xor_b64 exec, exec, s[6:7]
	s_cbranch_execz .LBB9_1842
.LBB9_3892:
	v_cmp_ne_u16_e32 vcc, 0, v6
	s_andn2_b64 s[4:5], s[4:5], exec
	s_and_b64 s[8:9], vcc, exec
	v_mov_b32_e32 v2, 0
	s_or_b64 s[4:5], s[4:5], s[8:9]
	s_or_b64 exec, exec, s[6:7]
	s_and_saveexec_b64 s[6:7], s[4:5]
	s_cbranch_execnz .LBB9_1843
	s_branch .LBB9_1844
.LBB9_3893:
	s_movk_i32 s4, 0x80
	v_cmp_eq_u16_e32 vcc, s4, v6
	s_mov_b64 s[4:5], -1
                                        ; implicit-def: $sgpr10
	s_and_saveexec_b64 s[8:9], vcc
; %bb.3894:
	s_mov_b32 s10, 0x7f800001
	s_xor_b64 s[4:5], exec, -1
; %bb.3895:
	s_or_b64 exec, exec, s[8:9]
	s_and_b64 s[4:5], s[4:5], exec
                                        ; implicit-def: $vgpr6
	s_or_saveexec_b64 s[6:7], s[6:7]
	v_mov_b32_e32 v12, s10
	s_xor_b64 exec, exec, s[6:7]
	s_cbranch_execz .LBB9_1846
.LBB9_3896:
	v_cmp_ne_u16_e32 vcc, 0, v6
	s_andn2_b64 s[4:5], s[4:5], exec
	s_and_b64 s[8:9], vcc, exec
	v_mov_b32_e32 v12, 0
	s_or_b64 s[4:5], s[4:5], s[8:9]
	s_or_b64 exec, exec, s[6:7]
	s_and_saveexec_b64 s[6:7], s[4:5]
	s_cbranch_execnz .LBB9_1847
	s_branch .LBB9_1848
.LBB9_3897:
	s_movk_i32 s4, 0x80
	v_cmp_eq_u16_sdwa s[12:13], v7, s4 src0_sel:BYTE_3 src1_sel:DWORD
	s_mov_b64 s[4:5], -1
                                        ; implicit-def: $sgpr10
	s_and_saveexec_b64 s[8:9], s[12:13]
; %bb.3898:
	s_mov_b32 s10, 0x7f800001
	s_xor_b64 s[4:5], exec, -1
; %bb.3899:
	s_or_b64 exec, exec, s[8:9]
	s_and_b64 s[4:5], s[4:5], exec
	s_or_saveexec_b64 s[6:7], s[6:7]
	v_mov_b32_e32 v2, s10
	s_xor_b64 exec, exec, s[6:7]
	s_cbranch_execz .LBB9_1850
.LBB9_3900:
	v_mov_b32_e32 v2, 0
	v_cmp_ne_u16_sdwa s[8:9], v7, v2 src0_sel:BYTE_3 src1_sel:DWORD
	s_andn2_b64 s[4:5], s[4:5], exec
	s_and_b64 s[8:9], s[8:9], exec
	s_or_b64 s[4:5], s[4:5], s[8:9]
	s_or_b64 exec, exec, s[6:7]
	s_and_saveexec_b64 s[6:7], s[4:5]
	s_cbranch_execnz .LBB9_1851
	s_branch .LBB9_1852
.LBB9_3901:
	s_movk_i32 s4, 0x80
	v_cmp_eq_u16_sdwa s[12:13], v3, s4 src0_sel:BYTE_3 src1_sel:DWORD
	s_mov_b64 s[4:5], -1
                                        ; implicit-def: $sgpr10
	s_and_saveexec_b64 s[8:9], s[12:13]
; %bb.3902:
	s_mov_b32 s10, 0x7f800001
	s_xor_b64 s[4:5], exec, -1
; %bb.3903:
	s_or_b64 exec, exec, s[8:9]
	s_and_b64 s[4:5], s[4:5], exec
	s_or_saveexec_b64 s[6:7], s[6:7]
	v_mov_b32_e32 v6, s10
	s_xor_b64 exec, exec, s[6:7]
	s_cbranch_execz .LBB9_1854
.LBB9_3904:
	v_mov_b32_e32 v6, 0
	v_cmp_ne_u16_sdwa s[8:9], v3, v6 src0_sel:BYTE_3 src1_sel:DWORD
	s_andn2_b64 s[4:5], s[4:5], exec
	s_and_b64 s[8:9], s[8:9], exec
	s_or_b64 s[4:5], s[4:5], s[8:9]
	s_or_b64 exec, exec, s[6:7]
	s_and_saveexec_b64 s[6:7], s[4:5]
	s_cbranch_execnz .LBB9_1855
	s_branch .LBB9_1856
.LBB9_3905:
	s_movk_i32 s4, 0x80
	v_cmp_eq_u16_sdwa s[12:13], v8, s4 src0_sel:BYTE_0 src1_sel:DWORD
	s_mov_b64 s[4:5], -1
                                        ; implicit-def: $sgpr10
	s_and_saveexec_b64 s[8:9], s[12:13]
; %bb.3906:
	s_mov_b32 s10, 0x7f800001
	s_xor_b64 s[4:5], exec, -1
; %bb.3907:
	s_or_b64 exec, exec, s[8:9]
	s_and_b64 s[4:5], s[4:5], exec
	s_or_saveexec_b64 s[6:7], s[6:7]
	v_mov_b32_e32 v2, s10
	s_xor_b64 exec, exec, s[6:7]
	s_cbranch_execz .LBB9_1858
.LBB9_3908:
	v_mov_b32_e32 v2, 0
	v_cmp_ne_u16_sdwa s[8:9], v8, v2 src0_sel:BYTE_0 src1_sel:DWORD
	s_andn2_b64 s[4:5], s[4:5], exec
	s_and_b64 s[8:9], s[8:9], exec
	s_or_b64 s[4:5], s[4:5], s[8:9]
	s_or_b64 exec, exec, s[6:7]
	s_and_saveexec_b64 s[6:7], s[4:5]
	s_cbranch_execnz .LBB9_1859
	s_branch .LBB9_1860
.LBB9_3909:
	s_movk_i32 s4, 0x80
	v_cmp_eq_u16_sdwa s[12:13], v4, s4 src0_sel:BYTE_0 src1_sel:DWORD
	s_mov_b64 s[4:5], -1
                                        ; implicit-def: $sgpr10
	s_and_saveexec_b64 s[8:9], s[12:13]
; %bb.3910:
	s_mov_b32 s10, 0x7f800001
	s_xor_b64 s[4:5], exec, -1
; %bb.3911:
	s_or_b64 exec, exec, s[8:9]
	s_and_b64 s[4:5], s[4:5], exec
	s_or_saveexec_b64 s[6:7], s[6:7]
	v_mov_b32_e32 v3, s10
	s_xor_b64 exec, exec, s[6:7]
	s_cbranch_execz .LBB9_1862
.LBB9_3912:
	v_mov_b32_e32 v3, 0
	v_cmp_ne_u16_sdwa s[8:9], v4, v3 src0_sel:BYTE_0 src1_sel:DWORD
	s_andn2_b64 s[4:5], s[4:5], exec
	s_and_b64 s[8:9], s[8:9], exec
	s_or_b64 s[4:5], s[4:5], s[8:9]
	s_or_b64 exec, exec, s[6:7]
	s_and_saveexec_b64 s[6:7], s[4:5]
	s_cbranch_execnz .LBB9_1863
	s_branch .LBB9_1864
.LBB9_3913:
	s_movk_i32 s4, 0x80
	v_cmp_eq_u16_sdwa s[12:13], v3, s4 src0_sel:BYTE_0 src1_sel:DWORD
	s_mov_b64 s[4:5], -1
                                        ; implicit-def: $sgpr10
	s_and_saveexec_b64 s[8:9], s[12:13]
; %bb.3914:
	s_mov_b32 s10, 0x7f800001
	s_xor_b64 s[4:5], exec, -1
; %bb.3915:
	s_or_b64 exec, exec, s[8:9]
	s_and_b64 s[4:5], s[4:5], exec
	s_or_saveexec_b64 s[6:7], s[6:7]
	v_mov_b32_e32 v2, s10
	s_xor_b64 exec, exec, s[6:7]
	s_cbranch_execz .LBB9_1866
.LBB9_3916:
	v_mov_b32_e32 v2, 0
	v_cmp_ne_u16_sdwa s[8:9], v3, v2 src0_sel:BYTE_0 src1_sel:DWORD
	s_andn2_b64 s[4:5], s[4:5], exec
	s_and_b64 s[8:9], s[8:9], exec
	s_or_b64 s[4:5], s[4:5], s[8:9]
	s_or_b64 exec, exec, s[6:7]
	s_and_saveexec_b64 s[6:7], s[4:5]
	s_cbranch_execnz .LBB9_1867
	s_branch .LBB9_1868
.LBB9_3917:
	s_movk_i32 s4, 0x80
	v_cmp_eq_u16_sdwa s[12:13], v3, s4 src0_sel:BYTE_0 src1_sel:DWORD
	s_mov_b64 s[4:5], -1
                                        ; implicit-def: $sgpr10
	s_and_saveexec_b64 s[8:9], s[12:13]
; %bb.3918:
	s_mov_b32 s10, 0x7f800001
	s_xor_b64 s[4:5], exec, -1
; %bb.3919:
	s_or_b64 exec, exec, s[8:9]
	s_and_b64 s[4:5], s[4:5], exec
	s_or_saveexec_b64 s[6:7], s[6:7]
	v_mov_b32_e32 v6, s10
	s_xor_b64 exec, exec, s[6:7]
	s_cbranch_execz .LBB9_1870
.LBB9_3920:
	v_mov_b32_e32 v6, 0
	v_cmp_ne_u16_sdwa s[8:9], v3, v6 src0_sel:BYTE_0 src1_sel:DWORD
	s_andn2_b64 s[4:5], s[4:5], exec
	s_and_b64 s[8:9], s[8:9], exec
	s_or_b64 s[4:5], s[4:5], s[8:9]
	s_or_b64 exec, exec, s[6:7]
	s_and_saveexec_b64 s[6:7], s[4:5]
	s_cbranch_execnz .LBB9_1871
	s_branch .LBB9_1872
.LBB9_3921:
	s_movk_i32 s4, 0x80
	v_cmp_eq_u16_e32 vcc, s4, v3
	s_mov_b64 s[4:5], -1
                                        ; implicit-def: $sgpr10
	s_and_saveexec_b64 s[8:9], vcc
; %bb.3922:
	s_mov_b32 s10, 0x7f800001
	s_xor_b64 s[4:5], exec, -1
; %bb.3923:
	s_or_b64 exec, exec, s[8:9]
	s_and_b64 s[4:5], s[4:5], exec
                                        ; implicit-def: $vgpr3
	s_or_saveexec_b64 s[6:7], s[6:7]
	v_mov_b32_e32 v2, s10
	s_xor_b64 exec, exec, s[6:7]
	s_cbranch_execz .LBB9_1874
.LBB9_3924:
	v_cmp_ne_u16_e32 vcc, 0, v3
	s_andn2_b64 s[4:5], s[4:5], exec
	s_and_b64 s[8:9], vcc, exec
	v_mov_b32_e32 v2, 0
	s_or_b64 s[4:5], s[4:5], s[8:9]
	s_or_b64 exec, exec, s[6:7]
	s_and_saveexec_b64 s[6:7], s[4:5]
	s_cbranch_execnz .LBB9_1875
	s_branch .LBB9_1876
.LBB9_3925:
	s_movk_i32 s4, 0x80
	v_cmp_eq_u16_e32 vcc, s4, v3
	s_mov_b64 s[4:5], -1
                                        ; implicit-def: $sgpr10
	s_and_saveexec_b64 s[8:9], vcc
; %bb.3926:
	s_mov_b32 s10, 0x7f800001
	s_xor_b64 s[4:5], exec, -1
; %bb.3927:
	s_or_b64 exec, exec, s[8:9]
	s_and_b64 s[4:5], s[4:5], exec
                                        ; implicit-def: $vgpr3
	s_or_saveexec_b64 s[6:7], s[6:7]
	v_mov_b32_e32 v6, s10
	s_xor_b64 exec, exec, s[6:7]
	s_cbranch_execz .LBB9_1878
.LBB9_3928:
	v_cmp_ne_u16_e32 vcc, 0, v3
	s_andn2_b64 s[4:5], s[4:5], exec
	s_and_b64 s[8:9], vcc, exec
	v_mov_b32_e32 v6, 0
	s_or_b64 s[4:5], s[4:5], s[8:9]
	s_or_b64 exec, exec, s[6:7]
	s_and_saveexec_b64 s[6:7], s[4:5]
	s_cbranch_execnz .LBB9_1879
	s_branch .LBB9_1880
.LBB9_3929:
	s_movk_i32 s4, 0x80
	v_cmp_eq_u16_sdwa s[12:13], v8, s4 src0_sel:BYTE_3 src1_sel:DWORD
	s_mov_b64 s[4:5], -1
                                        ; implicit-def: $sgpr10
	s_and_saveexec_b64 s[8:9], s[12:13]
; %bb.3930:
	s_mov_b32 s10, 0x7f800001
	s_xor_b64 s[4:5], exec, -1
; %bb.3931:
	s_or_b64 exec, exec, s[8:9]
	s_and_b64 s[4:5], s[4:5], exec
	s_or_saveexec_b64 s[6:7], s[6:7]
	v_mov_b32_e32 v2, s10
	s_xor_b64 exec, exec, s[6:7]
	s_cbranch_execz .LBB9_1882
.LBB9_3932:
	v_mov_b32_e32 v2, 0
	v_cmp_ne_u16_sdwa s[8:9], v8, v2 src0_sel:BYTE_3 src1_sel:DWORD
	s_andn2_b64 s[4:5], s[4:5], exec
	s_and_b64 s[8:9], s[8:9], exec
	s_or_b64 s[4:5], s[4:5], s[8:9]
	s_or_b64 exec, exec, s[6:7]
	s_and_saveexec_b64 s[6:7], s[4:5]
	s_cbranch_execnz .LBB9_1883
	s_branch .LBB9_1884
.LBB9_3933:
	s_movk_i32 s4, 0x80
	v_cmp_eq_u16_sdwa s[12:13], v4, s4 src0_sel:BYTE_3 src1_sel:DWORD
	s_mov_b64 s[4:5], -1
                                        ; implicit-def: $sgpr10
	s_and_saveexec_b64 s[8:9], s[12:13]
; %bb.3934:
	s_mov_b32 s10, 0x7f800001
	s_xor_b64 s[4:5], exec, -1
; %bb.3935:
	s_or_b64 exec, exec, s[8:9]
	s_and_b64 s[4:5], s[4:5], exec
	s_or_saveexec_b64 s[6:7], s[6:7]
	v_mov_b32_e32 v3, s10
	s_xor_b64 exec, exec, s[6:7]
	s_cbranch_execz .LBB9_1886
.LBB9_3936:
	v_mov_b32_e32 v3, 0
	v_cmp_ne_u16_sdwa s[8:9], v4, v3 src0_sel:BYTE_3 src1_sel:DWORD
	s_andn2_b64 s[4:5], s[4:5], exec
	s_and_b64 s[8:9], s[8:9], exec
	s_or_b64 s[4:5], s[4:5], s[8:9]
	s_or_b64 exec, exec, s[6:7]
	s_and_saveexec_b64 s[6:7], s[4:5]
	s_cbranch_execnz .LBB9_1887
	s_branch .LBB9_1888
.LBB9_3937:
	s_movk_i32 s4, 0x80
	v_cmp_eq_u16_sdwa s[12:13], v9, s4 src0_sel:BYTE_0 src1_sel:DWORD
	s_mov_b64 s[4:5], -1
                                        ; implicit-def: $sgpr10
	s_and_saveexec_b64 s[8:9], s[12:13]
; %bb.3938:
	s_mov_b32 s10, 0x7f800001
	s_xor_b64 s[4:5], exec, -1
; %bb.3939:
	s_or_b64 exec, exec, s[8:9]
	s_and_b64 s[4:5], s[4:5], exec
	s_or_saveexec_b64 s[6:7], s[6:7]
	v_mov_b32_e32 v2, s10
	s_xor_b64 exec, exec, s[6:7]
	s_cbranch_execz .LBB9_1890
.LBB9_3940:
	v_mov_b32_e32 v2, 0
	v_cmp_ne_u16_sdwa s[8:9], v9, v2 src0_sel:BYTE_0 src1_sel:DWORD
	s_andn2_b64 s[4:5], s[4:5], exec
	s_and_b64 s[8:9], s[8:9], exec
	s_or_b64 s[4:5], s[4:5], s[8:9]
	s_or_b64 exec, exec, s[6:7]
	s_and_saveexec_b64 s[6:7], s[4:5]
	s_cbranch_execnz .LBB9_1891
	s_branch .LBB9_1892
.LBB9_3941:
	s_movk_i32 s4, 0x80
	v_cmp_eq_u16_sdwa s[12:13], v5, s4 src0_sel:BYTE_0 src1_sel:DWORD
	s_mov_b64 s[4:5], -1
                                        ; implicit-def: $sgpr10
	s_and_saveexec_b64 s[8:9], s[12:13]
; %bb.3942:
	s_mov_b32 s10, 0x7f800001
	s_xor_b64 s[4:5], exec, -1
; %bb.3943:
	s_or_b64 exec, exec, s[8:9]
	s_and_b64 s[4:5], s[4:5], exec
	s_or_saveexec_b64 s[6:7], s[6:7]
	v_mov_b32_e32 v3, s10
	s_xor_b64 exec, exec, s[6:7]
	s_cbranch_execz .LBB9_1894
.LBB9_3944:
	v_mov_b32_e32 v3, 0
	v_cmp_ne_u16_sdwa s[8:9], v5, v3 src0_sel:BYTE_0 src1_sel:DWORD
	s_andn2_b64 s[4:5], s[4:5], exec
	s_and_b64 s[8:9], s[8:9], exec
	s_or_b64 s[4:5], s[4:5], s[8:9]
	s_or_b64 exec, exec, s[6:7]
	s_and_saveexec_b64 s[6:7], s[4:5]
	s_cbranch_execnz .LBB9_1895
	s_branch .LBB9_1896
.LBB9_3945:
	s_movk_i32 s4, 0x80
	v_cmp_eq_u16_sdwa s[12:13], v3, s4 src0_sel:BYTE_0 src1_sel:DWORD
	s_mov_b64 s[4:5], -1
                                        ; implicit-def: $sgpr10
	s_and_saveexec_b64 s[8:9], s[12:13]
; %bb.3946:
	s_mov_b32 s10, 0x7f800001
	s_xor_b64 s[4:5], exec, -1
; %bb.3947:
	s_or_b64 exec, exec, s[8:9]
	s_and_b64 s[4:5], s[4:5], exec
	s_or_saveexec_b64 s[6:7], s[6:7]
	v_mov_b32_e32 v2, s10
	s_xor_b64 exec, exec, s[6:7]
	s_cbranch_execz .LBB9_1898
.LBB9_3948:
	v_mov_b32_e32 v2, 0
	v_cmp_ne_u16_sdwa s[8:9], v3, v2 src0_sel:BYTE_0 src1_sel:DWORD
	s_andn2_b64 s[4:5], s[4:5], exec
	s_and_b64 s[8:9], s[8:9], exec
	s_or_b64 s[4:5], s[4:5], s[8:9]
	s_or_b64 exec, exec, s[6:7]
	s_and_saveexec_b64 s[6:7], s[4:5]
	s_cbranch_execnz .LBB9_1899
	s_branch .LBB9_1900
.LBB9_3949:
	s_movk_i32 s4, 0x80
	v_cmp_eq_u16_sdwa s[12:13], v3, s4 src0_sel:BYTE_0 src1_sel:DWORD
	s_mov_b64 s[4:5], -1
                                        ; implicit-def: $sgpr10
	s_and_saveexec_b64 s[8:9], s[12:13]
; %bb.3950:
	s_mov_b32 s10, 0x7f800001
	s_xor_b64 s[4:5], exec, -1
; %bb.3951:
	s_or_b64 exec, exec, s[8:9]
	s_and_b64 s[4:5], s[4:5], exec
	s_or_saveexec_b64 s[6:7], s[6:7]
	v_mov_b32_e32 v4, s10
	s_xor_b64 exec, exec, s[6:7]
	s_cbranch_execz .LBB9_1902
.LBB9_3952:
	v_mov_b32_e32 v4, 0
	v_cmp_ne_u16_sdwa s[8:9], v3, v4 src0_sel:BYTE_0 src1_sel:DWORD
	s_andn2_b64 s[4:5], s[4:5], exec
	s_and_b64 s[8:9], s[8:9], exec
	s_or_b64 s[4:5], s[4:5], s[8:9]
	s_or_b64 exec, exec, s[6:7]
	s_and_saveexec_b64 s[6:7], s[4:5]
	s_cbranch_execnz .LBB9_1903
	s_branch .LBB9_1904
.LBB9_3953:
	s_movk_i32 s4, 0x80
	v_cmp_eq_u16_e32 vcc, s4, v3
	s_mov_b64 s[4:5], -1
                                        ; implicit-def: $sgpr10
	s_and_saveexec_b64 s[8:9], vcc
; %bb.3954:
	s_mov_b32 s10, 0x7f800001
	s_xor_b64 s[4:5], exec, -1
; %bb.3955:
	s_or_b64 exec, exec, s[8:9]
	s_and_b64 s[4:5], s[4:5], exec
                                        ; implicit-def: $vgpr3
	s_or_saveexec_b64 s[6:7], s[6:7]
	v_mov_b32_e32 v2, s10
	s_xor_b64 exec, exec, s[6:7]
	s_cbranch_execz .LBB9_1906
.LBB9_3956:
	v_cmp_ne_u16_e32 vcc, 0, v3
	s_andn2_b64 s[4:5], s[4:5], exec
	s_and_b64 s[8:9], vcc, exec
	v_mov_b32_e32 v2, 0
	s_or_b64 s[4:5], s[4:5], s[8:9]
	s_or_b64 exec, exec, s[6:7]
	s_and_saveexec_b64 s[6:7], s[4:5]
	s_cbranch_execnz .LBB9_1907
	s_branch .LBB9_1908
.LBB9_3957:
	s_movk_i32 s4, 0x80
	v_cmp_eq_u16_e32 vcc, s4, v3
	s_mov_b64 s[4:5], -1
                                        ; implicit-def: $sgpr10
	s_and_saveexec_b64 s[8:9], vcc
; %bb.3958:
	s_mov_b32 s10, 0x7f800001
	s_xor_b64 s[4:5], exec, -1
; %bb.3959:
	s_or_b64 exec, exec, s[8:9]
	s_and_b64 s[4:5], s[4:5], exec
                                        ; implicit-def: $vgpr3
	s_or_saveexec_b64 s[6:7], s[6:7]
	v_mov_b32_e32 v4, s10
	s_xor_b64 exec, exec, s[6:7]
	s_cbranch_execz .LBB9_1910
.LBB9_3960:
	v_cmp_ne_u16_e32 vcc, 0, v3
	s_andn2_b64 s[4:5], s[4:5], exec
	s_and_b64 s[8:9], vcc, exec
	v_mov_b32_e32 v4, 0
	s_or_b64 s[4:5], s[4:5], s[8:9]
	s_or_b64 exec, exec, s[6:7]
	s_and_saveexec_b64 s[6:7], s[4:5]
	s_cbranch_execnz .LBB9_1911
	s_branch .LBB9_1912
.LBB9_3961:
	s_movk_i32 s4, 0x80
	v_cmp_eq_u16_sdwa s[12:13], v9, s4 src0_sel:BYTE_3 src1_sel:DWORD
	s_mov_b64 s[4:5], -1
                                        ; implicit-def: $sgpr10
	s_and_saveexec_b64 s[8:9], s[12:13]
; %bb.3962:
	s_mov_b32 s10, 0x7f800001
	s_xor_b64 s[4:5], exec, -1
; %bb.3963:
	s_or_b64 exec, exec, s[8:9]
	s_and_b64 s[4:5], s[4:5], exec
	s_or_saveexec_b64 s[6:7], s[6:7]
	v_mov_b32_e32 v2, s10
	s_xor_b64 exec, exec, s[6:7]
	s_cbranch_execz .LBB9_1914
.LBB9_3964:
	v_mov_b32_e32 v2, 0
	v_cmp_ne_u16_sdwa s[8:9], v9, v2 src0_sel:BYTE_3 src1_sel:DWORD
	s_andn2_b64 s[4:5], s[4:5], exec
	s_and_b64 s[8:9], s[8:9], exec
	s_or_b64 s[4:5], s[4:5], s[8:9]
	s_or_b64 exec, exec, s[6:7]
	s_and_saveexec_b64 s[6:7], s[4:5]
	s_cbranch_execnz .LBB9_1915
	s_branch .LBB9_1916
.LBB9_3965:
	s_movk_i32 s4, 0x80
	v_cmp_eq_u16_sdwa s[12:13], v5, s4 src0_sel:BYTE_3 src1_sel:DWORD
	s_mov_b64 s[4:5], -1
                                        ; implicit-def: $sgpr10
	s_and_saveexec_b64 s[8:9], s[12:13]
; %bb.3966:
	s_mov_b32 s10, 0x7f800001
	s_xor_b64 s[4:5], exec, -1
; %bb.3967:
	s_or_b64 exec, exec, s[8:9]
	s_and_b64 s[4:5], s[4:5], exec
	s_or_saveexec_b64 s[6:7], s[6:7]
	v_mov_b32_e32 v3, s10
	s_xor_b64 exec, exec, s[6:7]
	s_cbranch_execz .LBB9_1918
.LBB9_3968:
	v_mov_b32_e32 v3, 0
	v_cmp_ne_u16_sdwa s[8:9], v5, v3 src0_sel:BYTE_3 src1_sel:DWORD
	s_andn2_b64 s[4:5], s[4:5], exec
	s_and_b64 s[8:9], s[8:9], exec
	s_or_b64 s[4:5], s[4:5], s[8:9]
	s_or_b64 exec, exec, s[6:7]
	s_and_saveexec_b64 s[6:7], s[4:5]
	s_cbranch_execnz .LBB9_1919
	s_branch .LBB9_1920
.LBB9_3969:
	s_movk_i32 s4, 0x80
	v_cmp_eq_u16_sdwa s[12:13], v6, s4 src0_sel:BYTE_0 src1_sel:DWORD
	s_mov_b64 s[4:5], -1
                                        ; implicit-def: $sgpr10
	s_and_saveexec_b64 s[8:9], s[12:13]
; %bb.3970:
	s_mov_b32 s10, 0x7f800001
	s_xor_b64 s[4:5], exec, -1
; %bb.3971:
	s_or_b64 exec, exec, s[8:9]
	s_and_b64 s[4:5], s[4:5], exec
	s_or_saveexec_b64 s[6:7], s[6:7]
	v_mov_b32_e32 v10, s10
	s_xor_b64 exec, exec, s[6:7]
	s_cbranch_execz .LBB9_1922
.LBB9_3972:
	v_mov_b32_e32 v10, 0
	v_cmp_ne_u16_sdwa s[8:9], v6, v10 src0_sel:BYTE_0 src1_sel:DWORD
	s_andn2_b64 s[4:5], s[4:5], exec
	s_and_b64 s[8:9], s[8:9], exec
	s_or_b64 s[4:5], s[4:5], s[8:9]
	s_or_b64 exec, exec, s[6:7]
	s_and_saveexec_b64 s[6:7], s[4:5]
	s_cbranch_execnz .LBB9_1923
	s_branch .LBB9_1924
.LBB9_3973:
	s_movk_i32 s4, 0x80
	v_cmp_eq_u16_sdwa s[12:13], v2, s4 src0_sel:BYTE_0 src1_sel:DWORD
	s_mov_b64 s[4:5], -1
                                        ; implicit-def: $sgpr10
	s_and_saveexec_b64 s[8:9], s[12:13]
; %bb.3974:
	s_mov_b32 s10, 0x7f800001
	s_xor_b64 s[4:5], exec, -1
; %bb.3975:
	s_or_b64 exec, exec, s[8:9]
	s_and_b64 s[4:5], s[4:5], exec
	s_or_saveexec_b64 s[6:7], s[6:7]
	v_mov_b32_e32 v11, s10
	s_xor_b64 exec, exec, s[6:7]
	s_cbranch_execz .LBB9_1926
.LBB9_3976:
	v_mov_b32_e32 v11, 0
	v_cmp_ne_u16_sdwa s[8:9], v2, v11 src0_sel:BYTE_0 src1_sel:DWORD
	s_andn2_b64 s[4:5], s[4:5], exec
	s_and_b64 s[8:9], s[8:9], exec
	s_or_b64 s[4:5], s[4:5], s[8:9]
	s_or_b64 exec, exec, s[6:7]
	s_and_saveexec_b64 s[6:7], s[4:5]
	s_cbranch_execnz .LBB9_1927
	s_branch .LBB9_1928
.LBB9_3977:
	s_movk_i32 s4, 0x80
	v_cmp_eq_u16_sdwa s[12:13], v11, s4 src0_sel:BYTE_0 src1_sel:DWORD
	s_mov_b64 s[4:5], -1
                                        ; implicit-def: $sgpr10
	s_and_saveexec_b64 s[8:9], s[12:13]
; %bb.3978:
	s_mov_b32 s10, 0x7f800001
	s_xor_b64 s[4:5], exec, -1
; %bb.3979:
	s_or_b64 exec, exec, s[8:9]
	s_and_b64 s[4:5], s[4:5], exec
	s_or_saveexec_b64 s[6:7], s[6:7]
	v_mov_b32_e32 v10, s10
	s_xor_b64 exec, exec, s[6:7]
	s_cbranch_execz .LBB9_1930
.LBB9_3980:
	v_mov_b32_e32 v10, 0
	v_cmp_ne_u16_sdwa s[8:9], v11, v10 src0_sel:BYTE_0 src1_sel:DWORD
	s_andn2_b64 s[4:5], s[4:5], exec
	s_and_b64 s[8:9], s[8:9], exec
	s_or_b64 s[4:5], s[4:5], s[8:9]
	s_or_b64 exec, exec, s[6:7]
	s_and_saveexec_b64 s[6:7], s[4:5]
	s_cbranch_execnz .LBB9_1931
	s_branch .LBB9_1932
.LBB9_3981:
	s_movk_i32 s4, 0x80
	v_cmp_eq_u16_sdwa s[12:13], v11, s4 src0_sel:BYTE_0 src1_sel:DWORD
	s_mov_b64 s[4:5], -1
                                        ; implicit-def: $sgpr10
	s_and_saveexec_b64 s[8:9], s[12:13]
; %bb.3982:
	s_mov_b32 s10, 0x7f800001
	s_xor_b64 s[4:5], exec, -1
; %bb.3983:
	s_or_b64 exec, exec, s[8:9]
	s_and_b64 s[4:5], s[4:5], exec
	s_or_saveexec_b64 s[6:7], s[6:7]
	v_mov_b32_e32 v12, s10
	s_xor_b64 exec, exec, s[6:7]
	s_cbranch_execz .LBB9_1934
.LBB9_3984:
	v_mov_b32_e32 v12, 0
	v_cmp_ne_u16_sdwa s[8:9], v11, v12 src0_sel:BYTE_0 src1_sel:DWORD
	s_andn2_b64 s[4:5], s[4:5], exec
	s_and_b64 s[8:9], s[8:9], exec
	s_or_b64 s[4:5], s[4:5], s[8:9]
	s_or_b64 exec, exec, s[6:7]
	s_and_saveexec_b64 s[6:7], s[4:5]
	s_cbranch_execnz .LBB9_1935
	s_branch .LBB9_1936
.LBB9_3985:
	s_movk_i32 s4, 0x80
	v_cmp_eq_u16_e32 vcc, s4, v11
	s_mov_b64 s[4:5], -1
                                        ; implicit-def: $sgpr10
	s_and_saveexec_b64 s[8:9], vcc
; %bb.3986:
	s_mov_b32 s10, 0x7f800001
	s_xor_b64 s[4:5], exec, -1
; %bb.3987:
	s_or_b64 exec, exec, s[8:9]
	s_and_b64 s[4:5], s[4:5], exec
                                        ; implicit-def: $vgpr11
	s_or_saveexec_b64 s[6:7], s[6:7]
	v_mov_b32_e32 v10, s10
	s_xor_b64 exec, exec, s[6:7]
	s_cbranch_execz .LBB9_1938
.LBB9_3988:
	v_cmp_ne_u16_e32 vcc, 0, v11
	s_andn2_b64 s[4:5], s[4:5], exec
	s_and_b64 s[8:9], vcc, exec
	v_mov_b32_e32 v10, 0
	s_or_b64 s[4:5], s[4:5], s[8:9]
	s_or_b64 exec, exec, s[6:7]
	s_and_saveexec_b64 s[6:7], s[4:5]
	s_cbranch_execnz .LBB9_1939
	s_branch .LBB9_1940
.LBB9_3989:
	s_movk_i32 s4, 0x80
	v_cmp_eq_u16_e32 vcc, s4, v11
	s_mov_b64 s[4:5], -1
                                        ; implicit-def: $sgpr10
	s_and_saveexec_b64 s[8:9], vcc
; %bb.3990:
	s_mov_b32 s10, 0x7f800001
	s_xor_b64 s[4:5], exec, -1
; %bb.3991:
	s_or_b64 exec, exec, s[8:9]
	s_and_b64 s[4:5], s[4:5], exec
                                        ; implicit-def: $vgpr11
	s_or_saveexec_b64 s[6:7], s[6:7]
	v_mov_b32_e32 v12, s10
	s_xor_b64 exec, exec, s[6:7]
	s_cbranch_execz .LBB9_1942
.LBB9_3992:
	v_cmp_ne_u16_e32 vcc, 0, v11
	s_andn2_b64 s[4:5], s[4:5], exec
	s_and_b64 s[8:9], vcc, exec
	v_mov_b32_e32 v12, 0
	s_or_b64 s[4:5], s[4:5], s[8:9]
	s_or_b64 exec, exec, s[6:7]
	s_and_saveexec_b64 s[6:7], s[4:5]
	s_cbranch_execnz .LBB9_1943
	s_branch .LBB9_1944
.LBB9_3993:
	s_movk_i32 s4, 0x80
	v_cmp_eq_u16_sdwa s[12:13], v6, s4 src0_sel:BYTE_3 src1_sel:DWORD
	s_mov_b64 s[4:5], -1
                                        ; implicit-def: $sgpr10
	s_and_saveexec_b64 s[8:9], s[12:13]
; %bb.3994:
	s_mov_b32 s10, 0x7f800001
	s_xor_b64 s[4:5], exec, -1
; %bb.3995:
	s_or_b64 exec, exec, s[8:9]
	s_and_b64 s[4:5], s[4:5], exec
	s_or_saveexec_b64 s[6:7], s[6:7]
	v_mov_b32_e32 v10, s10
	s_xor_b64 exec, exec, s[6:7]
	s_cbranch_execz .LBB9_1946
.LBB9_3996:
	v_mov_b32_e32 v10, 0
	v_cmp_ne_u16_sdwa s[8:9], v6, v10 src0_sel:BYTE_3 src1_sel:DWORD
	s_andn2_b64 s[4:5], s[4:5], exec
	s_and_b64 s[8:9], s[8:9], exec
	s_or_b64 s[4:5], s[4:5], s[8:9]
	s_or_b64 exec, exec, s[6:7]
	s_and_saveexec_b64 s[6:7], s[4:5]
	s_cbranch_execnz .LBB9_1947
	s_branch .LBB9_1948
.LBB9_3997:
	s_movk_i32 s4, 0x80
	v_cmp_eq_u16_sdwa s[12:13], v2, s4 src0_sel:BYTE_3 src1_sel:DWORD
	s_mov_b64 s[4:5], -1
                                        ; implicit-def: $sgpr10
	s_and_saveexec_b64 s[8:9], s[12:13]
; %bb.3998:
	s_mov_b32 s10, 0x7f800001
	s_xor_b64 s[4:5], exec, -1
; %bb.3999:
	s_or_b64 exec, exec, s[8:9]
	s_and_b64 s[4:5], s[4:5], exec
	s_or_saveexec_b64 s[6:7], s[6:7]
	v_mov_b32_e32 v6, s10
	s_xor_b64 exec, exec, s[6:7]
	s_cbranch_execz .LBB9_1950
.LBB9_4000:
	v_mov_b32_e32 v6, 0
	v_cmp_ne_u16_sdwa s[8:9], v2, v6 src0_sel:BYTE_3 src1_sel:DWORD
	s_andn2_b64 s[4:5], s[4:5], exec
	s_and_b64 s[8:9], s[8:9], exec
	s_or_b64 s[4:5], s[4:5], s[8:9]
	s_or_b64 exec, exec, s[6:7]
	s_and_saveexec_b64 s[6:7], s[4:5]
	s_cbranch_execnz .LBB9_1951
	s_branch .LBB9_1952
.LBB9_4001:
	s_movk_i32 s4, 0x80
	v_cmp_eq_u16_sdwa s[12:13], v7, s4 src0_sel:BYTE_0 src1_sel:DWORD
	s_mov_b64 s[4:5], -1
                                        ; implicit-def: $sgpr10
	s_and_saveexec_b64 s[8:9], s[12:13]
; %bb.4002:
	s_mov_b32 s10, 0x7f800001
	s_xor_b64 s[4:5], exec, -1
; %bb.4003:
	s_or_b64 exec, exec, s[8:9]
	s_and_b64 s[4:5], s[4:5], exec
	s_or_saveexec_b64 s[6:7], s[6:7]
	v_mov_b32_e32 v2, s10
	s_xor_b64 exec, exec, s[6:7]
	s_cbranch_execz .LBB9_1954
.LBB9_4004:
	v_mov_b32_e32 v2, 0
	v_cmp_ne_u16_sdwa s[8:9], v7, v2 src0_sel:BYTE_0 src1_sel:DWORD
	s_andn2_b64 s[4:5], s[4:5], exec
	s_and_b64 s[8:9], s[8:9], exec
	s_or_b64 s[4:5], s[4:5], s[8:9]
	s_or_b64 exec, exec, s[6:7]
	s_and_saveexec_b64 s[6:7], s[4:5]
	s_cbranch_execnz .LBB9_1955
	s_branch .LBB9_1956
.LBB9_4005:
	s_movk_i32 s4, 0x80
	v_cmp_eq_u16_sdwa s[12:13], v3, s4 src0_sel:BYTE_0 src1_sel:DWORD
	s_mov_b64 s[4:5], -1
                                        ; implicit-def: $sgpr10
	s_and_saveexec_b64 s[8:9], s[12:13]
; %bb.4006:
	s_mov_b32 s10, 0x7f800001
	s_xor_b64 s[4:5], exec, -1
; %bb.4007:
	s_or_b64 exec, exec, s[8:9]
	s_and_b64 s[4:5], s[4:5], exec
	s_or_saveexec_b64 s[6:7], s[6:7]
	v_mov_b32_e32 v6, s10
	s_xor_b64 exec, exec, s[6:7]
	s_cbranch_execz .LBB9_1958
.LBB9_4008:
	v_mov_b32_e32 v6, 0
	v_cmp_ne_u16_sdwa s[8:9], v3, v6 src0_sel:BYTE_0 src1_sel:DWORD
	s_andn2_b64 s[4:5], s[4:5], exec
	s_and_b64 s[8:9], s[8:9], exec
	s_or_b64 s[4:5], s[4:5], s[8:9]
	s_or_b64 exec, exec, s[6:7]
	s_and_saveexec_b64 s[6:7], s[4:5]
	s_cbranch_execnz .LBB9_1959
	s_branch .LBB9_1960
.LBB9_4009:
	s_movk_i32 s4, 0x80
	v_cmp_eq_u16_sdwa s[12:13], v6, s4 src0_sel:BYTE_0 src1_sel:DWORD
	s_mov_b64 s[4:5], -1
                                        ; implicit-def: $sgpr10
	s_and_saveexec_b64 s[8:9], s[12:13]
; %bb.4010:
	s_mov_b32 s10, 0x7f800001
	s_xor_b64 s[4:5], exec, -1
; %bb.4011:
	s_or_b64 exec, exec, s[8:9]
	s_and_b64 s[4:5], s[4:5], exec
	s_or_saveexec_b64 s[6:7], s[6:7]
	v_mov_b32_e32 v2, s10
	s_xor_b64 exec, exec, s[6:7]
	s_cbranch_execz .LBB9_1962
.LBB9_4012:
	v_mov_b32_e32 v2, 0
	v_cmp_ne_u16_sdwa s[8:9], v6, v2 src0_sel:BYTE_0 src1_sel:DWORD
	s_andn2_b64 s[4:5], s[4:5], exec
	s_and_b64 s[8:9], s[8:9], exec
	s_or_b64 s[4:5], s[4:5], s[8:9]
	s_or_b64 exec, exec, s[6:7]
	s_and_saveexec_b64 s[6:7], s[4:5]
	s_cbranch_execnz .LBB9_1963
	s_branch .LBB9_1964
.LBB9_4013:
	s_movk_i32 s4, 0x80
	v_cmp_eq_u16_sdwa s[12:13], v6, s4 src0_sel:BYTE_0 src1_sel:DWORD
	s_mov_b64 s[4:5], -1
                                        ; implicit-def: $sgpr10
	s_and_saveexec_b64 s[8:9], s[12:13]
; %bb.4014:
	s_mov_b32 s10, 0x7f800001
	s_xor_b64 s[4:5], exec, -1
; %bb.4015:
	s_or_b64 exec, exec, s[8:9]
	s_and_b64 s[4:5], s[4:5], exec
	s_or_saveexec_b64 s[6:7], s[6:7]
	v_mov_b32_e32 v10, s10
	s_xor_b64 exec, exec, s[6:7]
	s_cbranch_execz .LBB9_1966
.LBB9_4016:
	v_mov_b32_e32 v10, 0
	v_cmp_ne_u16_sdwa s[8:9], v6, v10 src0_sel:BYTE_0 src1_sel:DWORD
	s_andn2_b64 s[4:5], s[4:5], exec
	s_and_b64 s[8:9], s[8:9], exec
	s_or_b64 s[4:5], s[4:5], s[8:9]
	s_or_b64 exec, exec, s[6:7]
	s_and_saveexec_b64 s[6:7], s[4:5]
	s_cbranch_execnz .LBB9_1967
	s_branch .LBB9_1968
.LBB9_4017:
	s_movk_i32 s4, 0x80
	v_cmp_eq_u16_e32 vcc, s4, v6
	s_mov_b64 s[4:5], -1
                                        ; implicit-def: $sgpr10
	s_and_saveexec_b64 s[8:9], vcc
; %bb.4018:
	s_mov_b32 s10, 0x7f800001
	s_xor_b64 s[4:5], exec, -1
; %bb.4019:
	s_or_b64 exec, exec, s[8:9]
	s_and_b64 s[4:5], s[4:5], exec
                                        ; implicit-def: $vgpr6
	s_or_saveexec_b64 s[6:7], s[6:7]
	v_mov_b32_e32 v2, s10
	s_xor_b64 exec, exec, s[6:7]
	s_cbranch_execz .LBB9_1970
.LBB9_4020:
	v_cmp_ne_u16_e32 vcc, 0, v6
	s_andn2_b64 s[4:5], s[4:5], exec
	s_and_b64 s[8:9], vcc, exec
	v_mov_b32_e32 v2, 0
	s_or_b64 s[4:5], s[4:5], s[8:9]
	s_or_b64 exec, exec, s[6:7]
	s_and_saveexec_b64 s[6:7], s[4:5]
	s_cbranch_execnz .LBB9_1971
	s_branch .LBB9_1972
.LBB9_4021:
	s_movk_i32 s4, 0x80
	v_cmp_eq_u16_e32 vcc, s4, v6
	s_mov_b64 s[4:5], -1
                                        ; implicit-def: $sgpr10
	s_and_saveexec_b64 s[8:9], vcc
; %bb.4022:
	s_mov_b32 s10, 0x7f800001
	s_xor_b64 s[4:5], exec, -1
; %bb.4023:
	s_or_b64 exec, exec, s[8:9]
	s_and_b64 s[4:5], s[4:5], exec
                                        ; implicit-def: $vgpr6
	s_or_saveexec_b64 s[6:7], s[6:7]
	v_mov_b32_e32 v10, s10
	s_xor_b64 exec, exec, s[6:7]
	s_cbranch_execz .LBB9_1974
.LBB9_4024:
	v_cmp_ne_u16_e32 vcc, 0, v6
	s_andn2_b64 s[4:5], s[4:5], exec
	s_and_b64 s[8:9], vcc, exec
	v_mov_b32_e32 v10, 0
	s_or_b64 s[4:5], s[4:5], s[8:9]
	s_or_b64 exec, exec, s[6:7]
	s_and_saveexec_b64 s[6:7], s[4:5]
	s_cbranch_execnz .LBB9_1975
	s_branch .LBB9_1976
.LBB9_4025:
	s_movk_i32 s4, 0x80
	v_cmp_eq_u16_sdwa s[12:13], v7, s4 src0_sel:BYTE_3 src1_sel:DWORD
	s_mov_b64 s[4:5], -1
                                        ; implicit-def: $sgpr10
	s_and_saveexec_b64 s[8:9], s[12:13]
; %bb.4026:
	s_mov_b32 s10, 0x7f800001
	s_xor_b64 s[4:5], exec, -1
; %bb.4027:
	s_or_b64 exec, exec, s[8:9]
	s_and_b64 s[4:5], s[4:5], exec
	s_or_saveexec_b64 s[6:7], s[6:7]
	v_mov_b32_e32 v2, s10
	s_xor_b64 exec, exec, s[6:7]
	s_cbranch_execz .LBB9_1978
.LBB9_4028:
	v_mov_b32_e32 v2, 0
	v_cmp_ne_u16_sdwa s[8:9], v7, v2 src0_sel:BYTE_3 src1_sel:DWORD
	s_andn2_b64 s[4:5], s[4:5], exec
	s_and_b64 s[8:9], s[8:9], exec
	s_or_b64 s[4:5], s[4:5], s[8:9]
	s_or_b64 exec, exec, s[6:7]
	s_and_saveexec_b64 s[6:7], s[4:5]
	s_cbranch_execnz .LBB9_1979
	s_branch .LBB9_1980
.LBB9_4029:
	s_movk_i32 s4, 0x80
	v_cmp_eq_u16_sdwa s[12:13], v3, s4 src0_sel:BYTE_3 src1_sel:DWORD
	s_mov_b64 s[4:5], -1
                                        ; implicit-def: $sgpr10
	s_and_saveexec_b64 s[8:9], s[12:13]
; %bb.4030:
	s_mov_b32 s10, 0x7f800001
	s_xor_b64 s[4:5], exec, -1
; %bb.4031:
	s_or_b64 exec, exec, s[8:9]
	s_and_b64 s[4:5], s[4:5], exec
	s_or_saveexec_b64 s[6:7], s[6:7]
	v_mov_b32_e32 v6, s10
	s_xor_b64 exec, exec, s[6:7]
	s_cbranch_execz .LBB9_1982
.LBB9_4032:
	v_mov_b32_e32 v6, 0
	v_cmp_ne_u16_sdwa s[8:9], v3, v6 src0_sel:BYTE_3 src1_sel:DWORD
	s_andn2_b64 s[4:5], s[4:5], exec
	s_and_b64 s[8:9], s[8:9], exec
	s_or_b64 s[4:5], s[4:5], s[8:9]
	s_or_b64 exec, exec, s[6:7]
	s_and_saveexec_b64 s[6:7], s[4:5]
	s_cbranch_execnz .LBB9_1983
	s_branch .LBB9_1984
.LBB9_4033:
	s_movk_i32 s4, 0x80
	v_cmp_eq_u16_sdwa s[12:13], v8, s4 src0_sel:BYTE_0 src1_sel:DWORD
	s_mov_b64 s[4:5], -1
                                        ; implicit-def: $sgpr10
	s_and_saveexec_b64 s[8:9], s[12:13]
; %bb.4034:
	s_mov_b32 s10, 0x7f800001
	s_xor_b64 s[4:5], exec, -1
; %bb.4035:
	s_or_b64 exec, exec, s[8:9]
	s_and_b64 s[4:5], s[4:5], exec
	s_or_saveexec_b64 s[6:7], s[6:7]
	v_mov_b32_e32 v2, s10
	s_xor_b64 exec, exec, s[6:7]
	s_cbranch_execz .LBB9_1986
.LBB9_4036:
	v_mov_b32_e32 v2, 0
	v_cmp_ne_u16_sdwa s[8:9], v8, v2 src0_sel:BYTE_0 src1_sel:DWORD
	s_andn2_b64 s[4:5], s[4:5], exec
	s_and_b64 s[8:9], s[8:9], exec
	s_or_b64 s[4:5], s[4:5], s[8:9]
	s_or_b64 exec, exec, s[6:7]
	s_and_saveexec_b64 s[6:7], s[4:5]
	s_cbranch_execnz .LBB9_1987
	s_branch .LBB9_1988
.LBB9_4037:
	s_movk_i32 s4, 0x80
	v_cmp_eq_u16_sdwa s[12:13], v4, s4 src0_sel:BYTE_0 src1_sel:DWORD
	s_mov_b64 s[4:5], -1
                                        ; implicit-def: $sgpr10
	s_and_saveexec_b64 s[8:9], s[12:13]
; %bb.4038:
	s_mov_b32 s10, 0x7f800001
	s_xor_b64 s[4:5], exec, -1
; %bb.4039:
	s_or_b64 exec, exec, s[8:9]
	s_and_b64 s[4:5], s[4:5], exec
	s_or_saveexec_b64 s[6:7], s[6:7]
	v_mov_b32_e32 v3, s10
	s_xor_b64 exec, exec, s[6:7]
	s_cbranch_execz .LBB9_1990
.LBB9_4040:
	v_mov_b32_e32 v3, 0
	v_cmp_ne_u16_sdwa s[8:9], v4, v3 src0_sel:BYTE_0 src1_sel:DWORD
	s_andn2_b64 s[4:5], s[4:5], exec
	s_and_b64 s[8:9], s[8:9], exec
	s_or_b64 s[4:5], s[4:5], s[8:9]
	s_or_b64 exec, exec, s[6:7]
	s_and_saveexec_b64 s[6:7], s[4:5]
	s_cbranch_execnz .LBB9_1991
	s_branch .LBB9_1992
.LBB9_4041:
	s_movk_i32 s4, 0x80
	v_cmp_eq_u16_sdwa s[12:13], v3, s4 src0_sel:BYTE_0 src1_sel:DWORD
	s_mov_b64 s[4:5], -1
                                        ; implicit-def: $sgpr10
	s_and_saveexec_b64 s[8:9], s[12:13]
; %bb.4042:
	s_mov_b32 s10, 0x7f800001
	s_xor_b64 s[4:5], exec, -1
; %bb.4043:
	s_or_b64 exec, exec, s[8:9]
	s_and_b64 s[4:5], s[4:5], exec
	s_or_saveexec_b64 s[6:7], s[6:7]
	v_mov_b32_e32 v2, s10
	s_xor_b64 exec, exec, s[6:7]
	s_cbranch_execz .LBB9_1994
.LBB9_4044:
	v_mov_b32_e32 v2, 0
	v_cmp_ne_u16_sdwa s[8:9], v3, v2 src0_sel:BYTE_0 src1_sel:DWORD
	s_andn2_b64 s[4:5], s[4:5], exec
	s_and_b64 s[8:9], s[8:9], exec
	s_or_b64 s[4:5], s[4:5], s[8:9]
	s_or_b64 exec, exec, s[6:7]
	s_and_saveexec_b64 s[6:7], s[4:5]
	s_cbranch_execnz .LBB9_1995
	s_branch .LBB9_1996
.LBB9_4045:
	s_movk_i32 s4, 0x80
	v_cmp_eq_u16_sdwa s[12:13], v3, s4 src0_sel:BYTE_0 src1_sel:DWORD
	s_mov_b64 s[4:5], -1
                                        ; implicit-def: $sgpr10
	s_and_saveexec_b64 s[8:9], s[12:13]
; %bb.4046:
	s_mov_b32 s10, 0x7f800001
	s_xor_b64 s[4:5], exec, -1
; %bb.4047:
	s_or_b64 exec, exec, s[8:9]
	s_and_b64 s[4:5], s[4:5], exec
	s_or_saveexec_b64 s[6:7], s[6:7]
	v_mov_b32_e32 v6, s10
	s_xor_b64 exec, exec, s[6:7]
	s_cbranch_execz .LBB9_1998
.LBB9_4048:
	v_mov_b32_e32 v6, 0
	v_cmp_ne_u16_sdwa s[8:9], v3, v6 src0_sel:BYTE_0 src1_sel:DWORD
	s_andn2_b64 s[4:5], s[4:5], exec
	s_and_b64 s[8:9], s[8:9], exec
	s_or_b64 s[4:5], s[4:5], s[8:9]
	s_or_b64 exec, exec, s[6:7]
	s_and_saveexec_b64 s[6:7], s[4:5]
	s_cbranch_execnz .LBB9_1999
	s_branch .LBB9_2000
.LBB9_4049:
	s_movk_i32 s4, 0x80
	v_cmp_eq_u16_e32 vcc, s4, v3
	s_mov_b64 s[4:5], -1
                                        ; implicit-def: $sgpr10
	s_and_saveexec_b64 s[8:9], vcc
; %bb.4050:
	s_mov_b32 s10, 0x7f800001
	s_xor_b64 s[4:5], exec, -1
; %bb.4051:
	s_or_b64 exec, exec, s[8:9]
	s_and_b64 s[4:5], s[4:5], exec
                                        ; implicit-def: $vgpr3
	s_or_saveexec_b64 s[6:7], s[6:7]
	v_mov_b32_e32 v2, s10
	s_xor_b64 exec, exec, s[6:7]
	s_cbranch_execz .LBB9_2002
.LBB9_4052:
	v_cmp_ne_u16_e32 vcc, 0, v3
	s_andn2_b64 s[4:5], s[4:5], exec
	s_and_b64 s[8:9], vcc, exec
	v_mov_b32_e32 v2, 0
	s_or_b64 s[4:5], s[4:5], s[8:9]
	s_or_b64 exec, exec, s[6:7]
	s_and_saveexec_b64 s[6:7], s[4:5]
	s_cbranch_execnz .LBB9_2003
	s_branch .LBB9_2004
.LBB9_4053:
	s_movk_i32 s4, 0x80
	v_cmp_eq_u16_e32 vcc, s4, v3
	s_mov_b64 s[4:5], -1
                                        ; implicit-def: $sgpr10
	s_and_saveexec_b64 s[8:9], vcc
; %bb.4054:
	s_mov_b32 s10, 0x7f800001
	s_xor_b64 s[4:5], exec, -1
; %bb.4055:
	s_or_b64 exec, exec, s[8:9]
	s_and_b64 s[4:5], s[4:5], exec
                                        ; implicit-def: $vgpr3
	s_or_saveexec_b64 s[6:7], s[6:7]
	v_mov_b32_e32 v6, s10
	s_xor_b64 exec, exec, s[6:7]
	s_cbranch_execz .LBB9_2006
.LBB9_4056:
	v_cmp_ne_u16_e32 vcc, 0, v3
	s_andn2_b64 s[4:5], s[4:5], exec
	s_and_b64 s[8:9], vcc, exec
	v_mov_b32_e32 v6, 0
	s_or_b64 s[4:5], s[4:5], s[8:9]
	s_or_b64 exec, exec, s[6:7]
	s_and_saveexec_b64 s[6:7], s[4:5]
	s_cbranch_execnz .LBB9_2007
	s_branch .LBB9_2008
.LBB9_4057:
	s_movk_i32 s4, 0x80
	v_cmp_eq_u16_sdwa s[12:13], v8, s4 src0_sel:BYTE_3 src1_sel:DWORD
	s_mov_b64 s[4:5], -1
                                        ; implicit-def: $sgpr10
	s_and_saveexec_b64 s[8:9], s[12:13]
; %bb.4058:
	s_mov_b32 s10, 0x7f800001
	s_xor_b64 s[4:5], exec, -1
; %bb.4059:
	s_or_b64 exec, exec, s[8:9]
	s_and_b64 s[4:5], s[4:5], exec
	s_or_saveexec_b64 s[6:7], s[6:7]
	v_mov_b32_e32 v2, s10
	s_xor_b64 exec, exec, s[6:7]
	s_cbranch_execz .LBB9_2010
.LBB9_4060:
	v_mov_b32_e32 v2, 0
	v_cmp_ne_u16_sdwa s[8:9], v8, v2 src0_sel:BYTE_3 src1_sel:DWORD
	s_andn2_b64 s[4:5], s[4:5], exec
	s_and_b64 s[8:9], s[8:9], exec
	s_or_b64 s[4:5], s[4:5], s[8:9]
	s_or_b64 exec, exec, s[6:7]
	s_and_saveexec_b64 s[6:7], s[4:5]
	s_cbranch_execnz .LBB9_2011
	s_branch .LBB9_2012
.LBB9_4061:
	s_movk_i32 s4, 0x80
	v_cmp_eq_u16_sdwa s[12:13], v4, s4 src0_sel:BYTE_3 src1_sel:DWORD
	s_mov_b64 s[4:5], -1
                                        ; implicit-def: $sgpr10
	s_and_saveexec_b64 s[8:9], s[12:13]
; %bb.4062:
	s_mov_b32 s10, 0x7f800001
	s_xor_b64 s[4:5], exec, -1
; %bb.4063:
	s_or_b64 exec, exec, s[8:9]
	s_and_b64 s[4:5], s[4:5], exec
	s_or_saveexec_b64 s[6:7], s[6:7]
	v_mov_b32_e32 v3, s10
	s_xor_b64 exec, exec, s[6:7]
	s_cbranch_execz .LBB9_2014
.LBB9_4064:
	v_mov_b32_e32 v3, 0
	v_cmp_ne_u16_sdwa s[8:9], v4, v3 src0_sel:BYTE_3 src1_sel:DWORD
	s_andn2_b64 s[4:5], s[4:5], exec
	s_and_b64 s[8:9], s[8:9], exec
	s_or_b64 s[4:5], s[4:5], s[8:9]
	s_or_b64 exec, exec, s[6:7]
	s_and_saveexec_b64 s[6:7], s[4:5]
	s_cbranch_execnz .LBB9_2015
	s_branch .LBB9_2016
.LBB9_4065:
	s_movk_i32 s4, 0x80
	v_cmp_eq_u16_sdwa s[12:13], v9, s4 src0_sel:BYTE_0 src1_sel:DWORD
	s_mov_b64 s[4:5], -1
                                        ; implicit-def: $sgpr10
	s_and_saveexec_b64 s[8:9], s[12:13]
; %bb.4066:
	s_mov_b32 s10, 0x7f800001
	s_xor_b64 s[4:5], exec, -1
; %bb.4067:
	s_or_b64 exec, exec, s[8:9]
	s_and_b64 s[4:5], s[4:5], exec
	s_or_saveexec_b64 s[6:7], s[6:7]
	v_mov_b32_e32 v2, s10
	s_xor_b64 exec, exec, s[6:7]
	s_cbranch_execz .LBB9_2018
.LBB9_4068:
	v_mov_b32_e32 v2, 0
	v_cmp_ne_u16_sdwa s[8:9], v9, v2 src0_sel:BYTE_0 src1_sel:DWORD
	s_andn2_b64 s[4:5], s[4:5], exec
	s_and_b64 s[8:9], s[8:9], exec
	s_or_b64 s[4:5], s[4:5], s[8:9]
	s_or_b64 exec, exec, s[6:7]
	s_and_saveexec_b64 s[6:7], s[4:5]
	s_cbranch_execnz .LBB9_2019
	s_branch .LBB9_2020
.LBB9_4069:
	s_movk_i32 s4, 0x80
	v_cmp_eq_u16_sdwa s[12:13], v5, s4 src0_sel:BYTE_0 src1_sel:DWORD
	s_mov_b64 s[4:5], -1
                                        ; implicit-def: $sgpr10
	s_and_saveexec_b64 s[8:9], s[12:13]
; %bb.4070:
	s_mov_b32 s10, 0x7f800001
	s_xor_b64 s[4:5], exec, -1
; %bb.4071:
	s_or_b64 exec, exec, s[8:9]
	s_and_b64 s[4:5], s[4:5], exec
	s_or_saveexec_b64 s[6:7], s[6:7]
	v_mov_b32_e32 v3, s10
	s_xor_b64 exec, exec, s[6:7]
	s_cbranch_execz .LBB9_2022
.LBB9_4072:
	v_mov_b32_e32 v3, 0
	v_cmp_ne_u16_sdwa s[8:9], v5, v3 src0_sel:BYTE_0 src1_sel:DWORD
	s_andn2_b64 s[4:5], s[4:5], exec
	s_and_b64 s[8:9], s[8:9], exec
	s_or_b64 s[4:5], s[4:5], s[8:9]
	s_or_b64 exec, exec, s[6:7]
	s_and_saveexec_b64 s[6:7], s[4:5]
	s_cbranch_execnz .LBB9_2023
	s_branch .LBB9_2024
.LBB9_4073:
	s_movk_i32 s4, 0x80
	v_cmp_eq_u16_sdwa s[12:13], v3, s4 src0_sel:BYTE_0 src1_sel:DWORD
	s_mov_b64 s[4:5], -1
                                        ; implicit-def: $sgpr10
	s_and_saveexec_b64 s[8:9], s[12:13]
; %bb.4074:
	s_mov_b32 s10, 0x7f800001
	s_xor_b64 s[4:5], exec, -1
; %bb.4075:
	s_or_b64 exec, exec, s[8:9]
	s_and_b64 s[4:5], s[4:5], exec
	s_or_saveexec_b64 s[6:7], s[6:7]
	v_mov_b32_e32 v2, s10
	s_xor_b64 exec, exec, s[6:7]
	s_cbranch_execz .LBB9_2026
.LBB9_4076:
	v_mov_b32_e32 v2, 0
	v_cmp_ne_u16_sdwa s[8:9], v3, v2 src0_sel:BYTE_0 src1_sel:DWORD
	s_andn2_b64 s[4:5], s[4:5], exec
	s_and_b64 s[8:9], s[8:9], exec
	s_or_b64 s[4:5], s[4:5], s[8:9]
	s_or_b64 exec, exec, s[6:7]
	s_and_saveexec_b64 s[6:7], s[4:5]
	s_cbranch_execnz .LBB9_2027
	s_branch .LBB9_2028
.LBB9_4077:
	s_movk_i32 s4, 0x80
	v_cmp_eq_u16_sdwa s[12:13], v3, s4 src0_sel:BYTE_0 src1_sel:DWORD
	s_mov_b64 s[4:5], -1
                                        ; implicit-def: $sgpr10
	s_and_saveexec_b64 s[8:9], s[12:13]
; %bb.4078:
	s_mov_b32 s10, 0x7f800001
	s_xor_b64 s[4:5], exec, -1
; %bb.4079:
	s_or_b64 exec, exec, s[8:9]
	s_and_b64 s[4:5], s[4:5], exec
	s_or_saveexec_b64 s[6:7], s[6:7]
	v_mov_b32_e32 v4, s10
	s_xor_b64 exec, exec, s[6:7]
	s_cbranch_execz .LBB9_2030
.LBB9_4080:
	v_mov_b32_e32 v4, 0
	v_cmp_ne_u16_sdwa s[8:9], v3, v4 src0_sel:BYTE_0 src1_sel:DWORD
	s_andn2_b64 s[4:5], s[4:5], exec
	s_and_b64 s[8:9], s[8:9], exec
	s_or_b64 s[4:5], s[4:5], s[8:9]
	s_or_b64 exec, exec, s[6:7]
	s_and_saveexec_b64 s[6:7], s[4:5]
	s_cbranch_execnz .LBB9_2031
	s_branch .LBB9_2032
.LBB9_4081:
	s_movk_i32 s4, 0x80
	v_cmp_eq_u16_e32 vcc, s4, v3
	s_mov_b64 s[4:5], -1
                                        ; implicit-def: $sgpr10
	s_and_saveexec_b64 s[8:9], vcc
; %bb.4082:
	s_mov_b32 s10, 0x7f800001
	s_xor_b64 s[4:5], exec, -1
; %bb.4083:
	s_or_b64 exec, exec, s[8:9]
	s_and_b64 s[4:5], s[4:5], exec
                                        ; implicit-def: $vgpr3
	s_or_saveexec_b64 s[6:7], s[6:7]
	v_mov_b32_e32 v2, s10
	s_xor_b64 exec, exec, s[6:7]
	s_cbranch_execz .LBB9_2034
.LBB9_4084:
	v_cmp_ne_u16_e32 vcc, 0, v3
	s_andn2_b64 s[4:5], s[4:5], exec
	s_and_b64 s[8:9], vcc, exec
	v_mov_b32_e32 v2, 0
	s_or_b64 s[4:5], s[4:5], s[8:9]
	s_or_b64 exec, exec, s[6:7]
	s_and_saveexec_b64 s[6:7], s[4:5]
	s_cbranch_execnz .LBB9_2035
	s_branch .LBB9_2036
.LBB9_4085:
	s_movk_i32 s4, 0x80
	v_cmp_eq_u16_e32 vcc, s4, v3
	s_mov_b64 s[4:5], -1
                                        ; implicit-def: $sgpr10
	s_and_saveexec_b64 s[8:9], vcc
; %bb.4086:
	s_mov_b32 s10, 0x7f800001
	s_xor_b64 s[4:5], exec, -1
; %bb.4087:
	s_or_b64 exec, exec, s[8:9]
	s_and_b64 s[4:5], s[4:5], exec
                                        ; implicit-def: $vgpr3
	s_or_saveexec_b64 s[6:7], s[6:7]
	v_mov_b32_e32 v4, s10
	s_xor_b64 exec, exec, s[6:7]
	s_cbranch_execz .LBB9_2038
.LBB9_4088:
	v_cmp_ne_u16_e32 vcc, 0, v3
	s_andn2_b64 s[4:5], s[4:5], exec
	s_and_b64 s[8:9], vcc, exec
	v_mov_b32_e32 v4, 0
	s_or_b64 s[4:5], s[4:5], s[8:9]
	s_or_b64 exec, exec, s[6:7]
	s_and_saveexec_b64 s[6:7], s[4:5]
	s_cbranch_execnz .LBB9_2039
	s_branch .LBB9_2040
.LBB9_4089:
	s_movk_i32 s4, 0x80
	v_cmp_eq_u16_sdwa s[12:13], v9, s4 src0_sel:BYTE_3 src1_sel:DWORD
	s_mov_b64 s[4:5], -1
                                        ; implicit-def: $sgpr10
	s_and_saveexec_b64 s[8:9], s[12:13]
; %bb.4090:
	s_mov_b32 s10, 0x7f800001
	s_xor_b64 s[4:5], exec, -1
; %bb.4091:
	s_or_b64 exec, exec, s[8:9]
	s_and_b64 s[4:5], s[4:5], exec
	s_or_saveexec_b64 s[6:7], s[6:7]
	v_mov_b32_e32 v2, s10
	s_xor_b64 exec, exec, s[6:7]
	s_cbranch_execz .LBB9_2042
.LBB9_4092:
	v_mov_b32_e32 v2, 0
	v_cmp_ne_u16_sdwa s[8:9], v9, v2 src0_sel:BYTE_3 src1_sel:DWORD
	s_andn2_b64 s[4:5], s[4:5], exec
	s_and_b64 s[8:9], s[8:9], exec
	s_or_b64 s[4:5], s[4:5], s[8:9]
	s_or_b64 exec, exec, s[6:7]
	s_and_saveexec_b64 s[6:7], s[4:5]
	s_cbranch_execnz .LBB9_2043
	s_branch .LBB9_2044
.LBB9_4093:
	s_movk_i32 s4, 0x80
	v_cmp_eq_u16_sdwa s[12:13], v5, s4 src0_sel:BYTE_3 src1_sel:DWORD
	s_mov_b64 s[4:5], -1
                                        ; implicit-def: $sgpr10
	s_and_saveexec_b64 s[8:9], s[12:13]
; %bb.4094:
	s_mov_b32 s10, 0x7f800001
	s_xor_b64 s[4:5], exec, -1
; %bb.4095:
	s_or_b64 exec, exec, s[8:9]
	s_and_b64 s[4:5], s[4:5], exec
	s_or_saveexec_b64 s[6:7], s[6:7]
	v_mov_b32_e32 v3, s10
	s_xor_b64 exec, exec, s[6:7]
	s_cbranch_execz .LBB9_2046
.LBB9_4096:
	v_mov_b32_e32 v3, 0
	v_cmp_ne_u16_sdwa s[8:9], v5, v3 src0_sel:BYTE_3 src1_sel:DWORD
	s_andn2_b64 s[4:5], s[4:5], exec
	s_and_b64 s[8:9], s[8:9], exec
	s_or_b64 s[4:5], s[4:5], s[8:9]
	s_or_b64 exec, exec, s[6:7]
	s_and_saveexec_b64 s[6:7], s[4:5]
	s_cbranch_execnz .LBB9_2047
	s_branch .LBB9_2048
.Lfunc_end9:
	.size	_ZNK2ck6detail7applierIiJLi0ELi1ELi2ELi3ELi4ELi5ELi6ELi7ELi8ELi9ELi10ELi11ELi12ELi13ELi14ELi15EEEclIZNKS_11static_fordINS_8SequenceIJLi4ELi4EEEENS5_IJLi0ELi1EEEEEclIZZZZNKS_31BlockwiseGemmXdlops_pipeline_v2ILNS_26BlockGemmPipelineSchedulerE1ELi256ENS_9f8_fnuz_tENS_7pk_i4_tESC_fNS_16TensorDescriptorINS_5TupleIJNS_5EmbedINSF_IJNS_17integral_constantIiLi8EEENSH_IiLi128EEENSH_IiLi16EEEEEENSF_IJSK_SJ_NSH_IiLi1EEEEEELb0EEENS_3XorINSF_IJSJ_SI_EEELb1EEENS_11PassThroughISK_EENS_7UnMergeINSF_IJSI_SM_EEELb0EEENSS_ISJ_EEST_NSS_ISI_EENS_21Merge_v3_division_modINSF_IJSJ_SM_EEEEEST_EEENSF_IJNS5_IJLi0EEEENS5_IJLi2ELi1EEEENS5_IJLi3EEEENS5_IJLi5EEEENS5_IJLi4EEEENS5_IJLi6EEEENS5_IJLi7EEEENS5_IJLi9ELi8EEEENS5_IJLi10EEEEEEENSF_IJNS5_IJLi1ELi2ELi3EEEENS5_IJLi4ELi5EEEES18_NS5_IJLi7ELi8EEEENS5_IJLi9EEEES1B_NS5_IJLi11EEEENS5_IJLi12EEEENS5_IJLi13EEEEEEENS5_IJLi11ELi12ELi13EEEENSH_IlLl16384EEEEENSE_INSF_IJNSG_INSF_IJSK_NSH_IiLi64EEESK_EEENSF_IJSK_NSH_IiLi256EEESM_EEELb0EEENSP_INSF_IJS1O_SK_EEELb1EEEST_NSU_INSF_IJSI_NSH_IiLi2EEEEEELb0EEENSS_IS1O_EEST_SY_NSZ_INSF_IJS1O_S1V_EEEEEST_EEES1C_S1K_S1L_S1M_EENSE_INSF_IJSO_SR_ST_SW_SX_ST_SY_S11_ST_NSZ_INSF_IJSI_SK_EEEEENSU_INSF_IJNSH_IiLi4EEES1V_SK_EEELb0EEEEEENSF_IJS13_S14_S15_S16_S17_S18_S19_S1A_S1B_NS5_IJLi11ELi13EEEES1I_EEENSF_IJS1D_S1E_S18_S1F_S1G_S1B_S1H_S1I_S1J_NS5_IJLi14EEEENS5_IJLi15ELi16ELi17EEEEEEENS5_IJLi15ELi16ELi17ELi14EEEES1M_EENSE_INSF_IJS1S_S1U_ST_S1X_S1Y_ST_SY_S20_ST_S24_S27_EEES2A_S2D_S2E_S1M_EELi16ELi16ELi128ELi128ELi128ELi16ELi16ELi4ELi4ELi16ELb0EE3RunILb1ELNS_10TailNumberE10ENSE_INSF_IJNSG_INSF_IJiiEEENSF_IJiSM_EEELb0EEENSU_IS2L_Lb0EEENSS_IiEEEEENSF_IJS13_NS5_IJLi2EEEENS5_IJLi1EEEEEEENSF_IJNS5_IJLi1ELi2EEEENS5_IJLi3ELi4EEEES16_EEENS5_IJLi3ELi5ELi4EEEElEES1N_NS_35ThreadGroupTensorSliceTransfer_v4r1INS_15ThisThreadBlockILi256EEENS_16tensor_operation12element_wise11PassThroughES34_LNS_25InMemoryDataOperationEnumE0ENS5_IJLi8ELi128ELi16EEEENS5_IJLi8ELi32ELi1EEEENS5_IJLi1ELi0ELi2EEEESC_SC_RKS2Y_KS1N_S38_NS5_IJLi0ELi1ELi2EEEELi2ELi2ELi16ELi16ELi1ELi1ELb0ELb1ELi2EiEENS_13DynamicBufferILNS_16AddressSpaceEnumE1EKSC_lLb1ELNS_22AmdBufferCoherenceEnumE0EiEENS3E_ILS3F_2ESC_S1M_Lb1ELS3H_0EiEENSF_IJiiiEEENSE_INSF_IJNSU_INSF_IJiiiiEEELb0EEENS_23Merge_v2_magic_divisionIS2L_EENSS_INSF_IJiEEEEES2P_EEENSF_IJS13_NS5_IJLi1ELi3EEEES2R_S17_EEENSF_IJNS5_IJLi1ELi2ELi3ELi4EEEES16_S18_S19_EEENS5_IJLi5ELi6ELi7EEEElEES22_NS2Z_IS31_S34_S34_LS35_0ES36_NS5_IJLi4ELi64ELi1EEEES38_SD_SD_RKS3X_KS22_S38_S3C_Li2ELi2ELi16ELi16ELi1ELi1ELb0ELb1ELi2EiEENS3E_ILS3F_1EKSD_lLb1ELS3H_0EiEENS3E_ILS3F_2ESD_S1M_Lb1ELS3H_0EiEES3K_NS_25StaticBufferTupleOfVectorILS3F_4EfLi16ELi4ELb1ELb0EEEEEvRKT1_RKT2_RT3_RKT4_RT5_RKT6_RKT7_RKT8_RT9_RKT10_RT11_RKT12_RT13_iENKUlT_E0_clINSH_IiLi0EEEEEDaS56_ENKUlS56_E_clIS59_EEDaS56_ENKUlS56_E1_clISK_EEDaS56_EUlS56_E_EEvS56_EUlS56_E_EEvS56_, .Lfunc_end9-_ZNK2ck6detail7applierIiJLi0ELi1ELi2ELi3ELi4ELi5ELi6ELi7ELi8ELi9ELi10ELi11ELi12ELi13ELi14ELi15EEEclIZNKS_11static_fordINS_8SequenceIJLi4ELi4EEEENS5_IJLi0ELi1EEEEEclIZZZZNKS_31BlockwiseGemmXdlops_pipeline_v2ILNS_26BlockGemmPipelineSchedulerE1ELi256ENS_9f8_fnuz_tENS_7pk_i4_tESC_fNS_16TensorDescriptorINS_5TupleIJNS_5EmbedINSF_IJNS_17integral_constantIiLi8EEENSH_IiLi128EEENSH_IiLi16EEEEEENSF_IJSK_SJ_NSH_IiLi1EEEEEELb0EEENS_3XorINSF_IJSJ_SI_EEELb1EEENS_11PassThroughISK_EENS_7UnMergeINSF_IJSI_SM_EEELb0EEENSS_ISJ_EEST_NSS_ISI_EENS_21Merge_v3_division_modINSF_IJSJ_SM_EEEEEST_EEENSF_IJNS5_IJLi0EEEENS5_IJLi2ELi1EEEENS5_IJLi3EEEENS5_IJLi5EEEENS5_IJLi4EEEENS5_IJLi6EEEENS5_IJLi7EEEENS5_IJLi9ELi8EEEENS5_IJLi10EEEEEEENSF_IJNS5_IJLi1ELi2ELi3EEEENS5_IJLi4ELi5EEEES18_NS5_IJLi7ELi8EEEENS5_IJLi9EEEES1B_NS5_IJLi11EEEENS5_IJLi12EEEENS5_IJLi13EEEEEEENS5_IJLi11ELi12ELi13EEEENSH_IlLl16384EEEEENSE_INSF_IJNSG_INSF_IJSK_NSH_IiLi64EEESK_EEENSF_IJSK_NSH_IiLi256EEESM_EEELb0EEENSP_INSF_IJS1O_SK_EEELb1EEEST_NSU_INSF_IJSI_NSH_IiLi2EEEEEELb0EEENSS_IS1O_EEST_SY_NSZ_INSF_IJS1O_S1V_EEEEEST_EEES1C_S1K_S1L_S1M_EENSE_INSF_IJSO_SR_ST_SW_SX_ST_SY_S11_ST_NSZ_INSF_IJSI_SK_EEEEENSU_INSF_IJNSH_IiLi4EEES1V_SK_EEELb0EEEEEENSF_IJS13_S14_S15_S16_S17_S18_S19_S1A_S1B_NS5_IJLi11ELi13EEEES1I_EEENSF_IJS1D_S1E_S18_S1F_S1G_S1B_S1H_S1I_S1J_NS5_IJLi14EEEENS5_IJLi15ELi16ELi17EEEEEEENS5_IJLi15ELi16ELi17ELi14EEEES1M_EENSE_INSF_IJS1S_S1U_ST_S1X_S1Y_ST_SY_S20_ST_S24_S27_EEES2A_S2D_S2E_S1M_EELi16ELi16ELi128ELi128ELi128ELi16ELi16ELi4ELi4ELi16ELb0EE3RunILb1ELNS_10TailNumberE10ENSE_INSF_IJNSG_INSF_IJiiEEENSF_IJiSM_EEELb0EEENSU_IS2L_Lb0EEENSS_IiEEEEENSF_IJS13_NS5_IJLi2EEEENS5_IJLi1EEEEEEENSF_IJNS5_IJLi1ELi2EEEENS5_IJLi3ELi4EEEES16_EEENS5_IJLi3ELi5ELi4EEEElEES1N_NS_35ThreadGroupTensorSliceTransfer_v4r1INS_15ThisThreadBlockILi256EEENS_16tensor_operation12element_wise11PassThroughES34_LNS_25InMemoryDataOperationEnumE0ENS5_IJLi8ELi128ELi16EEEENS5_IJLi8ELi32ELi1EEEENS5_IJLi1ELi0ELi2EEEESC_SC_RKS2Y_KS1N_S38_NS5_IJLi0ELi1ELi2EEEELi2ELi2ELi16ELi16ELi1ELi1ELb0ELb1ELi2EiEENS_13DynamicBufferILNS_16AddressSpaceEnumE1EKSC_lLb1ELNS_22AmdBufferCoherenceEnumE0EiEENS3E_ILS3F_2ESC_S1M_Lb1ELS3H_0EiEENSF_IJiiiEEENSE_INSF_IJNSU_INSF_IJiiiiEEELb0EEENS_23Merge_v2_magic_divisionIS2L_EENSS_INSF_IJiEEEEES2P_EEENSF_IJS13_NS5_IJLi1ELi3EEEES2R_S17_EEENSF_IJNS5_IJLi1ELi2ELi3ELi4EEEES16_S18_S19_EEENS5_IJLi5ELi6ELi7EEEElEES22_NS2Z_IS31_S34_S34_LS35_0ES36_NS5_IJLi4ELi64ELi1EEEES38_SD_SD_RKS3X_KS22_S38_S3C_Li2ELi2ELi16ELi16ELi1ELi1ELb0ELb1ELi2EiEENS3E_ILS3F_1EKSD_lLb1ELS3H_0EiEENS3E_ILS3F_2ESD_S1M_Lb1ELS3H_0EiEES3K_NS_25StaticBufferTupleOfVectorILS3F_4EfLi16ELi4ELb1ELb0EEEEEvRKT1_RKT2_RT3_RKT4_RT5_RKT6_RKT7_RKT8_RT9_RKT10_RT11_RKT12_RT13_iENKUlT_E0_clINSH_IiLi0EEEEEDaS56_ENKUlS56_E_clIS59_EEDaS56_ENKUlS56_E1_clISK_EEDaS56_EUlS56_E_EEvS56_EUlS56_E_EEvS56_
                                        ; -- End function
	.section	.AMDGPU.csdata,"",@progbits
; Function info:
; codeLenInByte = 134352
; NumSgprs: 36
; NumVgprs: 18
; NumAgprs: 4
; TotalNumVgprs: 24
; ScratchSize: 0
; MemoryBound: 1
	.text
	.p2align	2                               ; -- Begin function _ZNK2ck6detail7applierIiJLi0ELi1ELi2ELi3ELi4ELi5ELi6ELi7ELi8ELi9ELi10ELi11ELi12ELi13ELi14ELi15EEEclIZNKS_11static_fordINS_8SequenceIJLi4ELi4EEEENS5_IJLi0ELi1EEEEEclIZZZZNKS_31BlockwiseGemmXdlops_pipeline_v2ILNS_26BlockGemmPipelineSchedulerE1ELi256ENS_9f8_fnuz_tENS_7pk_i4_tESC_fNS_16TensorDescriptorINS_5TupleIJNS_5EmbedINSF_IJNS_17integral_constantIiLi8EEENSH_IiLi128EEENSH_IiLi16EEEEEENSF_IJSK_SJ_NSH_IiLi1EEEEEELb0EEENS_3XorINSF_IJSJ_SI_EEELb1EEENS_11PassThroughISK_EENS_7UnMergeINSF_IJSI_SM_EEELb0EEENSS_ISJ_EEST_NSS_ISI_EENS_21Merge_v3_division_modINSF_IJSJ_SM_EEEEEST_EEENSF_IJNS5_IJLi0EEEENS5_IJLi2ELi1EEEENS5_IJLi3EEEENS5_IJLi5EEEENS5_IJLi4EEEENS5_IJLi6EEEENS5_IJLi7EEEENS5_IJLi9ELi8EEEENS5_IJLi10EEEEEEENSF_IJNS5_IJLi1ELi2ELi3EEEENS5_IJLi4ELi5EEEES18_NS5_IJLi7ELi8EEEENS5_IJLi9EEEES1B_NS5_IJLi11EEEENS5_IJLi12EEEENS5_IJLi13EEEEEEENS5_IJLi11ELi12ELi13EEEENSH_IlLl16384EEEEENSE_INSF_IJNSG_INSF_IJSK_NSH_IiLi64EEESK_EEENSF_IJSK_NSH_IiLi256EEESM_EEELb0EEENSP_INSF_IJS1O_SK_EEELb1EEEST_NSU_INSF_IJSI_NSH_IiLi2EEEEEELb0EEENSS_IS1O_EEST_SY_NSZ_INSF_IJS1O_S1V_EEEEEST_EEES1C_S1K_S1L_S1M_EENSE_INSF_IJSO_SR_ST_SW_SX_ST_SY_S11_ST_NSZ_INSF_IJSI_SK_EEEEENSU_INSF_IJNSH_IiLi4EEES1V_SK_EEELb0EEEEEENSF_IJS13_S14_S15_S16_S17_S18_S19_S1A_S1B_NS5_IJLi11ELi13EEEES1I_EEENSF_IJS1D_S1E_S18_S1F_S1G_S1B_S1H_S1I_S1J_NS5_IJLi14EEEENS5_IJLi15ELi16ELi17EEEEEEENS5_IJLi15ELi16ELi17ELi14EEEES1M_EENSE_INSF_IJS1S_S1U_ST_S1X_S1Y_ST_SY_S20_ST_S24_S27_EEES2A_S2D_S2E_S1M_EELi16ELi16ELi128ELi128ELi128ELi16ELi16ELi4ELi4ELi16ELb0EE3RunILb1ELNS_10TailNumberE10ENSE_INSF_IJNSG_INSF_IJiiEEENSF_IJiSM_EEELb0EEENSU_IS2L_Lb0EEENSS_IiEEEEENSF_IJS13_NS5_IJLi2EEEENS5_IJLi1EEEEEEENSF_IJNS5_IJLi1ELi2EEEENS5_IJLi3ELi4EEEES16_EEENS5_IJLi3ELi5ELi4EEEElEES1N_NS_35ThreadGroupTensorSliceTransfer_v4r1INS_15ThisThreadBlockILi256EEENS_16tensor_operation12element_wise11PassThroughES34_LNS_25InMemoryDataOperationEnumE0ENS5_IJLi8ELi128ELi16EEEENS5_IJLi8ELi32ELi1EEEENS5_IJLi1ELi0ELi2EEEESC_SC_RKS2Y_KS1N_S38_NS5_IJLi0ELi1ELi2EEEELi2ELi2ELi16ELi16ELi1ELi1ELb0ELb1ELi2EiEENS_13DynamicBufferILNS_16AddressSpaceEnumE1EKSC_lLb1ELNS_22AmdBufferCoherenceEnumE0EiEENS3E_ILS3F_2ESC_S1M_Lb1ELS3H_0EiEENSF_IJiiiEEENSE_INSF_IJNSU_INSF_IJiiiiEEELb0EEENS_23Merge_v2_magic_divisionIS2L_EENSS_INSF_IJiEEEEES2P_EEENSF_IJS13_NS5_IJLi1ELi3EEEES2R_S17_EEENSF_IJNS5_IJLi1ELi2ELi3ELi4EEEES16_S18_S19_EEENS5_IJLi5ELi6ELi7EEEElEES22_NS2Z_IS31_S34_S34_LS35_0ES36_NS5_IJLi4ELi64ELi1EEEES38_SD_SD_RKS3X_KS22_S38_S3C_Li2ELi2ELi16ELi16ELi1ELi1ELb0ELb1ELi2EiEENS3E_ILS3F_1EKSD_lLb1ELS3H_0EiEENS3E_ILS3F_2ESD_S1M_Lb1ELS3H_0EiEES3K_NS_25StaticBufferTupleOfVectorILS3F_4EfLi16ELi4ELb1ELb0EEEEEvRKT1_RKT2_RT3_RKT4_RT5_RKT6_RKT7_RKT8_RT9_RKT10_RT11_RKT12_RT13_iENKUlT_E0_clISM_EEDaS56_ENKUlS56_E_clINSH_IiLi0EEEEEDaS56_ENKUlS56_E1_clIS5B_EEDaS56_EUlS56_E_EEvS56_EUlS56_E_EEvS56_
	.type	_ZNK2ck6detail7applierIiJLi0ELi1ELi2ELi3ELi4ELi5ELi6ELi7ELi8ELi9ELi10ELi11ELi12ELi13ELi14ELi15EEEclIZNKS_11static_fordINS_8SequenceIJLi4ELi4EEEENS5_IJLi0ELi1EEEEEclIZZZZNKS_31BlockwiseGemmXdlops_pipeline_v2ILNS_26BlockGemmPipelineSchedulerE1ELi256ENS_9f8_fnuz_tENS_7pk_i4_tESC_fNS_16TensorDescriptorINS_5TupleIJNS_5EmbedINSF_IJNS_17integral_constantIiLi8EEENSH_IiLi128EEENSH_IiLi16EEEEEENSF_IJSK_SJ_NSH_IiLi1EEEEEELb0EEENS_3XorINSF_IJSJ_SI_EEELb1EEENS_11PassThroughISK_EENS_7UnMergeINSF_IJSI_SM_EEELb0EEENSS_ISJ_EEST_NSS_ISI_EENS_21Merge_v3_division_modINSF_IJSJ_SM_EEEEEST_EEENSF_IJNS5_IJLi0EEEENS5_IJLi2ELi1EEEENS5_IJLi3EEEENS5_IJLi5EEEENS5_IJLi4EEEENS5_IJLi6EEEENS5_IJLi7EEEENS5_IJLi9ELi8EEEENS5_IJLi10EEEEEEENSF_IJNS5_IJLi1ELi2ELi3EEEENS5_IJLi4ELi5EEEES18_NS5_IJLi7ELi8EEEENS5_IJLi9EEEES1B_NS5_IJLi11EEEENS5_IJLi12EEEENS5_IJLi13EEEEEEENS5_IJLi11ELi12ELi13EEEENSH_IlLl16384EEEEENSE_INSF_IJNSG_INSF_IJSK_NSH_IiLi64EEESK_EEENSF_IJSK_NSH_IiLi256EEESM_EEELb0EEENSP_INSF_IJS1O_SK_EEELb1EEEST_NSU_INSF_IJSI_NSH_IiLi2EEEEEELb0EEENSS_IS1O_EEST_SY_NSZ_INSF_IJS1O_S1V_EEEEEST_EEES1C_S1K_S1L_S1M_EENSE_INSF_IJSO_SR_ST_SW_SX_ST_SY_S11_ST_NSZ_INSF_IJSI_SK_EEEEENSU_INSF_IJNSH_IiLi4EEES1V_SK_EEELb0EEEEEENSF_IJS13_S14_S15_S16_S17_S18_S19_S1A_S1B_NS5_IJLi11ELi13EEEES1I_EEENSF_IJS1D_S1E_S18_S1F_S1G_S1B_S1H_S1I_S1J_NS5_IJLi14EEEENS5_IJLi15ELi16ELi17EEEEEEENS5_IJLi15ELi16ELi17ELi14EEEES1M_EENSE_INSF_IJS1S_S1U_ST_S1X_S1Y_ST_SY_S20_ST_S24_S27_EEES2A_S2D_S2E_S1M_EELi16ELi16ELi128ELi128ELi128ELi16ELi16ELi4ELi4ELi16ELb0EE3RunILb1ELNS_10TailNumberE10ENSE_INSF_IJNSG_INSF_IJiiEEENSF_IJiSM_EEELb0EEENSU_IS2L_Lb0EEENSS_IiEEEEENSF_IJS13_NS5_IJLi2EEEENS5_IJLi1EEEEEEENSF_IJNS5_IJLi1ELi2EEEENS5_IJLi3ELi4EEEES16_EEENS5_IJLi3ELi5ELi4EEEElEES1N_NS_35ThreadGroupTensorSliceTransfer_v4r1INS_15ThisThreadBlockILi256EEENS_16tensor_operation12element_wise11PassThroughES34_LNS_25InMemoryDataOperationEnumE0ENS5_IJLi8ELi128ELi16EEEENS5_IJLi8ELi32ELi1EEEENS5_IJLi1ELi0ELi2EEEESC_SC_RKS2Y_KS1N_S38_NS5_IJLi0ELi1ELi2EEEELi2ELi2ELi16ELi16ELi1ELi1ELb0ELb1ELi2EiEENS_13DynamicBufferILNS_16AddressSpaceEnumE1EKSC_lLb1ELNS_22AmdBufferCoherenceEnumE0EiEENS3E_ILS3F_2ESC_S1M_Lb1ELS3H_0EiEENSF_IJiiiEEENSE_INSF_IJNSU_INSF_IJiiiiEEELb0EEENS_23Merge_v2_magic_divisionIS2L_EENSS_INSF_IJiEEEEES2P_EEENSF_IJS13_NS5_IJLi1ELi3EEEES2R_S17_EEENSF_IJNS5_IJLi1ELi2ELi3ELi4EEEES16_S18_S19_EEENS5_IJLi5ELi6ELi7EEEElEES22_NS2Z_IS31_S34_S34_LS35_0ES36_NS5_IJLi4ELi64ELi1EEEES38_SD_SD_RKS3X_KS22_S38_S3C_Li2ELi2ELi16ELi16ELi1ELi1ELb0ELb1ELi2EiEENS3E_ILS3F_1EKSD_lLb1ELS3H_0EiEENS3E_ILS3F_2ESD_S1M_Lb1ELS3H_0EiEES3K_NS_25StaticBufferTupleOfVectorILS3F_4EfLi16ELi4ELb1ELb0EEEEEvRKT1_RKT2_RT3_RKT4_RT5_RKT6_RKT7_RKT8_RT9_RKT10_RT11_RKT12_RT13_iENKUlT_E0_clISM_EEDaS56_ENKUlS56_E_clINSH_IiLi0EEEEEDaS56_ENKUlS56_E1_clIS5B_EEDaS56_EUlS56_E_EEvS56_EUlS56_E_EEvS56_,@function
_ZNK2ck6detail7applierIiJLi0ELi1ELi2ELi3ELi4ELi5ELi6ELi7ELi8ELi9ELi10ELi11ELi12ELi13ELi14ELi15EEEclIZNKS_11static_fordINS_8SequenceIJLi4ELi4EEEENS5_IJLi0ELi1EEEEEclIZZZZNKS_31BlockwiseGemmXdlops_pipeline_v2ILNS_26BlockGemmPipelineSchedulerE1ELi256ENS_9f8_fnuz_tENS_7pk_i4_tESC_fNS_16TensorDescriptorINS_5TupleIJNS_5EmbedINSF_IJNS_17integral_constantIiLi8EEENSH_IiLi128EEENSH_IiLi16EEEEEENSF_IJSK_SJ_NSH_IiLi1EEEEEELb0EEENS_3XorINSF_IJSJ_SI_EEELb1EEENS_11PassThroughISK_EENS_7UnMergeINSF_IJSI_SM_EEELb0EEENSS_ISJ_EEST_NSS_ISI_EENS_21Merge_v3_division_modINSF_IJSJ_SM_EEEEEST_EEENSF_IJNS5_IJLi0EEEENS5_IJLi2ELi1EEEENS5_IJLi3EEEENS5_IJLi5EEEENS5_IJLi4EEEENS5_IJLi6EEEENS5_IJLi7EEEENS5_IJLi9ELi8EEEENS5_IJLi10EEEEEEENSF_IJNS5_IJLi1ELi2ELi3EEEENS5_IJLi4ELi5EEEES18_NS5_IJLi7ELi8EEEENS5_IJLi9EEEES1B_NS5_IJLi11EEEENS5_IJLi12EEEENS5_IJLi13EEEEEEENS5_IJLi11ELi12ELi13EEEENSH_IlLl16384EEEEENSE_INSF_IJNSG_INSF_IJSK_NSH_IiLi64EEESK_EEENSF_IJSK_NSH_IiLi256EEESM_EEELb0EEENSP_INSF_IJS1O_SK_EEELb1EEEST_NSU_INSF_IJSI_NSH_IiLi2EEEEEELb0EEENSS_IS1O_EEST_SY_NSZ_INSF_IJS1O_S1V_EEEEEST_EEES1C_S1K_S1L_S1M_EENSE_INSF_IJSO_SR_ST_SW_SX_ST_SY_S11_ST_NSZ_INSF_IJSI_SK_EEEEENSU_INSF_IJNSH_IiLi4EEES1V_SK_EEELb0EEEEEENSF_IJS13_S14_S15_S16_S17_S18_S19_S1A_S1B_NS5_IJLi11ELi13EEEES1I_EEENSF_IJS1D_S1E_S18_S1F_S1G_S1B_S1H_S1I_S1J_NS5_IJLi14EEEENS5_IJLi15ELi16ELi17EEEEEEENS5_IJLi15ELi16ELi17ELi14EEEES1M_EENSE_INSF_IJS1S_S1U_ST_S1X_S1Y_ST_SY_S20_ST_S24_S27_EEES2A_S2D_S2E_S1M_EELi16ELi16ELi128ELi128ELi128ELi16ELi16ELi4ELi4ELi16ELb0EE3RunILb1ELNS_10TailNumberE10ENSE_INSF_IJNSG_INSF_IJiiEEENSF_IJiSM_EEELb0EEENSU_IS2L_Lb0EEENSS_IiEEEEENSF_IJS13_NS5_IJLi2EEEENS5_IJLi1EEEEEEENSF_IJNS5_IJLi1ELi2EEEENS5_IJLi3ELi4EEEES16_EEENS5_IJLi3ELi5ELi4EEEElEES1N_NS_35ThreadGroupTensorSliceTransfer_v4r1INS_15ThisThreadBlockILi256EEENS_16tensor_operation12element_wise11PassThroughES34_LNS_25InMemoryDataOperationEnumE0ENS5_IJLi8ELi128ELi16EEEENS5_IJLi8ELi32ELi1EEEENS5_IJLi1ELi0ELi2EEEESC_SC_RKS2Y_KS1N_S38_NS5_IJLi0ELi1ELi2EEEELi2ELi2ELi16ELi16ELi1ELi1ELb0ELb1ELi2EiEENS_13DynamicBufferILNS_16AddressSpaceEnumE1EKSC_lLb1ELNS_22AmdBufferCoherenceEnumE0EiEENS3E_ILS3F_2ESC_S1M_Lb1ELS3H_0EiEENSF_IJiiiEEENSE_INSF_IJNSU_INSF_IJiiiiEEELb0EEENS_23Merge_v2_magic_divisionIS2L_EENSS_INSF_IJiEEEEES2P_EEENSF_IJS13_NS5_IJLi1ELi3EEEES2R_S17_EEENSF_IJNS5_IJLi1ELi2ELi3ELi4EEEES16_S18_S19_EEENS5_IJLi5ELi6ELi7EEEElEES22_NS2Z_IS31_S34_S34_LS35_0ES36_NS5_IJLi4ELi64ELi1EEEES38_SD_SD_RKS3X_KS22_S38_S3C_Li2ELi2ELi16ELi16ELi1ELi1ELb0ELb1ELi2EiEENS3E_ILS3F_1EKSD_lLb1ELS3H_0EiEENS3E_ILS3F_2ESD_S1M_Lb1ELS3H_0EiEES3K_NS_25StaticBufferTupleOfVectorILS3F_4EfLi16ELi4ELb1ELb0EEEEEvRKT1_RKT2_RT3_RKT4_RT5_RKT6_RKT7_RKT8_RT9_RKT10_RT11_RKT12_RT13_iENKUlT_E0_clISM_EEDaS56_ENKUlS56_E_clINSH_IiLi0EEEEEDaS56_ENKUlS56_E1_clIS5B_EEDaS56_EUlS56_E_EEvS56_EUlS56_E_EEvS56_: ; @_ZNK2ck6detail7applierIiJLi0ELi1ELi2ELi3ELi4ELi5ELi6ELi7ELi8ELi9ELi10ELi11ELi12ELi13ELi14ELi15EEEclIZNKS_11static_fordINS_8SequenceIJLi4ELi4EEEENS5_IJLi0ELi1EEEEEclIZZZZNKS_31BlockwiseGemmXdlops_pipeline_v2ILNS_26BlockGemmPipelineSchedulerE1ELi256ENS_9f8_fnuz_tENS_7pk_i4_tESC_fNS_16TensorDescriptorINS_5TupleIJNS_5EmbedINSF_IJNS_17integral_constantIiLi8EEENSH_IiLi128EEENSH_IiLi16EEEEEENSF_IJSK_SJ_NSH_IiLi1EEEEEELb0EEENS_3XorINSF_IJSJ_SI_EEELb1EEENS_11PassThroughISK_EENS_7UnMergeINSF_IJSI_SM_EEELb0EEENSS_ISJ_EEST_NSS_ISI_EENS_21Merge_v3_division_modINSF_IJSJ_SM_EEEEEST_EEENSF_IJNS5_IJLi0EEEENS5_IJLi2ELi1EEEENS5_IJLi3EEEENS5_IJLi5EEEENS5_IJLi4EEEENS5_IJLi6EEEENS5_IJLi7EEEENS5_IJLi9ELi8EEEENS5_IJLi10EEEEEEENSF_IJNS5_IJLi1ELi2ELi3EEEENS5_IJLi4ELi5EEEES18_NS5_IJLi7ELi8EEEENS5_IJLi9EEEES1B_NS5_IJLi11EEEENS5_IJLi12EEEENS5_IJLi13EEEEEEENS5_IJLi11ELi12ELi13EEEENSH_IlLl16384EEEEENSE_INSF_IJNSG_INSF_IJSK_NSH_IiLi64EEESK_EEENSF_IJSK_NSH_IiLi256EEESM_EEELb0EEENSP_INSF_IJS1O_SK_EEELb1EEEST_NSU_INSF_IJSI_NSH_IiLi2EEEEEELb0EEENSS_IS1O_EEST_SY_NSZ_INSF_IJS1O_S1V_EEEEEST_EEES1C_S1K_S1L_S1M_EENSE_INSF_IJSO_SR_ST_SW_SX_ST_SY_S11_ST_NSZ_INSF_IJSI_SK_EEEEENSU_INSF_IJNSH_IiLi4EEES1V_SK_EEELb0EEEEEENSF_IJS13_S14_S15_S16_S17_S18_S19_S1A_S1B_NS5_IJLi11ELi13EEEES1I_EEENSF_IJS1D_S1E_S18_S1F_S1G_S1B_S1H_S1I_S1J_NS5_IJLi14EEEENS5_IJLi15ELi16ELi17EEEEEEENS5_IJLi15ELi16ELi17ELi14EEEES1M_EENSE_INSF_IJS1S_S1U_ST_S1X_S1Y_ST_SY_S20_ST_S24_S27_EEES2A_S2D_S2E_S1M_EELi16ELi16ELi128ELi128ELi128ELi16ELi16ELi4ELi4ELi16ELb0EE3RunILb1ELNS_10TailNumberE10ENSE_INSF_IJNSG_INSF_IJiiEEENSF_IJiSM_EEELb0EEENSU_IS2L_Lb0EEENSS_IiEEEEENSF_IJS13_NS5_IJLi2EEEENS5_IJLi1EEEEEEENSF_IJNS5_IJLi1ELi2EEEENS5_IJLi3ELi4EEEES16_EEENS5_IJLi3ELi5ELi4EEEElEES1N_NS_35ThreadGroupTensorSliceTransfer_v4r1INS_15ThisThreadBlockILi256EEENS_16tensor_operation12element_wise11PassThroughES34_LNS_25InMemoryDataOperationEnumE0ENS5_IJLi8ELi128ELi16EEEENS5_IJLi8ELi32ELi1EEEENS5_IJLi1ELi0ELi2EEEESC_SC_RKS2Y_KS1N_S38_NS5_IJLi0ELi1ELi2EEEELi2ELi2ELi16ELi16ELi1ELi1ELb0ELb1ELi2EiEENS_13DynamicBufferILNS_16AddressSpaceEnumE1EKSC_lLb1ELNS_22AmdBufferCoherenceEnumE0EiEENS3E_ILS3F_2ESC_S1M_Lb1ELS3H_0EiEENSF_IJiiiEEENSE_INSF_IJNSU_INSF_IJiiiiEEELb0EEENS_23Merge_v2_magic_divisionIS2L_EENSS_INSF_IJiEEEEES2P_EEENSF_IJS13_NS5_IJLi1ELi3EEEES2R_S17_EEENSF_IJNS5_IJLi1ELi2ELi3ELi4EEEES16_S18_S19_EEENS5_IJLi5ELi6ELi7EEEElEES22_NS2Z_IS31_S34_S34_LS35_0ES36_NS5_IJLi4ELi64ELi1EEEES38_SD_SD_RKS3X_KS22_S38_S3C_Li2ELi2ELi16ELi16ELi1ELi1ELb0ELb1ELi2EiEENS3E_ILS3F_1EKSD_lLb1ELS3H_0EiEENS3E_ILS3F_2ESD_S1M_Lb1ELS3H_0EiEES3K_NS_25StaticBufferTupleOfVectorILS3F_4EfLi16ELi4ELb1ELb0EEEEEvRKT1_RKT2_RT3_RKT4_RT5_RKT6_RKT7_RKT8_RT9_RKT10_RT11_RKT12_RT13_iENKUlT_E0_clISM_EEDaS56_ENKUlS56_E_clINSH_IiLi0EEEEEDaS56_ENKUlS56_E1_clIS5B_EEDaS56_EUlS56_E_EEvS56_EUlS56_E_EEvS56_
; %bb.0:
	s_waitcnt vmcnt(0) expcnt(0) lgkmcnt(0)
	flat_load_dwordx4 v[12:15], v[0:1] offset:8
	flat_load_dwordx2 v[10:11], v[0:1] offset:32
	s_movk_i32 s4, 0x7f
                                        ; implicit-def: $sgpr10
	s_waitcnt vmcnt(0) lgkmcnt(0)
	flat_load_dwordx4 v[6:9], v[12:13]
	flat_load_dwordx4 v[2:5], v[14:15]
	s_waitcnt vmcnt(0) lgkmcnt(0)
	v_cmp_gt_i16_sdwa s[6:7], v6, s4 src0_sel:BYTE_0 src1_sel:DWORD
	s_mov_b64 s[4:5], 0
	s_and_saveexec_b64 s[8:9], s[6:7]
	s_xor_b64 s[6:7], exec, s[8:9]
	s_cbranch_execnz .LBB10_2049
; %bb.1:
	s_or_saveexec_b64 s[6:7], s[6:7]
	v_mov_b32_e32 v12, s10
	s_xor_b64 exec, exec, s[6:7]
	s_cbranch_execnz .LBB10_2052
.LBB10_2:
	s_or_b64 exec, exec, s[6:7]
	s_and_saveexec_b64 s[6:7], s[4:5]
	s_cbranch_execz .LBB10_4
.LBB10_3:
	v_and_b32_e32 v12, 7, v6
	v_ffbh_u32_e32 v14, v12
	v_min_u32_e32 v14, 32, v14
	v_lshrrev_b16_e32 v13, 3, v6
	v_subrev_u32_e32 v15, 28, v14
	v_and_b32_e32 v13, 15, v13
	v_lshlrev_b32_e32 v15, v15, v6
	v_sub_u32_e32 v14, 29, v14
	v_and_b32_e32 v15, 7, v15
	v_cmp_eq_u16_e32 vcc, 0, v13
	v_cndmask_b32_e32 v12, v12, v15, vcc
	v_cndmask_b32_e32 v13, v13, v14, vcc
	v_lshlrev_b32_e32 v14, 24, v6
	v_mov_b32_e32 v15, 0x3b800000
	v_lshlrev_b32_e32 v12, 20, v12
	v_and_b32_e32 v14, 0x80000000, v14
	v_lshl_add_u32 v13, v13, 23, v15
	v_or3_b32 v12, v14, v13, v12
.LBB10_4:
	s_or_b64 exec, exec, s[6:7]
	s_movk_i32 s4, 0x7f
	v_cmp_gt_i16_sdwa s[6:7], v2, s4 src0_sel:BYTE_0 src1_sel:DWORD
	s_mov_b64 s[4:5], 0
                                        ; implicit-def: $sgpr10
	s_and_saveexec_b64 s[8:9], s[6:7]
	s_xor_b64 s[6:7], exec, s[8:9]
	s_cbranch_execnz .LBB10_2053
; %bb.5:
	s_or_saveexec_b64 s[6:7], s[6:7]
	v_mov_b32_e32 v13, s10
	s_xor_b64 exec, exec, s[6:7]
	s_cbranch_execnz .LBB10_2056
.LBB10_6:
	s_or_b64 exec, exec, s[6:7]
	s_and_saveexec_b64 s[6:7], s[4:5]
	s_cbranch_execz .LBB10_8
.LBB10_7:
	v_and_b32_e32 v13, 7, v2
	v_ffbh_u32_e32 v15, v13
	v_min_u32_e32 v15, 32, v15
	v_lshrrev_b16_e32 v14, 3, v2
	v_subrev_u32_e32 v16, 28, v15
	v_and_b32_e32 v14, 15, v14
	v_lshlrev_b32_e32 v16, v16, v2
	v_sub_u32_e32 v15, 29, v15
	v_and_b32_e32 v16, 7, v16
	v_cmp_eq_u16_e32 vcc, 0, v14
	v_cndmask_b32_e32 v13, v13, v16, vcc
	v_cndmask_b32_e32 v14, v14, v15, vcc
	v_lshlrev_b32_e32 v15, 24, v2
	v_mov_b32_e32 v16, 0x3b800000
	v_lshlrev_b32_e32 v13, 20, v13
	v_and_b32_e32 v15, 0x80000000, v15
	v_lshl_add_u32 v14, v14, 23, v16
	v_or3_b32 v13, v15, v14, v13
.LBB10_8:
	s_or_b64 exec, exec, s[6:7]
	flat_load_dwordx4 a[0:3], v[10:11]
	s_movk_i32 s4, 0x7f
                                        ; implicit-def: $sgpr10
	s_waitcnt vmcnt(0) lgkmcnt(0)
	v_mfma_f32_16x16x4f32 a[0:3], v12, v13, a[0:3]
	v_lshrrev_b32_e32 v13, 8, v6
	v_cmp_gt_i16_sdwa s[6:7], v13, s4 src0_sel:BYTE_0 src1_sel:DWORD
	s_mov_b64 s[4:5], 0
	s_and_saveexec_b64 s[8:9], s[6:7]
	s_xor_b64 s[6:7], exec, s[8:9]
	s_cbranch_execnz .LBB10_2057
; %bb.9:
	s_or_saveexec_b64 s[6:7], s[6:7]
	v_mov_b32_e32 v12, s10
	s_xor_b64 exec, exec, s[6:7]
	s_cbranch_execnz .LBB10_2060
.LBB10_10:
	s_or_b64 exec, exec, s[6:7]
	s_and_saveexec_b64 s[6:7], s[4:5]
	s_cbranch_execz .LBB10_12
.LBB10_11:
	v_bfe_u32 v12, v6, 8, 3
	v_ffbh_u32_e32 v15, v12
	v_min_u32_e32 v15, 32, v15
	v_lshrrev_b16_e32 v14, 3, v13
	v_subrev_u32_e32 v16, 28, v15
	v_and_b32_e32 v14, 15, v14
	v_lshlrev_b32_e32 v13, v16, v13
	v_sub_u32_e32 v15, 29, v15
	v_and_b32_e32 v13, 7, v13
	v_cmp_eq_u16_e32 vcc, 0, v14
	v_cndmask_b32_e32 v12, v12, v13, vcc
	v_cndmask_b32_e32 v13, v14, v15, vcc
	v_lshlrev_b32_e32 v14, 16, v6
	v_mov_b32_e32 v15, 0x3b800000
	v_lshlrev_b32_e32 v12, 20, v12
	v_and_b32_e32 v14, 0x80000000, v14
	v_lshl_add_u32 v13, v13, 23, v15
	v_or3_b32 v12, v14, v13, v12
.LBB10_12:
	s_or_b64 exec, exec, s[6:7]
	v_lshrrev_b32_e32 v13, 8, v2
	s_movk_i32 s4, 0x7f
	v_cmp_gt_i16_sdwa s[6:7], v13, s4 src0_sel:BYTE_0 src1_sel:DWORD
	s_mov_b64 s[4:5], 0
                                        ; implicit-def: $sgpr10
	s_and_saveexec_b64 s[8:9], s[6:7]
	s_xor_b64 s[6:7], exec, s[8:9]
	s_cbranch_execnz .LBB10_2061
; %bb.13:
	s_or_saveexec_b64 s[6:7], s[6:7]
	v_mov_b32_e32 v14, s10
	s_xor_b64 exec, exec, s[6:7]
	s_cbranch_execnz .LBB10_2064
.LBB10_14:
	s_or_b64 exec, exec, s[6:7]
	s_and_saveexec_b64 s[6:7], s[4:5]
	s_cbranch_execz .LBB10_16
.LBB10_15:
	v_bfe_u32 v14, v2, 8, 3
	v_ffbh_u32_e32 v16, v14
	v_min_u32_e32 v16, 32, v16
	v_lshrrev_b16_e32 v15, 3, v13
	v_subrev_u32_e32 v17, 28, v16
	v_and_b32_e32 v15, 15, v15
	v_lshlrev_b32_e32 v13, v17, v13
	v_sub_u32_e32 v16, 29, v16
	v_and_b32_e32 v13, 7, v13
	v_cmp_eq_u16_e32 vcc, 0, v15
	v_cndmask_b32_e32 v13, v14, v13, vcc
	v_cndmask_b32_e32 v14, v15, v16, vcc
	v_lshlrev_b32_e32 v15, 16, v2
	v_mov_b32_e32 v16, 0x3b800000
	v_lshlrev_b32_e32 v13, 20, v13
	v_and_b32_e32 v15, 0x80000000, v15
	v_lshl_add_u32 v14, v14, 23, v16
	v_or3_b32 v14, v15, v14, v13
.LBB10_16:
	s_or_b64 exec, exec, s[6:7]
	s_nop 0
	v_mfma_f32_16x16x4f32 a[0:3], v12, v14, a[0:3]
	s_movk_i32 s4, 0xff
	v_and_b32_sdwa v13, v6, s4 dst_sel:DWORD dst_unused:UNUSED_PAD src0_sel:WORD_1 src1_sel:DWORD
	s_movk_i32 s4, 0x7f
	v_cmp_lt_i16_e32 vcc, s4, v13
	s_mov_b64 s[4:5], 0
                                        ; implicit-def: $sgpr10
	s_and_saveexec_b64 s[6:7], vcc
	s_xor_b64 s[6:7], exec, s[6:7]
	s_cbranch_execnz .LBB10_2065
; %bb.17:
	s_or_saveexec_b64 s[6:7], s[6:7]
	v_mov_b32_e32 v12, s10
	s_xor_b64 exec, exec, s[6:7]
	s_cbranch_execnz .LBB10_2068
.LBB10_18:
	s_or_b64 exec, exec, s[6:7]
	s_and_saveexec_b64 s[6:7], s[4:5]
	s_cbranch_execz .LBB10_20
.LBB10_19:
	v_bfe_u32 v12, v6, 16, 3
	v_ffbh_u32_e32 v15, v12
	v_min_u32_e32 v15, 32, v15
	v_lshrrev_b32_e32 v13, 19, v6
	v_subrev_u32_e32 v16, 28, v15
	v_and_b32_e32 v13, 15, v13
	v_lshlrev_b32_sdwa v16, v16, v6 dst_sel:DWORD dst_unused:UNUSED_PAD src0_sel:DWORD src1_sel:WORD_1
	v_bfe_u32 v14, v6, 19, 4
	v_sub_u32_e32 v15, 29, v15
	v_and_b32_e32 v16, 7, v16
	v_cmp_eq_u16_e32 vcc, 0, v13
	v_cndmask_b32_e32 v12, v12, v16, vcc
	v_cndmask_b32_e32 v13, v14, v15, vcc
	v_lshlrev_b32_e32 v14, 8, v6
	v_mov_b32_e32 v15, 0x3b800000
	v_lshlrev_b32_e32 v12, 20, v12
	v_and_b32_e32 v14, 0x80000000, v14
	v_lshl_add_u32 v13, v13, 23, v15
	v_or3_b32 v12, v14, v13, v12
.LBB10_20:
	s_or_b64 exec, exec, s[6:7]
	s_movk_i32 s4, 0xff
	v_and_b32_sdwa v13, v2, s4 dst_sel:DWORD dst_unused:UNUSED_PAD src0_sel:WORD_1 src1_sel:DWORD
	s_movk_i32 s4, 0x7f
	v_cmp_lt_i16_e32 vcc, s4, v13
	s_mov_b64 s[4:5], 0
                                        ; implicit-def: $sgpr10
	s_and_saveexec_b64 s[6:7], vcc
	s_xor_b64 s[6:7], exec, s[6:7]
	s_cbranch_execnz .LBB10_2069
; %bb.21:
	s_or_saveexec_b64 s[6:7], s[6:7]
	v_mov_b32_e32 v14, s10
	s_xor_b64 exec, exec, s[6:7]
	s_cbranch_execnz .LBB10_2072
.LBB10_22:
	s_or_b64 exec, exec, s[6:7]
	s_and_saveexec_b64 s[6:7], s[4:5]
	s_cbranch_execz .LBB10_24
.LBB10_23:
	v_bfe_u32 v13, v2, 16, 3
	v_ffbh_u32_e32 v16, v13
	v_min_u32_e32 v16, 32, v16
	v_lshrrev_b32_e32 v14, 19, v2
	v_subrev_u32_e32 v17, 28, v16
	v_and_b32_e32 v14, 15, v14
	v_lshlrev_b32_sdwa v17, v17, v2 dst_sel:DWORD dst_unused:UNUSED_PAD src0_sel:DWORD src1_sel:WORD_1
	v_bfe_u32 v15, v2, 19, 4
	v_sub_u32_e32 v16, 29, v16
	v_and_b32_e32 v17, 7, v17
	v_cmp_eq_u16_e32 vcc, 0, v14
	v_cndmask_b32_e32 v13, v13, v17, vcc
	v_cndmask_b32_e32 v14, v15, v16, vcc
	v_lshlrev_b32_e32 v15, 8, v2
	v_mov_b32_e32 v16, 0x3b800000
	v_lshlrev_b32_e32 v13, 20, v13
	v_and_b32_e32 v15, 0x80000000, v15
	v_lshl_add_u32 v14, v14, 23, v16
	v_or3_b32 v14, v15, v14, v13
.LBB10_24:
	s_or_b64 exec, exec, s[6:7]
	s_nop 0
	v_mfma_f32_16x16x4f32 a[0:3], v12, v14, a[0:3]
	s_movk_i32 s4, 0x7f
	v_cmp_gt_i16_sdwa s[6:7], v6, s4 src0_sel:BYTE_3 src1_sel:DWORD
	s_mov_b64 s[4:5], 0
                                        ; implicit-def: $sgpr10
	s_and_saveexec_b64 s[8:9], s[6:7]
	s_xor_b64 s[6:7], exec, s[8:9]
	s_cbranch_execnz .LBB10_2073
; %bb.25:
	s_or_saveexec_b64 s[6:7], s[6:7]
	v_mov_b32_e32 v12, s10
	s_xor_b64 exec, exec, s[6:7]
	s_cbranch_execnz .LBB10_2076
.LBB10_26:
	s_or_b64 exec, exec, s[6:7]
	s_and_saveexec_b64 s[6:7], s[4:5]
	s_cbranch_execz .LBB10_28
.LBB10_27:
	v_bfe_u32 v12, v6, 24, 3
	v_ffbh_u32_e32 v16, v12
	v_min_u32_e32 v16, 32, v16
	v_lshrrev_b32_e32 v14, 27, v6
	v_subrev_u32_e32 v17, 28, v16
	v_and_b32_e32 v13, 0x80000000, v6
	v_and_b32_e32 v14, 15, v14
	v_bfe_u32 v15, v6, 27, 4
	v_lshlrev_b32_sdwa v6, v17, v6 dst_sel:DWORD dst_unused:UNUSED_PAD src0_sel:DWORD src1_sel:BYTE_3
	v_sub_u32_e32 v16, 29, v16
	v_and_b32_e32 v6, 7, v6
	v_cmp_eq_u16_e32 vcc, 0, v14
	v_cndmask_b32_e32 v6, v12, v6, vcc
	v_cndmask_b32_e32 v12, v15, v16, vcc
	v_mov_b32_e32 v14, 0x3b800000
	v_lshlrev_b32_e32 v6, 20, v6
	v_lshl_add_u32 v12, v12, 23, v14
	v_or3_b32 v12, v13, v12, v6
.LBB10_28:
	s_or_b64 exec, exec, s[6:7]
	s_movk_i32 s4, 0x7f
	v_cmp_gt_i16_sdwa s[6:7], v2, s4 src0_sel:BYTE_3 src1_sel:DWORD
	s_mov_b64 s[4:5], 0
                                        ; implicit-def: $sgpr10
	s_and_saveexec_b64 s[8:9], s[6:7]
	s_xor_b64 s[6:7], exec, s[8:9]
	s_cbranch_execnz .LBB10_2077
; %bb.29:
	s_or_saveexec_b64 s[6:7], s[6:7]
	v_mov_b32_e32 v6, s10
	s_xor_b64 exec, exec, s[6:7]
	s_cbranch_execnz .LBB10_2080
.LBB10_30:
	s_or_b64 exec, exec, s[6:7]
	s_and_saveexec_b64 s[6:7], s[4:5]
	s_cbranch_execz .LBB10_32
.LBB10_31:
	v_bfe_u32 v6, v2, 24, 3
	v_ffbh_u32_e32 v16, v6
	v_min_u32_e32 v16, 32, v16
	v_lshrrev_b32_e32 v14, 27, v2
	v_subrev_u32_e32 v17, 28, v16
	v_and_b32_e32 v13, 0x80000000, v2
	v_and_b32_e32 v14, 15, v14
	v_bfe_u32 v15, v2, 27, 4
	v_lshlrev_b32_sdwa v2, v17, v2 dst_sel:DWORD dst_unused:UNUSED_PAD src0_sel:DWORD src1_sel:BYTE_3
	v_sub_u32_e32 v16, 29, v16
	v_and_b32_e32 v2, 7, v2
	v_cmp_eq_u16_e32 vcc, 0, v14
	v_cndmask_b32_e32 v2, v6, v2, vcc
	v_cndmask_b32_e32 v6, v15, v16, vcc
	v_mov_b32_e32 v14, 0x3b800000
	v_lshlrev_b32_e32 v2, 20, v2
	v_lshl_add_u32 v6, v6, 23, v14
	v_or3_b32 v6, v13, v6, v2
.LBB10_32:
	s_or_b64 exec, exec, s[6:7]
	s_nop 0
	v_mfma_f32_16x16x4f32 a[0:3], v12, v6, a[0:3]
	s_movk_i32 s4, 0x7f
	v_cmp_gt_i16_sdwa s[6:7], v7, s4 src0_sel:BYTE_0 src1_sel:DWORD
	s_mov_b64 s[4:5], 0
                                        ; implicit-def: $sgpr10
	s_and_saveexec_b64 s[8:9], s[6:7]
	s_xor_b64 s[6:7], exec, s[8:9]
	s_cbranch_execnz .LBB10_2081
; %bb.33:
	s_or_saveexec_b64 s[6:7], s[6:7]
	v_mov_b32_e32 v2, s10
	s_xor_b64 exec, exec, s[6:7]
	s_cbranch_execnz .LBB10_2084
.LBB10_34:
	s_or_b64 exec, exec, s[6:7]
	s_and_saveexec_b64 s[6:7], s[4:5]
	s_cbranch_execz .LBB10_36
.LBB10_35:
	v_and_b32_e32 v2, 7, v7
	v_ffbh_u32_e32 v12, v2
	v_min_u32_e32 v12, 32, v12
	v_lshrrev_b16_e32 v6, 3, v7
	v_subrev_u32_e32 v13, 28, v12
	v_and_b32_e32 v6, 15, v6
	v_lshlrev_b32_e32 v13, v13, v7
	v_sub_u32_e32 v12, 29, v12
	v_and_b32_e32 v13, 7, v13
	v_cmp_eq_u16_e32 vcc, 0, v6
	v_cndmask_b32_e32 v2, v2, v13, vcc
	v_cndmask_b32_e32 v6, v6, v12, vcc
	v_lshlrev_b32_e32 v12, 24, v7
	v_mov_b32_e32 v13, 0x3b800000
	v_lshlrev_b32_e32 v2, 20, v2
	v_and_b32_e32 v12, 0x80000000, v12
	v_lshl_add_u32 v6, v6, 23, v13
	v_or3_b32 v2, v12, v6, v2
.LBB10_36:
	s_or_b64 exec, exec, s[6:7]
	s_movk_i32 s4, 0x7f
	v_cmp_gt_i16_sdwa s[6:7], v3, s4 src0_sel:BYTE_0 src1_sel:DWORD
	s_mov_b64 s[4:5], 0
                                        ; implicit-def: $sgpr10
	s_and_saveexec_b64 s[8:9], s[6:7]
	s_xor_b64 s[6:7], exec, s[8:9]
	s_cbranch_execnz .LBB10_2085
; %bb.37:
	s_or_saveexec_b64 s[6:7], s[6:7]
	v_mov_b32_e32 v6, s10
	s_xor_b64 exec, exec, s[6:7]
	s_cbranch_execnz .LBB10_2088
.LBB10_38:
	s_or_b64 exec, exec, s[6:7]
	s_and_saveexec_b64 s[6:7], s[4:5]
	s_cbranch_execz .LBB10_40
.LBB10_39:
	v_and_b32_e32 v6, 7, v3
	v_ffbh_u32_e32 v13, v6
	v_min_u32_e32 v13, 32, v13
	v_lshrrev_b16_e32 v12, 3, v3
	v_subrev_u32_e32 v14, 28, v13
	v_and_b32_e32 v12, 15, v12
	v_lshlrev_b32_e32 v14, v14, v3
	v_sub_u32_e32 v13, 29, v13
	v_and_b32_e32 v14, 7, v14
	v_cmp_eq_u16_e32 vcc, 0, v12
	v_cndmask_b32_e32 v6, v6, v14, vcc
	v_cndmask_b32_e32 v12, v12, v13, vcc
	v_lshlrev_b32_e32 v13, 24, v3
	v_mov_b32_e32 v14, 0x3b800000
	v_lshlrev_b32_e32 v6, 20, v6
	v_and_b32_e32 v13, 0x80000000, v13
	v_lshl_add_u32 v12, v12, 23, v14
	v_or3_b32 v6, v13, v12, v6
.LBB10_40:
	s_or_b64 exec, exec, s[6:7]
	s_nop 0
	v_mfma_f32_16x16x4f32 a[0:3], v2, v6, a[0:3]
	v_lshrrev_b32_e32 v6, 8, v7
	s_movk_i32 s4, 0x7f
	v_cmp_gt_i16_sdwa s[6:7], v6, s4 src0_sel:BYTE_0 src1_sel:DWORD
	s_mov_b64 s[4:5], 0
                                        ; implicit-def: $sgpr10
	s_and_saveexec_b64 s[8:9], s[6:7]
	s_xor_b64 s[6:7], exec, s[8:9]
	s_cbranch_execnz .LBB10_2089
; %bb.41:
	s_or_saveexec_b64 s[6:7], s[6:7]
	v_mov_b32_e32 v2, s10
	s_xor_b64 exec, exec, s[6:7]
	s_cbranch_execnz .LBB10_2092
.LBB10_42:
	s_or_b64 exec, exec, s[6:7]
	s_and_saveexec_b64 s[6:7], s[4:5]
	s_cbranch_execz .LBB10_44
.LBB10_43:
	v_bfe_u32 v2, v7, 8, 3
	v_ffbh_u32_e32 v13, v2
	v_min_u32_e32 v13, 32, v13
	v_lshrrev_b16_e32 v12, 3, v6
	v_subrev_u32_e32 v14, 28, v13
	v_and_b32_e32 v12, 15, v12
	v_lshlrev_b32_e32 v6, v14, v6
	v_sub_u32_e32 v13, 29, v13
	v_and_b32_e32 v6, 7, v6
	v_cmp_eq_u16_e32 vcc, 0, v12
	v_cndmask_b32_e32 v2, v2, v6, vcc
	v_cndmask_b32_e32 v6, v12, v13, vcc
	v_lshlrev_b32_e32 v12, 16, v7
	v_mov_b32_e32 v13, 0x3b800000
	v_lshlrev_b32_e32 v2, 20, v2
	v_and_b32_e32 v12, 0x80000000, v12
	v_lshl_add_u32 v6, v6, 23, v13
	v_or3_b32 v2, v12, v6, v2
.LBB10_44:
	s_or_b64 exec, exec, s[6:7]
	v_lshrrev_b32_e32 v6, 8, v3
	s_movk_i32 s4, 0x7f
	v_cmp_gt_i16_sdwa s[6:7], v6, s4 src0_sel:BYTE_0 src1_sel:DWORD
	s_mov_b64 s[4:5], 0
                                        ; implicit-def: $sgpr10
	s_and_saveexec_b64 s[8:9], s[6:7]
	s_xor_b64 s[6:7], exec, s[8:9]
	s_cbranch_execnz .LBB10_2093
; %bb.45:
	s_or_saveexec_b64 s[6:7], s[6:7]
	v_mov_b32_e32 v12, s10
	s_xor_b64 exec, exec, s[6:7]
	s_cbranch_execnz .LBB10_2096
.LBB10_46:
	s_or_b64 exec, exec, s[6:7]
	s_and_saveexec_b64 s[6:7], s[4:5]
	s_cbranch_execz .LBB10_48
.LBB10_47:
	v_bfe_u32 v12, v3, 8, 3
	v_ffbh_u32_e32 v14, v12
	v_min_u32_e32 v14, 32, v14
	v_lshrrev_b16_e32 v13, 3, v6
	v_subrev_u32_e32 v15, 28, v14
	v_and_b32_e32 v13, 15, v13
	v_lshlrev_b32_e32 v6, v15, v6
	v_sub_u32_e32 v14, 29, v14
	v_and_b32_e32 v6, 7, v6
	v_cmp_eq_u16_e32 vcc, 0, v13
	v_cndmask_b32_e32 v6, v12, v6, vcc
	v_cndmask_b32_e32 v12, v13, v14, vcc
	v_lshlrev_b32_e32 v13, 16, v3
	v_mov_b32_e32 v14, 0x3b800000
	v_lshlrev_b32_e32 v6, 20, v6
	v_and_b32_e32 v13, 0x80000000, v13
	v_lshl_add_u32 v12, v12, 23, v14
	v_or3_b32 v12, v13, v12, v6
.LBB10_48:
	s_or_b64 exec, exec, s[6:7]
	s_nop 0
	v_mfma_f32_16x16x4f32 a[0:3], v2, v12, a[0:3]
	s_movk_i32 s4, 0xff
	v_and_b32_sdwa v6, v7, s4 dst_sel:DWORD dst_unused:UNUSED_PAD src0_sel:WORD_1 src1_sel:DWORD
	s_movk_i32 s4, 0x7f
	v_cmp_lt_i16_e32 vcc, s4, v6
	s_mov_b64 s[4:5], 0
                                        ; implicit-def: $sgpr10
	s_and_saveexec_b64 s[6:7], vcc
	s_xor_b64 s[6:7], exec, s[6:7]
	s_cbranch_execnz .LBB10_2097
; %bb.49:
	s_or_saveexec_b64 s[6:7], s[6:7]
	v_mov_b32_e32 v2, s10
	s_xor_b64 exec, exec, s[6:7]
	s_cbranch_execnz .LBB10_2100
.LBB10_50:
	s_or_b64 exec, exec, s[6:7]
	s_and_saveexec_b64 s[6:7], s[4:5]
	s_cbranch_execz .LBB10_52
.LBB10_51:
	v_bfe_u32 v2, v7, 16, 3
	v_ffbh_u32_e32 v13, v2
	v_min_u32_e32 v13, 32, v13
	v_lshrrev_b32_e32 v6, 19, v7
	v_subrev_u32_e32 v14, 28, v13
	v_and_b32_e32 v6, 15, v6
	v_lshlrev_b32_sdwa v14, v14, v7 dst_sel:DWORD dst_unused:UNUSED_PAD src0_sel:DWORD src1_sel:WORD_1
	v_bfe_u32 v12, v7, 19, 4
	v_sub_u32_e32 v13, 29, v13
	v_and_b32_e32 v14, 7, v14
	v_cmp_eq_u16_e32 vcc, 0, v6
	v_cndmask_b32_e32 v2, v2, v14, vcc
	v_cndmask_b32_e32 v6, v12, v13, vcc
	v_lshlrev_b32_e32 v12, 8, v7
	v_mov_b32_e32 v13, 0x3b800000
	v_lshlrev_b32_e32 v2, 20, v2
	v_and_b32_e32 v12, 0x80000000, v12
	v_lshl_add_u32 v6, v6, 23, v13
	v_or3_b32 v2, v12, v6, v2
.LBB10_52:
	s_or_b64 exec, exec, s[6:7]
	s_movk_i32 s4, 0xff
	v_and_b32_sdwa v6, v3, s4 dst_sel:DWORD dst_unused:UNUSED_PAD src0_sel:WORD_1 src1_sel:DWORD
	s_movk_i32 s4, 0x7f
	v_cmp_lt_i16_e32 vcc, s4, v6
	s_mov_b64 s[4:5], 0
                                        ; implicit-def: $sgpr10
	s_and_saveexec_b64 s[6:7], vcc
	s_xor_b64 s[6:7], exec, s[6:7]
	s_cbranch_execnz .LBB10_2101
; %bb.53:
	s_or_saveexec_b64 s[6:7], s[6:7]
	v_mov_b32_e32 v12, s10
	s_xor_b64 exec, exec, s[6:7]
	s_cbranch_execnz .LBB10_2104
.LBB10_54:
	s_or_b64 exec, exec, s[6:7]
	s_and_saveexec_b64 s[6:7], s[4:5]
	s_cbranch_execz .LBB10_56
.LBB10_55:
	v_bfe_u32 v6, v3, 16, 3
	v_ffbh_u32_e32 v14, v6
	v_min_u32_e32 v14, 32, v14
	v_lshrrev_b32_e32 v12, 19, v3
	v_subrev_u32_e32 v15, 28, v14
	v_and_b32_e32 v12, 15, v12
	v_lshlrev_b32_sdwa v15, v15, v3 dst_sel:DWORD dst_unused:UNUSED_PAD src0_sel:DWORD src1_sel:WORD_1
	v_bfe_u32 v13, v3, 19, 4
	v_sub_u32_e32 v14, 29, v14
	v_and_b32_e32 v15, 7, v15
	v_cmp_eq_u16_e32 vcc, 0, v12
	v_cndmask_b32_e32 v6, v6, v15, vcc
	v_cndmask_b32_e32 v12, v13, v14, vcc
	v_lshlrev_b32_e32 v13, 8, v3
	v_mov_b32_e32 v14, 0x3b800000
	v_lshlrev_b32_e32 v6, 20, v6
	v_and_b32_e32 v13, 0x80000000, v13
	v_lshl_add_u32 v12, v12, 23, v14
	v_or3_b32 v12, v13, v12, v6
.LBB10_56:
	s_or_b64 exec, exec, s[6:7]
	s_nop 0
	v_mfma_f32_16x16x4f32 a[0:3], v2, v12, a[0:3]
	s_movk_i32 s4, 0x7f
	v_cmp_gt_i16_sdwa s[6:7], v7, s4 src0_sel:BYTE_3 src1_sel:DWORD
	s_mov_b64 s[4:5], 0
                                        ; implicit-def: $sgpr10
	s_and_saveexec_b64 s[8:9], s[6:7]
	s_xor_b64 s[6:7], exec, s[8:9]
	s_cbranch_execnz .LBB10_2105
; %bb.57:
	s_or_saveexec_b64 s[6:7], s[6:7]
	v_mov_b32_e32 v2, s10
	s_xor_b64 exec, exec, s[6:7]
	s_cbranch_execnz .LBB10_2108
.LBB10_58:
	s_or_b64 exec, exec, s[6:7]
	s_and_saveexec_b64 s[6:7], s[4:5]
	s_cbranch_execz .LBB10_60
.LBB10_59:
	v_bfe_u32 v2, v7, 24, 3
	v_ffbh_u32_e32 v14, v2
	v_min_u32_e32 v14, 32, v14
	v_lshrrev_b32_e32 v12, 27, v7
	v_subrev_u32_e32 v15, 28, v14
	v_and_b32_e32 v6, 0x80000000, v7
	v_and_b32_e32 v12, 15, v12
	v_bfe_u32 v13, v7, 27, 4
	v_lshlrev_b32_sdwa v7, v15, v7 dst_sel:DWORD dst_unused:UNUSED_PAD src0_sel:DWORD src1_sel:BYTE_3
	v_sub_u32_e32 v14, 29, v14
	v_and_b32_e32 v7, 7, v7
	v_cmp_eq_u16_e32 vcc, 0, v12
	v_cndmask_b32_e32 v2, v2, v7, vcc
	v_cndmask_b32_e32 v7, v13, v14, vcc
	v_mov_b32_e32 v12, 0x3b800000
	v_lshlrev_b32_e32 v2, 20, v2
	v_lshl_add_u32 v7, v7, 23, v12
	v_or3_b32 v2, v6, v7, v2
.LBB10_60:
	s_or_b64 exec, exec, s[6:7]
	s_movk_i32 s4, 0x7f
	v_cmp_gt_i16_sdwa s[6:7], v3, s4 src0_sel:BYTE_3 src1_sel:DWORD
	s_mov_b64 s[4:5], 0
                                        ; implicit-def: $sgpr10
	s_and_saveexec_b64 s[8:9], s[6:7]
	s_xor_b64 s[6:7], exec, s[8:9]
	s_cbranch_execnz .LBB10_2109
; %bb.61:
	s_or_saveexec_b64 s[6:7], s[6:7]
	v_mov_b32_e32 v6, s10
	s_xor_b64 exec, exec, s[6:7]
	s_cbranch_execnz .LBB10_2112
.LBB10_62:
	s_or_b64 exec, exec, s[6:7]
	s_and_saveexec_b64 s[6:7], s[4:5]
	s_cbranch_execz .LBB10_64
.LBB10_63:
	v_bfe_u32 v6, v3, 24, 3
	v_ffbh_u32_e32 v14, v6
	v_min_u32_e32 v14, 32, v14
	v_lshrrev_b32_e32 v12, 27, v3
	v_subrev_u32_e32 v15, 28, v14
	v_and_b32_e32 v7, 0x80000000, v3
	v_and_b32_e32 v12, 15, v12
	v_bfe_u32 v13, v3, 27, 4
	v_lshlrev_b32_sdwa v3, v15, v3 dst_sel:DWORD dst_unused:UNUSED_PAD src0_sel:DWORD src1_sel:BYTE_3
	v_sub_u32_e32 v14, 29, v14
	v_and_b32_e32 v3, 7, v3
	v_cmp_eq_u16_e32 vcc, 0, v12
	v_cndmask_b32_e32 v3, v6, v3, vcc
	v_cndmask_b32_e32 v6, v13, v14, vcc
	v_mov_b32_e32 v12, 0x3b800000
	v_lshlrev_b32_e32 v3, 20, v3
	v_lshl_add_u32 v6, v6, 23, v12
	v_or3_b32 v6, v7, v6, v3
.LBB10_64:
	s_or_b64 exec, exec, s[6:7]
	s_nop 0
	v_mfma_f32_16x16x4f32 a[0:3], v2, v6, a[0:3]
	s_movk_i32 s4, 0x7f
	v_cmp_gt_i16_sdwa s[6:7], v8, s4 src0_sel:BYTE_0 src1_sel:DWORD
	s_mov_b64 s[4:5], 0
                                        ; implicit-def: $sgpr10
	s_and_saveexec_b64 s[8:9], s[6:7]
	s_xor_b64 s[6:7], exec, s[8:9]
	s_cbranch_execnz .LBB10_2113
; %bb.65:
	s_or_saveexec_b64 s[6:7], s[6:7]
	v_mov_b32_e32 v2, s10
	s_xor_b64 exec, exec, s[6:7]
	s_cbranch_execnz .LBB10_2116
.LBB10_66:
	s_or_b64 exec, exec, s[6:7]
	s_and_saveexec_b64 s[6:7], s[4:5]
	s_cbranch_execz .LBB10_68
.LBB10_67:
	v_and_b32_e32 v2, 7, v8
	v_ffbh_u32_e32 v6, v2
	v_min_u32_e32 v6, 32, v6
	v_lshrrev_b16_e32 v3, 3, v8
	v_subrev_u32_e32 v7, 28, v6
	v_and_b32_e32 v3, 15, v3
	v_lshlrev_b32_e32 v7, v7, v8
	v_sub_u32_e32 v6, 29, v6
	v_and_b32_e32 v7, 7, v7
	v_cmp_eq_u16_e32 vcc, 0, v3
	v_cndmask_b32_e32 v2, v2, v7, vcc
	v_cndmask_b32_e32 v3, v3, v6, vcc
	v_lshlrev_b32_e32 v6, 24, v8
	v_mov_b32_e32 v7, 0x3b800000
	v_lshlrev_b32_e32 v2, 20, v2
	v_and_b32_e32 v6, 0x80000000, v6
	v_lshl_add_u32 v3, v3, 23, v7
	v_or3_b32 v2, v6, v3, v2
.LBB10_68:
	s_or_b64 exec, exec, s[6:7]
	s_movk_i32 s4, 0x7f
	v_cmp_gt_i16_sdwa s[6:7], v4, s4 src0_sel:BYTE_0 src1_sel:DWORD
	s_mov_b64 s[4:5], 0
                                        ; implicit-def: $sgpr10
	s_and_saveexec_b64 s[8:9], s[6:7]
	s_xor_b64 s[6:7], exec, s[8:9]
	s_cbranch_execnz .LBB10_2117
; %bb.69:
	s_or_saveexec_b64 s[6:7], s[6:7]
	v_mov_b32_e32 v3, s10
	s_xor_b64 exec, exec, s[6:7]
	s_cbranch_execnz .LBB10_2120
.LBB10_70:
	s_or_b64 exec, exec, s[6:7]
	s_and_saveexec_b64 s[6:7], s[4:5]
	s_cbranch_execz .LBB10_72
.LBB10_71:
	v_and_b32_e32 v3, 7, v4
	v_ffbh_u32_e32 v7, v3
	v_min_u32_e32 v7, 32, v7
	v_lshrrev_b16_e32 v6, 3, v4
	v_subrev_u32_e32 v12, 28, v7
	v_and_b32_e32 v6, 15, v6
	v_lshlrev_b32_e32 v12, v12, v4
	v_sub_u32_e32 v7, 29, v7
	v_and_b32_e32 v12, 7, v12
	v_cmp_eq_u16_e32 vcc, 0, v6
	v_cndmask_b32_e32 v3, v3, v12, vcc
	v_cndmask_b32_e32 v6, v6, v7, vcc
	v_lshlrev_b32_e32 v7, 24, v4
	v_mov_b32_e32 v12, 0x3b800000
	v_lshlrev_b32_e32 v3, 20, v3
	v_and_b32_e32 v7, 0x80000000, v7
	v_lshl_add_u32 v6, v6, 23, v12
	v_or3_b32 v3, v7, v6, v3
.LBB10_72:
	s_or_b64 exec, exec, s[6:7]
	s_nop 0
	v_mfma_f32_16x16x4f32 a[0:3], v2, v3, a[0:3]
	v_lshrrev_b32_e32 v3, 8, v8
	s_movk_i32 s4, 0x7f
	v_cmp_gt_i16_sdwa s[6:7], v3, s4 src0_sel:BYTE_0 src1_sel:DWORD
	s_mov_b64 s[4:5], 0
                                        ; implicit-def: $sgpr10
	s_and_saveexec_b64 s[8:9], s[6:7]
	s_xor_b64 s[6:7], exec, s[8:9]
	s_cbranch_execnz .LBB10_2121
; %bb.73:
	s_or_saveexec_b64 s[6:7], s[6:7]
	v_mov_b32_e32 v2, s10
	s_xor_b64 exec, exec, s[6:7]
	s_cbranch_execnz .LBB10_2124
.LBB10_74:
	s_or_b64 exec, exec, s[6:7]
	s_and_saveexec_b64 s[6:7], s[4:5]
	s_cbranch_execz .LBB10_76
.LBB10_75:
	v_bfe_u32 v2, v8, 8, 3
	v_ffbh_u32_e32 v7, v2
	v_min_u32_e32 v7, 32, v7
	v_lshrrev_b16_e32 v6, 3, v3
	v_subrev_u32_e32 v12, 28, v7
	v_and_b32_e32 v6, 15, v6
	v_lshlrev_b32_e32 v3, v12, v3
	v_sub_u32_e32 v7, 29, v7
	v_and_b32_e32 v3, 7, v3
	v_cmp_eq_u16_e32 vcc, 0, v6
	v_cndmask_b32_e32 v2, v2, v3, vcc
	v_cndmask_b32_e32 v3, v6, v7, vcc
	v_lshlrev_b32_e32 v6, 16, v8
	v_mov_b32_e32 v7, 0x3b800000
	v_lshlrev_b32_e32 v2, 20, v2
	v_and_b32_e32 v6, 0x80000000, v6
	v_lshl_add_u32 v3, v3, 23, v7
	v_or3_b32 v2, v6, v3, v2
.LBB10_76:
	s_or_b64 exec, exec, s[6:7]
	v_lshrrev_b32_e32 v3, 8, v4
	s_movk_i32 s4, 0x7f
	v_cmp_gt_i16_sdwa s[6:7], v3, s4 src0_sel:BYTE_0 src1_sel:DWORD
	s_mov_b64 s[4:5], 0
                                        ; implicit-def: $sgpr10
	s_and_saveexec_b64 s[8:9], s[6:7]
	s_xor_b64 s[6:7], exec, s[8:9]
	s_cbranch_execnz .LBB10_2125
; %bb.77:
	s_or_saveexec_b64 s[6:7], s[6:7]
	v_mov_b32_e32 v6, s10
	s_xor_b64 exec, exec, s[6:7]
	s_cbranch_execnz .LBB10_2128
.LBB10_78:
	s_or_b64 exec, exec, s[6:7]
	s_and_saveexec_b64 s[6:7], s[4:5]
	s_cbranch_execz .LBB10_80
.LBB10_79:
	v_bfe_u32 v6, v4, 8, 3
	v_ffbh_u32_e32 v12, v6
	v_min_u32_e32 v12, 32, v12
	v_lshrrev_b16_e32 v7, 3, v3
	v_subrev_u32_e32 v13, 28, v12
	v_and_b32_e32 v7, 15, v7
	v_lshlrev_b32_e32 v3, v13, v3
	v_sub_u32_e32 v12, 29, v12
	v_and_b32_e32 v3, 7, v3
	v_cmp_eq_u16_e32 vcc, 0, v7
	v_cndmask_b32_e32 v3, v6, v3, vcc
	v_cndmask_b32_e32 v6, v7, v12, vcc
	v_lshlrev_b32_e32 v7, 16, v4
	v_mov_b32_e32 v12, 0x3b800000
	v_lshlrev_b32_e32 v3, 20, v3
	v_and_b32_e32 v7, 0x80000000, v7
	v_lshl_add_u32 v6, v6, 23, v12
	v_or3_b32 v6, v7, v6, v3
.LBB10_80:
	s_or_b64 exec, exec, s[6:7]
	s_nop 0
	v_mfma_f32_16x16x4f32 a[0:3], v2, v6, a[0:3]
	s_movk_i32 s4, 0xff
	v_and_b32_sdwa v3, v8, s4 dst_sel:DWORD dst_unused:UNUSED_PAD src0_sel:WORD_1 src1_sel:DWORD
	s_movk_i32 s4, 0x7f
	v_cmp_lt_i16_e32 vcc, s4, v3
	s_mov_b64 s[4:5], 0
                                        ; implicit-def: $sgpr10
	s_and_saveexec_b64 s[6:7], vcc
	s_xor_b64 s[6:7], exec, s[6:7]
	s_cbranch_execnz .LBB10_2129
; %bb.81:
	s_or_saveexec_b64 s[6:7], s[6:7]
	v_mov_b32_e32 v2, s10
	s_xor_b64 exec, exec, s[6:7]
	s_cbranch_execnz .LBB10_2132
.LBB10_82:
	s_or_b64 exec, exec, s[6:7]
	s_and_saveexec_b64 s[6:7], s[4:5]
	s_cbranch_execz .LBB10_84
.LBB10_83:
	v_bfe_u32 v2, v8, 16, 3
	v_ffbh_u32_e32 v7, v2
	v_min_u32_e32 v7, 32, v7
	v_lshrrev_b32_e32 v3, 19, v8
	v_subrev_u32_e32 v12, 28, v7
	v_and_b32_e32 v3, 15, v3
	v_lshlrev_b32_sdwa v12, v12, v8 dst_sel:DWORD dst_unused:UNUSED_PAD src0_sel:DWORD src1_sel:WORD_1
	v_bfe_u32 v6, v8, 19, 4
	v_sub_u32_e32 v7, 29, v7
	v_and_b32_e32 v12, 7, v12
	v_cmp_eq_u16_e32 vcc, 0, v3
	v_cndmask_b32_e32 v2, v2, v12, vcc
	v_cndmask_b32_e32 v3, v6, v7, vcc
	v_lshlrev_b32_e32 v6, 8, v8
	v_mov_b32_e32 v7, 0x3b800000
	v_lshlrev_b32_e32 v2, 20, v2
	v_and_b32_e32 v6, 0x80000000, v6
	v_lshl_add_u32 v3, v3, 23, v7
	v_or3_b32 v2, v6, v3, v2
.LBB10_84:
	s_or_b64 exec, exec, s[6:7]
	s_movk_i32 s4, 0xff
	v_and_b32_sdwa v3, v4, s4 dst_sel:DWORD dst_unused:UNUSED_PAD src0_sel:WORD_1 src1_sel:DWORD
	s_movk_i32 s4, 0x7f
	v_cmp_lt_i16_e32 vcc, s4, v3
	s_mov_b64 s[4:5], 0
                                        ; implicit-def: $sgpr10
	s_and_saveexec_b64 s[6:7], vcc
	s_xor_b64 s[6:7], exec, s[6:7]
	s_cbranch_execnz .LBB10_2133
; %bb.85:
	s_or_saveexec_b64 s[6:7], s[6:7]
	v_mov_b32_e32 v6, s10
	s_xor_b64 exec, exec, s[6:7]
	s_cbranch_execnz .LBB10_2136
.LBB10_86:
	s_or_b64 exec, exec, s[6:7]
	s_and_saveexec_b64 s[6:7], s[4:5]
	s_cbranch_execz .LBB10_88
.LBB10_87:
	v_bfe_u32 v3, v4, 16, 3
	v_ffbh_u32_e32 v12, v3
	v_min_u32_e32 v12, 32, v12
	v_lshrrev_b32_e32 v6, 19, v4
	v_subrev_u32_e32 v13, 28, v12
	v_and_b32_e32 v6, 15, v6
	v_lshlrev_b32_sdwa v13, v13, v4 dst_sel:DWORD dst_unused:UNUSED_PAD src0_sel:DWORD src1_sel:WORD_1
	v_bfe_u32 v7, v4, 19, 4
	v_sub_u32_e32 v12, 29, v12
	v_and_b32_e32 v13, 7, v13
	v_cmp_eq_u16_e32 vcc, 0, v6
	v_cndmask_b32_e32 v3, v3, v13, vcc
	v_cndmask_b32_e32 v6, v7, v12, vcc
	v_lshlrev_b32_e32 v7, 8, v4
	v_mov_b32_e32 v12, 0x3b800000
	v_lshlrev_b32_e32 v3, 20, v3
	v_and_b32_e32 v7, 0x80000000, v7
	v_lshl_add_u32 v6, v6, 23, v12
	v_or3_b32 v6, v7, v6, v3
.LBB10_88:
	s_or_b64 exec, exec, s[6:7]
	s_nop 0
	v_mfma_f32_16x16x4f32 a[0:3], v2, v6, a[0:3]
	s_movk_i32 s4, 0x7f
	v_cmp_gt_i16_sdwa s[6:7], v8, s4 src0_sel:BYTE_3 src1_sel:DWORD
	s_mov_b64 s[4:5], 0
                                        ; implicit-def: $sgpr10
	s_and_saveexec_b64 s[8:9], s[6:7]
	s_xor_b64 s[6:7], exec, s[8:9]
	s_cbranch_execnz .LBB10_2137
; %bb.89:
	s_or_saveexec_b64 s[6:7], s[6:7]
	v_mov_b32_e32 v2, s10
	s_xor_b64 exec, exec, s[6:7]
	s_cbranch_execnz .LBB10_2140
.LBB10_90:
	s_or_b64 exec, exec, s[6:7]
	s_and_saveexec_b64 s[6:7], s[4:5]
	s_cbranch_execz .LBB10_92
.LBB10_91:
	v_bfe_u32 v2, v8, 24, 3
	v_ffbh_u32_e32 v12, v2
	v_min_u32_e32 v12, 32, v12
	v_lshrrev_b32_e32 v6, 27, v8
	v_subrev_u32_e32 v13, 28, v12
	v_and_b32_e32 v3, 0x80000000, v8
	v_and_b32_e32 v6, 15, v6
	v_bfe_u32 v7, v8, 27, 4
	v_lshlrev_b32_sdwa v8, v13, v8 dst_sel:DWORD dst_unused:UNUSED_PAD src0_sel:DWORD src1_sel:BYTE_3
	v_sub_u32_e32 v12, 29, v12
	v_and_b32_e32 v8, 7, v8
	v_cmp_eq_u16_e32 vcc, 0, v6
	v_cndmask_b32_e32 v2, v2, v8, vcc
	v_cndmask_b32_e32 v6, v7, v12, vcc
	v_mov_b32_e32 v7, 0x3b800000
	v_lshlrev_b32_e32 v2, 20, v2
	v_lshl_add_u32 v6, v6, 23, v7
	v_or3_b32 v2, v3, v6, v2
.LBB10_92:
	s_or_b64 exec, exec, s[6:7]
	s_movk_i32 s4, 0x7f
	v_cmp_gt_i16_sdwa s[6:7], v4, s4 src0_sel:BYTE_3 src1_sel:DWORD
	s_mov_b64 s[4:5], 0
                                        ; implicit-def: $sgpr10
	s_and_saveexec_b64 s[8:9], s[6:7]
	s_xor_b64 s[6:7], exec, s[8:9]
	s_cbranch_execnz .LBB10_2141
; %bb.93:
	s_or_saveexec_b64 s[6:7], s[6:7]
	v_mov_b32_e32 v3, s10
	s_xor_b64 exec, exec, s[6:7]
	s_cbranch_execnz .LBB10_2144
.LBB10_94:
	s_or_b64 exec, exec, s[6:7]
	s_and_saveexec_b64 s[6:7], s[4:5]
	s_cbranch_execz .LBB10_96
.LBB10_95:
	v_bfe_u32 v3, v4, 24, 3
	v_ffbh_u32_e32 v12, v3
	v_min_u32_e32 v12, 32, v12
	v_lshrrev_b32_e32 v7, 27, v4
	v_subrev_u32_e32 v13, 28, v12
	v_and_b32_e32 v6, 0x80000000, v4
	v_and_b32_e32 v7, 15, v7
	v_bfe_u32 v8, v4, 27, 4
	v_lshlrev_b32_sdwa v4, v13, v4 dst_sel:DWORD dst_unused:UNUSED_PAD src0_sel:DWORD src1_sel:BYTE_3
	v_sub_u32_e32 v12, 29, v12
	v_and_b32_e32 v4, 7, v4
	v_cmp_eq_u16_e32 vcc, 0, v7
	v_cndmask_b32_e32 v3, v3, v4, vcc
	v_cndmask_b32_e32 v4, v8, v12, vcc
	v_mov_b32_e32 v7, 0x3b800000
	v_lshlrev_b32_e32 v3, 20, v3
	v_lshl_add_u32 v4, v4, 23, v7
	v_or3_b32 v3, v6, v4, v3
.LBB10_96:
	s_or_b64 exec, exec, s[6:7]
	s_nop 0
	v_mfma_f32_16x16x4f32 a[0:3], v2, v3, a[0:3]
	s_movk_i32 s4, 0x7f
	v_cmp_gt_i16_sdwa s[6:7], v9, s4 src0_sel:BYTE_0 src1_sel:DWORD
	s_mov_b64 s[4:5], 0
                                        ; implicit-def: $sgpr10
	s_and_saveexec_b64 s[8:9], s[6:7]
	s_xor_b64 s[6:7], exec, s[8:9]
	s_cbranch_execnz .LBB10_2145
; %bb.97:
	s_or_saveexec_b64 s[6:7], s[6:7]
	v_mov_b32_e32 v2, s10
	s_xor_b64 exec, exec, s[6:7]
	s_cbranch_execnz .LBB10_2148
.LBB10_98:
	s_or_b64 exec, exec, s[6:7]
	s_and_saveexec_b64 s[6:7], s[4:5]
	s_cbranch_execz .LBB10_100
.LBB10_99:
	v_mov_b32_e32 v2, 8
	v_and_b32_e32 v3, 7, v9
	v_lshrrev_b32_sdwa v2, v2, v9 dst_sel:BYTE_1 dst_unused:UNUSED_PAD src0_sel:DWORD src1_sel:DWORD
	v_ffbh_u32_e32 v4, v3
	v_or_b32_sdwa v2, v9, v2 dst_sel:DWORD dst_unused:UNUSED_PAD src0_sel:BYTE_0 src1_sel:DWORD
	v_min_u32_e32 v4, 32, v4
	v_lshrrev_b16_e32 v2, 3, v2
	v_subrev_u32_e32 v6, 28, v4
	v_and_b32_e32 v2, 15, v2
	v_lshlrev_b32_e32 v6, v6, v9
	v_sub_u32_e32 v4, 29, v4
	v_and_b32_e32 v6, 7, v6
	v_cmp_eq_u16_e32 vcc, 0, v2
	v_cndmask_b32_e32 v3, v3, v6, vcc
	v_cndmask_b32_e32 v2, v2, v4, vcc
	v_lshlrev_b32_e32 v4, 24, v9
	v_mov_b32_e32 v6, 0x3b800000
	v_lshlrev_b32_e32 v3, 20, v3
	v_and_b32_e32 v4, 0x80000000, v4
	v_lshl_add_u32 v2, v2, 23, v6
	v_or3_b32 v2, v4, v2, v3
.LBB10_100:
	s_or_b64 exec, exec, s[6:7]
	s_movk_i32 s4, 0x7f
	v_cmp_gt_i16_sdwa s[6:7], v5, s4 src0_sel:BYTE_0 src1_sel:DWORD
	s_mov_b64 s[4:5], 0
                                        ; implicit-def: $sgpr10
	s_and_saveexec_b64 s[8:9], s[6:7]
	s_xor_b64 s[6:7], exec, s[8:9]
	s_cbranch_execnz .LBB10_2149
; %bb.101:
	s_or_saveexec_b64 s[6:7], s[6:7]
	v_mov_b32_e32 v3, s10
	s_xor_b64 exec, exec, s[6:7]
	s_cbranch_execnz .LBB10_2152
.LBB10_102:
	s_or_b64 exec, exec, s[6:7]
	s_and_saveexec_b64 s[6:7], s[4:5]
	s_cbranch_execz .LBB10_104
.LBB10_103:
	v_mov_b32_e32 v3, 8
	v_and_b32_e32 v4, 7, v5
	v_lshrrev_b32_sdwa v3, v3, v5 dst_sel:BYTE_1 dst_unused:UNUSED_PAD src0_sel:DWORD src1_sel:DWORD
	v_ffbh_u32_e32 v6, v4
	v_or_b32_sdwa v3, v5, v3 dst_sel:DWORD dst_unused:UNUSED_PAD src0_sel:BYTE_0 src1_sel:DWORD
	v_min_u32_e32 v6, 32, v6
	v_lshrrev_b16_e32 v3, 3, v3
	v_subrev_u32_e32 v7, 28, v6
	v_and_b32_e32 v3, 15, v3
	v_lshlrev_b32_e32 v7, v7, v5
	v_sub_u32_e32 v6, 29, v6
	v_and_b32_e32 v7, 7, v7
	v_cmp_eq_u16_e32 vcc, 0, v3
	v_cndmask_b32_e32 v4, v4, v7, vcc
	v_cndmask_b32_e32 v3, v3, v6, vcc
	v_lshlrev_b32_e32 v6, 24, v5
	v_mov_b32_e32 v7, 0x3b800000
	v_lshlrev_b32_e32 v4, 20, v4
	v_and_b32_e32 v6, 0x80000000, v6
	v_lshl_add_u32 v3, v3, 23, v7
	v_or3_b32 v3, v6, v3, v4
.LBB10_104:
	s_or_b64 exec, exec, s[6:7]
	s_nop 0
	v_mfma_f32_16x16x4f32 a[0:3], v2, v3, a[0:3]
	v_lshrrev_b32_e32 v3, 8, v9
	s_movk_i32 s4, 0x7f
	v_cmp_gt_i16_sdwa s[6:7], v3, s4 src0_sel:BYTE_0 src1_sel:DWORD
	s_mov_b64 s[4:5], 0
                                        ; implicit-def: $sgpr10
	s_and_saveexec_b64 s[8:9], s[6:7]
	s_xor_b64 s[6:7], exec, s[8:9]
	s_cbranch_execnz .LBB10_2153
; %bb.105:
	s_or_saveexec_b64 s[6:7], s[6:7]
	v_mov_b32_e32 v2, s10
	s_xor_b64 exec, exec, s[6:7]
	s_cbranch_execnz .LBB10_2156
.LBB10_106:
	s_or_b64 exec, exec, s[6:7]
	s_and_saveexec_b64 s[6:7], s[4:5]
	s_cbranch_execz .LBB10_108
.LBB10_107:
	v_bfe_u32 v2, v9, 8, 3
	v_ffbh_u32_e32 v6, v2
	v_min_u32_e32 v6, 32, v6
	v_lshrrev_b16_e32 v4, 3, v3
	v_subrev_u32_e32 v7, 28, v6
	v_and_b32_e32 v4, 15, v4
	v_lshlrev_b32_e32 v3, v7, v3
	v_sub_u32_e32 v6, 29, v6
	v_and_b32_e32 v3, 7, v3
	v_cmp_eq_u16_e32 vcc, 0, v4
	v_cndmask_b32_e32 v2, v2, v3, vcc
	v_cndmask_b32_e32 v3, v4, v6, vcc
	v_lshlrev_b32_e32 v4, 16, v9
	v_mov_b32_e32 v6, 0x3b800000
	v_lshlrev_b32_e32 v2, 20, v2
	v_and_b32_e32 v4, 0x80000000, v4
	v_lshl_add_u32 v3, v3, 23, v6
	v_or3_b32 v2, v4, v3, v2
.LBB10_108:
	s_or_b64 exec, exec, s[6:7]
	v_lshrrev_b32_e32 v3, 8, v5
	s_movk_i32 s4, 0x7f
	v_cmp_gt_i16_sdwa s[6:7], v3, s4 src0_sel:BYTE_0 src1_sel:DWORD
	s_mov_b64 s[4:5], 0
                                        ; implicit-def: $sgpr10
	s_and_saveexec_b64 s[8:9], s[6:7]
	s_xor_b64 s[6:7], exec, s[8:9]
	s_cbranch_execnz .LBB10_2157
; %bb.109:
	s_or_saveexec_b64 s[6:7], s[6:7]
	v_mov_b32_e32 v4, s10
	s_xor_b64 exec, exec, s[6:7]
	s_cbranch_execnz .LBB10_2160
.LBB10_110:
	s_or_b64 exec, exec, s[6:7]
	s_and_saveexec_b64 s[6:7], s[4:5]
	s_cbranch_execz .LBB10_112
.LBB10_111:
	v_bfe_u32 v4, v5, 8, 3
	v_ffbh_u32_e32 v7, v4
	v_min_u32_e32 v7, 32, v7
	v_lshrrev_b16_e32 v6, 3, v3
	v_subrev_u32_e32 v8, 28, v7
	v_and_b32_e32 v6, 15, v6
	v_lshlrev_b32_e32 v3, v8, v3
	v_sub_u32_e32 v7, 29, v7
	v_and_b32_e32 v3, 7, v3
	v_cmp_eq_u16_e32 vcc, 0, v6
	v_cndmask_b32_e32 v3, v4, v3, vcc
	v_cndmask_b32_e32 v4, v6, v7, vcc
	v_lshlrev_b32_e32 v6, 16, v5
	v_mov_b32_e32 v7, 0x3b800000
	v_lshlrev_b32_e32 v3, 20, v3
	v_and_b32_e32 v6, 0x80000000, v6
	v_lshl_add_u32 v4, v4, 23, v7
	v_or3_b32 v4, v6, v4, v3
.LBB10_112:
	s_or_b64 exec, exec, s[6:7]
	s_nop 0
	v_mfma_f32_16x16x4f32 a[0:3], v2, v4, a[0:3]
	s_movk_i32 s4, 0xff
	v_and_b32_sdwa v3, v9, s4 dst_sel:DWORD dst_unused:UNUSED_PAD src0_sel:WORD_1 src1_sel:DWORD
	s_movk_i32 s4, 0x7f
	v_cmp_lt_i16_e32 vcc, s4, v3
	s_mov_b64 s[4:5], 0
                                        ; implicit-def: $sgpr10
	s_and_saveexec_b64 s[6:7], vcc
	s_xor_b64 s[6:7], exec, s[6:7]
	s_cbranch_execnz .LBB10_2161
; %bb.113:
	s_or_saveexec_b64 s[6:7], s[6:7]
	v_mov_b32_e32 v2, s10
	s_xor_b64 exec, exec, s[6:7]
	s_cbranch_execnz .LBB10_2164
.LBB10_114:
	s_or_b64 exec, exec, s[6:7]
	s_and_saveexec_b64 s[6:7], s[4:5]
	s_cbranch_execz .LBB10_116
.LBB10_115:
	v_bfe_u32 v2, v9, 16, 3
	v_ffbh_u32_e32 v6, v2
	v_min_u32_e32 v6, 32, v6
	v_lshrrev_b32_e32 v3, 19, v9
	v_subrev_u32_e32 v7, 28, v6
	v_and_b32_e32 v3, 15, v3
	v_lshlrev_b32_sdwa v7, v7, v9 dst_sel:DWORD dst_unused:UNUSED_PAD src0_sel:DWORD src1_sel:WORD_1
	v_bfe_u32 v4, v9, 19, 4
	v_sub_u32_e32 v6, 29, v6
	v_and_b32_e32 v7, 7, v7
	v_cmp_eq_u16_e32 vcc, 0, v3
	v_cndmask_b32_e32 v2, v2, v7, vcc
	v_cndmask_b32_e32 v3, v4, v6, vcc
	v_lshlrev_b32_e32 v4, 8, v9
	v_mov_b32_e32 v6, 0x3b800000
	v_lshlrev_b32_e32 v2, 20, v2
	v_and_b32_e32 v4, 0x80000000, v4
	v_lshl_add_u32 v3, v3, 23, v6
	v_or3_b32 v2, v4, v3, v2
.LBB10_116:
	s_or_b64 exec, exec, s[6:7]
	s_movk_i32 s4, 0xff
	v_and_b32_sdwa v3, v5, s4 dst_sel:DWORD dst_unused:UNUSED_PAD src0_sel:WORD_1 src1_sel:DWORD
	s_movk_i32 s4, 0x7f
	v_cmp_lt_i16_e32 vcc, s4, v3
	s_mov_b64 s[4:5], 0
                                        ; implicit-def: $sgpr10
	s_and_saveexec_b64 s[6:7], vcc
	s_xor_b64 s[6:7], exec, s[6:7]
	s_cbranch_execnz .LBB10_2165
; %bb.117:
	s_or_saveexec_b64 s[6:7], s[6:7]
	v_mov_b32_e32 v4, s10
	s_xor_b64 exec, exec, s[6:7]
	s_cbranch_execnz .LBB10_2168
.LBB10_118:
	s_or_b64 exec, exec, s[6:7]
	s_and_saveexec_b64 s[6:7], s[4:5]
	s_cbranch_execz .LBB10_120
.LBB10_119:
	v_bfe_u32 v3, v5, 16, 3
	v_ffbh_u32_e32 v7, v3
	v_min_u32_e32 v7, 32, v7
	v_lshrrev_b32_e32 v4, 19, v5
	v_subrev_u32_e32 v8, 28, v7
	v_and_b32_e32 v4, 15, v4
	v_lshlrev_b32_sdwa v8, v8, v5 dst_sel:DWORD dst_unused:UNUSED_PAD src0_sel:DWORD src1_sel:WORD_1
	v_bfe_u32 v6, v5, 19, 4
	v_sub_u32_e32 v7, 29, v7
	v_and_b32_e32 v8, 7, v8
	v_cmp_eq_u16_e32 vcc, 0, v4
	v_cndmask_b32_e32 v3, v3, v8, vcc
	v_cndmask_b32_e32 v4, v6, v7, vcc
	v_lshlrev_b32_e32 v6, 8, v5
	v_mov_b32_e32 v7, 0x3b800000
	v_lshlrev_b32_e32 v3, 20, v3
	v_and_b32_e32 v6, 0x80000000, v6
	v_lshl_add_u32 v4, v4, 23, v7
	v_or3_b32 v4, v6, v4, v3
.LBB10_120:
	s_or_b64 exec, exec, s[6:7]
	s_nop 0
	v_mfma_f32_16x16x4f32 a[0:3], v2, v4, a[0:3]
	s_movk_i32 s4, 0x7f
	v_cmp_gt_i16_sdwa s[6:7], v9, s4 src0_sel:BYTE_3 src1_sel:DWORD
	s_mov_b64 s[4:5], 0
                                        ; implicit-def: $sgpr10
	s_and_saveexec_b64 s[8:9], s[6:7]
	s_xor_b64 s[6:7], exec, s[8:9]
	s_cbranch_execnz .LBB10_2169
; %bb.121:
	s_or_saveexec_b64 s[6:7], s[6:7]
	v_mov_b32_e32 v2, s10
	s_xor_b64 exec, exec, s[6:7]
	s_cbranch_execnz .LBB10_2172
.LBB10_122:
	s_or_b64 exec, exec, s[6:7]
	s_and_saveexec_b64 s[6:7], s[4:5]
	s_cbranch_execz .LBB10_124
.LBB10_123:
	v_bfe_u32 v2, v9, 24, 3
	v_ffbh_u32_e32 v7, v2
	v_min_u32_e32 v7, 32, v7
	v_lshrrev_b32_e32 v4, 27, v9
	v_subrev_u32_e32 v8, 28, v7
	v_and_b32_e32 v4, 15, v4
	v_lshlrev_b32_sdwa v8, v8, v9 dst_sel:DWORD dst_unused:UNUSED_PAD src0_sel:DWORD src1_sel:BYTE_3
	v_bfe_u32 v6, v9, 27, 4
	v_sub_u32_e32 v7, 29, v7
	v_and_b32_e32 v8, 7, v8
	v_cmp_eq_u16_e32 vcc, 0, v4
	v_cndmask_b32_e32 v2, v2, v8, vcc
	v_cndmask_b32_e32 v4, v6, v7, vcc
	v_mov_b32_e32 v6, 0x3b800000
	v_and_b32_e32 v3, 0x80000000, v9
	v_lshlrev_b32_e32 v2, 20, v2
	v_lshl_add_u32 v4, v4, 23, v6
	v_or3_b32 v2, v3, v4, v2
.LBB10_124:
	s_or_b64 exec, exec, s[6:7]
	s_movk_i32 s4, 0x7f
	v_cmp_gt_i16_sdwa s[6:7], v5, s4 src0_sel:BYTE_3 src1_sel:DWORD
	s_mov_b64 s[4:5], 0
                                        ; implicit-def: $sgpr10
	s_and_saveexec_b64 s[8:9], s[6:7]
	s_xor_b64 s[6:7], exec, s[8:9]
	s_cbranch_execnz .LBB10_2173
; %bb.125:
	s_or_saveexec_b64 s[6:7], s[6:7]
	v_mov_b32_e32 v3, s10
	s_xor_b64 exec, exec, s[6:7]
	s_cbranch_execnz .LBB10_2176
.LBB10_126:
	s_or_b64 exec, exec, s[6:7]
	s_and_saveexec_b64 s[6:7], s[4:5]
	s_cbranch_execz .LBB10_128
.LBB10_127:
	v_bfe_u32 v3, v5, 24, 3
	v_ffbh_u32_e32 v8, v3
	v_min_u32_e32 v8, 32, v8
	v_lshrrev_b32_e32 v6, 27, v5
	v_subrev_u32_e32 v9, 28, v8
	v_and_b32_e32 v4, 0x80000000, v5
	v_and_b32_e32 v6, 15, v6
	v_bfe_u32 v7, v5, 27, 4
	v_lshlrev_b32_sdwa v5, v9, v5 dst_sel:DWORD dst_unused:UNUSED_PAD src0_sel:DWORD src1_sel:BYTE_3
	v_sub_u32_e32 v8, 29, v8
	v_and_b32_e32 v5, 7, v5
	v_cmp_eq_u16_e32 vcc, 0, v6
	v_cndmask_b32_e32 v3, v3, v5, vcc
	v_cndmask_b32_e32 v5, v7, v8, vcc
	v_mov_b32_e32 v6, 0x3b800000
	v_lshlrev_b32_e32 v3, 20, v3
	v_lshl_add_u32 v5, v5, 23, v6
	v_or3_b32 v3, v4, v5, v3
.LBB10_128:
	s_or_b64 exec, exec, s[6:7]
	s_nop 0
	v_mfma_f32_16x16x4f32 a[0:3], v2, v3, a[0:3]
	s_nop 7
	s_nop 2
	flat_store_dwordx4 v[10:11], a[0:3]
	; sched_barrier mask(0x00000000)
	s_setprio 1
	; sched_barrier mask(0x00000000)
	flat_load_dwordx4 v[12:15], v[0:1] offset:8
	flat_load_dwordx2 v[10:11], v[0:1] offset:32
	s_movk_i32 s4, 0x7f
                                        ; implicit-def: $sgpr10
	s_waitcnt vmcnt(0) lgkmcnt(0)
	flat_load_dwordx4 v[6:9], v[12:13]
	flat_load_dwordx4 v[2:5], v[14:15] offset:32
	s_waitcnt vmcnt(0) lgkmcnt(0)
	v_cmp_gt_i16_sdwa s[6:7], v6, s4 src0_sel:BYTE_0 src1_sel:DWORD
	s_mov_b64 s[4:5], 0
	s_and_saveexec_b64 s[8:9], s[6:7]
	s_xor_b64 s[6:7], exec, s[8:9]
	s_cbranch_execnz .LBB10_2177
; %bb.129:
	s_or_saveexec_b64 s[6:7], s[6:7]
	v_mov_b32_e32 v12, s10
	s_xor_b64 exec, exec, s[6:7]
	s_cbranch_execnz .LBB10_2180
.LBB10_130:
	s_or_b64 exec, exec, s[6:7]
	s_and_saveexec_b64 s[6:7], s[4:5]
	s_cbranch_execz .LBB10_132
.LBB10_131:
	v_and_b32_e32 v12, 7, v6
	v_ffbh_u32_e32 v14, v12
	v_min_u32_e32 v14, 32, v14
	v_lshrrev_b16_e32 v13, 3, v6
	v_subrev_u32_e32 v15, 28, v14
	v_and_b32_e32 v13, 15, v13
	v_lshlrev_b32_e32 v15, v15, v6
	v_sub_u32_e32 v14, 29, v14
	v_and_b32_e32 v15, 7, v15
	v_cmp_eq_u16_e32 vcc, 0, v13
	v_cndmask_b32_e32 v12, v12, v15, vcc
	v_cndmask_b32_e32 v13, v13, v14, vcc
	v_lshlrev_b32_e32 v14, 24, v6
	v_mov_b32_e32 v15, 0x3b800000
	v_lshlrev_b32_e32 v12, 20, v12
	v_and_b32_e32 v14, 0x80000000, v14
	v_lshl_add_u32 v13, v13, 23, v15
	v_or3_b32 v12, v14, v13, v12
.LBB10_132:
	s_or_b64 exec, exec, s[6:7]
	s_movk_i32 s4, 0x7f
	v_cmp_gt_i16_sdwa s[6:7], v2, s4 src0_sel:BYTE_0 src1_sel:DWORD
	s_mov_b64 s[4:5], 0
                                        ; implicit-def: $sgpr10
	s_and_saveexec_b64 s[8:9], s[6:7]
	s_xor_b64 s[6:7], exec, s[8:9]
	s_cbranch_execnz .LBB10_2181
; %bb.133:
	s_or_saveexec_b64 s[6:7], s[6:7]
	v_mov_b32_e32 v13, s10
	s_xor_b64 exec, exec, s[6:7]
	s_cbranch_execnz .LBB10_2184
.LBB10_134:
	s_or_b64 exec, exec, s[6:7]
	s_and_saveexec_b64 s[6:7], s[4:5]
	s_cbranch_execz .LBB10_136
.LBB10_135:
	v_and_b32_e32 v13, 7, v2
	v_ffbh_u32_e32 v15, v13
	v_min_u32_e32 v15, 32, v15
	v_lshrrev_b16_e32 v14, 3, v2
	v_subrev_u32_e32 v16, 28, v15
	v_and_b32_e32 v14, 15, v14
	v_lshlrev_b32_e32 v16, v16, v2
	v_sub_u32_e32 v15, 29, v15
	v_and_b32_e32 v16, 7, v16
	v_cmp_eq_u16_e32 vcc, 0, v14
	v_cndmask_b32_e32 v13, v13, v16, vcc
	v_cndmask_b32_e32 v14, v14, v15, vcc
	v_lshlrev_b32_e32 v15, 24, v2
	v_mov_b32_e32 v16, 0x3b800000
	v_lshlrev_b32_e32 v13, 20, v13
	v_and_b32_e32 v15, 0x80000000, v15
	v_lshl_add_u32 v14, v14, 23, v16
	v_or3_b32 v13, v15, v14, v13
.LBB10_136:
	s_or_b64 exec, exec, s[6:7]
	flat_load_dwordx4 a[0:3], v[10:11] offset:16
	s_movk_i32 s4, 0x7f
                                        ; implicit-def: $sgpr10
	s_waitcnt vmcnt(0) lgkmcnt(0)
	v_mfma_f32_16x16x4f32 a[0:3], v12, v13, a[0:3]
	v_lshrrev_b32_e32 v13, 8, v6
	v_cmp_gt_i16_sdwa s[6:7], v13, s4 src0_sel:BYTE_0 src1_sel:DWORD
	s_mov_b64 s[4:5], 0
	s_and_saveexec_b64 s[8:9], s[6:7]
	s_xor_b64 s[6:7], exec, s[8:9]
	s_cbranch_execnz .LBB10_2185
; %bb.137:
	s_or_saveexec_b64 s[6:7], s[6:7]
	v_mov_b32_e32 v12, s10
	s_xor_b64 exec, exec, s[6:7]
	s_cbranch_execnz .LBB10_2188
.LBB10_138:
	s_or_b64 exec, exec, s[6:7]
	s_and_saveexec_b64 s[6:7], s[4:5]
	s_cbranch_execz .LBB10_140
.LBB10_139:
	v_bfe_u32 v12, v6, 8, 3
	v_ffbh_u32_e32 v15, v12
	v_min_u32_e32 v15, 32, v15
	v_lshrrev_b16_e32 v14, 3, v13
	v_subrev_u32_e32 v16, 28, v15
	v_and_b32_e32 v14, 15, v14
	v_lshlrev_b32_e32 v13, v16, v13
	v_sub_u32_e32 v15, 29, v15
	v_and_b32_e32 v13, 7, v13
	v_cmp_eq_u16_e32 vcc, 0, v14
	v_cndmask_b32_e32 v12, v12, v13, vcc
	v_cndmask_b32_e32 v13, v14, v15, vcc
	v_lshlrev_b32_e32 v14, 16, v6
	v_mov_b32_e32 v15, 0x3b800000
	v_lshlrev_b32_e32 v12, 20, v12
	v_and_b32_e32 v14, 0x80000000, v14
	v_lshl_add_u32 v13, v13, 23, v15
	v_or3_b32 v12, v14, v13, v12
.LBB10_140:
	s_or_b64 exec, exec, s[6:7]
	v_lshrrev_b32_e32 v13, 8, v2
	s_movk_i32 s4, 0x7f
	v_cmp_gt_i16_sdwa s[6:7], v13, s4 src0_sel:BYTE_0 src1_sel:DWORD
	s_mov_b64 s[4:5], 0
                                        ; implicit-def: $sgpr10
	s_and_saveexec_b64 s[8:9], s[6:7]
	s_xor_b64 s[6:7], exec, s[8:9]
	s_cbranch_execnz .LBB10_2189
; %bb.141:
	s_or_saveexec_b64 s[6:7], s[6:7]
	v_mov_b32_e32 v14, s10
	s_xor_b64 exec, exec, s[6:7]
	s_cbranch_execnz .LBB10_2192
.LBB10_142:
	s_or_b64 exec, exec, s[6:7]
	s_and_saveexec_b64 s[6:7], s[4:5]
	s_cbranch_execz .LBB10_144
.LBB10_143:
	v_bfe_u32 v14, v2, 8, 3
	v_ffbh_u32_e32 v16, v14
	v_min_u32_e32 v16, 32, v16
	v_lshrrev_b16_e32 v15, 3, v13
	v_subrev_u32_e32 v17, 28, v16
	v_and_b32_e32 v15, 15, v15
	v_lshlrev_b32_e32 v13, v17, v13
	v_sub_u32_e32 v16, 29, v16
	v_and_b32_e32 v13, 7, v13
	v_cmp_eq_u16_e32 vcc, 0, v15
	v_cndmask_b32_e32 v13, v14, v13, vcc
	v_cndmask_b32_e32 v14, v15, v16, vcc
	v_lshlrev_b32_e32 v15, 16, v2
	v_mov_b32_e32 v16, 0x3b800000
	v_lshlrev_b32_e32 v13, 20, v13
	v_and_b32_e32 v15, 0x80000000, v15
	v_lshl_add_u32 v14, v14, 23, v16
	v_or3_b32 v14, v15, v14, v13
.LBB10_144:
	s_or_b64 exec, exec, s[6:7]
	s_nop 0
	v_mfma_f32_16x16x4f32 a[0:3], v12, v14, a[0:3]
	s_movk_i32 s4, 0xff
	v_and_b32_sdwa v13, v6, s4 dst_sel:DWORD dst_unused:UNUSED_PAD src0_sel:WORD_1 src1_sel:DWORD
	s_movk_i32 s4, 0x7f
	v_cmp_lt_i16_e32 vcc, s4, v13
	s_mov_b64 s[4:5], 0
                                        ; implicit-def: $sgpr10
	s_and_saveexec_b64 s[6:7], vcc
	s_xor_b64 s[6:7], exec, s[6:7]
	s_cbranch_execnz .LBB10_2193
; %bb.145:
	s_or_saveexec_b64 s[6:7], s[6:7]
	v_mov_b32_e32 v12, s10
	s_xor_b64 exec, exec, s[6:7]
	s_cbranch_execnz .LBB10_2196
.LBB10_146:
	s_or_b64 exec, exec, s[6:7]
	s_and_saveexec_b64 s[6:7], s[4:5]
	s_cbranch_execz .LBB10_148
.LBB10_147:
	v_bfe_u32 v12, v6, 16, 3
	v_ffbh_u32_e32 v15, v12
	v_min_u32_e32 v15, 32, v15
	v_lshrrev_b32_e32 v13, 19, v6
	v_subrev_u32_e32 v16, 28, v15
	v_and_b32_e32 v13, 15, v13
	v_lshlrev_b32_sdwa v16, v16, v6 dst_sel:DWORD dst_unused:UNUSED_PAD src0_sel:DWORD src1_sel:WORD_1
	v_bfe_u32 v14, v6, 19, 4
	v_sub_u32_e32 v15, 29, v15
	v_and_b32_e32 v16, 7, v16
	v_cmp_eq_u16_e32 vcc, 0, v13
	v_cndmask_b32_e32 v12, v12, v16, vcc
	v_cndmask_b32_e32 v13, v14, v15, vcc
	v_lshlrev_b32_e32 v14, 8, v6
	v_mov_b32_e32 v15, 0x3b800000
	v_lshlrev_b32_e32 v12, 20, v12
	v_and_b32_e32 v14, 0x80000000, v14
	v_lshl_add_u32 v13, v13, 23, v15
	v_or3_b32 v12, v14, v13, v12
.LBB10_148:
	s_or_b64 exec, exec, s[6:7]
	s_movk_i32 s4, 0xff
	v_and_b32_sdwa v13, v2, s4 dst_sel:DWORD dst_unused:UNUSED_PAD src0_sel:WORD_1 src1_sel:DWORD
	s_movk_i32 s4, 0x7f
	v_cmp_lt_i16_e32 vcc, s4, v13
	s_mov_b64 s[4:5], 0
                                        ; implicit-def: $sgpr10
	s_and_saveexec_b64 s[6:7], vcc
	s_xor_b64 s[6:7], exec, s[6:7]
	s_cbranch_execnz .LBB10_2197
; %bb.149:
	s_or_saveexec_b64 s[6:7], s[6:7]
	v_mov_b32_e32 v14, s10
	s_xor_b64 exec, exec, s[6:7]
	s_cbranch_execnz .LBB10_2200
.LBB10_150:
	s_or_b64 exec, exec, s[6:7]
	s_and_saveexec_b64 s[6:7], s[4:5]
	s_cbranch_execz .LBB10_152
.LBB10_151:
	v_bfe_u32 v13, v2, 16, 3
	v_ffbh_u32_e32 v16, v13
	v_min_u32_e32 v16, 32, v16
	v_lshrrev_b32_e32 v14, 19, v2
	v_subrev_u32_e32 v17, 28, v16
	v_and_b32_e32 v14, 15, v14
	v_lshlrev_b32_sdwa v17, v17, v2 dst_sel:DWORD dst_unused:UNUSED_PAD src0_sel:DWORD src1_sel:WORD_1
	v_bfe_u32 v15, v2, 19, 4
	v_sub_u32_e32 v16, 29, v16
	v_and_b32_e32 v17, 7, v17
	v_cmp_eq_u16_e32 vcc, 0, v14
	v_cndmask_b32_e32 v13, v13, v17, vcc
	v_cndmask_b32_e32 v14, v15, v16, vcc
	v_lshlrev_b32_e32 v15, 8, v2
	v_mov_b32_e32 v16, 0x3b800000
	v_lshlrev_b32_e32 v13, 20, v13
	v_and_b32_e32 v15, 0x80000000, v15
	v_lshl_add_u32 v14, v14, 23, v16
	v_or3_b32 v14, v15, v14, v13
.LBB10_152:
	s_or_b64 exec, exec, s[6:7]
	s_nop 0
	v_mfma_f32_16x16x4f32 a[0:3], v12, v14, a[0:3]
	s_movk_i32 s4, 0x7f
	v_cmp_gt_i16_sdwa s[6:7], v6, s4 src0_sel:BYTE_3 src1_sel:DWORD
	s_mov_b64 s[4:5], 0
                                        ; implicit-def: $sgpr10
	s_and_saveexec_b64 s[8:9], s[6:7]
	s_xor_b64 s[6:7], exec, s[8:9]
	s_cbranch_execnz .LBB10_2201
; %bb.153:
	s_or_saveexec_b64 s[6:7], s[6:7]
	v_mov_b32_e32 v12, s10
	s_xor_b64 exec, exec, s[6:7]
	s_cbranch_execnz .LBB10_2204
.LBB10_154:
	s_or_b64 exec, exec, s[6:7]
	s_and_saveexec_b64 s[6:7], s[4:5]
	s_cbranch_execz .LBB10_156
.LBB10_155:
	v_bfe_u32 v12, v6, 24, 3
	v_ffbh_u32_e32 v16, v12
	v_min_u32_e32 v16, 32, v16
	v_lshrrev_b32_e32 v14, 27, v6
	v_subrev_u32_e32 v17, 28, v16
	v_and_b32_e32 v13, 0x80000000, v6
	v_and_b32_e32 v14, 15, v14
	v_bfe_u32 v15, v6, 27, 4
	v_lshlrev_b32_sdwa v6, v17, v6 dst_sel:DWORD dst_unused:UNUSED_PAD src0_sel:DWORD src1_sel:BYTE_3
	v_sub_u32_e32 v16, 29, v16
	v_and_b32_e32 v6, 7, v6
	v_cmp_eq_u16_e32 vcc, 0, v14
	v_cndmask_b32_e32 v6, v12, v6, vcc
	v_cndmask_b32_e32 v12, v15, v16, vcc
	v_mov_b32_e32 v14, 0x3b800000
	v_lshlrev_b32_e32 v6, 20, v6
	v_lshl_add_u32 v12, v12, 23, v14
	v_or3_b32 v12, v13, v12, v6
.LBB10_156:
	s_or_b64 exec, exec, s[6:7]
	s_movk_i32 s4, 0x7f
	v_cmp_gt_i16_sdwa s[6:7], v2, s4 src0_sel:BYTE_3 src1_sel:DWORD
	s_mov_b64 s[4:5], 0
                                        ; implicit-def: $sgpr10
	s_and_saveexec_b64 s[8:9], s[6:7]
	s_xor_b64 s[6:7], exec, s[8:9]
	s_cbranch_execnz .LBB10_2205
; %bb.157:
	s_or_saveexec_b64 s[6:7], s[6:7]
	v_mov_b32_e32 v6, s10
	s_xor_b64 exec, exec, s[6:7]
	s_cbranch_execnz .LBB10_2208
.LBB10_158:
	s_or_b64 exec, exec, s[6:7]
	s_and_saveexec_b64 s[6:7], s[4:5]
	s_cbranch_execz .LBB10_160
.LBB10_159:
	v_bfe_u32 v6, v2, 24, 3
	v_ffbh_u32_e32 v16, v6
	v_min_u32_e32 v16, 32, v16
	v_lshrrev_b32_e32 v14, 27, v2
	v_subrev_u32_e32 v17, 28, v16
	v_and_b32_e32 v13, 0x80000000, v2
	v_and_b32_e32 v14, 15, v14
	v_bfe_u32 v15, v2, 27, 4
	v_lshlrev_b32_sdwa v2, v17, v2 dst_sel:DWORD dst_unused:UNUSED_PAD src0_sel:DWORD src1_sel:BYTE_3
	v_sub_u32_e32 v16, 29, v16
	v_and_b32_e32 v2, 7, v2
	v_cmp_eq_u16_e32 vcc, 0, v14
	v_cndmask_b32_e32 v2, v6, v2, vcc
	v_cndmask_b32_e32 v6, v15, v16, vcc
	v_mov_b32_e32 v14, 0x3b800000
	v_lshlrev_b32_e32 v2, 20, v2
	v_lshl_add_u32 v6, v6, 23, v14
	v_or3_b32 v6, v13, v6, v2
.LBB10_160:
	s_or_b64 exec, exec, s[6:7]
	s_nop 0
	v_mfma_f32_16x16x4f32 a[0:3], v12, v6, a[0:3]
	s_movk_i32 s4, 0x7f
	v_cmp_gt_i16_sdwa s[6:7], v7, s4 src0_sel:BYTE_0 src1_sel:DWORD
	s_mov_b64 s[4:5], 0
                                        ; implicit-def: $sgpr10
	s_and_saveexec_b64 s[8:9], s[6:7]
	s_xor_b64 s[6:7], exec, s[8:9]
	s_cbranch_execnz .LBB10_2209
; %bb.161:
	s_or_saveexec_b64 s[6:7], s[6:7]
	v_mov_b32_e32 v2, s10
	s_xor_b64 exec, exec, s[6:7]
	s_cbranch_execnz .LBB10_2212
.LBB10_162:
	s_or_b64 exec, exec, s[6:7]
	s_and_saveexec_b64 s[6:7], s[4:5]
	s_cbranch_execz .LBB10_164
.LBB10_163:
	v_and_b32_e32 v2, 7, v7
	v_ffbh_u32_e32 v12, v2
	v_min_u32_e32 v12, 32, v12
	v_lshrrev_b16_e32 v6, 3, v7
	v_subrev_u32_e32 v13, 28, v12
	v_and_b32_e32 v6, 15, v6
	v_lshlrev_b32_e32 v13, v13, v7
	v_sub_u32_e32 v12, 29, v12
	v_and_b32_e32 v13, 7, v13
	v_cmp_eq_u16_e32 vcc, 0, v6
	v_cndmask_b32_e32 v2, v2, v13, vcc
	v_cndmask_b32_e32 v6, v6, v12, vcc
	v_lshlrev_b32_e32 v12, 24, v7
	v_mov_b32_e32 v13, 0x3b800000
	v_lshlrev_b32_e32 v2, 20, v2
	v_and_b32_e32 v12, 0x80000000, v12
	v_lshl_add_u32 v6, v6, 23, v13
	v_or3_b32 v2, v12, v6, v2
.LBB10_164:
	s_or_b64 exec, exec, s[6:7]
	s_movk_i32 s4, 0x7f
	v_cmp_gt_i16_sdwa s[6:7], v3, s4 src0_sel:BYTE_0 src1_sel:DWORD
	s_mov_b64 s[4:5], 0
                                        ; implicit-def: $sgpr10
	s_and_saveexec_b64 s[8:9], s[6:7]
	s_xor_b64 s[6:7], exec, s[8:9]
	s_cbranch_execnz .LBB10_2213
; %bb.165:
	s_or_saveexec_b64 s[6:7], s[6:7]
	v_mov_b32_e32 v6, s10
	s_xor_b64 exec, exec, s[6:7]
	s_cbranch_execnz .LBB10_2216
.LBB10_166:
	s_or_b64 exec, exec, s[6:7]
	s_and_saveexec_b64 s[6:7], s[4:5]
	s_cbranch_execz .LBB10_168
.LBB10_167:
	v_and_b32_e32 v6, 7, v3
	v_ffbh_u32_e32 v13, v6
	v_min_u32_e32 v13, 32, v13
	v_lshrrev_b16_e32 v12, 3, v3
	v_subrev_u32_e32 v14, 28, v13
	v_and_b32_e32 v12, 15, v12
	v_lshlrev_b32_e32 v14, v14, v3
	v_sub_u32_e32 v13, 29, v13
	v_and_b32_e32 v14, 7, v14
	v_cmp_eq_u16_e32 vcc, 0, v12
	v_cndmask_b32_e32 v6, v6, v14, vcc
	v_cndmask_b32_e32 v12, v12, v13, vcc
	v_lshlrev_b32_e32 v13, 24, v3
	v_mov_b32_e32 v14, 0x3b800000
	v_lshlrev_b32_e32 v6, 20, v6
	v_and_b32_e32 v13, 0x80000000, v13
	v_lshl_add_u32 v12, v12, 23, v14
	v_or3_b32 v6, v13, v12, v6
.LBB10_168:
	s_or_b64 exec, exec, s[6:7]
	s_nop 0
	v_mfma_f32_16x16x4f32 a[0:3], v2, v6, a[0:3]
	v_lshrrev_b32_e32 v6, 8, v7
	s_movk_i32 s4, 0x7f
	v_cmp_gt_i16_sdwa s[6:7], v6, s4 src0_sel:BYTE_0 src1_sel:DWORD
	s_mov_b64 s[4:5], 0
                                        ; implicit-def: $sgpr10
	s_and_saveexec_b64 s[8:9], s[6:7]
	s_xor_b64 s[6:7], exec, s[8:9]
	s_cbranch_execnz .LBB10_2217
; %bb.169:
	s_or_saveexec_b64 s[6:7], s[6:7]
	v_mov_b32_e32 v2, s10
	s_xor_b64 exec, exec, s[6:7]
	s_cbranch_execnz .LBB10_2220
.LBB10_170:
	s_or_b64 exec, exec, s[6:7]
	s_and_saveexec_b64 s[6:7], s[4:5]
	s_cbranch_execz .LBB10_172
.LBB10_171:
	v_bfe_u32 v2, v7, 8, 3
	v_ffbh_u32_e32 v13, v2
	v_min_u32_e32 v13, 32, v13
	v_lshrrev_b16_e32 v12, 3, v6
	v_subrev_u32_e32 v14, 28, v13
	v_and_b32_e32 v12, 15, v12
	v_lshlrev_b32_e32 v6, v14, v6
	v_sub_u32_e32 v13, 29, v13
	v_and_b32_e32 v6, 7, v6
	v_cmp_eq_u16_e32 vcc, 0, v12
	v_cndmask_b32_e32 v2, v2, v6, vcc
	v_cndmask_b32_e32 v6, v12, v13, vcc
	v_lshlrev_b32_e32 v12, 16, v7
	v_mov_b32_e32 v13, 0x3b800000
	v_lshlrev_b32_e32 v2, 20, v2
	v_and_b32_e32 v12, 0x80000000, v12
	v_lshl_add_u32 v6, v6, 23, v13
	v_or3_b32 v2, v12, v6, v2
.LBB10_172:
	s_or_b64 exec, exec, s[6:7]
	v_lshrrev_b32_e32 v6, 8, v3
	s_movk_i32 s4, 0x7f
	v_cmp_gt_i16_sdwa s[6:7], v6, s4 src0_sel:BYTE_0 src1_sel:DWORD
	s_mov_b64 s[4:5], 0
                                        ; implicit-def: $sgpr10
	s_and_saveexec_b64 s[8:9], s[6:7]
	s_xor_b64 s[6:7], exec, s[8:9]
	s_cbranch_execnz .LBB10_2221
; %bb.173:
	s_or_saveexec_b64 s[6:7], s[6:7]
	v_mov_b32_e32 v12, s10
	s_xor_b64 exec, exec, s[6:7]
	s_cbranch_execnz .LBB10_2224
.LBB10_174:
	s_or_b64 exec, exec, s[6:7]
	s_and_saveexec_b64 s[6:7], s[4:5]
	s_cbranch_execz .LBB10_176
.LBB10_175:
	v_bfe_u32 v12, v3, 8, 3
	v_ffbh_u32_e32 v14, v12
	v_min_u32_e32 v14, 32, v14
	v_lshrrev_b16_e32 v13, 3, v6
	v_subrev_u32_e32 v15, 28, v14
	v_and_b32_e32 v13, 15, v13
	v_lshlrev_b32_e32 v6, v15, v6
	v_sub_u32_e32 v14, 29, v14
	v_and_b32_e32 v6, 7, v6
	v_cmp_eq_u16_e32 vcc, 0, v13
	v_cndmask_b32_e32 v6, v12, v6, vcc
	v_cndmask_b32_e32 v12, v13, v14, vcc
	v_lshlrev_b32_e32 v13, 16, v3
	v_mov_b32_e32 v14, 0x3b800000
	v_lshlrev_b32_e32 v6, 20, v6
	v_and_b32_e32 v13, 0x80000000, v13
	v_lshl_add_u32 v12, v12, 23, v14
	v_or3_b32 v12, v13, v12, v6
.LBB10_176:
	s_or_b64 exec, exec, s[6:7]
	s_nop 0
	v_mfma_f32_16x16x4f32 a[0:3], v2, v12, a[0:3]
	s_movk_i32 s4, 0xff
	v_and_b32_sdwa v6, v7, s4 dst_sel:DWORD dst_unused:UNUSED_PAD src0_sel:WORD_1 src1_sel:DWORD
	s_movk_i32 s4, 0x7f
	v_cmp_lt_i16_e32 vcc, s4, v6
	s_mov_b64 s[4:5], 0
                                        ; implicit-def: $sgpr10
	s_and_saveexec_b64 s[6:7], vcc
	s_xor_b64 s[6:7], exec, s[6:7]
	s_cbranch_execnz .LBB10_2225
; %bb.177:
	s_or_saveexec_b64 s[6:7], s[6:7]
	v_mov_b32_e32 v2, s10
	s_xor_b64 exec, exec, s[6:7]
	s_cbranch_execnz .LBB10_2228
.LBB10_178:
	s_or_b64 exec, exec, s[6:7]
	s_and_saveexec_b64 s[6:7], s[4:5]
	s_cbranch_execz .LBB10_180
.LBB10_179:
	v_bfe_u32 v2, v7, 16, 3
	v_ffbh_u32_e32 v13, v2
	v_min_u32_e32 v13, 32, v13
	v_lshrrev_b32_e32 v6, 19, v7
	v_subrev_u32_e32 v14, 28, v13
	v_and_b32_e32 v6, 15, v6
	v_lshlrev_b32_sdwa v14, v14, v7 dst_sel:DWORD dst_unused:UNUSED_PAD src0_sel:DWORD src1_sel:WORD_1
	v_bfe_u32 v12, v7, 19, 4
	v_sub_u32_e32 v13, 29, v13
	v_and_b32_e32 v14, 7, v14
	v_cmp_eq_u16_e32 vcc, 0, v6
	v_cndmask_b32_e32 v2, v2, v14, vcc
	v_cndmask_b32_e32 v6, v12, v13, vcc
	v_lshlrev_b32_e32 v12, 8, v7
	v_mov_b32_e32 v13, 0x3b800000
	v_lshlrev_b32_e32 v2, 20, v2
	v_and_b32_e32 v12, 0x80000000, v12
	v_lshl_add_u32 v6, v6, 23, v13
	v_or3_b32 v2, v12, v6, v2
.LBB10_180:
	s_or_b64 exec, exec, s[6:7]
	s_movk_i32 s4, 0xff
	v_and_b32_sdwa v6, v3, s4 dst_sel:DWORD dst_unused:UNUSED_PAD src0_sel:WORD_1 src1_sel:DWORD
	s_movk_i32 s4, 0x7f
	v_cmp_lt_i16_e32 vcc, s4, v6
	s_mov_b64 s[4:5], 0
                                        ; implicit-def: $sgpr10
	s_and_saveexec_b64 s[6:7], vcc
	s_xor_b64 s[6:7], exec, s[6:7]
	s_cbranch_execnz .LBB10_2229
; %bb.181:
	s_or_saveexec_b64 s[6:7], s[6:7]
	v_mov_b32_e32 v12, s10
	s_xor_b64 exec, exec, s[6:7]
	s_cbranch_execnz .LBB10_2232
.LBB10_182:
	s_or_b64 exec, exec, s[6:7]
	s_and_saveexec_b64 s[6:7], s[4:5]
	s_cbranch_execz .LBB10_184
.LBB10_183:
	v_bfe_u32 v6, v3, 16, 3
	v_ffbh_u32_e32 v14, v6
	v_min_u32_e32 v14, 32, v14
	v_lshrrev_b32_e32 v12, 19, v3
	v_subrev_u32_e32 v15, 28, v14
	v_and_b32_e32 v12, 15, v12
	v_lshlrev_b32_sdwa v15, v15, v3 dst_sel:DWORD dst_unused:UNUSED_PAD src0_sel:DWORD src1_sel:WORD_1
	v_bfe_u32 v13, v3, 19, 4
	v_sub_u32_e32 v14, 29, v14
	v_and_b32_e32 v15, 7, v15
	v_cmp_eq_u16_e32 vcc, 0, v12
	v_cndmask_b32_e32 v6, v6, v15, vcc
	v_cndmask_b32_e32 v12, v13, v14, vcc
	v_lshlrev_b32_e32 v13, 8, v3
	v_mov_b32_e32 v14, 0x3b800000
	v_lshlrev_b32_e32 v6, 20, v6
	v_and_b32_e32 v13, 0x80000000, v13
	v_lshl_add_u32 v12, v12, 23, v14
	v_or3_b32 v12, v13, v12, v6
.LBB10_184:
	s_or_b64 exec, exec, s[6:7]
	s_nop 0
	v_mfma_f32_16x16x4f32 a[0:3], v2, v12, a[0:3]
	s_movk_i32 s4, 0x7f
	v_cmp_gt_i16_sdwa s[6:7], v7, s4 src0_sel:BYTE_3 src1_sel:DWORD
	s_mov_b64 s[4:5], 0
                                        ; implicit-def: $sgpr10
	s_and_saveexec_b64 s[8:9], s[6:7]
	s_xor_b64 s[6:7], exec, s[8:9]
	s_cbranch_execnz .LBB10_2233
; %bb.185:
	s_or_saveexec_b64 s[6:7], s[6:7]
	v_mov_b32_e32 v2, s10
	s_xor_b64 exec, exec, s[6:7]
	s_cbranch_execnz .LBB10_2236
.LBB10_186:
	s_or_b64 exec, exec, s[6:7]
	s_and_saveexec_b64 s[6:7], s[4:5]
	s_cbranch_execz .LBB10_188
.LBB10_187:
	v_bfe_u32 v2, v7, 24, 3
	v_ffbh_u32_e32 v14, v2
	v_min_u32_e32 v14, 32, v14
	v_lshrrev_b32_e32 v12, 27, v7
	v_subrev_u32_e32 v15, 28, v14
	v_and_b32_e32 v6, 0x80000000, v7
	v_and_b32_e32 v12, 15, v12
	v_bfe_u32 v13, v7, 27, 4
	v_lshlrev_b32_sdwa v7, v15, v7 dst_sel:DWORD dst_unused:UNUSED_PAD src0_sel:DWORD src1_sel:BYTE_3
	v_sub_u32_e32 v14, 29, v14
	v_and_b32_e32 v7, 7, v7
	v_cmp_eq_u16_e32 vcc, 0, v12
	v_cndmask_b32_e32 v2, v2, v7, vcc
	v_cndmask_b32_e32 v7, v13, v14, vcc
	v_mov_b32_e32 v12, 0x3b800000
	v_lshlrev_b32_e32 v2, 20, v2
	v_lshl_add_u32 v7, v7, 23, v12
	v_or3_b32 v2, v6, v7, v2
.LBB10_188:
	s_or_b64 exec, exec, s[6:7]
	s_movk_i32 s4, 0x7f
	v_cmp_gt_i16_sdwa s[6:7], v3, s4 src0_sel:BYTE_3 src1_sel:DWORD
	s_mov_b64 s[4:5], 0
                                        ; implicit-def: $sgpr10
	s_and_saveexec_b64 s[8:9], s[6:7]
	s_xor_b64 s[6:7], exec, s[8:9]
	s_cbranch_execnz .LBB10_2237
; %bb.189:
	s_or_saveexec_b64 s[6:7], s[6:7]
	v_mov_b32_e32 v6, s10
	s_xor_b64 exec, exec, s[6:7]
	s_cbranch_execnz .LBB10_2240
.LBB10_190:
	s_or_b64 exec, exec, s[6:7]
	s_and_saveexec_b64 s[6:7], s[4:5]
	s_cbranch_execz .LBB10_192
.LBB10_191:
	v_bfe_u32 v6, v3, 24, 3
	v_ffbh_u32_e32 v14, v6
	v_min_u32_e32 v14, 32, v14
	v_lshrrev_b32_e32 v12, 27, v3
	v_subrev_u32_e32 v15, 28, v14
	v_and_b32_e32 v7, 0x80000000, v3
	v_and_b32_e32 v12, 15, v12
	v_bfe_u32 v13, v3, 27, 4
	v_lshlrev_b32_sdwa v3, v15, v3 dst_sel:DWORD dst_unused:UNUSED_PAD src0_sel:DWORD src1_sel:BYTE_3
	v_sub_u32_e32 v14, 29, v14
	v_and_b32_e32 v3, 7, v3
	v_cmp_eq_u16_e32 vcc, 0, v12
	v_cndmask_b32_e32 v3, v6, v3, vcc
	v_cndmask_b32_e32 v6, v13, v14, vcc
	v_mov_b32_e32 v12, 0x3b800000
	v_lshlrev_b32_e32 v3, 20, v3
	v_lshl_add_u32 v6, v6, 23, v12
	v_or3_b32 v6, v7, v6, v3
.LBB10_192:
	s_or_b64 exec, exec, s[6:7]
	s_nop 0
	v_mfma_f32_16x16x4f32 a[0:3], v2, v6, a[0:3]
	s_movk_i32 s4, 0x7f
	v_cmp_gt_i16_sdwa s[6:7], v8, s4 src0_sel:BYTE_0 src1_sel:DWORD
	s_mov_b64 s[4:5], 0
                                        ; implicit-def: $sgpr10
	s_and_saveexec_b64 s[8:9], s[6:7]
	s_xor_b64 s[6:7], exec, s[8:9]
	s_cbranch_execnz .LBB10_2241
; %bb.193:
	s_or_saveexec_b64 s[6:7], s[6:7]
	v_mov_b32_e32 v2, s10
	s_xor_b64 exec, exec, s[6:7]
	s_cbranch_execnz .LBB10_2244
.LBB10_194:
	s_or_b64 exec, exec, s[6:7]
	s_and_saveexec_b64 s[6:7], s[4:5]
	s_cbranch_execz .LBB10_196
.LBB10_195:
	v_and_b32_e32 v2, 7, v8
	v_ffbh_u32_e32 v6, v2
	v_min_u32_e32 v6, 32, v6
	v_lshrrev_b16_e32 v3, 3, v8
	v_subrev_u32_e32 v7, 28, v6
	v_and_b32_e32 v3, 15, v3
	v_lshlrev_b32_e32 v7, v7, v8
	v_sub_u32_e32 v6, 29, v6
	v_and_b32_e32 v7, 7, v7
	v_cmp_eq_u16_e32 vcc, 0, v3
	v_cndmask_b32_e32 v2, v2, v7, vcc
	v_cndmask_b32_e32 v3, v3, v6, vcc
	v_lshlrev_b32_e32 v6, 24, v8
	v_mov_b32_e32 v7, 0x3b800000
	v_lshlrev_b32_e32 v2, 20, v2
	v_and_b32_e32 v6, 0x80000000, v6
	v_lshl_add_u32 v3, v3, 23, v7
	v_or3_b32 v2, v6, v3, v2
.LBB10_196:
	s_or_b64 exec, exec, s[6:7]
	s_movk_i32 s4, 0x7f
	v_cmp_gt_i16_sdwa s[6:7], v4, s4 src0_sel:BYTE_0 src1_sel:DWORD
	s_mov_b64 s[4:5], 0
                                        ; implicit-def: $sgpr10
	s_and_saveexec_b64 s[8:9], s[6:7]
	s_xor_b64 s[6:7], exec, s[8:9]
	s_cbranch_execnz .LBB10_2245
; %bb.197:
	s_or_saveexec_b64 s[6:7], s[6:7]
	v_mov_b32_e32 v3, s10
	s_xor_b64 exec, exec, s[6:7]
	s_cbranch_execnz .LBB10_2248
.LBB10_198:
	s_or_b64 exec, exec, s[6:7]
	s_and_saveexec_b64 s[6:7], s[4:5]
	s_cbranch_execz .LBB10_200
.LBB10_199:
	v_and_b32_e32 v3, 7, v4
	v_ffbh_u32_e32 v7, v3
	v_min_u32_e32 v7, 32, v7
	v_lshrrev_b16_e32 v6, 3, v4
	v_subrev_u32_e32 v12, 28, v7
	v_and_b32_e32 v6, 15, v6
	v_lshlrev_b32_e32 v12, v12, v4
	v_sub_u32_e32 v7, 29, v7
	v_and_b32_e32 v12, 7, v12
	v_cmp_eq_u16_e32 vcc, 0, v6
	v_cndmask_b32_e32 v3, v3, v12, vcc
	v_cndmask_b32_e32 v6, v6, v7, vcc
	v_lshlrev_b32_e32 v7, 24, v4
	v_mov_b32_e32 v12, 0x3b800000
	v_lshlrev_b32_e32 v3, 20, v3
	v_and_b32_e32 v7, 0x80000000, v7
	v_lshl_add_u32 v6, v6, 23, v12
	v_or3_b32 v3, v7, v6, v3
.LBB10_200:
	s_or_b64 exec, exec, s[6:7]
	s_nop 0
	v_mfma_f32_16x16x4f32 a[0:3], v2, v3, a[0:3]
	v_lshrrev_b32_e32 v3, 8, v8
	s_movk_i32 s4, 0x7f
	v_cmp_gt_i16_sdwa s[6:7], v3, s4 src0_sel:BYTE_0 src1_sel:DWORD
	s_mov_b64 s[4:5], 0
                                        ; implicit-def: $sgpr10
	s_and_saveexec_b64 s[8:9], s[6:7]
	s_xor_b64 s[6:7], exec, s[8:9]
	s_cbranch_execnz .LBB10_2249
; %bb.201:
	s_or_saveexec_b64 s[6:7], s[6:7]
	v_mov_b32_e32 v2, s10
	s_xor_b64 exec, exec, s[6:7]
	s_cbranch_execnz .LBB10_2252
.LBB10_202:
	s_or_b64 exec, exec, s[6:7]
	s_and_saveexec_b64 s[6:7], s[4:5]
	s_cbranch_execz .LBB10_204
.LBB10_203:
	v_bfe_u32 v2, v8, 8, 3
	v_ffbh_u32_e32 v7, v2
	v_min_u32_e32 v7, 32, v7
	v_lshrrev_b16_e32 v6, 3, v3
	v_subrev_u32_e32 v12, 28, v7
	v_and_b32_e32 v6, 15, v6
	v_lshlrev_b32_e32 v3, v12, v3
	v_sub_u32_e32 v7, 29, v7
	v_and_b32_e32 v3, 7, v3
	v_cmp_eq_u16_e32 vcc, 0, v6
	v_cndmask_b32_e32 v2, v2, v3, vcc
	v_cndmask_b32_e32 v3, v6, v7, vcc
	v_lshlrev_b32_e32 v6, 16, v8
	v_mov_b32_e32 v7, 0x3b800000
	v_lshlrev_b32_e32 v2, 20, v2
	v_and_b32_e32 v6, 0x80000000, v6
	v_lshl_add_u32 v3, v3, 23, v7
	v_or3_b32 v2, v6, v3, v2
.LBB10_204:
	s_or_b64 exec, exec, s[6:7]
	v_lshrrev_b32_e32 v3, 8, v4
	s_movk_i32 s4, 0x7f
	v_cmp_gt_i16_sdwa s[6:7], v3, s4 src0_sel:BYTE_0 src1_sel:DWORD
	s_mov_b64 s[4:5], 0
                                        ; implicit-def: $sgpr10
	s_and_saveexec_b64 s[8:9], s[6:7]
	s_xor_b64 s[6:7], exec, s[8:9]
	s_cbranch_execnz .LBB10_2253
; %bb.205:
	s_or_saveexec_b64 s[6:7], s[6:7]
	v_mov_b32_e32 v6, s10
	s_xor_b64 exec, exec, s[6:7]
	s_cbranch_execnz .LBB10_2256
.LBB10_206:
	s_or_b64 exec, exec, s[6:7]
	s_and_saveexec_b64 s[6:7], s[4:5]
	s_cbranch_execz .LBB10_208
.LBB10_207:
	v_bfe_u32 v6, v4, 8, 3
	v_ffbh_u32_e32 v12, v6
	v_min_u32_e32 v12, 32, v12
	v_lshrrev_b16_e32 v7, 3, v3
	v_subrev_u32_e32 v13, 28, v12
	v_and_b32_e32 v7, 15, v7
	v_lshlrev_b32_e32 v3, v13, v3
	v_sub_u32_e32 v12, 29, v12
	v_and_b32_e32 v3, 7, v3
	v_cmp_eq_u16_e32 vcc, 0, v7
	v_cndmask_b32_e32 v3, v6, v3, vcc
	v_cndmask_b32_e32 v6, v7, v12, vcc
	v_lshlrev_b32_e32 v7, 16, v4
	v_mov_b32_e32 v12, 0x3b800000
	v_lshlrev_b32_e32 v3, 20, v3
	v_and_b32_e32 v7, 0x80000000, v7
	v_lshl_add_u32 v6, v6, 23, v12
	v_or3_b32 v6, v7, v6, v3
.LBB10_208:
	s_or_b64 exec, exec, s[6:7]
	s_nop 0
	v_mfma_f32_16x16x4f32 a[0:3], v2, v6, a[0:3]
	s_movk_i32 s4, 0xff
	v_and_b32_sdwa v3, v8, s4 dst_sel:DWORD dst_unused:UNUSED_PAD src0_sel:WORD_1 src1_sel:DWORD
	s_movk_i32 s4, 0x7f
	v_cmp_lt_i16_e32 vcc, s4, v3
	s_mov_b64 s[4:5], 0
                                        ; implicit-def: $sgpr10
	s_and_saveexec_b64 s[6:7], vcc
	s_xor_b64 s[6:7], exec, s[6:7]
	s_cbranch_execnz .LBB10_2257
; %bb.209:
	s_or_saveexec_b64 s[6:7], s[6:7]
	v_mov_b32_e32 v2, s10
	s_xor_b64 exec, exec, s[6:7]
	s_cbranch_execnz .LBB10_2260
.LBB10_210:
	s_or_b64 exec, exec, s[6:7]
	s_and_saveexec_b64 s[6:7], s[4:5]
	s_cbranch_execz .LBB10_212
.LBB10_211:
	v_bfe_u32 v2, v8, 16, 3
	v_ffbh_u32_e32 v7, v2
	v_min_u32_e32 v7, 32, v7
	v_lshrrev_b32_e32 v3, 19, v8
	v_subrev_u32_e32 v12, 28, v7
	v_and_b32_e32 v3, 15, v3
	v_lshlrev_b32_sdwa v12, v12, v8 dst_sel:DWORD dst_unused:UNUSED_PAD src0_sel:DWORD src1_sel:WORD_1
	v_bfe_u32 v6, v8, 19, 4
	v_sub_u32_e32 v7, 29, v7
	v_and_b32_e32 v12, 7, v12
	v_cmp_eq_u16_e32 vcc, 0, v3
	v_cndmask_b32_e32 v2, v2, v12, vcc
	v_cndmask_b32_e32 v3, v6, v7, vcc
	v_lshlrev_b32_e32 v6, 8, v8
	v_mov_b32_e32 v7, 0x3b800000
	v_lshlrev_b32_e32 v2, 20, v2
	v_and_b32_e32 v6, 0x80000000, v6
	v_lshl_add_u32 v3, v3, 23, v7
	v_or3_b32 v2, v6, v3, v2
.LBB10_212:
	s_or_b64 exec, exec, s[6:7]
	s_movk_i32 s4, 0xff
	v_and_b32_sdwa v3, v4, s4 dst_sel:DWORD dst_unused:UNUSED_PAD src0_sel:WORD_1 src1_sel:DWORD
	s_movk_i32 s4, 0x7f
	v_cmp_lt_i16_e32 vcc, s4, v3
	s_mov_b64 s[4:5], 0
                                        ; implicit-def: $sgpr10
	s_and_saveexec_b64 s[6:7], vcc
	s_xor_b64 s[6:7], exec, s[6:7]
	s_cbranch_execnz .LBB10_2261
; %bb.213:
	s_or_saveexec_b64 s[6:7], s[6:7]
	v_mov_b32_e32 v6, s10
	s_xor_b64 exec, exec, s[6:7]
	s_cbranch_execnz .LBB10_2264
.LBB10_214:
	s_or_b64 exec, exec, s[6:7]
	s_and_saveexec_b64 s[6:7], s[4:5]
	s_cbranch_execz .LBB10_216
.LBB10_215:
	v_bfe_u32 v3, v4, 16, 3
	v_ffbh_u32_e32 v12, v3
	v_min_u32_e32 v12, 32, v12
	v_lshrrev_b32_e32 v6, 19, v4
	v_subrev_u32_e32 v13, 28, v12
	v_and_b32_e32 v6, 15, v6
	v_lshlrev_b32_sdwa v13, v13, v4 dst_sel:DWORD dst_unused:UNUSED_PAD src0_sel:DWORD src1_sel:WORD_1
	v_bfe_u32 v7, v4, 19, 4
	v_sub_u32_e32 v12, 29, v12
	v_and_b32_e32 v13, 7, v13
	v_cmp_eq_u16_e32 vcc, 0, v6
	v_cndmask_b32_e32 v3, v3, v13, vcc
	v_cndmask_b32_e32 v6, v7, v12, vcc
	v_lshlrev_b32_e32 v7, 8, v4
	v_mov_b32_e32 v12, 0x3b800000
	v_lshlrev_b32_e32 v3, 20, v3
	v_and_b32_e32 v7, 0x80000000, v7
	v_lshl_add_u32 v6, v6, 23, v12
	v_or3_b32 v6, v7, v6, v3
.LBB10_216:
	s_or_b64 exec, exec, s[6:7]
	s_nop 0
	v_mfma_f32_16x16x4f32 a[0:3], v2, v6, a[0:3]
	s_movk_i32 s4, 0x7f
	v_cmp_gt_i16_sdwa s[6:7], v8, s4 src0_sel:BYTE_3 src1_sel:DWORD
	s_mov_b64 s[4:5], 0
                                        ; implicit-def: $sgpr10
	s_and_saveexec_b64 s[8:9], s[6:7]
	s_xor_b64 s[6:7], exec, s[8:9]
	s_cbranch_execnz .LBB10_2265
; %bb.217:
	s_or_saveexec_b64 s[6:7], s[6:7]
	v_mov_b32_e32 v2, s10
	s_xor_b64 exec, exec, s[6:7]
	s_cbranch_execnz .LBB10_2268
.LBB10_218:
	s_or_b64 exec, exec, s[6:7]
	s_and_saveexec_b64 s[6:7], s[4:5]
	s_cbranch_execz .LBB10_220
.LBB10_219:
	v_bfe_u32 v2, v8, 24, 3
	v_ffbh_u32_e32 v12, v2
	v_min_u32_e32 v12, 32, v12
	v_lshrrev_b32_e32 v6, 27, v8
	v_subrev_u32_e32 v13, 28, v12
	v_and_b32_e32 v3, 0x80000000, v8
	v_and_b32_e32 v6, 15, v6
	v_bfe_u32 v7, v8, 27, 4
	v_lshlrev_b32_sdwa v8, v13, v8 dst_sel:DWORD dst_unused:UNUSED_PAD src0_sel:DWORD src1_sel:BYTE_3
	v_sub_u32_e32 v12, 29, v12
	v_and_b32_e32 v8, 7, v8
	v_cmp_eq_u16_e32 vcc, 0, v6
	v_cndmask_b32_e32 v2, v2, v8, vcc
	v_cndmask_b32_e32 v6, v7, v12, vcc
	v_mov_b32_e32 v7, 0x3b800000
	v_lshlrev_b32_e32 v2, 20, v2
	v_lshl_add_u32 v6, v6, 23, v7
	v_or3_b32 v2, v3, v6, v2
.LBB10_220:
	s_or_b64 exec, exec, s[6:7]
	s_movk_i32 s4, 0x7f
	v_cmp_gt_i16_sdwa s[6:7], v4, s4 src0_sel:BYTE_3 src1_sel:DWORD
	s_mov_b64 s[4:5], 0
                                        ; implicit-def: $sgpr10
	s_and_saveexec_b64 s[8:9], s[6:7]
	s_xor_b64 s[6:7], exec, s[8:9]
	s_cbranch_execnz .LBB10_2269
; %bb.221:
	s_or_saveexec_b64 s[6:7], s[6:7]
	v_mov_b32_e32 v3, s10
	s_xor_b64 exec, exec, s[6:7]
	s_cbranch_execnz .LBB10_2272
.LBB10_222:
	s_or_b64 exec, exec, s[6:7]
	s_and_saveexec_b64 s[6:7], s[4:5]
	s_cbranch_execz .LBB10_224
.LBB10_223:
	v_bfe_u32 v3, v4, 24, 3
	v_ffbh_u32_e32 v12, v3
	v_min_u32_e32 v12, 32, v12
	v_lshrrev_b32_e32 v7, 27, v4
	v_subrev_u32_e32 v13, 28, v12
	v_and_b32_e32 v6, 0x80000000, v4
	v_and_b32_e32 v7, 15, v7
	v_bfe_u32 v8, v4, 27, 4
	v_lshlrev_b32_sdwa v4, v13, v4 dst_sel:DWORD dst_unused:UNUSED_PAD src0_sel:DWORD src1_sel:BYTE_3
	v_sub_u32_e32 v12, 29, v12
	v_and_b32_e32 v4, 7, v4
	v_cmp_eq_u16_e32 vcc, 0, v7
	v_cndmask_b32_e32 v3, v3, v4, vcc
	v_cndmask_b32_e32 v4, v8, v12, vcc
	v_mov_b32_e32 v7, 0x3b800000
	v_lshlrev_b32_e32 v3, 20, v3
	v_lshl_add_u32 v4, v4, 23, v7
	v_or3_b32 v3, v6, v4, v3
.LBB10_224:
	s_or_b64 exec, exec, s[6:7]
	s_nop 0
	v_mfma_f32_16x16x4f32 a[0:3], v2, v3, a[0:3]
	s_movk_i32 s4, 0x7f
	v_cmp_gt_i16_sdwa s[6:7], v9, s4 src0_sel:BYTE_0 src1_sel:DWORD
	s_mov_b64 s[4:5], 0
                                        ; implicit-def: $sgpr10
	s_and_saveexec_b64 s[8:9], s[6:7]
	s_xor_b64 s[6:7], exec, s[8:9]
	s_cbranch_execnz .LBB10_2273
; %bb.225:
	s_or_saveexec_b64 s[6:7], s[6:7]
	v_mov_b32_e32 v2, s10
	s_xor_b64 exec, exec, s[6:7]
	s_cbranch_execnz .LBB10_2276
.LBB10_226:
	s_or_b64 exec, exec, s[6:7]
	s_and_saveexec_b64 s[6:7], s[4:5]
	s_cbranch_execz .LBB10_228
.LBB10_227:
	v_mov_b32_e32 v2, 8
	v_and_b32_e32 v3, 7, v9
	v_lshrrev_b32_sdwa v2, v2, v9 dst_sel:BYTE_1 dst_unused:UNUSED_PAD src0_sel:DWORD src1_sel:DWORD
	v_ffbh_u32_e32 v4, v3
	v_or_b32_sdwa v2, v9, v2 dst_sel:DWORD dst_unused:UNUSED_PAD src0_sel:BYTE_0 src1_sel:DWORD
	v_min_u32_e32 v4, 32, v4
	v_lshrrev_b16_e32 v2, 3, v2
	v_subrev_u32_e32 v6, 28, v4
	v_and_b32_e32 v2, 15, v2
	v_lshlrev_b32_e32 v6, v6, v9
	v_sub_u32_e32 v4, 29, v4
	v_and_b32_e32 v6, 7, v6
	v_cmp_eq_u16_e32 vcc, 0, v2
	v_cndmask_b32_e32 v3, v3, v6, vcc
	v_cndmask_b32_e32 v2, v2, v4, vcc
	v_lshlrev_b32_e32 v4, 24, v9
	v_mov_b32_e32 v6, 0x3b800000
	v_lshlrev_b32_e32 v3, 20, v3
	v_and_b32_e32 v4, 0x80000000, v4
	v_lshl_add_u32 v2, v2, 23, v6
	v_or3_b32 v2, v4, v2, v3
.LBB10_228:
	s_or_b64 exec, exec, s[6:7]
	s_movk_i32 s4, 0x7f
	v_cmp_gt_i16_sdwa s[6:7], v5, s4 src0_sel:BYTE_0 src1_sel:DWORD
	s_mov_b64 s[4:5], 0
                                        ; implicit-def: $sgpr10
	s_and_saveexec_b64 s[8:9], s[6:7]
	s_xor_b64 s[6:7], exec, s[8:9]
	s_cbranch_execnz .LBB10_2277
; %bb.229:
	s_or_saveexec_b64 s[6:7], s[6:7]
	v_mov_b32_e32 v3, s10
	s_xor_b64 exec, exec, s[6:7]
	s_cbranch_execnz .LBB10_2280
.LBB10_230:
	s_or_b64 exec, exec, s[6:7]
	s_and_saveexec_b64 s[6:7], s[4:5]
	s_cbranch_execz .LBB10_232
.LBB10_231:
	v_mov_b32_e32 v3, 8
	v_and_b32_e32 v4, 7, v5
	v_lshrrev_b32_sdwa v3, v3, v5 dst_sel:BYTE_1 dst_unused:UNUSED_PAD src0_sel:DWORD src1_sel:DWORD
	v_ffbh_u32_e32 v6, v4
	v_or_b32_sdwa v3, v5, v3 dst_sel:DWORD dst_unused:UNUSED_PAD src0_sel:BYTE_0 src1_sel:DWORD
	v_min_u32_e32 v6, 32, v6
	v_lshrrev_b16_e32 v3, 3, v3
	v_subrev_u32_e32 v7, 28, v6
	v_and_b32_e32 v3, 15, v3
	v_lshlrev_b32_e32 v7, v7, v5
	v_sub_u32_e32 v6, 29, v6
	v_and_b32_e32 v7, 7, v7
	v_cmp_eq_u16_e32 vcc, 0, v3
	v_cndmask_b32_e32 v4, v4, v7, vcc
	v_cndmask_b32_e32 v3, v3, v6, vcc
	v_lshlrev_b32_e32 v6, 24, v5
	v_mov_b32_e32 v7, 0x3b800000
	v_lshlrev_b32_e32 v4, 20, v4
	v_and_b32_e32 v6, 0x80000000, v6
	v_lshl_add_u32 v3, v3, 23, v7
	v_or3_b32 v3, v6, v3, v4
.LBB10_232:
	s_or_b64 exec, exec, s[6:7]
	s_nop 0
	v_mfma_f32_16x16x4f32 a[0:3], v2, v3, a[0:3]
	v_lshrrev_b32_e32 v3, 8, v9
	s_movk_i32 s4, 0x7f
	v_cmp_gt_i16_sdwa s[6:7], v3, s4 src0_sel:BYTE_0 src1_sel:DWORD
	s_mov_b64 s[4:5], 0
                                        ; implicit-def: $sgpr10
	s_and_saveexec_b64 s[8:9], s[6:7]
	s_xor_b64 s[6:7], exec, s[8:9]
	s_cbranch_execnz .LBB10_2281
; %bb.233:
	s_or_saveexec_b64 s[6:7], s[6:7]
	v_mov_b32_e32 v2, s10
	s_xor_b64 exec, exec, s[6:7]
	s_cbranch_execnz .LBB10_2284
.LBB10_234:
	s_or_b64 exec, exec, s[6:7]
	s_and_saveexec_b64 s[6:7], s[4:5]
	s_cbranch_execz .LBB10_236
.LBB10_235:
	v_bfe_u32 v2, v9, 8, 3
	v_ffbh_u32_e32 v6, v2
	v_min_u32_e32 v6, 32, v6
	v_lshrrev_b16_e32 v4, 3, v3
	v_subrev_u32_e32 v7, 28, v6
	v_and_b32_e32 v4, 15, v4
	v_lshlrev_b32_e32 v3, v7, v3
	v_sub_u32_e32 v6, 29, v6
	v_and_b32_e32 v3, 7, v3
	v_cmp_eq_u16_e32 vcc, 0, v4
	v_cndmask_b32_e32 v2, v2, v3, vcc
	v_cndmask_b32_e32 v3, v4, v6, vcc
	v_lshlrev_b32_e32 v4, 16, v9
	v_mov_b32_e32 v6, 0x3b800000
	v_lshlrev_b32_e32 v2, 20, v2
	v_and_b32_e32 v4, 0x80000000, v4
	v_lshl_add_u32 v3, v3, 23, v6
	v_or3_b32 v2, v4, v3, v2
.LBB10_236:
	s_or_b64 exec, exec, s[6:7]
	v_lshrrev_b32_e32 v3, 8, v5
	s_movk_i32 s4, 0x7f
	v_cmp_gt_i16_sdwa s[6:7], v3, s4 src0_sel:BYTE_0 src1_sel:DWORD
	s_mov_b64 s[4:5], 0
                                        ; implicit-def: $sgpr10
	s_and_saveexec_b64 s[8:9], s[6:7]
	s_xor_b64 s[6:7], exec, s[8:9]
	s_cbranch_execnz .LBB10_2285
; %bb.237:
	s_or_saveexec_b64 s[6:7], s[6:7]
	v_mov_b32_e32 v4, s10
	s_xor_b64 exec, exec, s[6:7]
	s_cbranch_execnz .LBB10_2288
.LBB10_238:
	s_or_b64 exec, exec, s[6:7]
	s_and_saveexec_b64 s[6:7], s[4:5]
	s_cbranch_execz .LBB10_240
.LBB10_239:
	v_bfe_u32 v4, v5, 8, 3
	v_ffbh_u32_e32 v7, v4
	v_min_u32_e32 v7, 32, v7
	v_lshrrev_b16_e32 v6, 3, v3
	v_subrev_u32_e32 v8, 28, v7
	v_and_b32_e32 v6, 15, v6
	v_lshlrev_b32_e32 v3, v8, v3
	v_sub_u32_e32 v7, 29, v7
	v_and_b32_e32 v3, 7, v3
	v_cmp_eq_u16_e32 vcc, 0, v6
	v_cndmask_b32_e32 v3, v4, v3, vcc
	v_cndmask_b32_e32 v4, v6, v7, vcc
	v_lshlrev_b32_e32 v6, 16, v5
	v_mov_b32_e32 v7, 0x3b800000
	v_lshlrev_b32_e32 v3, 20, v3
	v_and_b32_e32 v6, 0x80000000, v6
	v_lshl_add_u32 v4, v4, 23, v7
	v_or3_b32 v4, v6, v4, v3
.LBB10_240:
	s_or_b64 exec, exec, s[6:7]
	s_nop 0
	v_mfma_f32_16x16x4f32 a[0:3], v2, v4, a[0:3]
	s_movk_i32 s4, 0xff
	v_and_b32_sdwa v3, v9, s4 dst_sel:DWORD dst_unused:UNUSED_PAD src0_sel:WORD_1 src1_sel:DWORD
	s_movk_i32 s4, 0x7f
	v_cmp_lt_i16_e32 vcc, s4, v3
	s_mov_b64 s[4:5], 0
                                        ; implicit-def: $sgpr10
	s_and_saveexec_b64 s[6:7], vcc
	s_xor_b64 s[6:7], exec, s[6:7]
	s_cbranch_execnz .LBB10_2289
; %bb.241:
	s_or_saveexec_b64 s[6:7], s[6:7]
	v_mov_b32_e32 v2, s10
	s_xor_b64 exec, exec, s[6:7]
	s_cbranch_execnz .LBB10_2292
.LBB10_242:
	s_or_b64 exec, exec, s[6:7]
	s_and_saveexec_b64 s[6:7], s[4:5]
	s_cbranch_execz .LBB10_244
.LBB10_243:
	v_bfe_u32 v2, v9, 16, 3
	v_ffbh_u32_e32 v6, v2
	v_min_u32_e32 v6, 32, v6
	v_lshrrev_b32_e32 v3, 19, v9
	v_subrev_u32_e32 v7, 28, v6
	v_and_b32_e32 v3, 15, v3
	v_lshlrev_b32_sdwa v7, v7, v9 dst_sel:DWORD dst_unused:UNUSED_PAD src0_sel:DWORD src1_sel:WORD_1
	v_bfe_u32 v4, v9, 19, 4
	v_sub_u32_e32 v6, 29, v6
	v_and_b32_e32 v7, 7, v7
	v_cmp_eq_u16_e32 vcc, 0, v3
	v_cndmask_b32_e32 v2, v2, v7, vcc
	v_cndmask_b32_e32 v3, v4, v6, vcc
	v_lshlrev_b32_e32 v4, 8, v9
	v_mov_b32_e32 v6, 0x3b800000
	v_lshlrev_b32_e32 v2, 20, v2
	v_and_b32_e32 v4, 0x80000000, v4
	v_lshl_add_u32 v3, v3, 23, v6
	v_or3_b32 v2, v4, v3, v2
.LBB10_244:
	s_or_b64 exec, exec, s[6:7]
	s_movk_i32 s4, 0xff
	v_and_b32_sdwa v3, v5, s4 dst_sel:DWORD dst_unused:UNUSED_PAD src0_sel:WORD_1 src1_sel:DWORD
	s_movk_i32 s4, 0x7f
	v_cmp_lt_i16_e32 vcc, s4, v3
	s_mov_b64 s[4:5], 0
                                        ; implicit-def: $sgpr10
	s_and_saveexec_b64 s[6:7], vcc
	s_xor_b64 s[6:7], exec, s[6:7]
	s_cbranch_execnz .LBB10_2293
; %bb.245:
	s_or_saveexec_b64 s[6:7], s[6:7]
	v_mov_b32_e32 v4, s10
	s_xor_b64 exec, exec, s[6:7]
	s_cbranch_execnz .LBB10_2296
.LBB10_246:
	s_or_b64 exec, exec, s[6:7]
	s_and_saveexec_b64 s[6:7], s[4:5]
	s_cbranch_execz .LBB10_248
.LBB10_247:
	v_bfe_u32 v3, v5, 16, 3
	v_ffbh_u32_e32 v7, v3
	v_min_u32_e32 v7, 32, v7
	v_lshrrev_b32_e32 v4, 19, v5
	v_subrev_u32_e32 v8, 28, v7
	v_and_b32_e32 v4, 15, v4
	v_lshlrev_b32_sdwa v8, v8, v5 dst_sel:DWORD dst_unused:UNUSED_PAD src0_sel:DWORD src1_sel:WORD_1
	v_bfe_u32 v6, v5, 19, 4
	v_sub_u32_e32 v7, 29, v7
	v_and_b32_e32 v8, 7, v8
	v_cmp_eq_u16_e32 vcc, 0, v4
	v_cndmask_b32_e32 v3, v3, v8, vcc
	v_cndmask_b32_e32 v4, v6, v7, vcc
	v_lshlrev_b32_e32 v6, 8, v5
	v_mov_b32_e32 v7, 0x3b800000
	v_lshlrev_b32_e32 v3, 20, v3
	v_and_b32_e32 v6, 0x80000000, v6
	v_lshl_add_u32 v4, v4, 23, v7
	v_or3_b32 v4, v6, v4, v3
.LBB10_248:
	s_or_b64 exec, exec, s[6:7]
	s_nop 0
	v_mfma_f32_16x16x4f32 a[0:3], v2, v4, a[0:3]
	s_movk_i32 s4, 0x7f
	v_cmp_gt_i16_sdwa s[6:7], v9, s4 src0_sel:BYTE_3 src1_sel:DWORD
	s_mov_b64 s[4:5], 0
                                        ; implicit-def: $sgpr10
	s_and_saveexec_b64 s[8:9], s[6:7]
	s_xor_b64 s[6:7], exec, s[8:9]
	s_cbranch_execnz .LBB10_2297
; %bb.249:
	s_or_saveexec_b64 s[6:7], s[6:7]
	v_mov_b32_e32 v2, s10
	s_xor_b64 exec, exec, s[6:7]
	s_cbranch_execnz .LBB10_2300
.LBB10_250:
	s_or_b64 exec, exec, s[6:7]
	s_and_saveexec_b64 s[6:7], s[4:5]
	s_cbranch_execz .LBB10_252
.LBB10_251:
	v_bfe_u32 v2, v9, 24, 3
	v_ffbh_u32_e32 v7, v2
	v_min_u32_e32 v7, 32, v7
	v_lshrrev_b32_e32 v4, 27, v9
	v_subrev_u32_e32 v8, 28, v7
	v_and_b32_e32 v4, 15, v4
	v_lshlrev_b32_sdwa v8, v8, v9 dst_sel:DWORD dst_unused:UNUSED_PAD src0_sel:DWORD src1_sel:BYTE_3
	v_bfe_u32 v6, v9, 27, 4
	v_sub_u32_e32 v7, 29, v7
	v_and_b32_e32 v8, 7, v8
	v_cmp_eq_u16_e32 vcc, 0, v4
	v_cndmask_b32_e32 v2, v2, v8, vcc
	v_cndmask_b32_e32 v4, v6, v7, vcc
	v_mov_b32_e32 v6, 0x3b800000
	v_and_b32_e32 v3, 0x80000000, v9
	v_lshlrev_b32_e32 v2, 20, v2
	v_lshl_add_u32 v4, v4, 23, v6
	v_or3_b32 v2, v3, v4, v2
.LBB10_252:
	s_or_b64 exec, exec, s[6:7]
	s_movk_i32 s4, 0x7f
	v_cmp_gt_i16_sdwa s[6:7], v5, s4 src0_sel:BYTE_3 src1_sel:DWORD
	s_mov_b64 s[4:5], 0
                                        ; implicit-def: $sgpr10
	s_and_saveexec_b64 s[8:9], s[6:7]
	s_xor_b64 s[6:7], exec, s[8:9]
	s_cbranch_execnz .LBB10_2301
; %bb.253:
	s_or_saveexec_b64 s[6:7], s[6:7]
	v_mov_b32_e32 v3, s10
	s_xor_b64 exec, exec, s[6:7]
	s_cbranch_execnz .LBB10_2304
.LBB10_254:
	s_or_b64 exec, exec, s[6:7]
	s_and_saveexec_b64 s[6:7], s[4:5]
	s_cbranch_execz .LBB10_256
.LBB10_255:
	v_bfe_u32 v3, v5, 24, 3
	v_ffbh_u32_e32 v8, v3
	v_min_u32_e32 v8, 32, v8
	v_lshrrev_b32_e32 v6, 27, v5
	v_subrev_u32_e32 v9, 28, v8
	v_and_b32_e32 v4, 0x80000000, v5
	v_and_b32_e32 v6, 15, v6
	v_bfe_u32 v7, v5, 27, 4
	v_lshlrev_b32_sdwa v5, v9, v5 dst_sel:DWORD dst_unused:UNUSED_PAD src0_sel:DWORD src1_sel:BYTE_3
	v_sub_u32_e32 v8, 29, v8
	v_and_b32_e32 v5, 7, v5
	v_cmp_eq_u16_e32 vcc, 0, v6
	v_cndmask_b32_e32 v3, v3, v5, vcc
	v_cndmask_b32_e32 v5, v7, v8, vcc
	v_mov_b32_e32 v6, 0x3b800000
	v_lshlrev_b32_e32 v3, 20, v3
	v_lshl_add_u32 v5, v5, 23, v6
	v_or3_b32 v3, v4, v5, v3
.LBB10_256:
	s_or_b64 exec, exec, s[6:7]
	s_nop 0
	v_mfma_f32_16x16x4f32 a[0:3], v2, v3, a[0:3]
	s_movk_i32 s4, 0x7f
                                        ; implicit-def: $sgpr10
	s_nop 7
	s_nop 1
	flat_store_dwordx4 v[10:11], a[0:3] offset:16
	flat_load_dwordx4 v[12:15], v[0:1] offset:8
	s_nop 0
	flat_load_dwordx2 v[10:11], v[0:1] offset:32
	s_waitcnt vmcnt(0) lgkmcnt(0)
	flat_load_dwordx4 v[6:9], v[12:13]
	flat_load_dwordx4 v[2:5], v[14:15] offset:64
	s_waitcnt vmcnt(0) lgkmcnt(0)
	v_cmp_gt_i16_sdwa s[6:7], v6, s4 src0_sel:BYTE_0 src1_sel:DWORD
	s_mov_b64 s[4:5], 0
	s_and_saveexec_b64 s[8:9], s[6:7]
	s_xor_b64 s[6:7], exec, s[8:9]
	s_cbranch_execnz .LBB10_2305
; %bb.257:
	s_or_saveexec_b64 s[6:7], s[6:7]
	v_mov_b32_e32 v12, s10
	s_xor_b64 exec, exec, s[6:7]
	s_cbranch_execnz .LBB10_2308
.LBB10_258:
	s_or_b64 exec, exec, s[6:7]
	s_and_saveexec_b64 s[6:7], s[4:5]
	s_cbranch_execz .LBB10_260
.LBB10_259:
	v_and_b32_e32 v12, 7, v6
	v_ffbh_u32_e32 v14, v12
	v_min_u32_e32 v14, 32, v14
	v_lshrrev_b16_e32 v13, 3, v6
	v_subrev_u32_e32 v15, 28, v14
	v_and_b32_e32 v13, 15, v13
	v_lshlrev_b32_e32 v15, v15, v6
	v_sub_u32_e32 v14, 29, v14
	v_and_b32_e32 v15, 7, v15
	v_cmp_eq_u16_e32 vcc, 0, v13
	v_cndmask_b32_e32 v12, v12, v15, vcc
	v_cndmask_b32_e32 v13, v13, v14, vcc
	v_lshlrev_b32_e32 v14, 24, v6
	v_mov_b32_e32 v15, 0x3b800000
	v_lshlrev_b32_e32 v12, 20, v12
	v_and_b32_e32 v14, 0x80000000, v14
	v_lshl_add_u32 v13, v13, 23, v15
	v_or3_b32 v12, v14, v13, v12
.LBB10_260:
	s_or_b64 exec, exec, s[6:7]
	s_movk_i32 s4, 0x7f
	v_cmp_gt_i16_sdwa s[6:7], v2, s4 src0_sel:BYTE_0 src1_sel:DWORD
	s_mov_b64 s[4:5], 0
                                        ; implicit-def: $sgpr10
	s_and_saveexec_b64 s[8:9], s[6:7]
	s_xor_b64 s[6:7], exec, s[8:9]
	s_cbranch_execnz .LBB10_2309
; %bb.261:
	s_or_saveexec_b64 s[6:7], s[6:7]
	v_mov_b32_e32 v13, s10
	s_xor_b64 exec, exec, s[6:7]
	s_cbranch_execnz .LBB10_2312
.LBB10_262:
	s_or_b64 exec, exec, s[6:7]
	s_and_saveexec_b64 s[6:7], s[4:5]
	s_cbranch_execz .LBB10_264
.LBB10_263:
	v_and_b32_e32 v13, 7, v2
	v_ffbh_u32_e32 v15, v13
	v_min_u32_e32 v15, 32, v15
	v_lshrrev_b16_e32 v14, 3, v2
	v_subrev_u32_e32 v16, 28, v15
	v_and_b32_e32 v14, 15, v14
	v_lshlrev_b32_e32 v16, v16, v2
	v_sub_u32_e32 v15, 29, v15
	v_and_b32_e32 v16, 7, v16
	v_cmp_eq_u16_e32 vcc, 0, v14
	v_cndmask_b32_e32 v13, v13, v16, vcc
	v_cndmask_b32_e32 v14, v14, v15, vcc
	v_lshlrev_b32_e32 v15, 24, v2
	v_mov_b32_e32 v16, 0x3b800000
	v_lshlrev_b32_e32 v13, 20, v13
	v_and_b32_e32 v15, 0x80000000, v15
	v_lshl_add_u32 v14, v14, 23, v16
	v_or3_b32 v13, v15, v14, v13
.LBB10_264:
	s_or_b64 exec, exec, s[6:7]
	flat_load_dwordx4 a[0:3], v[10:11] offset:32
	s_movk_i32 s4, 0x7f
                                        ; implicit-def: $sgpr10
	s_waitcnt vmcnt(0) lgkmcnt(0)
	v_mfma_f32_16x16x4f32 a[0:3], v12, v13, a[0:3]
	v_lshrrev_b32_e32 v13, 8, v6
	v_cmp_gt_i16_sdwa s[6:7], v13, s4 src0_sel:BYTE_0 src1_sel:DWORD
	s_mov_b64 s[4:5], 0
	s_and_saveexec_b64 s[8:9], s[6:7]
	s_xor_b64 s[6:7], exec, s[8:9]
	s_cbranch_execnz .LBB10_2313
; %bb.265:
	s_or_saveexec_b64 s[6:7], s[6:7]
	v_mov_b32_e32 v12, s10
	s_xor_b64 exec, exec, s[6:7]
	s_cbranch_execnz .LBB10_2316
.LBB10_266:
	s_or_b64 exec, exec, s[6:7]
	s_and_saveexec_b64 s[6:7], s[4:5]
	s_cbranch_execz .LBB10_268
.LBB10_267:
	v_bfe_u32 v12, v6, 8, 3
	v_ffbh_u32_e32 v15, v12
	v_min_u32_e32 v15, 32, v15
	v_lshrrev_b16_e32 v14, 3, v13
	v_subrev_u32_e32 v16, 28, v15
	v_and_b32_e32 v14, 15, v14
	v_lshlrev_b32_e32 v13, v16, v13
	v_sub_u32_e32 v15, 29, v15
	v_and_b32_e32 v13, 7, v13
	v_cmp_eq_u16_e32 vcc, 0, v14
	v_cndmask_b32_e32 v12, v12, v13, vcc
	v_cndmask_b32_e32 v13, v14, v15, vcc
	v_lshlrev_b32_e32 v14, 16, v6
	v_mov_b32_e32 v15, 0x3b800000
	v_lshlrev_b32_e32 v12, 20, v12
	v_and_b32_e32 v14, 0x80000000, v14
	v_lshl_add_u32 v13, v13, 23, v15
	v_or3_b32 v12, v14, v13, v12
.LBB10_268:
	s_or_b64 exec, exec, s[6:7]
	v_lshrrev_b32_e32 v13, 8, v2
	s_movk_i32 s4, 0x7f
	v_cmp_gt_i16_sdwa s[6:7], v13, s4 src0_sel:BYTE_0 src1_sel:DWORD
	s_mov_b64 s[4:5], 0
                                        ; implicit-def: $sgpr10
	s_and_saveexec_b64 s[8:9], s[6:7]
	s_xor_b64 s[6:7], exec, s[8:9]
	s_cbranch_execnz .LBB10_2317
; %bb.269:
	s_or_saveexec_b64 s[6:7], s[6:7]
	v_mov_b32_e32 v14, s10
	s_xor_b64 exec, exec, s[6:7]
	s_cbranch_execnz .LBB10_2320
.LBB10_270:
	s_or_b64 exec, exec, s[6:7]
	s_and_saveexec_b64 s[6:7], s[4:5]
	s_cbranch_execz .LBB10_272
.LBB10_271:
	v_bfe_u32 v14, v2, 8, 3
	v_ffbh_u32_e32 v16, v14
	v_min_u32_e32 v16, 32, v16
	v_lshrrev_b16_e32 v15, 3, v13
	v_subrev_u32_e32 v17, 28, v16
	v_and_b32_e32 v15, 15, v15
	v_lshlrev_b32_e32 v13, v17, v13
	v_sub_u32_e32 v16, 29, v16
	v_and_b32_e32 v13, 7, v13
	v_cmp_eq_u16_e32 vcc, 0, v15
	v_cndmask_b32_e32 v13, v14, v13, vcc
	v_cndmask_b32_e32 v14, v15, v16, vcc
	v_lshlrev_b32_e32 v15, 16, v2
	v_mov_b32_e32 v16, 0x3b800000
	v_lshlrev_b32_e32 v13, 20, v13
	v_and_b32_e32 v15, 0x80000000, v15
	v_lshl_add_u32 v14, v14, 23, v16
	v_or3_b32 v14, v15, v14, v13
.LBB10_272:
	s_or_b64 exec, exec, s[6:7]
	s_nop 0
	v_mfma_f32_16x16x4f32 a[0:3], v12, v14, a[0:3]
	s_movk_i32 s4, 0xff
	v_and_b32_sdwa v13, v6, s4 dst_sel:DWORD dst_unused:UNUSED_PAD src0_sel:WORD_1 src1_sel:DWORD
	s_movk_i32 s4, 0x7f
	v_cmp_lt_i16_e32 vcc, s4, v13
	s_mov_b64 s[4:5], 0
                                        ; implicit-def: $sgpr10
	s_and_saveexec_b64 s[6:7], vcc
	s_xor_b64 s[6:7], exec, s[6:7]
	s_cbranch_execnz .LBB10_2321
; %bb.273:
	s_or_saveexec_b64 s[6:7], s[6:7]
	v_mov_b32_e32 v12, s10
	s_xor_b64 exec, exec, s[6:7]
	s_cbranch_execnz .LBB10_2324
.LBB10_274:
	s_or_b64 exec, exec, s[6:7]
	s_and_saveexec_b64 s[6:7], s[4:5]
	s_cbranch_execz .LBB10_276
.LBB10_275:
	v_bfe_u32 v12, v6, 16, 3
	v_ffbh_u32_e32 v15, v12
	v_min_u32_e32 v15, 32, v15
	v_lshrrev_b32_e32 v13, 19, v6
	v_subrev_u32_e32 v16, 28, v15
	v_and_b32_e32 v13, 15, v13
	v_lshlrev_b32_sdwa v16, v16, v6 dst_sel:DWORD dst_unused:UNUSED_PAD src0_sel:DWORD src1_sel:WORD_1
	v_bfe_u32 v14, v6, 19, 4
	v_sub_u32_e32 v15, 29, v15
	v_and_b32_e32 v16, 7, v16
	v_cmp_eq_u16_e32 vcc, 0, v13
	v_cndmask_b32_e32 v12, v12, v16, vcc
	v_cndmask_b32_e32 v13, v14, v15, vcc
	v_lshlrev_b32_e32 v14, 8, v6
	v_mov_b32_e32 v15, 0x3b800000
	v_lshlrev_b32_e32 v12, 20, v12
	v_and_b32_e32 v14, 0x80000000, v14
	v_lshl_add_u32 v13, v13, 23, v15
	v_or3_b32 v12, v14, v13, v12
.LBB10_276:
	s_or_b64 exec, exec, s[6:7]
	s_movk_i32 s4, 0xff
	v_and_b32_sdwa v13, v2, s4 dst_sel:DWORD dst_unused:UNUSED_PAD src0_sel:WORD_1 src1_sel:DWORD
	s_movk_i32 s4, 0x7f
	v_cmp_lt_i16_e32 vcc, s4, v13
	s_mov_b64 s[4:5], 0
                                        ; implicit-def: $sgpr10
	s_and_saveexec_b64 s[6:7], vcc
	s_xor_b64 s[6:7], exec, s[6:7]
	s_cbranch_execnz .LBB10_2325
; %bb.277:
	s_or_saveexec_b64 s[6:7], s[6:7]
	v_mov_b32_e32 v14, s10
	s_xor_b64 exec, exec, s[6:7]
	s_cbranch_execnz .LBB10_2328
.LBB10_278:
	s_or_b64 exec, exec, s[6:7]
	s_and_saveexec_b64 s[6:7], s[4:5]
	s_cbranch_execz .LBB10_280
.LBB10_279:
	v_bfe_u32 v13, v2, 16, 3
	v_ffbh_u32_e32 v16, v13
	v_min_u32_e32 v16, 32, v16
	v_lshrrev_b32_e32 v14, 19, v2
	v_subrev_u32_e32 v17, 28, v16
	v_and_b32_e32 v14, 15, v14
	v_lshlrev_b32_sdwa v17, v17, v2 dst_sel:DWORD dst_unused:UNUSED_PAD src0_sel:DWORD src1_sel:WORD_1
	v_bfe_u32 v15, v2, 19, 4
	v_sub_u32_e32 v16, 29, v16
	v_and_b32_e32 v17, 7, v17
	v_cmp_eq_u16_e32 vcc, 0, v14
	v_cndmask_b32_e32 v13, v13, v17, vcc
	v_cndmask_b32_e32 v14, v15, v16, vcc
	v_lshlrev_b32_e32 v15, 8, v2
	v_mov_b32_e32 v16, 0x3b800000
	v_lshlrev_b32_e32 v13, 20, v13
	v_and_b32_e32 v15, 0x80000000, v15
	v_lshl_add_u32 v14, v14, 23, v16
	v_or3_b32 v14, v15, v14, v13
.LBB10_280:
	s_or_b64 exec, exec, s[6:7]
	s_nop 0
	v_mfma_f32_16x16x4f32 a[0:3], v12, v14, a[0:3]
	s_movk_i32 s4, 0x7f
	v_cmp_gt_i16_sdwa s[6:7], v6, s4 src0_sel:BYTE_3 src1_sel:DWORD
	s_mov_b64 s[4:5], 0
                                        ; implicit-def: $sgpr10
	s_and_saveexec_b64 s[8:9], s[6:7]
	s_xor_b64 s[6:7], exec, s[8:9]
	s_cbranch_execnz .LBB10_2329
; %bb.281:
	s_or_saveexec_b64 s[6:7], s[6:7]
	v_mov_b32_e32 v12, s10
	s_xor_b64 exec, exec, s[6:7]
	s_cbranch_execnz .LBB10_2332
.LBB10_282:
	s_or_b64 exec, exec, s[6:7]
	s_and_saveexec_b64 s[6:7], s[4:5]
	s_cbranch_execz .LBB10_284
.LBB10_283:
	v_bfe_u32 v12, v6, 24, 3
	v_ffbh_u32_e32 v16, v12
	v_min_u32_e32 v16, 32, v16
	v_lshrrev_b32_e32 v14, 27, v6
	v_subrev_u32_e32 v17, 28, v16
	v_and_b32_e32 v13, 0x80000000, v6
	v_and_b32_e32 v14, 15, v14
	v_bfe_u32 v15, v6, 27, 4
	v_lshlrev_b32_sdwa v6, v17, v6 dst_sel:DWORD dst_unused:UNUSED_PAD src0_sel:DWORD src1_sel:BYTE_3
	v_sub_u32_e32 v16, 29, v16
	v_and_b32_e32 v6, 7, v6
	v_cmp_eq_u16_e32 vcc, 0, v14
	v_cndmask_b32_e32 v6, v12, v6, vcc
	v_cndmask_b32_e32 v12, v15, v16, vcc
	v_mov_b32_e32 v14, 0x3b800000
	v_lshlrev_b32_e32 v6, 20, v6
	v_lshl_add_u32 v12, v12, 23, v14
	v_or3_b32 v12, v13, v12, v6
.LBB10_284:
	s_or_b64 exec, exec, s[6:7]
	s_movk_i32 s4, 0x7f
	v_cmp_gt_i16_sdwa s[6:7], v2, s4 src0_sel:BYTE_3 src1_sel:DWORD
	s_mov_b64 s[4:5], 0
                                        ; implicit-def: $sgpr10
	s_and_saveexec_b64 s[8:9], s[6:7]
	s_xor_b64 s[6:7], exec, s[8:9]
	s_cbranch_execnz .LBB10_2333
; %bb.285:
	s_or_saveexec_b64 s[6:7], s[6:7]
	v_mov_b32_e32 v6, s10
	s_xor_b64 exec, exec, s[6:7]
	s_cbranch_execnz .LBB10_2336
.LBB10_286:
	s_or_b64 exec, exec, s[6:7]
	s_and_saveexec_b64 s[6:7], s[4:5]
	s_cbranch_execz .LBB10_288
.LBB10_287:
	v_bfe_u32 v6, v2, 24, 3
	v_ffbh_u32_e32 v16, v6
	v_min_u32_e32 v16, 32, v16
	v_lshrrev_b32_e32 v14, 27, v2
	v_subrev_u32_e32 v17, 28, v16
	v_and_b32_e32 v13, 0x80000000, v2
	v_and_b32_e32 v14, 15, v14
	v_bfe_u32 v15, v2, 27, 4
	v_lshlrev_b32_sdwa v2, v17, v2 dst_sel:DWORD dst_unused:UNUSED_PAD src0_sel:DWORD src1_sel:BYTE_3
	v_sub_u32_e32 v16, 29, v16
	v_and_b32_e32 v2, 7, v2
	v_cmp_eq_u16_e32 vcc, 0, v14
	v_cndmask_b32_e32 v2, v6, v2, vcc
	v_cndmask_b32_e32 v6, v15, v16, vcc
	v_mov_b32_e32 v14, 0x3b800000
	v_lshlrev_b32_e32 v2, 20, v2
	v_lshl_add_u32 v6, v6, 23, v14
	v_or3_b32 v6, v13, v6, v2
.LBB10_288:
	s_or_b64 exec, exec, s[6:7]
	s_nop 0
	v_mfma_f32_16x16x4f32 a[0:3], v12, v6, a[0:3]
	s_movk_i32 s4, 0x7f
	v_cmp_gt_i16_sdwa s[6:7], v7, s4 src0_sel:BYTE_0 src1_sel:DWORD
	s_mov_b64 s[4:5], 0
                                        ; implicit-def: $sgpr10
	s_and_saveexec_b64 s[8:9], s[6:7]
	s_xor_b64 s[6:7], exec, s[8:9]
	s_cbranch_execnz .LBB10_2337
; %bb.289:
	s_or_saveexec_b64 s[6:7], s[6:7]
	v_mov_b32_e32 v2, s10
	s_xor_b64 exec, exec, s[6:7]
	s_cbranch_execnz .LBB10_2340
.LBB10_290:
	s_or_b64 exec, exec, s[6:7]
	s_and_saveexec_b64 s[6:7], s[4:5]
	s_cbranch_execz .LBB10_292
.LBB10_291:
	v_and_b32_e32 v2, 7, v7
	v_ffbh_u32_e32 v12, v2
	v_min_u32_e32 v12, 32, v12
	v_lshrrev_b16_e32 v6, 3, v7
	v_subrev_u32_e32 v13, 28, v12
	v_and_b32_e32 v6, 15, v6
	v_lshlrev_b32_e32 v13, v13, v7
	v_sub_u32_e32 v12, 29, v12
	v_and_b32_e32 v13, 7, v13
	v_cmp_eq_u16_e32 vcc, 0, v6
	v_cndmask_b32_e32 v2, v2, v13, vcc
	v_cndmask_b32_e32 v6, v6, v12, vcc
	v_lshlrev_b32_e32 v12, 24, v7
	v_mov_b32_e32 v13, 0x3b800000
	v_lshlrev_b32_e32 v2, 20, v2
	v_and_b32_e32 v12, 0x80000000, v12
	v_lshl_add_u32 v6, v6, 23, v13
	v_or3_b32 v2, v12, v6, v2
.LBB10_292:
	s_or_b64 exec, exec, s[6:7]
	s_movk_i32 s4, 0x7f
	v_cmp_gt_i16_sdwa s[6:7], v3, s4 src0_sel:BYTE_0 src1_sel:DWORD
	s_mov_b64 s[4:5], 0
                                        ; implicit-def: $sgpr10
	s_and_saveexec_b64 s[8:9], s[6:7]
	s_xor_b64 s[6:7], exec, s[8:9]
	s_cbranch_execnz .LBB10_2341
; %bb.293:
	s_or_saveexec_b64 s[6:7], s[6:7]
	v_mov_b32_e32 v6, s10
	s_xor_b64 exec, exec, s[6:7]
	s_cbranch_execnz .LBB10_2344
.LBB10_294:
	s_or_b64 exec, exec, s[6:7]
	s_and_saveexec_b64 s[6:7], s[4:5]
	s_cbranch_execz .LBB10_296
.LBB10_295:
	v_and_b32_e32 v6, 7, v3
	v_ffbh_u32_e32 v13, v6
	v_min_u32_e32 v13, 32, v13
	v_lshrrev_b16_e32 v12, 3, v3
	v_subrev_u32_e32 v14, 28, v13
	v_and_b32_e32 v12, 15, v12
	v_lshlrev_b32_e32 v14, v14, v3
	v_sub_u32_e32 v13, 29, v13
	v_and_b32_e32 v14, 7, v14
	v_cmp_eq_u16_e32 vcc, 0, v12
	v_cndmask_b32_e32 v6, v6, v14, vcc
	v_cndmask_b32_e32 v12, v12, v13, vcc
	v_lshlrev_b32_e32 v13, 24, v3
	v_mov_b32_e32 v14, 0x3b800000
	v_lshlrev_b32_e32 v6, 20, v6
	v_and_b32_e32 v13, 0x80000000, v13
	v_lshl_add_u32 v12, v12, 23, v14
	v_or3_b32 v6, v13, v12, v6
.LBB10_296:
	s_or_b64 exec, exec, s[6:7]
	s_nop 0
	v_mfma_f32_16x16x4f32 a[0:3], v2, v6, a[0:3]
	v_lshrrev_b32_e32 v6, 8, v7
	s_movk_i32 s4, 0x7f
	v_cmp_gt_i16_sdwa s[6:7], v6, s4 src0_sel:BYTE_0 src1_sel:DWORD
	s_mov_b64 s[4:5], 0
                                        ; implicit-def: $sgpr10
	s_and_saveexec_b64 s[8:9], s[6:7]
	s_xor_b64 s[6:7], exec, s[8:9]
	s_cbranch_execnz .LBB10_2345
; %bb.297:
	s_or_saveexec_b64 s[6:7], s[6:7]
	v_mov_b32_e32 v2, s10
	s_xor_b64 exec, exec, s[6:7]
	s_cbranch_execnz .LBB10_2348
.LBB10_298:
	s_or_b64 exec, exec, s[6:7]
	s_and_saveexec_b64 s[6:7], s[4:5]
	s_cbranch_execz .LBB10_300
.LBB10_299:
	v_bfe_u32 v2, v7, 8, 3
	v_ffbh_u32_e32 v13, v2
	v_min_u32_e32 v13, 32, v13
	v_lshrrev_b16_e32 v12, 3, v6
	v_subrev_u32_e32 v14, 28, v13
	v_and_b32_e32 v12, 15, v12
	v_lshlrev_b32_e32 v6, v14, v6
	v_sub_u32_e32 v13, 29, v13
	v_and_b32_e32 v6, 7, v6
	v_cmp_eq_u16_e32 vcc, 0, v12
	v_cndmask_b32_e32 v2, v2, v6, vcc
	v_cndmask_b32_e32 v6, v12, v13, vcc
	v_lshlrev_b32_e32 v12, 16, v7
	v_mov_b32_e32 v13, 0x3b800000
	v_lshlrev_b32_e32 v2, 20, v2
	v_and_b32_e32 v12, 0x80000000, v12
	v_lshl_add_u32 v6, v6, 23, v13
	v_or3_b32 v2, v12, v6, v2
.LBB10_300:
	s_or_b64 exec, exec, s[6:7]
	v_lshrrev_b32_e32 v6, 8, v3
	s_movk_i32 s4, 0x7f
	v_cmp_gt_i16_sdwa s[6:7], v6, s4 src0_sel:BYTE_0 src1_sel:DWORD
	s_mov_b64 s[4:5], 0
                                        ; implicit-def: $sgpr10
	s_and_saveexec_b64 s[8:9], s[6:7]
	s_xor_b64 s[6:7], exec, s[8:9]
	s_cbranch_execnz .LBB10_2349
; %bb.301:
	s_or_saveexec_b64 s[6:7], s[6:7]
	v_mov_b32_e32 v12, s10
	s_xor_b64 exec, exec, s[6:7]
	s_cbranch_execnz .LBB10_2352
.LBB10_302:
	s_or_b64 exec, exec, s[6:7]
	s_and_saveexec_b64 s[6:7], s[4:5]
	s_cbranch_execz .LBB10_304
.LBB10_303:
	v_bfe_u32 v12, v3, 8, 3
	v_ffbh_u32_e32 v14, v12
	v_min_u32_e32 v14, 32, v14
	v_lshrrev_b16_e32 v13, 3, v6
	v_subrev_u32_e32 v15, 28, v14
	v_and_b32_e32 v13, 15, v13
	v_lshlrev_b32_e32 v6, v15, v6
	v_sub_u32_e32 v14, 29, v14
	v_and_b32_e32 v6, 7, v6
	v_cmp_eq_u16_e32 vcc, 0, v13
	v_cndmask_b32_e32 v6, v12, v6, vcc
	v_cndmask_b32_e32 v12, v13, v14, vcc
	v_lshlrev_b32_e32 v13, 16, v3
	v_mov_b32_e32 v14, 0x3b800000
	v_lshlrev_b32_e32 v6, 20, v6
	v_and_b32_e32 v13, 0x80000000, v13
	v_lshl_add_u32 v12, v12, 23, v14
	v_or3_b32 v12, v13, v12, v6
.LBB10_304:
	s_or_b64 exec, exec, s[6:7]
	s_nop 0
	v_mfma_f32_16x16x4f32 a[0:3], v2, v12, a[0:3]
	s_movk_i32 s4, 0xff
	v_and_b32_sdwa v6, v7, s4 dst_sel:DWORD dst_unused:UNUSED_PAD src0_sel:WORD_1 src1_sel:DWORD
	s_movk_i32 s4, 0x7f
	v_cmp_lt_i16_e32 vcc, s4, v6
	s_mov_b64 s[4:5], 0
                                        ; implicit-def: $sgpr10
	s_and_saveexec_b64 s[6:7], vcc
	s_xor_b64 s[6:7], exec, s[6:7]
	s_cbranch_execnz .LBB10_2353
; %bb.305:
	s_or_saveexec_b64 s[6:7], s[6:7]
	v_mov_b32_e32 v2, s10
	s_xor_b64 exec, exec, s[6:7]
	s_cbranch_execnz .LBB10_2356
.LBB10_306:
	s_or_b64 exec, exec, s[6:7]
	s_and_saveexec_b64 s[6:7], s[4:5]
	s_cbranch_execz .LBB10_308
.LBB10_307:
	v_bfe_u32 v2, v7, 16, 3
	v_ffbh_u32_e32 v13, v2
	v_min_u32_e32 v13, 32, v13
	v_lshrrev_b32_e32 v6, 19, v7
	v_subrev_u32_e32 v14, 28, v13
	v_and_b32_e32 v6, 15, v6
	v_lshlrev_b32_sdwa v14, v14, v7 dst_sel:DWORD dst_unused:UNUSED_PAD src0_sel:DWORD src1_sel:WORD_1
	v_bfe_u32 v12, v7, 19, 4
	v_sub_u32_e32 v13, 29, v13
	v_and_b32_e32 v14, 7, v14
	v_cmp_eq_u16_e32 vcc, 0, v6
	v_cndmask_b32_e32 v2, v2, v14, vcc
	v_cndmask_b32_e32 v6, v12, v13, vcc
	v_lshlrev_b32_e32 v12, 8, v7
	v_mov_b32_e32 v13, 0x3b800000
	v_lshlrev_b32_e32 v2, 20, v2
	v_and_b32_e32 v12, 0x80000000, v12
	v_lshl_add_u32 v6, v6, 23, v13
	v_or3_b32 v2, v12, v6, v2
.LBB10_308:
	s_or_b64 exec, exec, s[6:7]
	s_movk_i32 s4, 0xff
	v_and_b32_sdwa v6, v3, s4 dst_sel:DWORD dst_unused:UNUSED_PAD src0_sel:WORD_1 src1_sel:DWORD
	s_movk_i32 s4, 0x7f
	v_cmp_lt_i16_e32 vcc, s4, v6
	s_mov_b64 s[4:5], 0
                                        ; implicit-def: $sgpr10
	s_and_saveexec_b64 s[6:7], vcc
	s_xor_b64 s[6:7], exec, s[6:7]
	s_cbranch_execnz .LBB10_2357
; %bb.309:
	s_or_saveexec_b64 s[6:7], s[6:7]
	v_mov_b32_e32 v12, s10
	s_xor_b64 exec, exec, s[6:7]
	s_cbranch_execnz .LBB10_2360
.LBB10_310:
	s_or_b64 exec, exec, s[6:7]
	s_and_saveexec_b64 s[6:7], s[4:5]
	s_cbranch_execz .LBB10_312
.LBB10_311:
	v_bfe_u32 v6, v3, 16, 3
	v_ffbh_u32_e32 v14, v6
	v_min_u32_e32 v14, 32, v14
	v_lshrrev_b32_e32 v12, 19, v3
	v_subrev_u32_e32 v15, 28, v14
	v_and_b32_e32 v12, 15, v12
	v_lshlrev_b32_sdwa v15, v15, v3 dst_sel:DWORD dst_unused:UNUSED_PAD src0_sel:DWORD src1_sel:WORD_1
	v_bfe_u32 v13, v3, 19, 4
	v_sub_u32_e32 v14, 29, v14
	v_and_b32_e32 v15, 7, v15
	v_cmp_eq_u16_e32 vcc, 0, v12
	v_cndmask_b32_e32 v6, v6, v15, vcc
	v_cndmask_b32_e32 v12, v13, v14, vcc
	v_lshlrev_b32_e32 v13, 8, v3
	v_mov_b32_e32 v14, 0x3b800000
	v_lshlrev_b32_e32 v6, 20, v6
	v_and_b32_e32 v13, 0x80000000, v13
	v_lshl_add_u32 v12, v12, 23, v14
	v_or3_b32 v12, v13, v12, v6
.LBB10_312:
	s_or_b64 exec, exec, s[6:7]
	s_nop 0
	v_mfma_f32_16x16x4f32 a[0:3], v2, v12, a[0:3]
	s_movk_i32 s4, 0x7f
	v_cmp_gt_i16_sdwa s[6:7], v7, s4 src0_sel:BYTE_3 src1_sel:DWORD
	s_mov_b64 s[4:5], 0
                                        ; implicit-def: $sgpr10
	s_and_saveexec_b64 s[8:9], s[6:7]
	s_xor_b64 s[6:7], exec, s[8:9]
	s_cbranch_execnz .LBB10_2361
; %bb.313:
	s_or_saveexec_b64 s[6:7], s[6:7]
	v_mov_b32_e32 v2, s10
	s_xor_b64 exec, exec, s[6:7]
	s_cbranch_execnz .LBB10_2364
.LBB10_314:
	s_or_b64 exec, exec, s[6:7]
	s_and_saveexec_b64 s[6:7], s[4:5]
	s_cbranch_execz .LBB10_316
.LBB10_315:
	v_bfe_u32 v2, v7, 24, 3
	v_ffbh_u32_e32 v14, v2
	v_min_u32_e32 v14, 32, v14
	v_lshrrev_b32_e32 v12, 27, v7
	v_subrev_u32_e32 v15, 28, v14
	v_and_b32_e32 v6, 0x80000000, v7
	v_and_b32_e32 v12, 15, v12
	v_bfe_u32 v13, v7, 27, 4
	v_lshlrev_b32_sdwa v7, v15, v7 dst_sel:DWORD dst_unused:UNUSED_PAD src0_sel:DWORD src1_sel:BYTE_3
	v_sub_u32_e32 v14, 29, v14
	v_and_b32_e32 v7, 7, v7
	v_cmp_eq_u16_e32 vcc, 0, v12
	v_cndmask_b32_e32 v2, v2, v7, vcc
	v_cndmask_b32_e32 v7, v13, v14, vcc
	v_mov_b32_e32 v12, 0x3b800000
	v_lshlrev_b32_e32 v2, 20, v2
	v_lshl_add_u32 v7, v7, 23, v12
	v_or3_b32 v2, v6, v7, v2
.LBB10_316:
	s_or_b64 exec, exec, s[6:7]
	s_movk_i32 s4, 0x7f
	v_cmp_gt_i16_sdwa s[6:7], v3, s4 src0_sel:BYTE_3 src1_sel:DWORD
	s_mov_b64 s[4:5], 0
                                        ; implicit-def: $sgpr10
	s_and_saveexec_b64 s[8:9], s[6:7]
	s_xor_b64 s[6:7], exec, s[8:9]
	s_cbranch_execnz .LBB10_2365
; %bb.317:
	s_or_saveexec_b64 s[6:7], s[6:7]
	v_mov_b32_e32 v6, s10
	s_xor_b64 exec, exec, s[6:7]
	s_cbranch_execnz .LBB10_2368
.LBB10_318:
	s_or_b64 exec, exec, s[6:7]
	s_and_saveexec_b64 s[6:7], s[4:5]
	s_cbranch_execz .LBB10_320
.LBB10_319:
	v_bfe_u32 v6, v3, 24, 3
	v_ffbh_u32_e32 v14, v6
	v_min_u32_e32 v14, 32, v14
	v_lshrrev_b32_e32 v12, 27, v3
	v_subrev_u32_e32 v15, 28, v14
	v_and_b32_e32 v7, 0x80000000, v3
	v_and_b32_e32 v12, 15, v12
	v_bfe_u32 v13, v3, 27, 4
	v_lshlrev_b32_sdwa v3, v15, v3 dst_sel:DWORD dst_unused:UNUSED_PAD src0_sel:DWORD src1_sel:BYTE_3
	v_sub_u32_e32 v14, 29, v14
	v_and_b32_e32 v3, 7, v3
	v_cmp_eq_u16_e32 vcc, 0, v12
	v_cndmask_b32_e32 v3, v6, v3, vcc
	v_cndmask_b32_e32 v6, v13, v14, vcc
	v_mov_b32_e32 v12, 0x3b800000
	v_lshlrev_b32_e32 v3, 20, v3
	v_lshl_add_u32 v6, v6, 23, v12
	v_or3_b32 v6, v7, v6, v3
.LBB10_320:
	s_or_b64 exec, exec, s[6:7]
	s_nop 0
	v_mfma_f32_16x16x4f32 a[0:3], v2, v6, a[0:3]
	s_movk_i32 s4, 0x7f
	v_cmp_gt_i16_sdwa s[6:7], v8, s4 src0_sel:BYTE_0 src1_sel:DWORD
	s_mov_b64 s[4:5], 0
                                        ; implicit-def: $sgpr10
	s_and_saveexec_b64 s[8:9], s[6:7]
	s_xor_b64 s[6:7], exec, s[8:9]
	s_cbranch_execnz .LBB10_2369
; %bb.321:
	s_or_saveexec_b64 s[6:7], s[6:7]
	v_mov_b32_e32 v2, s10
	s_xor_b64 exec, exec, s[6:7]
	s_cbranch_execnz .LBB10_2372
.LBB10_322:
	s_or_b64 exec, exec, s[6:7]
	s_and_saveexec_b64 s[6:7], s[4:5]
	s_cbranch_execz .LBB10_324
.LBB10_323:
	v_and_b32_e32 v2, 7, v8
	v_ffbh_u32_e32 v6, v2
	v_min_u32_e32 v6, 32, v6
	v_lshrrev_b16_e32 v3, 3, v8
	v_subrev_u32_e32 v7, 28, v6
	v_and_b32_e32 v3, 15, v3
	v_lshlrev_b32_e32 v7, v7, v8
	v_sub_u32_e32 v6, 29, v6
	v_and_b32_e32 v7, 7, v7
	v_cmp_eq_u16_e32 vcc, 0, v3
	v_cndmask_b32_e32 v2, v2, v7, vcc
	v_cndmask_b32_e32 v3, v3, v6, vcc
	v_lshlrev_b32_e32 v6, 24, v8
	v_mov_b32_e32 v7, 0x3b800000
	v_lshlrev_b32_e32 v2, 20, v2
	v_and_b32_e32 v6, 0x80000000, v6
	v_lshl_add_u32 v3, v3, 23, v7
	v_or3_b32 v2, v6, v3, v2
.LBB10_324:
	s_or_b64 exec, exec, s[6:7]
	s_movk_i32 s4, 0x7f
	v_cmp_gt_i16_sdwa s[6:7], v4, s4 src0_sel:BYTE_0 src1_sel:DWORD
	s_mov_b64 s[4:5], 0
                                        ; implicit-def: $sgpr10
	s_and_saveexec_b64 s[8:9], s[6:7]
	s_xor_b64 s[6:7], exec, s[8:9]
	s_cbranch_execnz .LBB10_2373
; %bb.325:
	s_or_saveexec_b64 s[6:7], s[6:7]
	v_mov_b32_e32 v3, s10
	s_xor_b64 exec, exec, s[6:7]
	s_cbranch_execnz .LBB10_2376
.LBB10_326:
	s_or_b64 exec, exec, s[6:7]
	s_and_saveexec_b64 s[6:7], s[4:5]
	s_cbranch_execz .LBB10_328
.LBB10_327:
	v_and_b32_e32 v3, 7, v4
	v_ffbh_u32_e32 v7, v3
	v_min_u32_e32 v7, 32, v7
	v_lshrrev_b16_e32 v6, 3, v4
	v_subrev_u32_e32 v12, 28, v7
	v_and_b32_e32 v6, 15, v6
	v_lshlrev_b32_e32 v12, v12, v4
	v_sub_u32_e32 v7, 29, v7
	v_and_b32_e32 v12, 7, v12
	v_cmp_eq_u16_e32 vcc, 0, v6
	v_cndmask_b32_e32 v3, v3, v12, vcc
	v_cndmask_b32_e32 v6, v6, v7, vcc
	v_lshlrev_b32_e32 v7, 24, v4
	v_mov_b32_e32 v12, 0x3b800000
	v_lshlrev_b32_e32 v3, 20, v3
	v_and_b32_e32 v7, 0x80000000, v7
	v_lshl_add_u32 v6, v6, 23, v12
	v_or3_b32 v3, v7, v6, v3
.LBB10_328:
	s_or_b64 exec, exec, s[6:7]
	s_nop 0
	v_mfma_f32_16x16x4f32 a[0:3], v2, v3, a[0:3]
	v_lshrrev_b32_e32 v3, 8, v8
	s_movk_i32 s4, 0x7f
	v_cmp_gt_i16_sdwa s[6:7], v3, s4 src0_sel:BYTE_0 src1_sel:DWORD
	s_mov_b64 s[4:5], 0
                                        ; implicit-def: $sgpr10
	s_and_saveexec_b64 s[8:9], s[6:7]
	s_xor_b64 s[6:7], exec, s[8:9]
	s_cbranch_execnz .LBB10_2377
; %bb.329:
	s_or_saveexec_b64 s[6:7], s[6:7]
	v_mov_b32_e32 v2, s10
	s_xor_b64 exec, exec, s[6:7]
	s_cbranch_execnz .LBB10_2380
.LBB10_330:
	s_or_b64 exec, exec, s[6:7]
	s_and_saveexec_b64 s[6:7], s[4:5]
	s_cbranch_execz .LBB10_332
.LBB10_331:
	v_bfe_u32 v2, v8, 8, 3
	v_ffbh_u32_e32 v7, v2
	v_min_u32_e32 v7, 32, v7
	v_lshrrev_b16_e32 v6, 3, v3
	v_subrev_u32_e32 v12, 28, v7
	v_and_b32_e32 v6, 15, v6
	v_lshlrev_b32_e32 v3, v12, v3
	v_sub_u32_e32 v7, 29, v7
	v_and_b32_e32 v3, 7, v3
	v_cmp_eq_u16_e32 vcc, 0, v6
	v_cndmask_b32_e32 v2, v2, v3, vcc
	v_cndmask_b32_e32 v3, v6, v7, vcc
	v_lshlrev_b32_e32 v6, 16, v8
	v_mov_b32_e32 v7, 0x3b800000
	v_lshlrev_b32_e32 v2, 20, v2
	v_and_b32_e32 v6, 0x80000000, v6
	v_lshl_add_u32 v3, v3, 23, v7
	v_or3_b32 v2, v6, v3, v2
.LBB10_332:
	s_or_b64 exec, exec, s[6:7]
	v_lshrrev_b32_e32 v3, 8, v4
	s_movk_i32 s4, 0x7f
	v_cmp_gt_i16_sdwa s[6:7], v3, s4 src0_sel:BYTE_0 src1_sel:DWORD
	s_mov_b64 s[4:5], 0
                                        ; implicit-def: $sgpr10
	s_and_saveexec_b64 s[8:9], s[6:7]
	s_xor_b64 s[6:7], exec, s[8:9]
	s_cbranch_execnz .LBB10_2381
; %bb.333:
	s_or_saveexec_b64 s[6:7], s[6:7]
	v_mov_b32_e32 v6, s10
	s_xor_b64 exec, exec, s[6:7]
	s_cbranch_execnz .LBB10_2384
.LBB10_334:
	s_or_b64 exec, exec, s[6:7]
	s_and_saveexec_b64 s[6:7], s[4:5]
	s_cbranch_execz .LBB10_336
.LBB10_335:
	v_bfe_u32 v6, v4, 8, 3
	v_ffbh_u32_e32 v12, v6
	v_min_u32_e32 v12, 32, v12
	v_lshrrev_b16_e32 v7, 3, v3
	v_subrev_u32_e32 v13, 28, v12
	v_and_b32_e32 v7, 15, v7
	v_lshlrev_b32_e32 v3, v13, v3
	v_sub_u32_e32 v12, 29, v12
	v_and_b32_e32 v3, 7, v3
	v_cmp_eq_u16_e32 vcc, 0, v7
	v_cndmask_b32_e32 v3, v6, v3, vcc
	v_cndmask_b32_e32 v6, v7, v12, vcc
	v_lshlrev_b32_e32 v7, 16, v4
	v_mov_b32_e32 v12, 0x3b800000
	v_lshlrev_b32_e32 v3, 20, v3
	v_and_b32_e32 v7, 0x80000000, v7
	v_lshl_add_u32 v6, v6, 23, v12
	v_or3_b32 v6, v7, v6, v3
.LBB10_336:
	s_or_b64 exec, exec, s[6:7]
	s_nop 0
	v_mfma_f32_16x16x4f32 a[0:3], v2, v6, a[0:3]
	s_movk_i32 s4, 0xff
	v_and_b32_sdwa v3, v8, s4 dst_sel:DWORD dst_unused:UNUSED_PAD src0_sel:WORD_1 src1_sel:DWORD
	s_movk_i32 s4, 0x7f
	v_cmp_lt_i16_e32 vcc, s4, v3
	s_mov_b64 s[4:5], 0
                                        ; implicit-def: $sgpr10
	s_and_saveexec_b64 s[6:7], vcc
	s_xor_b64 s[6:7], exec, s[6:7]
	s_cbranch_execnz .LBB10_2385
; %bb.337:
	s_or_saveexec_b64 s[6:7], s[6:7]
	v_mov_b32_e32 v2, s10
	s_xor_b64 exec, exec, s[6:7]
	s_cbranch_execnz .LBB10_2388
.LBB10_338:
	s_or_b64 exec, exec, s[6:7]
	s_and_saveexec_b64 s[6:7], s[4:5]
	s_cbranch_execz .LBB10_340
.LBB10_339:
	v_bfe_u32 v2, v8, 16, 3
	v_ffbh_u32_e32 v7, v2
	v_min_u32_e32 v7, 32, v7
	v_lshrrev_b32_e32 v3, 19, v8
	v_subrev_u32_e32 v12, 28, v7
	v_and_b32_e32 v3, 15, v3
	v_lshlrev_b32_sdwa v12, v12, v8 dst_sel:DWORD dst_unused:UNUSED_PAD src0_sel:DWORD src1_sel:WORD_1
	v_bfe_u32 v6, v8, 19, 4
	v_sub_u32_e32 v7, 29, v7
	v_and_b32_e32 v12, 7, v12
	v_cmp_eq_u16_e32 vcc, 0, v3
	v_cndmask_b32_e32 v2, v2, v12, vcc
	v_cndmask_b32_e32 v3, v6, v7, vcc
	v_lshlrev_b32_e32 v6, 8, v8
	v_mov_b32_e32 v7, 0x3b800000
	v_lshlrev_b32_e32 v2, 20, v2
	v_and_b32_e32 v6, 0x80000000, v6
	v_lshl_add_u32 v3, v3, 23, v7
	v_or3_b32 v2, v6, v3, v2
.LBB10_340:
	s_or_b64 exec, exec, s[6:7]
	s_movk_i32 s4, 0xff
	v_and_b32_sdwa v3, v4, s4 dst_sel:DWORD dst_unused:UNUSED_PAD src0_sel:WORD_1 src1_sel:DWORD
	s_movk_i32 s4, 0x7f
	v_cmp_lt_i16_e32 vcc, s4, v3
	s_mov_b64 s[4:5], 0
                                        ; implicit-def: $sgpr10
	s_and_saveexec_b64 s[6:7], vcc
	s_xor_b64 s[6:7], exec, s[6:7]
	s_cbranch_execnz .LBB10_2389
; %bb.341:
	s_or_saveexec_b64 s[6:7], s[6:7]
	v_mov_b32_e32 v6, s10
	s_xor_b64 exec, exec, s[6:7]
	s_cbranch_execnz .LBB10_2392
.LBB10_342:
	s_or_b64 exec, exec, s[6:7]
	s_and_saveexec_b64 s[6:7], s[4:5]
	s_cbranch_execz .LBB10_344
.LBB10_343:
	v_bfe_u32 v3, v4, 16, 3
	v_ffbh_u32_e32 v12, v3
	v_min_u32_e32 v12, 32, v12
	v_lshrrev_b32_e32 v6, 19, v4
	v_subrev_u32_e32 v13, 28, v12
	v_and_b32_e32 v6, 15, v6
	v_lshlrev_b32_sdwa v13, v13, v4 dst_sel:DWORD dst_unused:UNUSED_PAD src0_sel:DWORD src1_sel:WORD_1
	v_bfe_u32 v7, v4, 19, 4
	v_sub_u32_e32 v12, 29, v12
	v_and_b32_e32 v13, 7, v13
	v_cmp_eq_u16_e32 vcc, 0, v6
	v_cndmask_b32_e32 v3, v3, v13, vcc
	v_cndmask_b32_e32 v6, v7, v12, vcc
	v_lshlrev_b32_e32 v7, 8, v4
	v_mov_b32_e32 v12, 0x3b800000
	v_lshlrev_b32_e32 v3, 20, v3
	v_and_b32_e32 v7, 0x80000000, v7
	v_lshl_add_u32 v6, v6, 23, v12
	v_or3_b32 v6, v7, v6, v3
.LBB10_344:
	s_or_b64 exec, exec, s[6:7]
	s_nop 0
	v_mfma_f32_16x16x4f32 a[0:3], v2, v6, a[0:3]
	s_movk_i32 s4, 0x7f
	v_cmp_gt_i16_sdwa s[6:7], v8, s4 src0_sel:BYTE_3 src1_sel:DWORD
	s_mov_b64 s[4:5], 0
                                        ; implicit-def: $sgpr10
	s_and_saveexec_b64 s[8:9], s[6:7]
	s_xor_b64 s[6:7], exec, s[8:9]
	s_cbranch_execnz .LBB10_2393
; %bb.345:
	s_or_saveexec_b64 s[6:7], s[6:7]
	v_mov_b32_e32 v2, s10
	s_xor_b64 exec, exec, s[6:7]
	s_cbranch_execnz .LBB10_2396
.LBB10_346:
	s_or_b64 exec, exec, s[6:7]
	s_and_saveexec_b64 s[6:7], s[4:5]
	s_cbranch_execz .LBB10_348
.LBB10_347:
	v_bfe_u32 v2, v8, 24, 3
	v_ffbh_u32_e32 v12, v2
	v_min_u32_e32 v12, 32, v12
	v_lshrrev_b32_e32 v6, 27, v8
	v_subrev_u32_e32 v13, 28, v12
	v_and_b32_e32 v3, 0x80000000, v8
	v_and_b32_e32 v6, 15, v6
	v_bfe_u32 v7, v8, 27, 4
	v_lshlrev_b32_sdwa v8, v13, v8 dst_sel:DWORD dst_unused:UNUSED_PAD src0_sel:DWORD src1_sel:BYTE_3
	v_sub_u32_e32 v12, 29, v12
	v_and_b32_e32 v8, 7, v8
	v_cmp_eq_u16_e32 vcc, 0, v6
	v_cndmask_b32_e32 v2, v2, v8, vcc
	v_cndmask_b32_e32 v6, v7, v12, vcc
	v_mov_b32_e32 v7, 0x3b800000
	v_lshlrev_b32_e32 v2, 20, v2
	v_lshl_add_u32 v6, v6, 23, v7
	v_or3_b32 v2, v3, v6, v2
.LBB10_348:
	s_or_b64 exec, exec, s[6:7]
	s_movk_i32 s4, 0x7f
	v_cmp_gt_i16_sdwa s[6:7], v4, s4 src0_sel:BYTE_3 src1_sel:DWORD
	s_mov_b64 s[4:5], 0
                                        ; implicit-def: $sgpr10
	s_and_saveexec_b64 s[8:9], s[6:7]
	s_xor_b64 s[6:7], exec, s[8:9]
	s_cbranch_execnz .LBB10_2397
; %bb.349:
	s_or_saveexec_b64 s[6:7], s[6:7]
	v_mov_b32_e32 v3, s10
	s_xor_b64 exec, exec, s[6:7]
	s_cbranch_execnz .LBB10_2400
.LBB10_350:
	s_or_b64 exec, exec, s[6:7]
	s_and_saveexec_b64 s[6:7], s[4:5]
	s_cbranch_execz .LBB10_352
.LBB10_351:
	v_bfe_u32 v3, v4, 24, 3
	v_ffbh_u32_e32 v12, v3
	v_min_u32_e32 v12, 32, v12
	v_lshrrev_b32_e32 v7, 27, v4
	v_subrev_u32_e32 v13, 28, v12
	v_and_b32_e32 v6, 0x80000000, v4
	v_and_b32_e32 v7, 15, v7
	v_bfe_u32 v8, v4, 27, 4
	v_lshlrev_b32_sdwa v4, v13, v4 dst_sel:DWORD dst_unused:UNUSED_PAD src0_sel:DWORD src1_sel:BYTE_3
	v_sub_u32_e32 v12, 29, v12
	v_and_b32_e32 v4, 7, v4
	v_cmp_eq_u16_e32 vcc, 0, v7
	v_cndmask_b32_e32 v3, v3, v4, vcc
	v_cndmask_b32_e32 v4, v8, v12, vcc
	v_mov_b32_e32 v7, 0x3b800000
	v_lshlrev_b32_e32 v3, 20, v3
	v_lshl_add_u32 v4, v4, 23, v7
	v_or3_b32 v3, v6, v4, v3
.LBB10_352:
	s_or_b64 exec, exec, s[6:7]
	s_nop 0
	v_mfma_f32_16x16x4f32 a[0:3], v2, v3, a[0:3]
	s_movk_i32 s4, 0x7f
	v_cmp_gt_i16_sdwa s[6:7], v9, s4 src0_sel:BYTE_0 src1_sel:DWORD
	s_mov_b64 s[4:5], 0
                                        ; implicit-def: $sgpr10
	s_and_saveexec_b64 s[8:9], s[6:7]
	s_xor_b64 s[6:7], exec, s[8:9]
	s_cbranch_execnz .LBB10_2401
; %bb.353:
	s_or_saveexec_b64 s[6:7], s[6:7]
	v_mov_b32_e32 v2, s10
	s_xor_b64 exec, exec, s[6:7]
	s_cbranch_execnz .LBB10_2404
.LBB10_354:
	s_or_b64 exec, exec, s[6:7]
	s_and_saveexec_b64 s[6:7], s[4:5]
	s_cbranch_execz .LBB10_356
.LBB10_355:
	v_mov_b32_e32 v2, 8
	v_and_b32_e32 v3, 7, v9
	v_lshrrev_b32_sdwa v2, v2, v9 dst_sel:BYTE_1 dst_unused:UNUSED_PAD src0_sel:DWORD src1_sel:DWORD
	v_ffbh_u32_e32 v4, v3
	v_or_b32_sdwa v2, v9, v2 dst_sel:DWORD dst_unused:UNUSED_PAD src0_sel:BYTE_0 src1_sel:DWORD
	v_min_u32_e32 v4, 32, v4
	v_lshrrev_b16_e32 v2, 3, v2
	v_subrev_u32_e32 v6, 28, v4
	v_and_b32_e32 v2, 15, v2
	v_lshlrev_b32_e32 v6, v6, v9
	v_sub_u32_e32 v4, 29, v4
	v_and_b32_e32 v6, 7, v6
	v_cmp_eq_u16_e32 vcc, 0, v2
	v_cndmask_b32_e32 v3, v3, v6, vcc
	v_cndmask_b32_e32 v2, v2, v4, vcc
	v_lshlrev_b32_e32 v4, 24, v9
	v_mov_b32_e32 v6, 0x3b800000
	v_lshlrev_b32_e32 v3, 20, v3
	v_and_b32_e32 v4, 0x80000000, v4
	v_lshl_add_u32 v2, v2, 23, v6
	v_or3_b32 v2, v4, v2, v3
.LBB10_356:
	s_or_b64 exec, exec, s[6:7]
	s_movk_i32 s4, 0x7f
	v_cmp_gt_i16_sdwa s[6:7], v5, s4 src0_sel:BYTE_0 src1_sel:DWORD
	s_mov_b64 s[4:5], 0
                                        ; implicit-def: $sgpr10
	s_and_saveexec_b64 s[8:9], s[6:7]
	s_xor_b64 s[6:7], exec, s[8:9]
	s_cbranch_execnz .LBB10_2405
; %bb.357:
	s_or_saveexec_b64 s[6:7], s[6:7]
	v_mov_b32_e32 v3, s10
	s_xor_b64 exec, exec, s[6:7]
	s_cbranch_execnz .LBB10_2408
.LBB10_358:
	s_or_b64 exec, exec, s[6:7]
	s_and_saveexec_b64 s[6:7], s[4:5]
	s_cbranch_execz .LBB10_360
.LBB10_359:
	v_mov_b32_e32 v3, 8
	v_and_b32_e32 v4, 7, v5
	v_lshrrev_b32_sdwa v3, v3, v5 dst_sel:BYTE_1 dst_unused:UNUSED_PAD src0_sel:DWORD src1_sel:DWORD
	v_ffbh_u32_e32 v6, v4
	v_or_b32_sdwa v3, v5, v3 dst_sel:DWORD dst_unused:UNUSED_PAD src0_sel:BYTE_0 src1_sel:DWORD
	v_min_u32_e32 v6, 32, v6
	v_lshrrev_b16_e32 v3, 3, v3
	v_subrev_u32_e32 v7, 28, v6
	v_and_b32_e32 v3, 15, v3
	v_lshlrev_b32_e32 v7, v7, v5
	v_sub_u32_e32 v6, 29, v6
	v_and_b32_e32 v7, 7, v7
	v_cmp_eq_u16_e32 vcc, 0, v3
	v_cndmask_b32_e32 v4, v4, v7, vcc
	v_cndmask_b32_e32 v3, v3, v6, vcc
	v_lshlrev_b32_e32 v6, 24, v5
	v_mov_b32_e32 v7, 0x3b800000
	v_lshlrev_b32_e32 v4, 20, v4
	v_and_b32_e32 v6, 0x80000000, v6
	v_lshl_add_u32 v3, v3, 23, v7
	v_or3_b32 v3, v6, v3, v4
.LBB10_360:
	s_or_b64 exec, exec, s[6:7]
	s_nop 0
	v_mfma_f32_16x16x4f32 a[0:3], v2, v3, a[0:3]
	v_lshrrev_b32_e32 v3, 8, v9
	s_movk_i32 s4, 0x7f
	v_cmp_gt_i16_sdwa s[6:7], v3, s4 src0_sel:BYTE_0 src1_sel:DWORD
	s_mov_b64 s[4:5], 0
                                        ; implicit-def: $sgpr10
	s_and_saveexec_b64 s[8:9], s[6:7]
	s_xor_b64 s[6:7], exec, s[8:9]
	s_cbranch_execnz .LBB10_2409
; %bb.361:
	s_or_saveexec_b64 s[6:7], s[6:7]
	v_mov_b32_e32 v2, s10
	s_xor_b64 exec, exec, s[6:7]
	s_cbranch_execnz .LBB10_2412
.LBB10_362:
	s_or_b64 exec, exec, s[6:7]
	s_and_saveexec_b64 s[6:7], s[4:5]
	s_cbranch_execz .LBB10_364
.LBB10_363:
	v_bfe_u32 v2, v9, 8, 3
	v_ffbh_u32_e32 v6, v2
	v_min_u32_e32 v6, 32, v6
	v_lshrrev_b16_e32 v4, 3, v3
	v_subrev_u32_e32 v7, 28, v6
	v_and_b32_e32 v4, 15, v4
	v_lshlrev_b32_e32 v3, v7, v3
	v_sub_u32_e32 v6, 29, v6
	v_and_b32_e32 v3, 7, v3
	v_cmp_eq_u16_e32 vcc, 0, v4
	v_cndmask_b32_e32 v2, v2, v3, vcc
	v_cndmask_b32_e32 v3, v4, v6, vcc
	v_lshlrev_b32_e32 v4, 16, v9
	v_mov_b32_e32 v6, 0x3b800000
	v_lshlrev_b32_e32 v2, 20, v2
	v_and_b32_e32 v4, 0x80000000, v4
	v_lshl_add_u32 v3, v3, 23, v6
	v_or3_b32 v2, v4, v3, v2
.LBB10_364:
	s_or_b64 exec, exec, s[6:7]
	v_lshrrev_b32_e32 v3, 8, v5
	s_movk_i32 s4, 0x7f
	v_cmp_gt_i16_sdwa s[6:7], v3, s4 src0_sel:BYTE_0 src1_sel:DWORD
	s_mov_b64 s[4:5], 0
                                        ; implicit-def: $sgpr10
	s_and_saveexec_b64 s[8:9], s[6:7]
	s_xor_b64 s[6:7], exec, s[8:9]
	s_cbranch_execnz .LBB10_2413
; %bb.365:
	s_or_saveexec_b64 s[6:7], s[6:7]
	v_mov_b32_e32 v4, s10
	s_xor_b64 exec, exec, s[6:7]
	s_cbranch_execnz .LBB10_2416
.LBB10_366:
	s_or_b64 exec, exec, s[6:7]
	s_and_saveexec_b64 s[6:7], s[4:5]
	s_cbranch_execz .LBB10_368
.LBB10_367:
	v_bfe_u32 v4, v5, 8, 3
	v_ffbh_u32_e32 v7, v4
	v_min_u32_e32 v7, 32, v7
	v_lshrrev_b16_e32 v6, 3, v3
	v_subrev_u32_e32 v8, 28, v7
	v_and_b32_e32 v6, 15, v6
	v_lshlrev_b32_e32 v3, v8, v3
	v_sub_u32_e32 v7, 29, v7
	v_and_b32_e32 v3, 7, v3
	v_cmp_eq_u16_e32 vcc, 0, v6
	v_cndmask_b32_e32 v3, v4, v3, vcc
	v_cndmask_b32_e32 v4, v6, v7, vcc
	v_lshlrev_b32_e32 v6, 16, v5
	v_mov_b32_e32 v7, 0x3b800000
	v_lshlrev_b32_e32 v3, 20, v3
	v_and_b32_e32 v6, 0x80000000, v6
	v_lshl_add_u32 v4, v4, 23, v7
	v_or3_b32 v4, v6, v4, v3
.LBB10_368:
	s_or_b64 exec, exec, s[6:7]
	s_nop 0
	v_mfma_f32_16x16x4f32 a[0:3], v2, v4, a[0:3]
	s_movk_i32 s4, 0xff
	v_and_b32_sdwa v3, v9, s4 dst_sel:DWORD dst_unused:UNUSED_PAD src0_sel:WORD_1 src1_sel:DWORD
	s_movk_i32 s4, 0x7f
	v_cmp_lt_i16_e32 vcc, s4, v3
	s_mov_b64 s[4:5], 0
                                        ; implicit-def: $sgpr10
	s_and_saveexec_b64 s[6:7], vcc
	s_xor_b64 s[6:7], exec, s[6:7]
	s_cbranch_execnz .LBB10_2417
; %bb.369:
	s_or_saveexec_b64 s[6:7], s[6:7]
	v_mov_b32_e32 v2, s10
	s_xor_b64 exec, exec, s[6:7]
	s_cbranch_execnz .LBB10_2420
.LBB10_370:
	s_or_b64 exec, exec, s[6:7]
	s_and_saveexec_b64 s[6:7], s[4:5]
	s_cbranch_execz .LBB10_372
.LBB10_371:
	v_bfe_u32 v2, v9, 16, 3
	v_ffbh_u32_e32 v6, v2
	v_min_u32_e32 v6, 32, v6
	v_lshrrev_b32_e32 v3, 19, v9
	v_subrev_u32_e32 v7, 28, v6
	v_and_b32_e32 v3, 15, v3
	v_lshlrev_b32_sdwa v7, v7, v9 dst_sel:DWORD dst_unused:UNUSED_PAD src0_sel:DWORD src1_sel:WORD_1
	v_bfe_u32 v4, v9, 19, 4
	v_sub_u32_e32 v6, 29, v6
	v_and_b32_e32 v7, 7, v7
	v_cmp_eq_u16_e32 vcc, 0, v3
	v_cndmask_b32_e32 v2, v2, v7, vcc
	v_cndmask_b32_e32 v3, v4, v6, vcc
	v_lshlrev_b32_e32 v4, 8, v9
	v_mov_b32_e32 v6, 0x3b800000
	v_lshlrev_b32_e32 v2, 20, v2
	v_and_b32_e32 v4, 0x80000000, v4
	v_lshl_add_u32 v3, v3, 23, v6
	v_or3_b32 v2, v4, v3, v2
.LBB10_372:
	s_or_b64 exec, exec, s[6:7]
	s_movk_i32 s4, 0xff
	v_and_b32_sdwa v3, v5, s4 dst_sel:DWORD dst_unused:UNUSED_PAD src0_sel:WORD_1 src1_sel:DWORD
	s_movk_i32 s4, 0x7f
	v_cmp_lt_i16_e32 vcc, s4, v3
	s_mov_b64 s[4:5], 0
                                        ; implicit-def: $sgpr10
	s_and_saveexec_b64 s[6:7], vcc
	s_xor_b64 s[6:7], exec, s[6:7]
	s_cbranch_execnz .LBB10_2421
; %bb.373:
	s_or_saveexec_b64 s[6:7], s[6:7]
	v_mov_b32_e32 v4, s10
	s_xor_b64 exec, exec, s[6:7]
	s_cbranch_execnz .LBB10_2424
.LBB10_374:
	s_or_b64 exec, exec, s[6:7]
	s_and_saveexec_b64 s[6:7], s[4:5]
	s_cbranch_execz .LBB10_376
.LBB10_375:
	v_bfe_u32 v3, v5, 16, 3
	v_ffbh_u32_e32 v7, v3
	v_min_u32_e32 v7, 32, v7
	v_lshrrev_b32_e32 v4, 19, v5
	v_subrev_u32_e32 v8, 28, v7
	v_and_b32_e32 v4, 15, v4
	v_lshlrev_b32_sdwa v8, v8, v5 dst_sel:DWORD dst_unused:UNUSED_PAD src0_sel:DWORD src1_sel:WORD_1
	v_bfe_u32 v6, v5, 19, 4
	v_sub_u32_e32 v7, 29, v7
	v_and_b32_e32 v8, 7, v8
	v_cmp_eq_u16_e32 vcc, 0, v4
	v_cndmask_b32_e32 v3, v3, v8, vcc
	v_cndmask_b32_e32 v4, v6, v7, vcc
	v_lshlrev_b32_e32 v6, 8, v5
	v_mov_b32_e32 v7, 0x3b800000
	v_lshlrev_b32_e32 v3, 20, v3
	v_and_b32_e32 v6, 0x80000000, v6
	v_lshl_add_u32 v4, v4, 23, v7
	v_or3_b32 v4, v6, v4, v3
.LBB10_376:
	s_or_b64 exec, exec, s[6:7]
	s_nop 0
	v_mfma_f32_16x16x4f32 a[0:3], v2, v4, a[0:3]
	s_movk_i32 s4, 0x7f
	v_cmp_gt_i16_sdwa s[6:7], v9, s4 src0_sel:BYTE_3 src1_sel:DWORD
	s_mov_b64 s[4:5], 0
                                        ; implicit-def: $sgpr10
	s_and_saveexec_b64 s[8:9], s[6:7]
	s_xor_b64 s[6:7], exec, s[8:9]
	s_cbranch_execnz .LBB10_2425
; %bb.377:
	s_or_saveexec_b64 s[6:7], s[6:7]
	v_mov_b32_e32 v2, s10
	s_xor_b64 exec, exec, s[6:7]
	s_cbranch_execnz .LBB10_2428
.LBB10_378:
	s_or_b64 exec, exec, s[6:7]
	s_and_saveexec_b64 s[6:7], s[4:5]
	s_cbranch_execz .LBB10_380
.LBB10_379:
	v_bfe_u32 v2, v9, 24, 3
	v_ffbh_u32_e32 v7, v2
	v_min_u32_e32 v7, 32, v7
	v_lshrrev_b32_e32 v4, 27, v9
	v_subrev_u32_e32 v8, 28, v7
	v_and_b32_e32 v4, 15, v4
	v_lshlrev_b32_sdwa v8, v8, v9 dst_sel:DWORD dst_unused:UNUSED_PAD src0_sel:DWORD src1_sel:BYTE_3
	v_bfe_u32 v6, v9, 27, 4
	v_sub_u32_e32 v7, 29, v7
	v_and_b32_e32 v8, 7, v8
	v_cmp_eq_u16_e32 vcc, 0, v4
	v_cndmask_b32_e32 v2, v2, v8, vcc
	v_cndmask_b32_e32 v4, v6, v7, vcc
	v_mov_b32_e32 v6, 0x3b800000
	v_and_b32_e32 v3, 0x80000000, v9
	v_lshlrev_b32_e32 v2, 20, v2
	v_lshl_add_u32 v4, v4, 23, v6
	v_or3_b32 v2, v3, v4, v2
.LBB10_380:
	s_or_b64 exec, exec, s[6:7]
	s_movk_i32 s4, 0x7f
	v_cmp_gt_i16_sdwa s[6:7], v5, s4 src0_sel:BYTE_3 src1_sel:DWORD
	s_mov_b64 s[4:5], 0
                                        ; implicit-def: $sgpr10
	s_and_saveexec_b64 s[8:9], s[6:7]
	s_xor_b64 s[6:7], exec, s[8:9]
	s_cbranch_execnz .LBB10_2429
; %bb.381:
	s_or_saveexec_b64 s[6:7], s[6:7]
	v_mov_b32_e32 v3, s10
	s_xor_b64 exec, exec, s[6:7]
	s_cbranch_execnz .LBB10_2432
.LBB10_382:
	s_or_b64 exec, exec, s[6:7]
	s_and_saveexec_b64 s[6:7], s[4:5]
	s_cbranch_execz .LBB10_384
.LBB10_383:
	v_bfe_u32 v3, v5, 24, 3
	v_ffbh_u32_e32 v8, v3
	v_min_u32_e32 v8, 32, v8
	v_lshrrev_b32_e32 v6, 27, v5
	v_subrev_u32_e32 v9, 28, v8
	v_and_b32_e32 v4, 0x80000000, v5
	v_and_b32_e32 v6, 15, v6
	v_bfe_u32 v7, v5, 27, 4
	v_lshlrev_b32_sdwa v5, v9, v5 dst_sel:DWORD dst_unused:UNUSED_PAD src0_sel:DWORD src1_sel:BYTE_3
	v_sub_u32_e32 v8, 29, v8
	v_and_b32_e32 v5, 7, v5
	v_cmp_eq_u16_e32 vcc, 0, v6
	v_cndmask_b32_e32 v3, v3, v5, vcc
	v_cndmask_b32_e32 v5, v7, v8, vcc
	v_mov_b32_e32 v6, 0x3b800000
	v_lshlrev_b32_e32 v3, 20, v3
	v_lshl_add_u32 v5, v5, 23, v6
	v_or3_b32 v3, v4, v5, v3
.LBB10_384:
	s_or_b64 exec, exec, s[6:7]
	s_nop 0
	v_mfma_f32_16x16x4f32 a[0:3], v2, v3, a[0:3]
	s_movk_i32 s4, 0x7f
                                        ; implicit-def: $sgpr10
	s_nop 7
	s_nop 1
	flat_store_dwordx4 v[10:11], a[0:3] offset:32
	flat_load_dwordx4 v[12:15], v[0:1] offset:8
	s_nop 0
	flat_load_dwordx2 v[10:11], v[0:1] offset:32
	s_waitcnt vmcnt(0) lgkmcnt(0)
	flat_load_dwordx4 v[6:9], v[12:13]
	flat_load_dwordx4 v[2:5], v[14:15] offset:96
	s_waitcnt vmcnt(0) lgkmcnt(0)
	v_cmp_gt_i16_sdwa s[6:7], v6, s4 src0_sel:BYTE_0 src1_sel:DWORD
	s_mov_b64 s[4:5], 0
	s_and_saveexec_b64 s[8:9], s[6:7]
	s_xor_b64 s[6:7], exec, s[8:9]
	s_cbranch_execnz .LBB10_2433
; %bb.385:
	s_or_saveexec_b64 s[6:7], s[6:7]
	v_mov_b32_e32 v12, s10
	s_xor_b64 exec, exec, s[6:7]
	s_cbranch_execnz .LBB10_2436
.LBB10_386:
	s_or_b64 exec, exec, s[6:7]
	s_and_saveexec_b64 s[6:7], s[4:5]
	s_cbranch_execz .LBB10_388
.LBB10_387:
	v_and_b32_e32 v12, 7, v6
	v_ffbh_u32_e32 v14, v12
	v_min_u32_e32 v14, 32, v14
	v_lshrrev_b16_e32 v13, 3, v6
	v_subrev_u32_e32 v15, 28, v14
	v_and_b32_e32 v13, 15, v13
	v_lshlrev_b32_e32 v15, v15, v6
	v_sub_u32_e32 v14, 29, v14
	v_and_b32_e32 v15, 7, v15
	v_cmp_eq_u16_e32 vcc, 0, v13
	v_cndmask_b32_e32 v12, v12, v15, vcc
	v_cndmask_b32_e32 v13, v13, v14, vcc
	v_lshlrev_b32_e32 v14, 24, v6
	v_mov_b32_e32 v15, 0x3b800000
	v_lshlrev_b32_e32 v12, 20, v12
	v_and_b32_e32 v14, 0x80000000, v14
	v_lshl_add_u32 v13, v13, 23, v15
	v_or3_b32 v12, v14, v13, v12
.LBB10_388:
	s_or_b64 exec, exec, s[6:7]
	s_movk_i32 s4, 0x7f
	v_cmp_gt_i16_sdwa s[6:7], v2, s4 src0_sel:BYTE_0 src1_sel:DWORD
	s_mov_b64 s[4:5], 0
                                        ; implicit-def: $sgpr10
	s_and_saveexec_b64 s[8:9], s[6:7]
	s_xor_b64 s[6:7], exec, s[8:9]
	s_cbranch_execnz .LBB10_2437
; %bb.389:
	s_or_saveexec_b64 s[6:7], s[6:7]
	v_mov_b32_e32 v13, s10
	s_xor_b64 exec, exec, s[6:7]
	s_cbranch_execnz .LBB10_2440
.LBB10_390:
	s_or_b64 exec, exec, s[6:7]
	s_and_saveexec_b64 s[6:7], s[4:5]
	s_cbranch_execz .LBB10_392
.LBB10_391:
	v_and_b32_e32 v13, 7, v2
	v_ffbh_u32_e32 v15, v13
	v_min_u32_e32 v15, 32, v15
	v_lshrrev_b16_e32 v14, 3, v2
	v_subrev_u32_e32 v16, 28, v15
	v_and_b32_e32 v14, 15, v14
	v_lshlrev_b32_e32 v16, v16, v2
	v_sub_u32_e32 v15, 29, v15
	v_and_b32_e32 v16, 7, v16
	v_cmp_eq_u16_e32 vcc, 0, v14
	v_cndmask_b32_e32 v13, v13, v16, vcc
	v_cndmask_b32_e32 v14, v14, v15, vcc
	v_lshlrev_b32_e32 v15, 24, v2
	v_mov_b32_e32 v16, 0x3b800000
	v_lshlrev_b32_e32 v13, 20, v13
	v_and_b32_e32 v15, 0x80000000, v15
	v_lshl_add_u32 v14, v14, 23, v16
	v_or3_b32 v13, v15, v14, v13
.LBB10_392:
	s_or_b64 exec, exec, s[6:7]
	flat_load_dwordx4 a[0:3], v[10:11] offset:48
	s_movk_i32 s4, 0x7f
                                        ; implicit-def: $sgpr10
	s_waitcnt vmcnt(0) lgkmcnt(0)
	v_mfma_f32_16x16x4f32 a[0:3], v12, v13, a[0:3]
	v_lshrrev_b32_e32 v13, 8, v6
	v_cmp_gt_i16_sdwa s[6:7], v13, s4 src0_sel:BYTE_0 src1_sel:DWORD
	s_mov_b64 s[4:5], 0
	s_and_saveexec_b64 s[8:9], s[6:7]
	s_xor_b64 s[6:7], exec, s[8:9]
	s_cbranch_execnz .LBB10_2441
; %bb.393:
	s_or_saveexec_b64 s[6:7], s[6:7]
	v_mov_b32_e32 v12, s10
	s_xor_b64 exec, exec, s[6:7]
	s_cbranch_execnz .LBB10_2444
.LBB10_394:
	s_or_b64 exec, exec, s[6:7]
	s_and_saveexec_b64 s[6:7], s[4:5]
	s_cbranch_execz .LBB10_396
.LBB10_395:
	v_bfe_u32 v12, v6, 8, 3
	v_ffbh_u32_e32 v15, v12
	v_min_u32_e32 v15, 32, v15
	v_lshrrev_b16_e32 v14, 3, v13
	v_subrev_u32_e32 v16, 28, v15
	v_and_b32_e32 v14, 15, v14
	v_lshlrev_b32_e32 v13, v16, v13
	v_sub_u32_e32 v15, 29, v15
	v_and_b32_e32 v13, 7, v13
	v_cmp_eq_u16_e32 vcc, 0, v14
	v_cndmask_b32_e32 v12, v12, v13, vcc
	v_cndmask_b32_e32 v13, v14, v15, vcc
	v_lshlrev_b32_e32 v14, 16, v6
	v_mov_b32_e32 v15, 0x3b800000
	v_lshlrev_b32_e32 v12, 20, v12
	v_and_b32_e32 v14, 0x80000000, v14
	v_lshl_add_u32 v13, v13, 23, v15
	v_or3_b32 v12, v14, v13, v12
.LBB10_396:
	s_or_b64 exec, exec, s[6:7]
	v_lshrrev_b32_e32 v13, 8, v2
	s_movk_i32 s4, 0x7f
	v_cmp_gt_i16_sdwa s[6:7], v13, s4 src0_sel:BYTE_0 src1_sel:DWORD
	s_mov_b64 s[4:5], 0
                                        ; implicit-def: $sgpr10
	s_and_saveexec_b64 s[8:9], s[6:7]
	s_xor_b64 s[6:7], exec, s[8:9]
	s_cbranch_execnz .LBB10_2445
; %bb.397:
	s_or_saveexec_b64 s[6:7], s[6:7]
	v_mov_b32_e32 v14, s10
	s_xor_b64 exec, exec, s[6:7]
	s_cbranch_execnz .LBB10_2448
.LBB10_398:
	s_or_b64 exec, exec, s[6:7]
	s_and_saveexec_b64 s[6:7], s[4:5]
	s_cbranch_execz .LBB10_400
.LBB10_399:
	v_bfe_u32 v14, v2, 8, 3
	v_ffbh_u32_e32 v16, v14
	v_min_u32_e32 v16, 32, v16
	v_lshrrev_b16_e32 v15, 3, v13
	v_subrev_u32_e32 v17, 28, v16
	v_and_b32_e32 v15, 15, v15
	v_lshlrev_b32_e32 v13, v17, v13
	v_sub_u32_e32 v16, 29, v16
	v_and_b32_e32 v13, 7, v13
	v_cmp_eq_u16_e32 vcc, 0, v15
	v_cndmask_b32_e32 v13, v14, v13, vcc
	v_cndmask_b32_e32 v14, v15, v16, vcc
	v_lshlrev_b32_e32 v15, 16, v2
	v_mov_b32_e32 v16, 0x3b800000
	v_lshlrev_b32_e32 v13, 20, v13
	v_and_b32_e32 v15, 0x80000000, v15
	v_lshl_add_u32 v14, v14, 23, v16
	v_or3_b32 v14, v15, v14, v13
.LBB10_400:
	s_or_b64 exec, exec, s[6:7]
	s_nop 0
	v_mfma_f32_16x16x4f32 a[0:3], v12, v14, a[0:3]
	s_movk_i32 s4, 0xff
	v_and_b32_sdwa v13, v6, s4 dst_sel:DWORD dst_unused:UNUSED_PAD src0_sel:WORD_1 src1_sel:DWORD
	s_movk_i32 s4, 0x7f
	v_cmp_lt_i16_e32 vcc, s4, v13
	s_mov_b64 s[4:5], 0
                                        ; implicit-def: $sgpr10
	s_and_saveexec_b64 s[6:7], vcc
	s_xor_b64 s[6:7], exec, s[6:7]
	s_cbranch_execnz .LBB10_2449
; %bb.401:
	s_or_saveexec_b64 s[6:7], s[6:7]
	v_mov_b32_e32 v12, s10
	s_xor_b64 exec, exec, s[6:7]
	s_cbranch_execnz .LBB10_2452
.LBB10_402:
	s_or_b64 exec, exec, s[6:7]
	s_and_saveexec_b64 s[6:7], s[4:5]
	s_cbranch_execz .LBB10_404
.LBB10_403:
	v_bfe_u32 v12, v6, 16, 3
	v_ffbh_u32_e32 v15, v12
	v_min_u32_e32 v15, 32, v15
	v_lshrrev_b32_e32 v13, 19, v6
	v_subrev_u32_e32 v16, 28, v15
	v_and_b32_e32 v13, 15, v13
	v_lshlrev_b32_sdwa v16, v16, v6 dst_sel:DWORD dst_unused:UNUSED_PAD src0_sel:DWORD src1_sel:WORD_1
	v_bfe_u32 v14, v6, 19, 4
	v_sub_u32_e32 v15, 29, v15
	v_and_b32_e32 v16, 7, v16
	v_cmp_eq_u16_e32 vcc, 0, v13
	v_cndmask_b32_e32 v12, v12, v16, vcc
	v_cndmask_b32_e32 v13, v14, v15, vcc
	v_lshlrev_b32_e32 v14, 8, v6
	v_mov_b32_e32 v15, 0x3b800000
	v_lshlrev_b32_e32 v12, 20, v12
	v_and_b32_e32 v14, 0x80000000, v14
	v_lshl_add_u32 v13, v13, 23, v15
	v_or3_b32 v12, v14, v13, v12
.LBB10_404:
	s_or_b64 exec, exec, s[6:7]
	s_movk_i32 s4, 0xff
	v_and_b32_sdwa v13, v2, s4 dst_sel:DWORD dst_unused:UNUSED_PAD src0_sel:WORD_1 src1_sel:DWORD
	s_movk_i32 s4, 0x7f
	v_cmp_lt_i16_e32 vcc, s4, v13
	s_mov_b64 s[4:5], 0
                                        ; implicit-def: $sgpr10
	s_and_saveexec_b64 s[6:7], vcc
	s_xor_b64 s[6:7], exec, s[6:7]
	s_cbranch_execnz .LBB10_2453
; %bb.405:
	s_or_saveexec_b64 s[6:7], s[6:7]
	v_mov_b32_e32 v14, s10
	s_xor_b64 exec, exec, s[6:7]
	s_cbranch_execnz .LBB10_2456
.LBB10_406:
	s_or_b64 exec, exec, s[6:7]
	s_and_saveexec_b64 s[6:7], s[4:5]
	s_cbranch_execz .LBB10_408
.LBB10_407:
	v_bfe_u32 v13, v2, 16, 3
	v_ffbh_u32_e32 v16, v13
	v_min_u32_e32 v16, 32, v16
	v_lshrrev_b32_e32 v14, 19, v2
	v_subrev_u32_e32 v17, 28, v16
	v_and_b32_e32 v14, 15, v14
	v_lshlrev_b32_sdwa v17, v17, v2 dst_sel:DWORD dst_unused:UNUSED_PAD src0_sel:DWORD src1_sel:WORD_1
	v_bfe_u32 v15, v2, 19, 4
	v_sub_u32_e32 v16, 29, v16
	v_and_b32_e32 v17, 7, v17
	v_cmp_eq_u16_e32 vcc, 0, v14
	v_cndmask_b32_e32 v13, v13, v17, vcc
	v_cndmask_b32_e32 v14, v15, v16, vcc
	v_lshlrev_b32_e32 v15, 8, v2
	v_mov_b32_e32 v16, 0x3b800000
	v_lshlrev_b32_e32 v13, 20, v13
	v_and_b32_e32 v15, 0x80000000, v15
	v_lshl_add_u32 v14, v14, 23, v16
	v_or3_b32 v14, v15, v14, v13
.LBB10_408:
	s_or_b64 exec, exec, s[6:7]
	s_nop 0
	v_mfma_f32_16x16x4f32 a[0:3], v12, v14, a[0:3]
	s_movk_i32 s4, 0x7f
	v_cmp_gt_i16_sdwa s[6:7], v6, s4 src0_sel:BYTE_3 src1_sel:DWORD
	s_mov_b64 s[4:5], 0
                                        ; implicit-def: $sgpr10
	s_and_saveexec_b64 s[8:9], s[6:7]
	s_xor_b64 s[6:7], exec, s[8:9]
	s_cbranch_execnz .LBB10_2457
; %bb.409:
	s_or_saveexec_b64 s[6:7], s[6:7]
	v_mov_b32_e32 v12, s10
	s_xor_b64 exec, exec, s[6:7]
	s_cbranch_execnz .LBB10_2460
.LBB10_410:
	s_or_b64 exec, exec, s[6:7]
	s_and_saveexec_b64 s[6:7], s[4:5]
	s_cbranch_execz .LBB10_412
.LBB10_411:
	v_bfe_u32 v12, v6, 24, 3
	v_ffbh_u32_e32 v16, v12
	v_min_u32_e32 v16, 32, v16
	v_lshrrev_b32_e32 v14, 27, v6
	v_subrev_u32_e32 v17, 28, v16
	v_and_b32_e32 v13, 0x80000000, v6
	v_and_b32_e32 v14, 15, v14
	v_bfe_u32 v15, v6, 27, 4
	v_lshlrev_b32_sdwa v6, v17, v6 dst_sel:DWORD dst_unused:UNUSED_PAD src0_sel:DWORD src1_sel:BYTE_3
	v_sub_u32_e32 v16, 29, v16
	v_and_b32_e32 v6, 7, v6
	v_cmp_eq_u16_e32 vcc, 0, v14
	v_cndmask_b32_e32 v6, v12, v6, vcc
	v_cndmask_b32_e32 v12, v15, v16, vcc
	v_mov_b32_e32 v14, 0x3b800000
	v_lshlrev_b32_e32 v6, 20, v6
	v_lshl_add_u32 v12, v12, 23, v14
	v_or3_b32 v12, v13, v12, v6
.LBB10_412:
	s_or_b64 exec, exec, s[6:7]
	s_movk_i32 s4, 0x7f
	v_cmp_gt_i16_sdwa s[6:7], v2, s4 src0_sel:BYTE_3 src1_sel:DWORD
	s_mov_b64 s[4:5], 0
                                        ; implicit-def: $sgpr10
	s_and_saveexec_b64 s[8:9], s[6:7]
	s_xor_b64 s[6:7], exec, s[8:9]
	s_cbranch_execnz .LBB10_2461
; %bb.413:
	s_or_saveexec_b64 s[6:7], s[6:7]
	v_mov_b32_e32 v6, s10
	s_xor_b64 exec, exec, s[6:7]
	s_cbranch_execnz .LBB10_2464
.LBB10_414:
	s_or_b64 exec, exec, s[6:7]
	s_and_saveexec_b64 s[6:7], s[4:5]
	s_cbranch_execz .LBB10_416
.LBB10_415:
	v_bfe_u32 v6, v2, 24, 3
	v_ffbh_u32_e32 v16, v6
	v_min_u32_e32 v16, 32, v16
	v_lshrrev_b32_e32 v14, 27, v2
	v_subrev_u32_e32 v17, 28, v16
	v_and_b32_e32 v13, 0x80000000, v2
	v_and_b32_e32 v14, 15, v14
	v_bfe_u32 v15, v2, 27, 4
	v_lshlrev_b32_sdwa v2, v17, v2 dst_sel:DWORD dst_unused:UNUSED_PAD src0_sel:DWORD src1_sel:BYTE_3
	v_sub_u32_e32 v16, 29, v16
	v_and_b32_e32 v2, 7, v2
	v_cmp_eq_u16_e32 vcc, 0, v14
	v_cndmask_b32_e32 v2, v6, v2, vcc
	v_cndmask_b32_e32 v6, v15, v16, vcc
	v_mov_b32_e32 v14, 0x3b800000
	v_lshlrev_b32_e32 v2, 20, v2
	v_lshl_add_u32 v6, v6, 23, v14
	v_or3_b32 v6, v13, v6, v2
.LBB10_416:
	s_or_b64 exec, exec, s[6:7]
	s_nop 0
	v_mfma_f32_16x16x4f32 a[0:3], v12, v6, a[0:3]
	s_movk_i32 s4, 0x7f
	v_cmp_gt_i16_sdwa s[6:7], v7, s4 src0_sel:BYTE_0 src1_sel:DWORD
	s_mov_b64 s[4:5], 0
                                        ; implicit-def: $sgpr10
	s_and_saveexec_b64 s[8:9], s[6:7]
	s_xor_b64 s[6:7], exec, s[8:9]
	s_cbranch_execnz .LBB10_2465
; %bb.417:
	s_or_saveexec_b64 s[6:7], s[6:7]
	v_mov_b32_e32 v2, s10
	s_xor_b64 exec, exec, s[6:7]
	s_cbranch_execnz .LBB10_2468
.LBB10_418:
	s_or_b64 exec, exec, s[6:7]
	s_and_saveexec_b64 s[6:7], s[4:5]
	s_cbranch_execz .LBB10_420
.LBB10_419:
	v_and_b32_e32 v2, 7, v7
	v_ffbh_u32_e32 v12, v2
	v_min_u32_e32 v12, 32, v12
	v_lshrrev_b16_e32 v6, 3, v7
	v_subrev_u32_e32 v13, 28, v12
	v_and_b32_e32 v6, 15, v6
	v_lshlrev_b32_e32 v13, v13, v7
	v_sub_u32_e32 v12, 29, v12
	v_and_b32_e32 v13, 7, v13
	v_cmp_eq_u16_e32 vcc, 0, v6
	v_cndmask_b32_e32 v2, v2, v13, vcc
	v_cndmask_b32_e32 v6, v6, v12, vcc
	v_lshlrev_b32_e32 v12, 24, v7
	v_mov_b32_e32 v13, 0x3b800000
	v_lshlrev_b32_e32 v2, 20, v2
	v_and_b32_e32 v12, 0x80000000, v12
	v_lshl_add_u32 v6, v6, 23, v13
	v_or3_b32 v2, v12, v6, v2
.LBB10_420:
	s_or_b64 exec, exec, s[6:7]
	s_movk_i32 s4, 0x7f
	v_cmp_gt_i16_sdwa s[6:7], v3, s4 src0_sel:BYTE_0 src1_sel:DWORD
	s_mov_b64 s[4:5], 0
                                        ; implicit-def: $sgpr10
	s_and_saveexec_b64 s[8:9], s[6:7]
	s_xor_b64 s[6:7], exec, s[8:9]
	s_cbranch_execnz .LBB10_2469
; %bb.421:
	s_or_saveexec_b64 s[6:7], s[6:7]
	v_mov_b32_e32 v6, s10
	s_xor_b64 exec, exec, s[6:7]
	s_cbranch_execnz .LBB10_2472
.LBB10_422:
	s_or_b64 exec, exec, s[6:7]
	s_and_saveexec_b64 s[6:7], s[4:5]
	s_cbranch_execz .LBB10_424
.LBB10_423:
	v_and_b32_e32 v6, 7, v3
	v_ffbh_u32_e32 v13, v6
	v_min_u32_e32 v13, 32, v13
	v_lshrrev_b16_e32 v12, 3, v3
	v_subrev_u32_e32 v14, 28, v13
	v_and_b32_e32 v12, 15, v12
	v_lshlrev_b32_e32 v14, v14, v3
	v_sub_u32_e32 v13, 29, v13
	v_and_b32_e32 v14, 7, v14
	v_cmp_eq_u16_e32 vcc, 0, v12
	v_cndmask_b32_e32 v6, v6, v14, vcc
	v_cndmask_b32_e32 v12, v12, v13, vcc
	v_lshlrev_b32_e32 v13, 24, v3
	v_mov_b32_e32 v14, 0x3b800000
	v_lshlrev_b32_e32 v6, 20, v6
	v_and_b32_e32 v13, 0x80000000, v13
	v_lshl_add_u32 v12, v12, 23, v14
	v_or3_b32 v6, v13, v12, v6
.LBB10_424:
	s_or_b64 exec, exec, s[6:7]
	s_nop 0
	v_mfma_f32_16x16x4f32 a[0:3], v2, v6, a[0:3]
	v_lshrrev_b32_e32 v6, 8, v7
	s_movk_i32 s4, 0x7f
	v_cmp_gt_i16_sdwa s[6:7], v6, s4 src0_sel:BYTE_0 src1_sel:DWORD
	s_mov_b64 s[4:5], 0
                                        ; implicit-def: $sgpr10
	s_and_saveexec_b64 s[8:9], s[6:7]
	s_xor_b64 s[6:7], exec, s[8:9]
	s_cbranch_execnz .LBB10_2473
; %bb.425:
	s_or_saveexec_b64 s[6:7], s[6:7]
	v_mov_b32_e32 v2, s10
	s_xor_b64 exec, exec, s[6:7]
	s_cbranch_execnz .LBB10_2476
.LBB10_426:
	s_or_b64 exec, exec, s[6:7]
	s_and_saveexec_b64 s[6:7], s[4:5]
	s_cbranch_execz .LBB10_428
.LBB10_427:
	v_bfe_u32 v2, v7, 8, 3
	v_ffbh_u32_e32 v13, v2
	v_min_u32_e32 v13, 32, v13
	v_lshrrev_b16_e32 v12, 3, v6
	v_subrev_u32_e32 v14, 28, v13
	v_and_b32_e32 v12, 15, v12
	v_lshlrev_b32_e32 v6, v14, v6
	v_sub_u32_e32 v13, 29, v13
	v_and_b32_e32 v6, 7, v6
	v_cmp_eq_u16_e32 vcc, 0, v12
	v_cndmask_b32_e32 v2, v2, v6, vcc
	v_cndmask_b32_e32 v6, v12, v13, vcc
	v_lshlrev_b32_e32 v12, 16, v7
	v_mov_b32_e32 v13, 0x3b800000
	v_lshlrev_b32_e32 v2, 20, v2
	v_and_b32_e32 v12, 0x80000000, v12
	v_lshl_add_u32 v6, v6, 23, v13
	v_or3_b32 v2, v12, v6, v2
.LBB10_428:
	s_or_b64 exec, exec, s[6:7]
	v_lshrrev_b32_e32 v6, 8, v3
	s_movk_i32 s4, 0x7f
	v_cmp_gt_i16_sdwa s[6:7], v6, s4 src0_sel:BYTE_0 src1_sel:DWORD
	s_mov_b64 s[4:5], 0
                                        ; implicit-def: $sgpr10
	s_and_saveexec_b64 s[8:9], s[6:7]
	s_xor_b64 s[6:7], exec, s[8:9]
	s_cbranch_execnz .LBB10_2477
; %bb.429:
	s_or_saveexec_b64 s[6:7], s[6:7]
	v_mov_b32_e32 v12, s10
	s_xor_b64 exec, exec, s[6:7]
	s_cbranch_execnz .LBB10_2480
.LBB10_430:
	s_or_b64 exec, exec, s[6:7]
	s_and_saveexec_b64 s[6:7], s[4:5]
	s_cbranch_execz .LBB10_432
.LBB10_431:
	v_bfe_u32 v12, v3, 8, 3
	v_ffbh_u32_e32 v14, v12
	v_min_u32_e32 v14, 32, v14
	v_lshrrev_b16_e32 v13, 3, v6
	v_subrev_u32_e32 v15, 28, v14
	v_and_b32_e32 v13, 15, v13
	v_lshlrev_b32_e32 v6, v15, v6
	v_sub_u32_e32 v14, 29, v14
	v_and_b32_e32 v6, 7, v6
	v_cmp_eq_u16_e32 vcc, 0, v13
	v_cndmask_b32_e32 v6, v12, v6, vcc
	v_cndmask_b32_e32 v12, v13, v14, vcc
	v_lshlrev_b32_e32 v13, 16, v3
	v_mov_b32_e32 v14, 0x3b800000
	v_lshlrev_b32_e32 v6, 20, v6
	v_and_b32_e32 v13, 0x80000000, v13
	v_lshl_add_u32 v12, v12, 23, v14
	v_or3_b32 v12, v13, v12, v6
.LBB10_432:
	s_or_b64 exec, exec, s[6:7]
	s_nop 0
	v_mfma_f32_16x16x4f32 a[0:3], v2, v12, a[0:3]
	s_movk_i32 s4, 0xff
	v_and_b32_sdwa v6, v7, s4 dst_sel:DWORD dst_unused:UNUSED_PAD src0_sel:WORD_1 src1_sel:DWORD
	s_movk_i32 s4, 0x7f
	v_cmp_lt_i16_e32 vcc, s4, v6
	s_mov_b64 s[4:5], 0
                                        ; implicit-def: $sgpr10
	s_and_saveexec_b64 s[6:7], vcc
	s_xor_b64 s[6:7], exec, s[6:7]
	s_cbranch_execnz .LBB10_2481
; %bb.433:
	s_or_saveexec_b64 s[6:7], s[6:7]
	v_mov_b32_e32 v2, s10
	s_xor_b64 exec, exec, s[6:7]
	s_cbranch_execnz .LBB10_2484
.LBB10_434:
	s_or_b64 exec, exec, s[6:7]
	s_and_saveexec_b64 s[6:7], s[4:5]
	s_cbranch_execz .LBB10_436
.LBB10_435:
	v_bfe_u32 v2, v7, 16, 3
	v_ffbh_u32_e32 v13, v2
	v_min_u32_e32 v13, 32, v13
	v_lshrrev_b32_e32 v6, 19, v7
	v_subrev_u32_e32 v14, 28, v13
	v_and_b32_e32 v6, 15, v6
	v_lshlrev_b32_sdwa v14, v14, v7 dst_sel:DWORD dst_unused:UNUSED_PAD src0_sel:DWORD src1_sel:WORD_1
	v_bfe_u32 v12, v7, 19, 4
	v_sub_u32_e32 v13, 29, v13
	v_and_b32_e32 v14, 7, v14
	v_cmp_eq_u16_e32 vcc, 0, v6
	v_cndmask_b32_e32 v2, v2, v14, vcc
	v_cndmask_b32_e32 v6, v12, v13, vcc
	v_lshlrev_b32_e32 v12, 8, v7
	v_mov_b32_e32 v13, 0x3b800000
	v_lshlrev_b32_e32 v2, 20, v2
	v_and_b32_e32 v12, 0x80000000, v12
	v_lshl_add_u32 v6, v6, 23, v13
	v_or3_b32 v2, v12, v6, v2
.LBB10_436:
	s_or_b64 exec, exec, s[6:7]
	s_movk_i32 s4, 0xff
	v_and_b32_sdwa v6, v3, s4 dst_sel:DWORD dst_unused:UNUSED_PAD src0_sel:WORD_1 src1_sel:DWORD
	s_movk_i32 s4, 0x7f
	v_cmp_lt_i16_e32 vcc, s4, v6
	s_mov_b64 s[4:5], 0
                                        ; implicit-def: $sgpr10
	s_and_saveexec_b64 s[6:7], vcc
	s_xor_b64 s[6:7], exec, s[6:7]
	s_cbranch_execnz .LBB10_2485
; %bb.437:
	s_or_saveexec_b64 s[6:7], s[6:7]
	v_mov_b32_e32 v12, s10
	s_xor_b64 exec, exec, s[6:7]
	s_cbranch_execnz .LBB10_2488
.LBB10_438:
	s_or_b64 exec, exec, s[6:7]
	s_and_saveexec_b64 s[6:7], s[4:5]
	s_cbranch_execz .LBB10_440
.LBB10_439:
	v_bfe_u32 v6, v3, 16, 3
	v_ffbh_u32_e32 v14, v6
	v_min_u32_e32 v14, 32, v14
	v_lshrrev_b32_e32 v12, 19, v3
	v_subrev_u32_e32 v15, 28, v14
	v_and_b32_e32 v12, 15, v12
	v_lshlrev_b32_sdwa v15, v15, v3 dst_sel:DWORD dst_unused:UNUSED_PAD src0_sel:DWORD src1_sel:WORD_1
	v_bfe_u32 v13, v3, 19, 4
	v_sub_u32_e32 v14, 29, v14
	v_and_b32_e32 v15, 7, v15
	v_cmp_eq_u16_e32 vcc, 0, v12
	v_cndmask_b32_e32 v6, v6, v15, vcc
	v_cndmask_b32_e32 v12, v13, v14, vcc
	v_lshlrev_b32_e32 v13, 8, v3
	v_mov_b32_e32 v14, 0x3b800000
	v_lshlrev_b32_e32 v6, 20, v6
	v_and_b32_e32 v13, 0x80000000, v13
	v_lshl_add_u32 v12, v12, 23, v14
	v_or3_b32 v12, v13, v12, v6
.LBB10_440:
	s_or_b64 exec, exec, s[6:7]
	s_nop 0
	v_mfma_f32_16x16x4f32 a[0:3], v2, v12, a[0:3]
	s_movk_i32 s4, 0x7f
	v_cmp_gt_i16_sdwa s[6:7], v7, s4 src0_sel:BYTE_3 src1_sel:DWORD
	s_mov_b64 s[4:5], 0
                                        ; implicit-def: $sgpr10
	s_and_saveexec_b64 s[8:9], s[6:7]
	s_xor_b64 s[6:7], exec, s[8:9]
	s_cbranch_execnz .LBB10_2489
; %bb.441:
	s_or_saveexec_b64 s[6:7], s[6:7]
	v_mov_b32_e32 v2, s10
	s_xor_b64 exec, exec, s[6:7]
	s_cbranch_execnz .LBB10_2492
.LBB10_442:
	s_or_b64 exec, exec, s[6:7]
	s_and_saveexec_b64 s[6:7], s[4:5]
	s_cbranch_execz .LBB10_444
.LBB10_443:
	v_bfe_u32 v2, v7, 24, 3
	v_ffbh_u32_e32 v14, v2
	v_min_u32_e32 v14, 32, v14
	v_lshrrev_b32_e32 v12, 27, v7
	v_subrev_u32_e32 v15, 28, v14
	v_and_b32_e32 v6, 0x80000000, v7
	v_and_b32_e32 v12, 15, v12
	v_bfe_u32 v13, v7, 27, 4
	v_lshlrev_b32_sdwa v7, v15, v7 dst_sel:DWORD dst_unused:UNUSED_PAD src0_sel:DWORD src1_sel:BYTE_3
	v_sub_u32_e32 v14, 29, v14
	v_and_b32_e32 v7, 7, v7
	v_cmp_eq_u16_e32 vcc, 0, v12
	v_cndmask_b32_e32 v2, v2, v7, vcc
	v_cndmask_b32_e32 v7, v13, v14, vcc
	v_mov_b32_e32 v12, 0x3b800000
	v_lshlrev_b32_e32 v2, 20, v2
	v_lshl_add_u32 v7, v7, 23, v12
	v_or3_b32 v2, v6, v7, v2
.LBB10_444:
	s_or_b64 exec, exec, s[6:7]
	s_movk_i32 s4, 0x7f
	v_cmp_gt_i16_sdwa s[6:7], v3, s4 src0_sel:BYTE_3 src1_sel:DWORD
	s_mov_b64 s[4:5], 0
                                        ; implicit-def: $sgpr10
	s_and_saveexec_b64 s[8:9], s[6:7]
	s_xor_b64 s[6:7], exec, s[8:9]
	s_cbranch_execnz .LBB10_2493
; %bb.445:
	s_or_saveexec_b64 s[6:7], s[6:7]
	v_mov_b32_e32 v6, s10
	s_xor_b64 exec, exec, s[6:7]
	s_cbranch_execnz .LBB10_2496
.LBB10_446:
	s_or_b64 exec, exec, s[6:7]
	s_and_saveexec_b64 s[6:7], s[4:5]
	s_cbranch_execz .LBB10_448
.LBB10_447:
	v_bfe_u32 v6, v3, 24, 3
	v_ffbh_u32_e32 v14, v6
	v_min_u32_e32 v14, 32, v14
	v_lshrrev_b32_e32 v12, 27, v3
	v_subrev_u32_e32 v15, 28, v14
	v_and_b32_e32 v7, 0x80000000, v3
	v_and_b32_e32 v12, 15, v12
	v_bfe_u32 v13, v3, 27, 4
	v_lshlrev_b32_sdwa v3, v15, v3 dst_sel:DWORD dst_unused:UNUSED_PAD src0_sel:DWORD src1_sel:BYTE_3
	v_sub_u32_e32 v14, 29, v14
	v_and_b32_e32 v3, 7, v3
	v_cmp_eq_u16_e32 vcc, 0, v12
	v_cndmask_b32_e32 v3, v6, v3, vcc
	v_cndmask_b32_e32 v6, v13, v14, vcc
	v_mov_b32_e32 v12, 0x3b800000
	v_lshlrev_b32_e32 v3, 20, v3
	v_lshl_add_u32 v6, v6, 23, v12
	v_or3_b32 v6, v7, v6, v3
.LBB10_448:
	s_or_b64 exec, exec, s[6:7]
	s_nop 0
	v_mfma_f32_16x16x4f32 a[0:3], v2, v6, a[0:3]
	s_movk_i32 s4, 0x7f
	v_cmp_gt_i16_sdwa s[6:7], v8, s4 src0_sel:BYTE_0 src1_sel:DWORD
	s_mov_b64 s[4:5], 0
                                        ; implicit-def: $sgpr10
	s_and_saveexec_b64 s[8:9], s[6:7]
	s_xor_b64 s[6:7], exec, s[8:9]
	s_cbranch_execnz .LBB10_2497
; %bb.449:
	s_or_saveexec_b64 s[6:7], s[6:7]
	v_mov_b32_e32 v2, s10
	s_xor_b64 exec, exec, s[6:7]
	s_cbranch_execnz .LBB10_2500
.LBB10_450:
	s_or_b64 exec, exec, s[6:7]
	s_and_saveexec_b64 s[6:7], s[4:5]
	s_cbranch_execz .LBB10_452
.LBB10_451:
	v_and_b32_e32 v2, 7, v8
	v_ffbh_u32_e32 v6, v2
	v_min_u32_e32 v6, 32, v6
	v_lshrrev_b16_e32 v3, 3, v8
	v_subrev_u32_e32 v7, 28, v6
	v_and_b32_e32 v3, 15, v3
	v_lshlrev_b32_e32 v7, v7, v8
	v_sub_u32_e32 v6, 29, v6
	v_and_b32_e32 v7, 7, v7
	v_cmp_eq_u16_e32 vcc, 0, v3
	v_cndmask_b32_e32 v2, v2, v7, vcc
	v_cndmask_b32_e32 v3, v3, v6, vcc
	v_lshlrev_b32_e32 v6, 24, v8
	v_mov_b32_e32 v7, 0x3b800000
	v_lshlrev_b32_e32 v2, 20, v2
	v_and_b32_e32 v6, 0x80000000, v6
	v_lshl_add_u32 v3, v3, 23, v7
	v_or3_b32 v2, v6, v3, v2
.LBB10_452:
	s_or_b64 exec, exec, s[6:7]
	s_movk_i32 s4, 0x7f
	v_cmp_gt_i16_sdwa s[6:7], v4, s4 src0_sel:BYTE_0 src1_sel:DWORD
	s_mov_b64 s[4:5], 0
                                        ; implicit-def: $sgpr10
	s_and_saveexec_b64 s[8:9], s[6:7]
	s_xor_b64 s[6:7], exec, s[8:9]
	s_cbranch_execnz .LBB10_2501
; %bb.453:
	s_or_saveexec_b64 s[6:7], s[6:7]
	v_mov_b32_e32 v3, s10
	s_xor_b64 exec, exec, s[6:7]
	s_cbranch_execnz .LBB10_2504
.LBB10_454:
	s_or_b64 exec, exec, s[6:7]
	s_and_saveexec_b64 s[6:7], s[4:5]
	s_cbranch_execz .LBB10_456
.LBB10_455:
	v_and_b32_e32 v3, 7, v4
	v_ffbh_u32_e32 v7, v3
	v_min_u32_e32 v7, 32, v7
	v_lshrrev_b16_e32 v6, 3, v4
	v_subrev_u32_e32 v12, 28, v7
	v_and_b32_e32 v6, 15, v6
	v_lshlrev_b32_e32 v12, v12, v4
	v_sub_u32_e32 v7, 29, v7
	v_and_b32_e32 v12, 7, v12
	v_cmp_eq_u16_e32 vcc, 0, v6
	v_cndmask_b32_e32 v3, v3, v12, vcc
	v_cndmask_b32_e32 v6, v6, v7, vcc
	v_lshlrev_b32_e32 v7, 24, v4
	v_mov_b32_e32 v12, 0x3b800000
	v_lshlrev_b32_e32 v3, 20, v3
	v_and_b32_e32 v7, 0x80000000, v7
	v_lshl_add_u32 v6, v6, 23, v12
	v_or3_b32 v3, v7, v6, v3
.LBB10_456:
	s_or_b64 exec, exec, s[6:7]
	s_nop 0
	v_mfma_f32_16x16x4f32 a[0:3], v2, v3, a[0:3]
	v_lshrrev_b32_e32 v3, 8, v8
	s_movk_i32 s4, 0x7f
	v_cmp_gt_i16_sdwa s[6:7], v3, s4 src0_sel:BYTE_0 src1_sel:DWORD
	s_mov_b64 s[4:5], 0
                                        ; implicit-def: $sgpr10
	s_and_saveexec_b64 s[8:9], s[6:7]
	s_xor_b64 s[6:7], exec, s[8:9]
	s_cbranch_execnz .LBB10_2505
; %bb.457:
	s_or_saveexec_b64 s[6:7], s[6:7]
	v_mov_b32_e32 v2, s10
	s_xor_b64 exec, exec, s[6:7]
	s_cbranch_execnz .LBB10_2508
.LBB10_458:
	s_or_b64 exec, exec, s[6:7]
	s_and_saveexec_b64 s[6:7], s[4:5]
	s_cbranch_execz .LBB10_460
.LBB10_459:
	v_bfe_u32 v2, v8, 8, 3
	v_ffbh_u32_e32 v7, v2
	v_min_u32_e32 v7, 32, v7
	v_lshrrev_b16_e32 v6, 3, v3
	v_subrev_u32_e32 v12, 28, v7
	v_and_b32_e32 v6, 15, v6
	v_lshlrev_b32_e32 v3, v12, v3
	v_sub_u32_e32 v7, 29, v7
	v_and_b32_e32 v3, 7, v3
	v_cmp_eq_u16_e32 vcc, 0, v6
	v_cndmask_b32_e32 v2, v2, v3, vcc
	v_cndmask_b32_e32 v3, v6, v7, vcc
	v_lshlrev_b32_e32 v6, 16, v8
	v_mov_b32_e32 v7, 0x3b800000
	v_lshlrev_b32_e32 v2, 20, v2
	v_and_b32_e32 v6, 0x80000000, v6
	v_lshl_add_u32 v3, v3, 23, v7
	v_or3_b32 v2, v6, v3, v2
.LBB10_460:
	s_or_b64 exec, exec, s[6:7]
	v_lshrrev_b32_e32 v3, 8, v4
	s_movk_i32 s4, 0x7f
	v_cmp_gt_i16_sdwa s[6:7], v3, s4 src0_sel:BYTE_0 src1_sel:DWORD
	s_mov_b64 s[4:5], 0
                                        ; implicit-def: $sgpr10
	s_and_saveexec_b64 s[8:9], s[6:7]
	s_xor_b64 s[6:7], exec, s[8:9]
	s_cbranch_execnz .LBB10_2509
; %bb.461:
	s_or_saveexec_b64 s[6:7], s[6:7]
	v_mov_b32_e32 v6, s10
	s_xor_b64 exec, exec, s[6:7]
	s_cbranch_execnz .LBB10_2512
.LBB10_462:
	s_or_b64 exec, exec, s[6:7]
	s_and_saveexec_b64 s[6:7], s[4:5]
	s_cbranch_execz .LBB10_464
.LBB10_463:
	v_bfe_u32 v6, v4, 8, 3
	v_ffbh_u32_e32 v12, v6
	v_min_u32_e32 v12, 32, v12
	v_lshrrev_b16_e32 v7, 3, v3
	v_subrev_u32_e32 v13, 28, v12
	v_and_b32_e32 v7, 15, v7
	v_lshlrev_b32_e32 v3, v13, v3
	v_sub_u32_e32 v12, 29, v12
	v_and_b32_e32 v3, 7, v3
	v_cmp_eq_u16_e32 vcc, 0, v7
	v_cndmask_b32_e32 v3, v6, v3, vcc
	v_cndmask_b32_e32 v6, v7, v12, vcc
	v_lshlrev_b32_e32 v7, 16, v4
	v_mov_b32_e32 v12, 0x3b800000
	v_lshlrev_b32_e32 v3, 20, v3
	v_and_b32_e32 v7, 0x80000000, v7
	v_lshl_add_u32 v6, v6, 23, v12
	v_or3_b32 v6, v7, v6, v3
.LBB10_464:
	s_or_b64 exec, exec, s[6:7]
	s_nop 0
	v_mfma_f32_16x16x4f32 a[0:3], v2, v6, a[0:3]
	s_movk_i32 s4, 0xff
	v_and_b32_sdwa v3, v8, s4 dst_sel:DWORD dst_unused:UNUSED_PAD src0_sel:WORD_1 src1_sel:DWORD
	s_movk_i32 s4, 0x7f
	v_cmp_lt_i16_e32 vcc, s4, v3
	s_mov_b64 s[4:5], 0
                                        ; implicit-def: $sgpr10
	s_and_saveexec_b64 s[6:7], vcc
	s_xor_b64 s[6:7], exec, s[6:7]
	s_cbranch_execnz .LBB10_2513
; %bb.465:
	s_or_saveexec_b64 s[6:7], s[6:7]
	v_mov_b32_e32 v2, s10
	s_xor_b64 exec, exec, s[6:7]
	s_cbranch_execnz .LBB10_2516
.LBB10_466:
	s_or_b64 exec, exec, s[6:7]
	s_and_saveexec_b64 s[6:7], s[4:5]
	s_cbranch_execz .LBB10_468
.LBB10_467:
	v_bfe_u32 v2, v8, 16, 3
	v_ffbh_u32_e32 v7, v2
	v_min_u32_e32 v7, 32, v7
	v_lshrrev_b32_e32 v3, 19, v8
	v_subrev_u32_e32 v12, 28, v7
	v_and_b32_e32 v3, 15, v3
	v_lshlrev_b32_sdwa v12, v12, v8 dst_sel:DWORD dst_unused:UNUSED_PAD src0_sel:DWORD src1_sel:WORD_1
	v_bfe_u32 v6, v8, 19, 4
	v_sub_u32_e32 v7, 29, v7
	v_and_b32_e32 v12, 7, v12
	v_cmp_eq_u16_e32 vcc, 0, v3
	v_cndmask_b32_e32 v2, v2, v12, vcc
	v_cndmask_b32_e32 v3, v6, v7, vcc
	v_lshlrev_b32_e32 v6, 8, v8
	v_mov_b32_e32 v7, 0x3b800000
	v_lshlrev_b32_e32 v2, 20, v2
	v_and_b32_e32 v6, 0x80000000, v6
	v_lshl_add_u32 v3, v3, 23, v7
	v_or3_b32 v2, v6, v3, v2
.LBB10_468:
	s_or_b64 exec, exec, s[6:7]
	s_movk_i32 s4, 0xff
	v_and_b32_sdwa v3, v4, s4 dst_sel:DWORD dst_unused:UNUSED_PAD src0_sel:WORD_1 src1_sel:DWORD
	s_movk_i32 s4, 0x7f
	v_cmp_lt_i16_e32 vcc, s4, v3
	s_mov_b64 s[4:5], 0
                                        ; implicit-def: $sgpr10
	s_and_saveexec_b64 s[6:7], vcc
	s_xor_b64 s[6:7], exec, s[6:7]
	s_cbranch_execnz .LBB10_2517
; %bb.469:
	s_or_saveexec_b64 s[6:7], s[6:7]
	v_mov_b32_e32 v6, s10
	s_xor_b64 exec, exec, s[6:7]
	s_cbranch_execnz .LBB10_2520
.LBB10_470:
	s_or_b64 exec, exec, s[6:7]
	s_and_saveexec_b64 s[6:7], s[4:5]
	s_cbranch_execz .LBB10_472
.LBB10_471:
	v_bfe_u32 v3, v4, 16, 3
	v_ffbh_u32_e32 v12, v3
	v_min_u32_e32 v12, 32, v12
	v_lshrrev_b32_e32 v6, 19, v4
	v_subrev_u32_e32 v13, 28, v12
	v_and_b32_e32 v6, 15, v6
	v_lshlrev_b32_sdwa v13, v13, v4 dst_sel:DWORD dst_unused:UNUSED_PAD src0_sel:DWORD src1_sel:WORD_1
	v_bfe_u32 v7, v4, 19, 4
	v_sub_u32_e32 v12, 29, v12
	v_and_b32_e32 v13, 7, v13
	v_cmp_eq_u16_e32 vcc, 0, v6
	v_cndmask_b32_e32 v3, v3, v13, vcc
	v_cndmask_b32_e32 v6, v7, v12, vcc
	v_lshlrev_b32_e32 v7, 8, v4
	v_mov_b32_e32 v12, 0x3b800000
	v_lshlrev_b32_e32 v3, 20, v3
	v_and_b32_e32 v7, 0x80000000, v7
	v_lshl_add_u32 v6, v6, 23, v12
	v_or3_b32 v6, v7, v6, v3
.LBB10_472:
	s_or_b64 exec, exec, s[6:7]
	s_nop 0
	v_mfma_f32_16x16x4f32 a[0:3], v2, v6, a[0:3]
	s_movk_i32 s4, 0x7f
	v_cmp_gt_i16_sdwa s[6:7], v8, s4 src0_sel:BYTE_3 src1_sel:DWORD
	s_mov_b64 s[4:5], 0
                                        ; implicit-def: $sgpr10
	s_and_saveexec_b64 s[8:9], s[6:7]
	s_xor_b64 s[6:7], exec, s[8:9]
	s_cbranch_execnz .LBB10_2521
; %bb.473:
	s_or_saveexec_b64 s[6:7], s[6:7]
	v_mov_b32_e32 v2, s10
	s_xor_b64 exec, exec, s[6:7]
	s_cbranch_execnz .LBB10_2524
.LBB10_474:
	s_or_b64 exec, exec, s[6:7]
	s_and_saveexec_b64 s[6:7], s[4:5]
	s_cbranch_execz .LBB10_476
.LBB10_475:
	v_bfe_u32 v2, v8, 24, 3
	v_ffbh_u32_e32 v12, v2
	v_min_u32_e32 v12, 32, v12
	v_lshrrev_b32_e32 v6, 27, v8
	v_subrev_u32_e32 v13, 28, v12
	v_and_b32_e32 v3, 0x80000000, v8
	v_and_b32_e32 v6, 15, v6
	v_bfe_u32 v7, v8, 27, 4
	v_lshlrev_b32_sdwa v8, v13, v8 dst_sel:DWORD dst_unused:UNUSED_PAD src0_sel:DWORD src1_sel:BYTE_3
	v_sub_u32_e32 v12, 29, v12
	v_and_b32_e32 v8, 7, v8
	v_cmp_eq_u16_e32 vcc, 0, v6
	v_cndmask_b32_e32 v2, v2, v8, vcc
	v_cndmask_b32_e32 v6, v7, v12, vcc
	v_mov_b32_e32 v7, 0x3b800000
	v_lshlrev_b32_e32 v2, 20, v2
	v_lshl_add_u32 v6, v6, 23, v7
	v_or3_b32 v2, v3, v6, v2
.LBB10_476:
	s_or_b64 exec, exec, s[6:7]
	s_movk_i32 s4, 0x7f
	v_cmp_gt_i16_sdwa s[6:7], v4, s4 src0_sel:BYTE_3 src1_sel:DWORD
	s_mov_b64 s[4:5], 0
                                        ; implicit-def: $sgpr10
	s_and_saveexec_b64 s[8:9], s[6:7]
	s_xor_b64 s[6:7], exec, s[8:9]
	s_cbranch_execnz .LBB10_2525
; %bb.477:
	s_or_saveexec_b64 s[6:7], s[6:7]
	v_mov_b32_e32 v3, s10
	s_xor_b64 exec, exec, s[6:7]
	s_cbranch_execnz .LBB10_2528
.LBB10_478:
	s_or_b64 exec, exec, s[6:7]
	s_and_saveexec_b64 s[6:7], s[4:5]
	s_cbranch_execz .LBB10_480
.LBB10_479:
	v_bfe_u32 v3, v4, 24, 3
	v_ffbh_u32_e32 v12, v3
	v_min_u32_e32 v12, 32, v12
	v_lshrrev_b32_e32 v7, 27, v4
	v_subrev_u32_e32 v13, 28, v12
	v_and_b32_e32 v6, 0x80000000, v4
	v_and_b32_e32 v7, 15, v7
	v_bfe_u32 v8, v4, 27, 4
	v_lshlrev_b32_sdwa v4, v13, v4 dst_sel:DWORD dst_unused:UNUSED_PAD src0_sel:DWORD src1_sel:BYTE_3
	v_sub_u32_e32 v12, 29, v12
	v_and_b32_e32 v4, 7, v4
	v_cmp_eq_u16_e32 vcc, 0, v7
	v_cndmask_b32_e32 v3, v3, v4, vcc
	v_cndmask_b32_e32 v4, v8, v12, vcc
	v_mov_b32_e32 v7, 0x3b800000
	v_lshlrev_b32_e32 v3, 20, v3
	v_lshl_add_u32 v4, v4, 23, v7
	v_or3_b32 v3, v6, v4, v3
.LBB10_480:
	s_or_b64 exec, exec, s[6:7]
	s_nop 0
	v_mfma_f32_16x16x4f32 a[0:3], v2, v3, a[0:3]
	s_movk_i32 s4, 0x7f
	v_cmp_gt_i16_sdwa s[6:7], v9, s4 src0_sel:BYTE_0 src1_sel:DWORD
	s_mov_b64 s[4:5], 0
                                        ; implicit-def: $sgpr10
	s_and_saveexec_b64 s[8:9], s[6:7]
	s_xor_b64 s[6:7], exec, s[8:9]
	s_cbranch_execnz .LBB10_2529
; %bb.481:
	s_or_saveexec_b64 s[6:7], s[6:7]
	v_mov_b32_e32 v2, s10
	s_xor_b64 exec, exec, s[6:7]
	s_cbranch_execnz .LBB10_2532
.LBB10_482:
	s_or_b64 exec, exec, s[6:7]
	s_and_saveexec_b64 s[6:7], s[4:5]
	s_cbranch_execz .LBB10_484
.LBB10_483:
	v_mov_b32_e32 v2, 8
	v_and_b32_e32 v3, 7, v9
	v_lshrrev_b32_sdwa v2, v2, v9 dst_sel:BYTE_1 dst_unused:UNUSED_PAD src0_sel:DWORD src1_sel:DWORD
	v_ffbh_u32_e32 v4, v3
	v_or_b32_sdwa v2, v9, v2 dst_sel:DWORD dst_unused:UNUSED_PAD src0_sel:BYTE_0 src1_sel:DWORD
	v_min_u32_e32 v4, 32, v4
	v_lshrrev_b16_e32 v2, 3, v2
	v_subrev_u32_e32 v6, 28, v4
	v_and_b32_e32 v2, 15, v2
	v_lshlrev_b32_e32 v6, v6, v9
	v_sub_u32_e32 v4, 29, v4
	v_and_b32_e32 v6, 7, v6
	v_cmp_eq_u16_e32 vcc, 0, v2
	v_cndmask_b32_e32 v3, v3, v6, vcc
	v_cndmask_b32_e32 v2, v2, v4, vcc
	v_lshlrev_b32_e32 v4, 24, v9
	v_mov_b32_e32 v6, 0x3b800000
	v_lshlrev_b32_e32 v3, 20, v3
	v_and_b32_e32 v4, 0x80000000, v4
	v_lshl_add_u32 v2, v2, 23, v6
	v_or3_b32 v2, v4, v2, v3
.LBB10_484:
	s_or_b64 exec, exec, s[6:7]
	s_movk_i32 s4, 0x7f
	v_cmp_gt_i16_sdwa s[6:7], v5, s4 src0_sel:BYTE_0 src1_sel:DWORD
	s_mov_b64 s[4:5], 0
                                        ; implicit-def: $sgpr10
	s_and_saveexec_b64 s[8:9], s[6:7]
	s_xor_b64 s[6:7], exec, s[8:9]
	s_cbranch_execnz .LBB10_2533
; %bb.485:
	s_or_saveexec_b64 s[6:7], s[6:7]
	v_mov_b32_e32 v3, s10
	s_xor_b64 exec, exec, s[6:7]
	s_cbranch_execnz .LBB10_2536
.LBB10_486:
	s_or_b64 exec, exec, s[6:7]
	s_and_saveexec_b64 s[6:7], s[4:5]
	s_cbranch_execz .LBB10_488
.LBB10_487:
	v_mov_b32_e32 v3, 8
	v_and_b32_e32 v4, 7, v5
	v_lshrrev_b32_sdwa v3, v3, v5 dst_sel:BYTE_1 dst_unused:UNUSED_PAD src0_sel:DWORD src1_sel:DWORD
	v_ffbh_u32_e32 v6, v4
	v_or_b32_sdwa v3, v5, v3 dst_sel:DWORD dst_unused:UNUSED_PAD src0_sel:BYTE_0 src1_sel:DWORD
	v_min_u32_e32 v6, 32, v6
	v_lshrrev_b16_e32 v3, 3, v3
	v_subrev_u32_e32 v7, 28, v6
	v_and_b32_e32 v3, 15, v3
	v_lshlrev_b32_e32 v7, v7, v5
	v_sub_u32_e32 v6, 29, v6
	v_and_b32_e32 v7, 7, v7
	v_cmp_eq_u16_e32 vcc, 0, v3
	v_cndmask_b32_e32 v4, v4, v7, vcc
	v_cndmask_b32_e32 v3, v3, v6, vcc
	v_lshlrev_b32_e32 v6, 24, v5
	v_mov_b32_e32 v7, 0x3b800000
	v_lshlrev_b32_e32 v4, 20, v4
	v_and_b32_e32 v6, 0x80000000, v6
	v_lshl_add_u32 v3, v3, 23, v7
	v_or3_b32 v3, v6, v3, v4
.LBB10_488:
	s_or_b64 exec, exec, s[6:7]
	s_nop 0
	v_mfma_f32_16x16x4f32 a[0:3], v2, v3, a[0:3]
	v_lshrrev_b32_e32 v3, 8, v9
	s_movk_i32 s4, 0x7f
	v_cmp_gt_i16_sdwa s[6:7], v3, s4 src0_sel:BYTE_0 src1_sel:DWORD
	s_mov_b64 s[4:5], 0
                                        ; implicit-def: $sgpr10
	s_and_saveexec_b64 s[8:9], s[6:7]
	s_xor_b64 s[6:7], exec, s[8:9]
	s_cbranch_execnz .LBB10_2537
; %bb.489:
	s_or_saveexec_b64 s[6:7], s[6:7]
	v_mov_b32_e32 v2, s10
	s_xor_b64 exec, exec, s[6:7]
	s_cbranch_execnz .LBB10_2540
.LBB10_490:
	s_or_b64 exec, exec, s[6:7]
	s_and_saveexec_b64 s[6:7], s[4:5]
	s_cbranch_execz .LBB10_492
.LBB10_491:
	v_bfe_u32 v2, v9, 8, 3
	v_ffbh_u32_e32 v6, v2
	v_min_u32_e32 v6, 32, v6
	v_lshrrev_b16_e32 v4, 3, v3
	v_subrev_u32_e32 v7, 28, v6
	v_and_b32_e32 v4, 15, v4
	v_lshlrev_b32_e32 v3, v7, v3
	v_sub_u32_e32 v6, 29, v6
	v_and_b32_e32 v3, 7, v3
	v_cmp_eq_u16_e32 vcc, 0, v4
	v_cndmask_b32_e32 v2, v2, v3, vcc
	v_cndmask_b32_e32 v3, v4, v6, vcc
	v_lshlrev_b32_e32 v4, 16, v9
	v_mov_b32_e32 v6, 0x3b800000
	v_lshlrev_b32_e32 v2, 20, v2
	v_and_b32_e32 v4, 0x80000000, v4
	v_lshl_add_u32 v3, v3, 23, v6
	v_or3_b32 v2, v4, v3, v2
.LBB10_492:
	s_or_b64 exec, exec, s[6:7]
	v_lshrrev_b32_e32 v3, 8, v5
	s_movk_i32 s4, 0x7f
	v_cmp_gt_i16_sdwa s[6:7], v3, s4 src0_sel:BYTE_0 src1_sel:DWORD
	s_mov_b64 s[4:5], 0
                                        ; implicit-def: $sgpr10
	s_and_saveexec_b64 s[8:9], s[6:7]
	s_xor_b64 s[6:7], exec, s[8:9]
	s_cbranch_execnz .LBB10_2541
; %bb.493:
	s_or_saveexec_b64 s[6:7], s[6:7]
	v_mov_b32_e32 v4, s10
	s_xor_b64 exec, exec, s[6:7]
	s_cbranch_execnz .LBB10_2544
.LBB10_494:
	s_or_b64 exec, exec, s[6:7]
	s_and_saveexec_b64 s[6:7], s[4:5]
	s_cbranch_execz .LBB10_496
.LBB10_495:
	v_bfe_u32 v4, v5, 8, 3
	v_ffbh_u32_e32 v7, v4
	v_min_u32_e32 v7, 32, v7
	v_lshrrev_b16_e32 v6, 3, v3
	v_subrev_u32_e32 v8, 28, v7
	v_and_b32_e32 v6, 15, v6
	v_lshlrev_b32_e32 v3, v8, v3
	v_sub_u32_e32 v7, 29, v7
	v_and_b32_e32 v3, 7, v3
	v_cmp_eq_u16_e32 vcc, 0, v6
	v_cndmask_b32_e32 v3, v4, v3, vcc
	v_cndmask_b32_e32 v4, v6, v7, vcc
	v_lshlrev_b32_e32 v6, 16, v5
	v_mov_b32_e32 v7, 0x3b800000
	v_lshlrev_b32_e32 v3, 20, v3
	v_and_b32_e32 v6, 0x80000000, v6
	v_lshl_add_u32 v4, v4, 23, v7
	v_or3_b32 v4, v6, v4, v3
.LBB10_496:
	s_or_b64 exec, exec, s[6:7]
	s_nop 0
	v_mfma_f32_16x16x4f32 a[0:3], v2, v4, a[0:3]
	s_movk_i32 s4, 0xff
	v_and_b32_sdwa v3, v9, s4 dst_sel:DWORD dst_unused:UNUSED_PAD src0_sel:WORD_1 src1_sel:DWORD
	s_movk_i32 s4, 0x7f
	v_cmp_lt_i16_e32 vcc, s4, v3
	s_mov_b64 s[4:5], 0
                                        ; implicit-def: $sgpr10
	s_and_saveexec_b64 s[6:7], vcc
	s_xor_b64 s[6:7], exec, s[6:7]
	s_cbranch_execnz .LBB10_2545
; %bb.497:
	s_or_saveexec_b64 s[6:7], s[6:7]
	v_mov_b32_e32 v2, s10
	s_xor_b64 exec, exec, s[6:7]
	s_cbranch_execnz .LBB10_2548
.LBB10_498:
	s_or_b64 exec, exec, s[6:7]
	s_and_saveexec_b64 s[6:7], s[4:5]
	s_cbranch_execz .LBB10_500
.LBB10_499:
	v_bfe_u32 v2, v9, 16, 3
	v_ffbh_u32_e32 v6, v2
	v_min_u32_e32 v6, 32, v6
	v_lshrrev_b32_e32 v3, 19, v9
	v_subrev_u32_e32 v7, 28, v6
	v_and_b32_e32 v3, 15, v3
	v_lshlrev_b32_sdwa v7, v7, v9 dst_sel:DWORD dst_unused:UNUSED_PAD src0_sel:DWORD src1_sel:WORD_1
	v_bfe_u32 v4, v9, 19, 4
	v_sub_u32_e32 v6, 29, v6
	v_and_b32_e32 v7, 7, v7
	v_cmp_eq_u16_e32 vcc, 0, v3
	v_cndmask_b32_e32 v2, v2, v7, vcc
	v_cndmask_b32_e32 v3, v4, v6, vcc
	v_lshlrev_b32_e32 v4, 8, v9
	v_mov_b32_e32 v6, 0x3b800000
	v_lshlrev_b32_e32 v2, 20, v2
	v_and_b32_e32 v4, 0x80000000, v4
	v_lshl_add_u32 v3, v3, 23, v6
	v_or3_b32 v2, v4, v3, v2
.LBB10_500:
	s_or_b64 exec, exec, s[6:7]
	s_movk_i32 s4, 0xff
	v_and_b32_sdwa v3, v5, s4 dst_sel:DWORD dst_unused:UNUSED_PAD src0_sel:WORD_1 src1_sel:DWORD
	s_movk_i32 s4, 0x7f
	v_cmp_lt_i16_e32 vcc, s4, v3
	s_mov_b64 s[4:5], 0
                                        ; implicit-def: $sgpr10
	s_and_saveexec_b64 s[6:7], vcc
	s_xor_b64 s[6:7], exec, s[6:7]
	s_cbranch_execnz .LBB10_2549
; %bb.501:
	s_or_saveexec_b64 s[6:7], s[6:7]
	v_mov_b32_e32 v4, s10
	s_xor_b64 exec, exec, s[6:7]
	s_cbranch_execnz .LBB10_2552
.LBB10_502:
	s_or_b64 exec, exec, s[6:7]
	s_and_saveexec_b64 s[6:7], s[4:5]
	s_cbranch_execz .LBB10_504
.LBB10_503:
	v_bfe_u32 v3, v5, 16, 3
	v_ffbh_u32_e32 v7, v3
	v_min_u32_e32 v7, 32, v7
	v_lshrrev_b32_e32 v4, 19, v5
	v_subrev_u32_e32 v8, 28, v7
	v_and_b32_e32 v4, 15, v4
	v_lshlrev_b32_sdwa v8, v8, v5 dst_sel:DWORD dst_unused:UNUSED_PAD src0_sel:DWORD src1_sel:WORD_1
	v_bfe_u32 v6, v5, 19, 4
	v_sub_u32_e32 v7, 29, v7
	v_and_b32_e32 v8, 7, v8
	v_cmp_eq_u16_e32 vcc, 0, v4
	v_cndmask_b32_e32 v3, v3, v8, vcc
	v_cndmask_b32_e32 v4, v6, v7, vcc
	v_lshlrev_b32_e32 v6, 8, v5
	v_mov_b32_e32 v7, 0x3b800000
	v_lshlrev_b32_e32 v3, 20, v3
	v_and_b32_e32 v6, 0x80000000, v6
	v_lshl_add_u32 v4, v4, 23, v7
	v_or3_b32 v4, v6, v4, v3
.LBB10_504:
	s_or_b64 exec, exec, s[6:7]
	s_nop 0
	v_mfma_f32_16x16x4f32 a[0:3], v2, v4, a[0:3]
	s_movk_i32 s4, 0x7f
	v_cmp_gt_i16_sdwa s[6:7], v9, s4 src0_sel:BYTE_3 src1_sel:DWORD
	s_mov_b64 s[4:5], 0
                                        ; implicit-def: $sgpr10
	s_and_saveexec_b64 s[8:9], s[6:7]
	s_xor_b64 s[6:7], exec, s[8:9]
	s_cbranch_execnz .LBB10_2553
; %bb.505:
	s_or_saveexec_b64 s[6:7], s[6:7]
	v_mov_b32_e32 v2, s10
	s_xor_b64 exec, exec, s[6:7]
	s_cbranch_execnz .LBB10_2556
.LBB10_506:
	s_or_b64 exec, exec, s[6:7]
	s_and_saveexec_b64 s[6:7], s[4:5]
	s_cbranch_execz .LBB10_508
.LBB10_507:
	v_bfe_u32 v2, v9, 24, 3
	v_ffbh_u32_e32 v7, v2
	v_min_u32_e32 v7, 32, v7
	v_lshrrev_b32_e32 v4, 27, v9
	v_subrev_u32_e32 v8, 28, v7
	v_and_b32_e32 v4, 15, v4
	v_lshlrev_b32_sdwa v8, v8, v9 dst_sel:DWORD dst_unused:UNUSED_PAD src0_sel:DWORD src1_sel:BYTE_3
	v_bfe_u32 v6, v9, 27, 4
	v_sub_u32_e32 v7, 29, v7
	v_and_b32_e32 v8, 7, v8
	v_cmp_eq_u16_e32 vcc, 0, v4
	v_cndmask_b32_e32 v2, v2, v8, vcc
	v_cndmask_b32_e32 v4, v6, v7, vcc
	v_mov_b32_e32 v6, 0x3b800000
	v_and_b32_e32 v3, 0x80000000, v9
	v_lshlrev_b32_e32 v2, 20, v2
	v_lshl_add_u32 v4, v4, 23, v6
	v_or3_b32 v2, v3, v4, v2
.LBB10_508:
	s_or_b64 exec, exec, s[6:7]
	s_movk_i32 s4, 0x7f
	v_cmp_gt_i16_sdwa s[6:7], v5, s4 src0_sel:BYTE_3 src1_sel:DWORD
	s_mov_b64 s[4:5], 0
                                        ; implicit-def: $sgpr10
	s_and_saveexec_b64 s[8:9], s[6:7]
	s_xor_b64 s[6:7], exec, s[8:9]
	s_cbranch_execnz .LBB10_2557
; %bb.509:
	s_or_saveexec_b64 s[6:7], s[6:7]
	v_mov_b32_e32 v3, s10
	s_xor_b64 exec, exec, s[6:7]
	s_cbranch_execnz .LBB10_2560
.LBB10_510:
	s_or_b64 exec, exec, s[6:7]
	s_and_saveexec_b64 s[6:7], s[4:5]
	s_cbranch_execz .LBB10_512
.LBB10_511:
	v_bfe_u32 v3, v5, 24, 3
	v_ffbh_u32_e32 v8, v3
	v_min_u32_e32 v8, 32, v8
	v_lshrrev_b32_e32 v6, 27, v5
	v_subrev_u32_e32 v9, 28, v8
	v_and_b32_e32 v4, 0x80000000, v5
	v_and_b32_e32 v6, 15, v6
	v_bfe_u32 v7, v5, 27, 4
	v_lshlrev_b32_sdwa v5, v9, v5 dst_sel:DWORD dst_unused:UNUSED_PAD src0_sel:DWORD src1_sel:BYTE_3
	v_sub_u32_e32 v8, 29, v8
	v_and_b32_e32 v5, 7, v5
	v_cmp_eq_u16_e32 vcc, 0, v6
	v_cndmask_b32_e32 v3, v3, v5, vcc
	v_cndmask_b32_e32 v5, v7, v8, vcc
	v_mov_b32_e32 v6, 0x3b800000
	v_lshlrev_b32_e32 v3, 20, v3
	v_lshl_add_u32 v5, v5, 23, v6
	v_or3_b32 v3, v4, v5, v3
.LBB10_512:
	s_or_b64 exec, exec, s[6:7]
	s_nop 0
	v_mfma_f32_16x16x4f32 a[0:3], v2, v3, a[0:3]
	s_movk_i32 s4, 0x7f
                                        ; implicit-def: $sgpr10
	s_nop 7
	s_nop 1
	flat_store_dwordx4 v[10:11], a[0:3] offset:48
	flat_load_dwordx4 v[12:15], v[0:1] offset:8
	s_nop 0
	flat_load_dwordx2 v[10:11], v[0:1] offset:32
	s_waitcnt vmcnt(0) lgkmcnt(0)
	flat_load_dwordx4 v[6:9], v[12:13] offset:32
	flat_load_dwordx4 v[2:5], v[14:15]
	s_waitcnt vmcnt(0) lgkmcnt(0)
	v_cmp_gt_i16_sdwa s[6:7], v6, s4 src0_sel:BYTE_0 src1_sel:DWORD
	s_mov_b64 s[4:5], 0
	s_and_saveexec_b64 s[8:9], s[6:7]
	s_xor_b64 s[6:7], exec, s[8:9]
	s_cbranch_execnz .LBB10_2561
; %bb.513:
	s_or_saveexec_b64 s[6:7], s[6:7]
	v_mov_b32_e32 v12, s10
	s_xor_b64 exec, exec, s[6:7]
	s_cbranch_execnz .LBB10_2564
.LBB10_514:
	s_or_b64 exec, exec, s[6:7]
	s_and_saveexec_b64 s[6:7], s[4:5]
	s_cbranch_execz .LBB10_516
.LBB10_515:
	v_and_b32_e32 v12, 7, v6
	v_ffbh_u32_e32 v14, v12
	v_min_u32_e32 v14, 32, v14
	v_lshrrev_b16_e32 v13, 3, v6
	v_subrev_u32_e32 v15, 28, v14
	v_and_b32_e32 v13, 15, v13
	v_lshlrev_b32_e32 v15, v15, v6
	v_sub_u32_e32 v14, 29, v14
	v_and_b32_e32 v15, 7, v15
	v_cmp_eq_u16_e32 vcc, 0, v13
	v_cndmask_b32_e32 v12, v12, v15, vcc
	v_cndmask_b32_e32 v13, v13, v14, vcc
	v_lshlrev_b32_e32 v14, 24, v6
	v_mov_b32_e32 v15, 0x3b800000
	v_lshlrev_b32_e32 v12, 20, v12
	v_and_b32_e32 v14, 0x80000000, v14
	v_lshl_add_u32 v13, v13, 23, v15
	v_or3_b32 v12, v14, v13, v12
.LBB10_516:
	s_or_b64 exec, exec, s[6:7]
	s_movk_i32 s4, 0x7f
	v_cmp_gt_i16_sdwa s[6:7], v2, s4 src0_sel:BYTE_0 src1_sel:DWORD
	s_mov_b64 s[4:5], 0
                                        ; implicit-def: $sgpr10
	s_and_saveexec_b64 s[8:9], s[6:7]
	s_xor_b64 s[6:7], exec, s[8:9]
	s_cbranch_execnz .LBB10_2565
; %bb.517:
	s_or_saveexec_b64 s[6:7], s[6:7]
	v_mov_b32_e32 v13, s10
	s_xor_b64 exec, exec, s[6:7]
	s_cbranch_execnz .LBB10_2568
.LBB10_518:
	s_or_b64 exec, exec, s[6:7]
	s_and_saveexec_b64 s[6:7], s[4:5]
	s_cbranch_execz .LBB10_520
.LBB10_519:
	v_and_b32_e32 v13, 7, v2
	v_ffbh_u32_e32 v15, v13
	v_min_u32_e32 v15, 32, v15
	v_lshrrev_b16_e32 v14, 3, v2
	v_subrev_u32_e32 v16, 28, v15
	v_and_b32_e32 v14, 15, v14
	v_lshlrev_b32_e32 v16, v16, v2
	v_sub_u32_e32 v15, 29, v15
	v_and_b32_e32 v16, 7, v16
	v_cmp_eq_u16_e32 vcc, 0, v14
	v_cndmask_b32_e32 v13, v13, v16, vcc
	v_cndmask_b32_e32 v14, v14, v15, vcc
	v_lshlrev_b32_e32 v15, 24, v2
	v_mov_b32_e32 v16, 0x3b800000
	v_lshlrev_b32_e32 v13, 20, v13
	v_and_b32_e32 v15, 0x80000000, v15
	v_lshl_add_u32 v14, v14, 23, v16
	v_or3_b32 v13, v15, v14, v13
.LBB10_520:
	s_or_b64 exec, exec, s[6:7]
	flat_load_dwordx4 a[0:3], v[10:11] offset:64
	s_movk_i32 s4, 0x7f
                                        ; implicit-def: $sgpr10
	s_waitcnt vmcnt(0) lgkmcnt(0)
	v_mfma_f32_16x16x4f32 a[0:3], v12, v13, a[0:3]
	v_lshrrev_b32_e32 v13, 8, v6
	v_cmp_gt_i16_sdwa s[6:7], v13, s4 src0_sel:BYTE_0 src1_sel:DWORD
	s_mov_b64 s[4:5], 0
	s_and_saveexec_b64 s[8:9], s[6:7]
	s_xor_b64 s[6:7], exec, s[8:9]
	s_cbranch_execnz .LBB10_2569
; %bb.521:
	s_or_saveexec_b64 s[6:7], s[6:7]
	v_mov_b32_e32 v12, s10
	s_xor_b64 exec, exec, s[6:7]
	s_cbranch_execnz .LBB10_2572
.LBB10_522:
	s_or_b64 exec, exec, s[6:7]
	s_and_saveexec_b64 s[6:7], s[4:5]
	s_cbranch_execz .LBB10_524
.LBB10_523:
	v_bfe_u32 v12, v6, 8, 3
	v_ffbh_u32_e32 v15, v12
	v_min_u32_e32 v15, 32, v15
	v_lshrrev_b16_e32 v14, 3, v13
	v_subrev_u32_e32 v16, 28, v15
	v_and_b32_e32 v14, 15, v14
	v_lshlrev_b32_e32 v13, v16, v13
	v_sub_u32_e32 v15, 29, v15
	v_and_b32_e32 v13, 7, v13
	v_cmp_eq_u16_e32 vcc, 0, v14
	v_cndmask_b32_e32 v12, v12, v13, vcc
	v_cndmask_b32_e32 v13, v14, v15, vcc
	v_lshlrev_b32_e32 v14, 16, v6
	v_mov_b32_e32 v15, 0x3b800000
	v_lshlrev_b32_e32 v12, 20, v12
	v_and_b32_e32 v14, 0x80000000, v14
	v_lshl_add_u32 v13, v13, 23, v15
	v_or3_b32 v12, v14, v13, v12
.LBB10_524:
	s_or_b64 exec, exec, s[6:7]
	v_lshrrev_b32_e32 v13, 8, v2
	s_movk_i32 s4, 0x7f
	v_cmp_gt_i16_sdwa s[6:7], v13, s4 src0_sel:BYTE_0 src1_sel:DWORD
	s_mov_b64 s[4:5], 0
                                        ; implicit-def: $sgpr10
	s_and_saveexec_b64 s[8:9], s[6:7]
	s_xor_b64 s[6:7], exec, s[8:9]
	s_cbranch_execnz .LBB10_2573
; %bb.525:
	s_or_saveexec_b64 s[6:7], s[6:7]
	v_mov_b32_e32 v14, s10
	s_xor_b64 exec, exec, s[6:7]
	s_cbranch_execnz .LBB10_2576
.LBB10_526:
	s_or_b64 exec, exec, s[6:7]
	s_and_saveexec_b64 s[6:7], s[4:5]
	s_cbranch_execz .LBB10_528
.LBB10_527:
	v_bfe_u32 v14, v2, 8, 3
	v_ffbh_u32_e32 v16, v14
	v_min_u32_e32 v16, 32, v16
	v_lshrrev_b16_e32 v15, 3, v13
	v_subrev_u32_e32 v17, 28, v16
	v_and_b32_e32 v15, 15, v15
	v_lshlrev_b32_e32 v13, v17, v13
	v_sub_u32_e32 v16, 29, v16
	v_and_b32_e32 v13, 7, v13
	v_cmp_eq_u16_e32 vcc, 0, v15
	v_cndmask_b32_e32 v13, v14, v13, vcc
	v_cndmask_b32_e32 v14, v15, v16, vcc
	v_lshlrev_b32_e32 v15, 16, v2
	v_mov_b32_e32 v16, 0x3b800000
	v_lshlrev_b32_e32 v13, 20, v13
	v_and_b32_e32 v15, 0x80000000, v15
	v_lshl_add_u32 v14, v14, 23, v16
	v_or3_b32 v14, v15, v14, v13
.LBB10_528:
	s_or_b64 exec, exec, s[6:7]
	s_nop 0
	v_mfma_f32_16x16x4f32 a[0:3], v12, v14, a[0:3]
	s_movk_i32 s4, 0xff
	v_and_b32_sdwa v13, v6, s4 dst_sel:DWORD dst_unused:UNUSED_PAD src0_sel:WORD_1 src1_sel:DWORD
	s_movk_i32 s4, 0x7f
	v_cmp_lt_i16_e32 vcc, s4, v13
	s_mov_b64 s[4:5], 0
                                        ; implicit-def: $sgpr10
	s_and_saveexec_b64 s[6:7], vcc
	s_xor_b64 s[6:7], exec, s[6:7]
	s_cbranch_execnz .LBB10_2577
; %bb.529:
	s_or_saveexec_b64 s[6:7], s[6:7]
	v_mov_b32_e32 v12, s10
	s_xor_b64 exec, exec, s[6:7]
	s_cbranch_execnz .LBB10_2580
.LBB10_530:
	s_or_b64 exec, exec, s[6:7]
	s_and_saveexec_b64 s[6:7], s[4:5]
	s_cbranch_execz .LBB10_532
.LBB10_531:
	v_bfe_u32 v12, v6, 16, 3
	v_ffbh_u32_e32 v15, v12
	v_min_u32_e32 v15, 32, v15
	v_lshrrev_b32_e32 v13, 19, v6
	v_subrev_u32_e32 v16, 28, v15
	v_and_b32_e32 v13, 15, v13
	v_lshlrev_b32_sdwa v16, v16, v6 dst_sel:DWORD dst_unused:UNUSED_PAD src0_sel:DWORD src1_sel:WORD_1
	v_bfe_u32 v14, v6, 19, 4
	v_sub_u32_e32 v15, 29, v15
	v_and_b32_e32 v16, 7, v16
	v_cmp_eq_u16_e32 vcc, 0, v13
	v_cndmask_b32_e32 v12, v12, v16, vcc
	v_cndmask_b32_e32 v13, v14, v15, vcc
	v_lshlrev_b32_e32 v14, 8, v6
	v_mov_b32_e32 v15, 0x3b800000
	v_lshlrev_b32_e32 v12, 20, v12
	v_and_b32_e32 v14, 0x80000000, v14
	v_lshl_add_u32 v13, v13, 23, v15
	v_or3_b32 v12, v14, v13, v12
.LBB10_532:
	s_or_b64 exec, exec, s[6:7]
	s_movk_i32 s4, 0xff
	v_and_b32_sdwa v13, v2, s4 dst_sel:DWORD dst_unused:UNUSED_PAD src0_sel:WORD_1 src1_sel:DWORD
	s_movk_i32 s4, 0x7f
	v_cmp_lt_i16_e32 vcc, s4, v13
	s_mov_b64 s[4:5], 0
                                        ; implicit-def: $sgpr10
	s_and_saveexec_b64 s[6:7], vcc
	s_xor_b64 s[6:7], exec, s[6:7]
	s_cbranch_execnz .LBB10_2581
; %bb.533:
	s_or_saveexec_b64 s[6:7], s[6:7]
	v_mov_b32_e32 v14, s10
	s_xor_b64 exec, exec, s[6:7]
	s_cbranch_execnz .LBB10_2584
.LBB10_534:
	s_or_b64 exec, exec, s[6:7]
	s_and_saveexec_b64 s[6:7], s[4:5]
	s_cbranch_execz .LBB10_536
.LBB10_535:
	v_bfe_u32 v13, v2, 16, 3
	v_ffbh_u32_e32 v16, v13
	v_min_u32_e32 v16, 32, v16
	v_lshrrev_b32_e32 v14, 19, v2
	v_subrev_u32_e32 v17, 28, v16
	v_and_b32_e32 v14, 15, v14
	v_lshlrev_b32_sdwa v17, v17, v2 dst_sel:DWORD dst_unused:UNUSED_PAD src0_sel:DWORD src1_sel:WORD_1
	v_bfe_u32 v15, v2, 19, 4
	v_sub_u32_e32 v16, 29, v16
	v_and_b32_e32 v17, 7, v17
	v_cmp_eq_u16_e32 vcc, 0, v14
	v_cndmask_b32_e32 v13, v13, v17, vcc
	v_cndmask_b32_e32 v14, v15, v16, vcc
	v_lshlrev_b32_e32 v15, 8, v2
	v_mov_b32_e32 v16, 0x3b800000
	v_lshlrev_b32_e32 v13, 20, v13
	v_and_b32_e32 v15, 0x80000000, v15
	v_lshl_add_u32 v14, v14, 23, v16
	v_or3_b32 v14, v15, v14, v13
.LBB10_536:
	s_or_b64 exec, exec, s[6:7]
	s_nop 0
	v_mfma_f32_16x16x4f32 a[0:3], v12, v14, a[0:3]
	s_movk_i32 s4, 0x7f
	v_cmp_gt_i16_sdwa s[6:7], v6, s4 src0_sel:BYTE_3 src1_sel:DWORD
	s_mov_b64 s[4:5], 0
                                        ; implicit-def: $sgpr10
	s_and_saveexec_b64 s[8:9], s[6:7]
	s_xor_b64 s[6:7], exec, s[8:9]
	s_cbranch_execnz .LBB10_2585
; %bb.537:
	s_or_saveexec_b64 s[6:7], s[6:7]
	v_mov_b32_e32 v12, s10
	s_xor_b64 exec, exec, s[6:7]
	s_cbranch_execnz .LBB10_2588
.LBB10_538:
	s_or_b64 exec, exec, s[6:7]
	s_and_saveexec_b64 s[6:7], s[4:5]
	s_cbranch_execz .LBB10_540
.LBB10_539:
	v_bfe_u32 v12, v6, 24, 3
	v_ffbh_u32_e32 v16, v12
	v_min_u32_e32 v16, 32, v16
	v_lshrrev_b32_e32 v14, 27, v6
	v_subrev_u32_e32 v17, 28, v16
	v_and_b32_e32 v13, 0x80000000, v6
	v_and_b32_e32 v14, 15, v14
	v_bfe_u32 v15, v6, 27, 4
	v_lshlrev_b32_sdwa v6, v17, v6 dst_sel:DWORD dst_unused:UNUSED_PAD src0_sel:DWORD src1_sel:BYTE_3
	v_sub_u32_e32 v16, 29, v16
	v_and_b32_e32 v6, 7, v6
	v_cmp_eq_u16_e32 vcc, 0, v14
	v_cndmask_b32_e32 v6, v12, v6, vcc
	v_cndmask_b32_e32 v12, v15, v16, vcc
	v_mov_b32_e32 v14, 0x3b800000
	v_lshlrev_b32_e32 v6, 20, v6
	v_lshl_add_u32 v12, v12, 23, v14
	v_or3_b32 v12, v13, v12, v6
.LBB10_540:
	s_or_b64 exec, exec, s[6:7]
	s_movk_i32 s4, 0x7f
	v_cmp_gt_i16_sdwa s[6:7], v2, s4 src0_sel:BYTE_3 src1_sel:DWORD
	s_mov_b64 s[4:5], 0
                                        ; implicit-def: $sgpr10
	s_and_saveexec_b64 s[8:9], s[6:7]
	s_xor_b64 s[6:7], exec, s[8:9]
	s_cbranch_execnz .LBB10_2589
; %bb.541:
	s_or_saveexec_b64 s[6:7], s[6:7]
	v_mov_b32_e32 v6, s10
	s_xor_b64 exec, exec, s[6:7]
	s_cbranch_execnz .LBB10_2592
.LBB10_542:
	s_or_b64 exec, exec, s[6:7]
	s_and_saveexec_b64 s[6:7], s[4:5]
	s_cbranch_execz .LBB10_544
.LBB10_543:
	v_bfe_u32 v6, v2, 24, 3
	v_ffbh_u32_e32 v16, v6
	v_min_u32_e32 v16, 32, v16
	v_lshrrev_b32_e32 v14, 27, v2
	v_subrev_u32_e32 v17, 28, v16
	v_and_b32_e32 v13, 0x80000000, v2
	v_and_b32_e32 v14, 15, v14
	v_bfe_u32 v15, v2, 27, 4
	v_lshlrev_b32_sdwa v2, v17, v2 dst_sel:DWORD dst_unused:UNUSED_PAD src0_sel:DWORD src1_sel:BYTE_3
	v_sub_u32_e32 v16, 29, v16
	v_and_b32_e32 v2, 7, v2
	v_cmp_eq_u16_e32 vcc, 0, v14
	v_cndmask_b32_e32 v2, v6, v2, vcc
	v_cndmask_b32_e32 v6, v15, v16, vcc
	v_mov_b32_e32 v14, 0x3b800000
	v_lshlrev_b32_e32 v2, 20, v2
	v_lshl_add_u32 v6, v6, 23, v14
	v_or3_b32 v6, v13, v6, v2
.LBB10_544:
	s_or_b64 exec, exec, s[6:7]
	s_nop 0
	v_mfma_f32_16x16x4f32 a[0:3], v12, v6, a[0:3]
	s_movk_i32 s4, 0x7f
	v_cmp_gt_i16_sdwa s[6:7], v7, s4 src0_sel:BYTE_0 src1_sel:DWORD
	s_mov_b64 s[4:5], 0
                                        ; implicit-def: $sgpr10
	s_and_saveexec_b64 s[8:9], s[6:7]
	s_xor_b64 s[6:7], exec, s[8:9]
	s_cbranch_execnz .LBB10_2593
; %bb.545:
	s_or_saveexec_b64 s[6:7], s[6:7]
	v_mov_b32_e32 v2, s10
	s_xor_b64 exec, exec, s[6:7]
	s_cbranch_execnz .LBB10_2596
.LBB10_546:
	s_or_b64 exec, exec, s[6:7]
	s_and_saveexec_b64 s[6:7], s[4:5]
	s_cbranch_execz .LBB10_548
.LBB10_547:
	v_and_b32_e32 v2, 7, v7
	v_ffbh_u32_e32 v12, v2
	v_min_u32_e32 v12, 32, v12
	v_lshrrev_b16_e32 v6, 3, v7
	v_subrev_u32_e32 v13, 28, v12
	v_and_b32_e32 v6, 15, v6
	v_lshlrev_b32_e32 v13, v13, v7
	v_sub_u32_e32 v12, 29, v12
	v_and_b32_e32 v13, 7, v13
	v_cmp_eq_u16_e32 vcc, 0, v6
	v_cndmask_b32_e32 v2, v2, v13, vcc
	v_cndmask_b32_e32 v6, v6, v12, vcc
	v_lshlrev_b32_e32 v12, 24, v7
	v_mov_b32_e32 v13, 0x3b800000
	v_lshlrev_b32_e32 v2, 20, v2
	v_and_b32_e32 v12, 0x80000000, v12
	v_lshl_add_u32 v6, v6, 23, v13
	v_or3_b32 v2, v12, v6, v2
.LBB10_548:
	s_or_b64 exec, exec, s[6:7]
	s_movk_i32 s4, 0x7f
	v_cmp_gt_i16_sdwa s[6:7], v3, s4 src0_sel:BYTE_0 src1_sel:DWORD
	s_mov_b64 s[4:5], 0
                                        ; implicit-def: $sgpr10
	s_and_saveexec_b64 s[8:9], s[6:7]
	s_xor_b64 s[6:7], exec, s[8:9]
	s_cbranch_execnz .LBB10_2597
; %bb.549:
	s_or_saveexec_b64 s[6:7], s[6:7]
	v_mov_b32_e32 v6, s10
	s_xor_b64 exec, exec, s[6:7]
	s_cbranch_execnz .LBB10_2600
.LBB10_550:
	s_or_b64 exec, exec, s[6:7]
	s_and_saveexec_b64 s[6:7], s[4:5]
	s_cbranch_execz .LBB10_552
.LBB10_551:
	v_and_b32_e32 v6, 7, v3
	v_ffbh_u32_e32 v13, v6
	v_min_u32_e32 v13, 32, v13
	v_lshrrev_b16_e32 v12, 3, v3
	v_subrev_u32_e32 v14, 28, v13
	v_and_b32_e32 v12, 15, v12
	v_lshlrev_b32_e32 v14, v14, v3
	v_sub_u32_e32 v13, 29, v13
	v_and_b32_e32 v14, 7, v14
	v_cmp_eq_u16_e32 vcc, 0, v12
	v_cndmask_b32_e32 v6, v6, v14, vcc
	v_cndmask_b32_e32 v12, v12, v13, vcc
	v_lshlrev_b32_e32 v13, 24, v3
	v_mov_b32_e32 v14, 0x3b800000
	v_lshlrev_b32_e32 v6, 20, v6
	v_and_b32_e32 v13, 0x80000000, v13
	v_lshl_add_u32 v12, v12, 23, v14
	v_or3_b32 v6, v13, v12, v6
.LBB10_552:
	s_or_b64 exec, exec, s[6:7]
	s_nop 0
	v_mfma_f32_16x16x4f32 a[0:3], v2, v6, a[0:3]
	v_lshrrev_b32_e32 v6, 8, v7
	s_movk_i32 s4, 0x7f
	v_cmp_gt_i16_sdwa s[6:7], v6, s4 src0_sel:BYTE_0 src1_sel:DWORD
	s_mov_b64 s[4:5], 0
                                        ; implicit-def: $sgpr10
	s_and_saveexec_b64 s[8:9], s[6:7]
	s_xor_b64 s[6:7], exec, s[8:9]
	s_cbranch_execnz .LBB10_2601
; %bb.553:
	s_or_saveexec_b64 s[6:7], s[6:7]
	v_mov_b32_e32 v2, s10
	s_xor_b64 exec, exec, s[6:7]
	s_cbranch_execnz .LBB10_2604
.LBB10_554:
	s_or_b64 exec, exec, s[6:7]
	s_and_saveexec_b64 s[6:7], s[4:5]
	s_cbranch_execz .LBB10_556
.LBB10_555:
	v_bfe_u32 v2, v7, 8, 3
	v_ffbh_u32_e32 v13, v2
	v_min_u32_e32 v13, 32, v13
	v_lshrrev_b16_e32 v12, 3, v6
	v_subrev_u32_e32 v14, 28, v13
	v_and_b32_e32 v12, 15, v12
	v_lshlrev_b32_e32 v6, v14, v6
	v_sub_u32_e32 v13, 29, v13
	v_and_b32_e32 v6, 7, v6
	v_cmp_eq_u16_e32 vcc, 0, v12
	v_cndmask_b32_e32 v2, v2, v6, vcc
	v_cndmask_b32_e32 v6, v12, v13, vcc
	v_lshlrev_b32_e32 v12, 16, v7
	v_mov_b32_e32 v13, 0x3b800000
	v_lshlrev_b32_e32 v2, 20, v2
	v_and_b32_e32 v12, 0x80000000, v12
	v_lshl_add_u32 v6, v6, 23, v13
	v_or3_b32 v2, v12, v6, v2
.LBB10_556:
	s_or_b64 exec, exec, s[6:7]
	v_lshrrev_b32_e32 v6, 8, v3
	s_movk_i32 s4, 0x7f
	v_cmp_gt_i16_sdwa s[6:7], v6, s4 src0_sel:BYTE_0 src1_sel:DWORD
	s_mov_b64 s[4:5], 0
                                        ; implicit-def: $sgpr10
	s_and_saveexec_b64 s[8:9], s[6:7]
	s_xor_b64 s[6:7], exec, s[8:9]
	s_cbranch_execnz .LBB10_2605
; %bb.557:
	s_or_saveexec_b64 s[6:7], s[6:7]
	v_mov_b32_e32 v12, s10
	s_xor_b64 exec, exec, s[6:7]
	s_cbranch_execnz .LBB10_2608
.LBB10_558:
	s_or_b64 exec, exec, s[6:7]
	s_and_saveexec_b64 s[6:7], s[4:5]
	s_cbranch_execz .LBB10_560
.LBB10_559:
	v_bfe_u32 v12, v3, 8, 3
	v_ffbh_u32_e32 v14, v12
	v_min_u32_e32 v14, 32, v14
	v_lshrrev_b16_e32 v13, 3, v6
	v_subrev_u32_e32 v15, 28, v14
	v_and_b32_e32 v13, 15, v13
	v_lshlrev_b32_e32 v6, v15, v6
	v_sub_u32_e32 v14, 29, v14
	v_and_b32_e32 v6, 7, v6
	v_cmp_eq_u16_e32 vcc, 0, v13
	v_cndmask_b32_e32 v6, v12, v6, vcc
	v_cndmask_b32_e32 v12, v13, v14, vcc
	v_lshlrev_b32_e32 v13, 16, v3
	v_mov_b32_e32 v14, 0x3b800000
	v_lshlrev_b32_e32 v6, 20, v6
	v_and_b32_e32 v13, 0x80000000, v13
	v_lshl_add_u32 v12, v12, 23, v14
	v_or3_b32 v12, v13, v12, v6
.LBB10_560:
	s_or_b64 exec, exec, s[6:7]
	s_nop 0
	v_mfma_f32_16x16x4f32 a[0:3], v2, v12, a[0:3]
	s_movk_i32 s4, 0xff
	v_and_b32_sdwa v6, v7, s4 dst_sel:DWORD dst_unused:UNUSED_PAD src0_sel:WORD_1 src1_sel:DWORD
	s_movk_i32 s4, 0x7f
	v_cmp_lt_i16_e32 vcc, s4, v6
	s_mov_b64 s[4:5], 0
                                        ; implicit-def: $sgpr10
	s_and_saveexec_b64 s[6:7], vcc
	s_xor_b64 s[6:7], exec, s[6:7]
	s_cbranch_execnz .LBB10_2609
; %bb.561:
	s_or_saveexec_b64 s[6:7], s[6:7]
	v_mov_b32_e32 v2, s10
	s_xor_b64 exec, exec, s[6:7]
	s_cbranch_execnz .LBB10_2612
.LBB10_562:
	s_or_b64 exec, exec, s[6:7]
	s_and_saveexec_b64 s[6:7], s[4:5]
	s_cbranch_execz .LBB10_564
.LBB10_563:
	v_bfe_u32 v2, v7, 16, 3
	v_ffbh_u32_e32 v13, v2
	v_min_u32_e32 v13, 32, v13
	v_lshrrev_b32_e32 v6, 19, v7
	v_subrev_u32_e32 v14, 28, v13
	v_and_b32_e32 v6, 15, v6
	v_lshlrev_b32_sdwa v14, v14, v7 dst_sel:DWORD dst_unused:UNUSED_PAD src0_sel:DWORD src1_sel:WORD_1
	v_bfe_u32 v12, v7, 19, 4
	v_sub_u32_e32 v13, 29, v13
	v_and_b32_e32 v14, 7, v14
	v_cmp_eq_u16_e32 vcc, 0, v6
	v_cndmask_b32_e32 v2, v2, v14, vcc
	v_cndmask_b32_e32 v6, v12, v13, vcc
	v_lshlrev_b32_e32 v12, 8, v7
	v_mov_b32_e32 v13, 0x3b800000
	v_lshlrev_b32_e32 v2, 20, v2
	v_and_b32_e32 v12, 0x80000000, v12
	v_lshl_add_u32 v6, v6, 23, v13
	v_or3_b32 v2, v12, v6, v2
.LBB10_564:
	s_or_b64 exec, exec, s[6:7]
	s_movk_i32 s4, 0xff
	v_and_b32_sdwa v6, v3, s4 dst_sel:DWORD dst_unused:UNUSED_PAD src0_sel:WORD_1 src1_sel:DWORD
	s_movk_i32 s4, 0x7f
	v_cmp_lt_i16_e32 vcc, s4, v6
	s_mov_b64 s[4:5], 0
                                        ; implicit-def: $sgpr10
	s_and_saveexec_b64 s[6:7], vcc
	s_xor_b64 s[6:7], exec, s[6:7]
	s_cbranch_execnz .LBB10_2613
; %bb.565:
	s_or_saveexec_b64 s[6:7], s[6:7]
	v_mov_b32_e32 v12, s10
	s_xor_b64 exec, exec, s[6:7]
	s_cbranch_execnz .LBB10_2616
.LBB10_566:
	s_or_b64 exec, exec, s[6:7]
	s_and_saveexec_b64 s[6:7], s[4:5]
	s_cbranch_execz .LBB10_568
.LBB10_567:
	v_bfe_u32 v6, v3, 16, 3
	v_ffbh_u32_e32 v14, v6
	v_min_u32_e32 v14, 32, v14
	v_lshrrev_b32_e32 v12, 19, v3
	v_subrev_u32_e32 v15, 28, v14
	v_and_b32_e32 v12, 15, v12
	v_lshlrev_b32_sdwa v15, v15, v3 dst_sel:DWORD dst_unused:UNUSED_PAD src0_sel:DWORD src1_sel:WORD_1
	v_bfe_u32 v13, v3, 19, 4
	v_sub_u32_e32 v14, 29, v14
	v_and_b32_e32 v15, 7, v15
	v_cmp_eq_u16_e32 vcc, 0, v12
	v_cndmask_b32_e32 v6, v6, v15, vcc
	v_cndmask_b32_e32 v12, v13, v14, vcc
	v_lshlrev_b32_e32 v13, 8, v3
	v_mov_b32_e32 v14, 0x3b800000
	v_lshlrev_b32_e32 v6, 20, v6
	v_and_b32_e32 v13, 0x80000000, v13
	v_lshl_add_u32 v12, v12, 23, v14
	v_or3_b32 v12, v13, v12, v6
.LBB10_568:
	s_or_b64 exec, exec, s[6:7]
	s_nop 0
	v_mfma_f32_16x16x4f32 a[0:3], v2, v12, a[0:3]
	s_movk_i32 s4, 0x7f
	v_cmp_gt_i16_sdwa s[6:7], v7, s4 src0_sel:BYTE_3 src1_sel:DWORD
	s_mov_b64 s[4:5], 0
                                        ; implicit-def: $sgpr10
	s_and_saveexec_b64 s[8:9], s[6:7]
	s_xor_b64 s[6:7], exec, s[8:9]
	s_cbranch_execnz .LBB10_2617
; %bb.569:
	s_or_saveexec_b64 s[6:7], s[6:7]
	v_mov_b32_e32 v2, s10
	s_xor_b64 exec, exec, s[6:7]
	s_cbranch_execnz .LBB10_2620
.LBB10_570:
	s_or_b64 exec, exec, s[6:7]
	s_and_saveexec_b64 s[6:7], s[4:5]
	s_cbranch_execz .LBB10_572
.LBB10_571:
	v_bfe_u32 v2, v7, 24, 3
	v_ffbh_u32_e32 v14, v2
	v_min_u32_e32 v14, 32, v14
	v_lshrrev_b32_e32 v12, 27, v7
	v_subrev_u32_e32 v15, 28, v14
	v_and_b32_e32 v6, 0x80000000, v7
	v_and_b32_e32 v12, 15, v12
	v_bfe_u32 v13, v7, 27, 4
	v_lshlrev_b32_sdwa v7, v15, v7 dst_sel:DWORD dst_unused:UNUSED_PAD src0_sel:DWORD src1_sel:BYTE_3
	v_sub_u32_e32 v14, 29, v14
	v_and_b32_e32 v7, 7, v7
	v_cmp_eq_u16_e32 vcc, 0, v12
	v_cndmask_b32_e32 v2, v2, v7, vcc
	v_cndmask_b32_e32 v7, v13, v14, vcc
	v_mov_b32_e32 v12, 0x3b800000
	v_lshlrev_b32_e32 v2, 20, v2
	v_lshl_add_u32 v7, v7, 23, v12
	v_or3_b32 v2, v6, v7, v2
.LBB10_572:
	s_or_b64 exec, exec, s[6:7]
	s_movk_i32 s4, 0x7f
	v_cmp_gt_i16_sdwa s[6:7], v3, s4 src0_sel:BYTE_3 src1_sel:DWORD
	s_mov_b64 s[4:5], 0
                                        ; implicit-def: $sgpr10
	s_and_saveexec_b64 s[8:9], s[6:7]
	s_xor_b64 s[6:7], exec, s[8:9]
	s_cbranch_execnz .LBB10_2621
; %bb.573:
	s_or_saveexec_b64 s[6:7], s[6:7]
	v_mov_b32_e32 v6, s10
	s_xor_b64 exec, exec, s[6:7]
	s_cbranch_execnz .LBB10_2624
.LBB10_574:
	s_or_b64 exec, exec, s[6:7]
	s_and_saveexec_b64 s[6:7], s[4:5]
	s_cbranch_execz .LBB10_576
.LBB10_575:
	v_bfe_u32 v6, v3, 24, 3
	v_ffbh_u32_e32 v14, v6
	v_min_u32_e32 v14, 32, v14
	v_lshrrev_b32_e32 v12, 27, v3
	v_subrev_u32_e32 v15, 28, v14
	v_and_b32_e32 v7, 0x80000000, v3
	v_and_b32_e32 v12, 15, v12
	v_bfe_u32 v13, v3, 27, 4
	v_lshlrev_b32_sdwa v3, v15, v3 dst_sel:DWORD dst_unused:UNUSED_PAD src0_sel:DWORD src1_sel:BYTE_3
	v_sub_u32_e32 v14, 29, v14
	v_and_b32_e32 v3, 7, v3
	v_cmp_eq_u16_e32 vcc, 0, v12
	v_cndmask_b32_e32 v3, v6, v3, vcc
	v_cndmask_b32_e32 v6, v13, v14, vcc
	v_mov_b32_e32 v12, 0x3b800000
	v_lshlrev_b32_e32 v3, 20, v3
	v_lshl_add_u32 v6, v6, 23, v12
	v_or3_b32 v6, v7, v6, v3
.LBB10_576:
	s_or_b64 exec, exec, s[6:7]
	s_nop 0
	v_mfma_f32_16x16x4f32 a[0:3], v2, v6, a[0:3]
	s_movk_i32 s4, 0x7f
	v_cmp_gt_i16_sdwa s[6:7], v8, s4 src0_sel:BYTE_0 src1_sel:DWORD
	s_mov_b64 s[4:5], 0
                                        ; implicit-def: $sgpr10
	s_and_saveexec_b64 s[8:9], s[6:7]
	s_xor_b64 s[6:7], exec, s[8:9]
	s_cbranch_execnz .LBB10_2625
; %bb.577:
	s_or_saveexec_b64 s[6:7], s[6:7]
	v_mov_b32_e32 v2, s10
	s_xor_b64 exec, exec, s[6:7]
	s_cbranch_execnz .LBB10_2628
.LBB10_578:
	s_or_b64 exec, exec, s[6:7]
	s_and_saveexec_b64 s[6:7], s[4:5]
	s_cbranch_execz .LBB10_580
.LBB10_579:
	v_and_b32_e32 v2, 7, v8
	v_ffbh_u32_e32 v6, v2
	v_min_u32_e32 v6, 32, v6
	v_lshrrev_b16_e32 v3, 3, v8
	v_subrev_u32_e32 v7, 28, v6
	v_and_b32_e32 v3, 15, v3
	v_lshlrev_b32_e32 v7, v7, v8
	v_sub_u32_e32 v6, 29, v6
	v_and_b32_e32 v7, 7, v7
	v_cmp_eq_u16_e32 vcc, 0, v3
	v_cndmask_b32_e32 v2, v2, v7, vcc
	v_cndmask_b32_e32 v3, v3, v6, vcc
	v_lshlrev_b32_e32 v6, 24, v8
	v_mov_b32_e32 v7, 0x3b800000
	v_lshlrev_b32_e32 v2, 20, v2
	v_and_b32_e32 v6, 0x80000000, v6
	v_lshl_add_u32 v3, v3, 23, v7
	v_or3_b32 v2, v6, v3, v2
.LBB10_580:
	s_or_b64 exec, exec, s[6:7]
	s_movk_i32 s4, 0x7f
	v_cmp_gt_i16_sdwa s[6:7], v4, s4 src0_sel:BYTE_0 src1_sel:DWORD
	s_mov_b64 s[4:5], 0
                                        ; implicit-def: $sgpr10
	s_and_saveexec_b64 s[8:9], s[6:7]
	s_xor_b64 s[6:7], exec, s[8:9]
	s_cbranch_execnz .LBB10_2629
; %bb.581:
	s_or_saveexec_b64 s[6:7], s[6:7]
	v_mov_b32_e32 v3, s10
	s_xor_b64 exec, exec, s[6:7]
	s_cbranch_execnz .LBB10_2632
.LBB10_582:
	s_or_b64 exec, exec, s[6:7]
	s_and_saveexec_b64 s[6:7], s[4:5]
	s_cbranch_execz .LBB10_584
.LBB10_583:
	v_and_b32_e32 v3, 7, v4
	v_ffbh_u32_e32 v7, v3
	v_min_u32_e32 v7, 32, v7
	v_lshrrev_b16_e32 v6, 3, v4
	v_subrev_u32_e32 v12, 28, v7
	v_and_b32_e32 v6, 15, v6
	v_lshlrev_b32_e32 v12, v12, v4
	v_sub_u32_e32 v7, 29, v7
	v_and_b32_e32 v12, 7, v12
	v_cmp_eq_u16_e32 vcc, 0, v6
	v_cndmask_b32_e32 v3, v3, v12, vcc
	v_cndmask_b32_e32 v6, v6, v7, vcc
	v_lshlrev_b32_e32 v7, 24, v4
	v_mov_b32_e32 v12, 0x3b800000
	v_lshlrev_b32_e32 v3, 20, v3
	v_and_b32_e32 v7, 0x80000000, v7
	v_lshl_add_u32 v6, v6, 23, v12
	v_or3_b32 v3, v7, v6, v3
.LBB10_584:
	s_or_b64 exec, exec, s[6:7]
	s_nop 0
	v_mfma_f32_16x16x4f32 a[0:3], v2, v3, a[0:3]
	v_lshrrev_b32_e32 v3, 8, v8
	s_movk_i32 s4, 0x7f
	v_cmp_gt_i16_sdwa s[6:7], v3, s4 src0_sel:BYTE_0 src1_sel:DWORD
	s_mov_b64 s[4:5], 0
                                        ; implicit-def: $sgpr10
	s_and_saveexec_b64 s[8:9], s[6:7]
	s_xor_b64 s[6:7], exec, s[8:9]
	s_cbranch_execnz .LBB10_2633
; %bb.585:
	s_or_saveexec_b64 s[6:7], s[6:7]
	v_mov_b32_e32 v2, s10
	s_xor_b64 exec, exec, s[6:7]
	s_cbranch_execnz .LBB10_2636
.LBB10_586:
	s_or_b64 exec, exec, s[6:7]
	s_and_saveexec_b64 s[6:7], s[4:5]
	s_cbranch_execz .LBB10_588
.LBB10_587:
	v_bfe_u32 v2, v8, 8, 3
	v_ffbh_u32_e32 v7, v2
	v_min_u32_e32 v7, 32, v7
	v_lshrrev_b16_e32 v6, 3, v3
	v_subrev_u32_e32 v12, 28, v7
	v_and_b32_e32 v6, 15, v6
	v_lshlrev_b32_e32 v3, v12, v3
	v_sub_u32_e32 v7, 29, v7
	v_and_b32_e32 v3, 7, v3
	v_cmp_eq_u16_e32 vcc, 0, v6
	v_cndmask_b32_e32 v2, v2, v3, vcc
	v_cndmask_b32_e32 v3, v6, v7, vcc
	v_lshlrev_b32_e32 v6, 16, v8
	v_mov_b32_e32 v7, 0x3b800000
	v_lshlrev_b32_e32 v2, 20, v2
	v_and_b32_e32 v6, 0x80000000, v6
	v_lshl_add_u32 v3, v3, 23, v7
	v_or3_b32 v2, v6, v3, v2
.LBB10_588:
	s_or_b64 exec, exec, s[6:7]
	v_lshrrev_b32_e32 v3, 8, v4
	s_movk_i32 s4, 0x7f
	v_cmp_gt_i16_sdwa s[6:7], v3, s4 src0_sel:BYTE_0 src1_sel:DWORD
	s_mov_b64 s[4:5], 0
                                        ; implicit-def: $sgpr10
	s_and_saveexec_b64 s[8:9], s[6:7]
	s_xor_b64 s[6:7], exec, s[8:9]
	s_cbranch_execnz .LBB10_2637
; %bb.589:
	s_or_saveexec_b64 s[6:7], s[6:7]
	v_mov_b32_e32 v6, s10
	s_xor_b64 exec, exec, s[6:7]
	s_cbranch_execnz .LBB10_2640
.LBB10_590:
	s_or_b64 exec, exec, s[6:7]
	s_and_saveexec_b64 s[6:7], s[4:5]
	s_cbranch_execz .LBB10_592
.LBB10_591:
	v_bfe_u32 v6, v4, 8, 3
	v_ffbh_u32_e32 v12, v6
	v_min_u32_e32 v12, 32, v12
	v_lshrrev_b16_e32 v7, 3, v3
	v_subrev_u32_e32 v13, 28, v12
	v_and_b32_e32 v7, 15, v7
	v_lshlrev_b32_e32 v3, v13, v3
	v_sub_u32_e32 v12, 29, v12
	v_and_b32_e32 v3, 7, v3
	v_cmp_eq_u16_e32 vcc, 0, v7
	v_cndmask_b32_e32 v3, v6, v3, vcc
	v_cndmask_b32_e32 v6, v7, v12, vcc
	v_lshlrev_b32_e32 v7, 16, v4
	v_mov_b32_e32 v12, 0x3b800000
	v_lshlrev_b32_e32 v3, 20, v3
	v_and_b32_e32 v7, 0x80000000, v7
	v_lshl_add_u32 v6, v6, 23, v12
	v_or3_b32 v6, v7, v6, v3
.LBB10_592:
	s_or_b64 exec, exec, s[6:7]
	s_nop 0
	v_mfma_f32_16x16x4f32 a[0:3], v2, v6, a[0:3]
	s_movk_i32 s4, 0xff
	v_and_b32_sdwa v3, v8, s4 dst_sel:DWORD dst_unused:UNUSED_PAD src0_sel:WORD_1 src1_sel:DWORD
	s_movk_i32 s4, 0x7f
	v_cmp_lt_i16_e32 vcc, s4, v3
	s_mov_b64 s[4:5], 0
                                        ; implicit-def: $sgpr10
	s_and_saveexec_b64 s[6:7], vcc
	s_xor_b64 s[6:7], exec, s[6:7]
	s_cbranch_execnz .LBB10_2641
; %bb.593:
	s_or_saveexec_b64 s[6:7], s[6:7]
	v_mov_b32_e32 v2, s10
	s_xor_b64 exec, exec, s[6:7]
	s_cbranch_execnz .LBB10_2644
.LBB10_594:
	s_or_b64 exec, exec, s[6:7]
	s_and_saveexec_b64 s[6:7], s[4:5]
	s_cbranch_execz .LBB10_596
.LBB10_595:
	v_bfe_u32 v2, v8, 16, 3
	v_ffbh_u32_e32 v7, v2
	v_min_u32_e32 v7, 32, v7
	v_lshrrev_b32_e32 v3, 19, v8
	v_subrev_u32_e32 v12, 28, v7
	v_and_b32_e32 v3, 15, v3
	v_lshlrev_b32_sdwa v12, v12, v8 dst_sel:DWORD dst_unused:UNUSED_PAD src0_sel:DWORD src1_sel:WORD_1
	v_bfe_u32 v6, v8, 19, 4
	v_sub_u32_e32 v7, 29, v7
	v_and_b32_e32 v12, 7, v12
	v_cmp_eq_u16_e32 vcc, 0, v3
	v_cndmask_b32_e32 v2, v2, v12, vcc
	v_cndmask_b32_e32 v3, v6, v7, vcc
	v_lshlrev_b32_e32 v6, 8, v8
	v_mov_b32_e32 v7, 0x3b800000
	v_lshlrev_b32_e32 v2, 20, v2
	v_and_b32_e32 v6, 0x80000000, v6
	v_lshl_add_u32 v3, v3, 23, v7
	v_or3_b32 v2, v6, v3, v2
.LBB10_596:
	s_or_b64 exec, exec, s[6:7]
	s_movk_i32 s4, 0xff
	v_and_b32_sdwa v3, v4, s4 dst_sel:DWORD dst_unused:UNUSED_PAD src0_sel:WORD_1 src1_sel:DWORD
	s_movk_i32 s4, 0x7f
	v_cmp_lt_i16_e32 vcc, s4, v3
	s_mov_b64 s[4:5], 0
                                        ; implicit-def: $sgpr10
	s_and_saveexec_b64 s[6:7], vcc
	s_xor_b64 s[6:7], exec, s[6:7]
	s_cbranch_execnz .LBB10_2645
; %bb.597:
	s_or_saveexec_b64 s[6:7], s[6:7]
	v_mov_b32_e32 v6, s10
	s_xor_b64 exec, exec, s[6:7]
	s_cbranch_execnz .LBB10_2648
.LBB10_598:
	s_or_b64 exec, exec, s[6:7]
	s_and_saveexec_b64 s[6:7], s[4:5]
	s_cbranch_execz .LBB10_600
.LBB10_599:
	v_bfe_u32 v3, v4, 16, 3
	v_ffbh_u32_e32 v12, v3
	v_min_u32_e32 v12, 32, v12
	v_lshrrev_b32_e32 v6, 19, v4
	v_subrev_u32_e32 v13, 28, v12
	v_and_b32_e32 v6, 15, v6
	v_lshlrev_b32_sdwa v13, v13, v4 dst_sel:DWORD dst_unused:UNUSED_PAD src0_sel:DWORD src1_sel:WORD_1
	v_bfe_u32 v7, v4, 19, 4
	v_sub_u32_e32 v12, 29, v12
	v_and_b32_e32 v13, 7, v13
	v_cmp_eq_u16_e32 vcc, 0, v6
	v_cndmask_b32_e32 v3, v3, v13, vcc
	v_cndmask_b32_e32 v6, v7, v12, vcc
	v_lshlrev_b32_e32 v7, 8, v4
	v_mov_b32_e32 v12, 0x3b800000
	v_lshlrev_b32_e32 v3, 20, v3
	v_and_b32_e32 v7, 0x80000000, v7
	v_lshl_add_u32 v6, v6, 23, v12
	v_or3_b32 v6, v7, v6, v3
.LBB10_600:
	s_or_b64 exec, exec, s[6:7]
	s_nop 0
	v_mfma_f32_16x16x4f32 a[0:3], v2, v6, a[0:3]
	s_movk_i32 s4, 0x7f
	v_cmp_gt_i16_sdwa s[6:7], v8, s4 src0_sel:BYTE_3 src1_sel:DWORD
	s_mov_b64 s[4:5], 0
                                        ; implicit-def: $sgpr10
	s_and_saveexec_b64 s[8:9], s[6:7]
	s_xor_b64 s[6:7], exec, s[8:9]
	s_cbranch_execnz .LBB10_2649
; %bb.601:
	s_or_saveexec_b64 s[6:7], s[6:7]
	v_mov_b32_e32 v2, s10
	s_xor_b64 exec, exec, s[6:7]
	s_cbranch_execnz .LBB10_2652
.LBB10_602:
	s_or_b64 exec, exec, s[6:7]
	s_and_saveexec_b64 s[6:7], s[4:5]
	s_cbranch_execz .LBB10_604
.LBB10_603:
	v_bfe_u32 v2, v8, 24, 3
	v_ffbh_u32_e32 v12, v2
	v_min_u32_e32 v12, 32, v12
	v_lshrrev_b32_e32 v6, 27, v8
	v_subrev_u32_e32 v13, 28, v12
	v_and_b32_e32 v3, 0x80000000, v8
	v_and_b32_e32 v6, 15, v6
	v_bfe_u32 v7, v8, 27, 4
	v_lshlrev_b32_sdwa v8, v13, v8 dst_sel:DWORD dst_unused:UNUSED_PAD src0_sel:DWORD src1_sel:BYTE_3
	v_sub_u32_e32 v12, 29, v12
	v_and_b32_e32 v8, 7, v8
	v_cmp_eq_u16_e32 vcc, 0, v6
	v_cndmask_b32_e32 v2, v2, v8, vcc
	v_cndmask_b32_e32 v6, v7, v12, vcc
	v_mov_b32_e32 v7, 0x3b800000
	v_lshlrev_b32_e32 v2, 20, v2
	v_lshl_add_u32 v6, v6, 23, v7
	v_or3_b32 v2, v3, v6, v2
.LBB10_604:
	s_or_b64 exec, exec, s[6:7]
	s_movk_i32 s4, 0x7f
	v_cmp_gt_i16_sdwa s[6:7], v4, s4 src0_sel:BYTE_3 src1_sel:DWORD
	s_mov_b64 s[4:5], 0
                                        ; implicit-def: $sgpr10
	s_and_saveexec_b64 s[8:9], s[6:7]
	s_xor_b64 s[6:7], exec, s[8:9]
	s_cbranch_execnz .LBB10_2653
; %bb.605:
	s_or_saveexec_b64 s[6:7], s[6:7]
	v_mov_b32_e32 v3, s10
	s_xor_b64 exec, exec, s[6:7]
	s_cbranch_execnz .LBB10_2656
.LBB10_606:
	s_or_b64 exec, exec, s[6:7]
	s_and_saveexec_b64 s[6:7], s[4:5]
	s_cbranch_execz .LBB10_608
.LBB10_607:
	v_bfe_u32 v3, v4, 24, 3
	v_ffbh_u32_e32 v12, v3
	v_min_u32_e32 v12, 32, v12
	v_lshrrev_b32_e32 v7, 27, v4
	v_subrev_u32_e32 v13, 28, v12
	v_and_b32_e32 v6, 0x80000000, v4
	v_and_b32_e32 v7, 15, v7
	v_bfe_u32 v8, v4, 27, 4
	v_lshlrev_b32_sdwa v4, v13, v4 dst_sel:DWORD dst_unused:UNUSED_PAD src0_sel:DWORD src1_sel:BYTE_3
	v_sub_u32_e32 v12, 29, v12
	v_and_b32_e32 v4, 7, v4
	v_cmp_eq_u16_e32 vcc, 0, v7
	v_cndmask_b32_e32 v3, v3, v4, vcc
	v_cndmask_b32_e32 v4, v8, v12, vcc
	v_mov_b32_e32 v7, 0x3b800000
	v_lshlrev_b32_e32 v3, 20, v3
	v_lshl_add_u32 v4, v4, 23, v7
	v_or3_b32 v3, v6, v4, v3
.LBB10_608:
	s_or_b64 exec, exec, s[6:7]
	s_nop 0
	v_mfma_f32_16x16x4f32 a[0:3], v2, v3, a[0:3]
	s_movk_i32 s4, 0x7f
	v_cmp_gt_i16_sdwa s[6:7], v9, s4 src0_sel:BYTE_0 src1_sel:DWORD
	s_mov_b64 s[4:5], 0
                                        ; implicit-def: $sgpr10
	s_and_saveexec_b64 s[8:9], s[6:7]
	s_xor_b64 s[6:7], exec, s[8:9]
	s_cbranch_execnz .LBB10_2657
; %bb.609:
	s_or_saveexec_b64 s[6:7], s[6:7]
	v_mov_b32_e32 v2, s10
	s_xor_b64 exec, exec, s[6:7]
	s_cbranch_execnz .LBB10_2660
.LBB10_610:
	s_or_b64 exec, exec, s[6:7]
	s_and_saveexec_b64 s[6:7], s[4:5]
	s_cbranch_execz .LBB10_612
.LBB10_611:
	v_mov_b32_e32 v2, 8
	v_and_b32_e32 v3, 7, v9
	v_lshrrev_b32_sdwa v2, v2, v9 dst_sel:BYTE_1 dst_unused:UNUSED_PAD src0_sel:DWORD src1_sel:DWORD
	v_ffbh_u32_e32 v4, v3
	v_or_b32_sdwa v2, v9, v2 dst_sel:DWORD dst_unused:UNUSED_PAD src0_sel:BYTE_0 src1_sel:DWORD
	v_min_u32_e32 v4, 32, v4
	v_lshrrev_b16_e32 v2, 3, v2
	v_subrev_u32_e32 v6, 28, v4
	v_and_b32_e32 v2, 15, v2
	v_lshlrev_b32_e32 v6, v6, v9
	v_sub_u32_e32 v4, 29, v4
	v_and_b32_e32 v6, 7, v6
	v_cmp_eq_u16_e32 vcc, 0, v2
	v_cndmask_b32_e32 v3, v3, v6, vcc
	v_cndmask_b32_e32 v2, v2, v4, vcc
	v_lshlrev_b32_e32 v4, 24, v9
	v_mov_b32_e32 v6, 0x3b800000
	v_lshlrev_b32_e32 v3, 20, v3
	v_and_b32_e32 v4, 0x80000000, v4
	v_lshl_add_u32 v2, v2, 23, v6
	v_or3_b32 v2, v4, v2, v3
.LBB10_612:
	s_or_b64 exec, exec, s[6:7]
	s_movk_i32 s4, 0x7f
	v_cmp_gt_i16_sdwa s[6:7], v5, s4 src0_sel:BYTE_0 src1_sel:DWORD
	s_mov_b64 s[4:5], 0
                                        ; implicit-def: $sgpr10
	s_and_saveexec_b64 s[8:9], s[6:7]
	s_xor_b64 s[6:7], exec, s[8:9]
	s_cbranch_execnz .LBB10_2661
; %bb.613:
	s_or_saveexec_b64 s[6:7], s[6:7]
	v_mov_b32_e32 v3, s10
	s_xor_b64 exec, exec, s[6:7]
	s_cbranch_execnz .LBB10_2664
.LBB10_614:
	s_or_b64 exec, exec, s[6:7]
	s_and_saveexec_b64 s[6:7], s[4:5]
	s_cbranch_execz .LBB10_616
.LBB10_615:
	v_mov_b32_e32 v3, 8
	v_and_b32_e32 v4, 7, v5
	v_lshrrev_b32_sdwa v3, v3, v5 dst_sel:BYTE_1 dst_unused:UNUSED_PAD src0_sel:DWORD src1_sel:DWORD
	v_ffbh_u32_e32 v6, v4
	v_or_b32_sdwa v3, v5, v3 dst_sel:DWORD dst_unused:UNUSED_PAD src0_sel:BYTE_0 src1_sel:DWORD
	v_min_u32_e32 v6, 32, v6
	v_lshrrev_b16_e32 v3, 3, v3
	v_subrev_u32_e32 v7, 28, v6
	v_and_b32_e32 v3, 15, v3
	v_lshlrev_b32_e32 v7, v7, v5
	v_sub_u32_e32 v6, 29, v6
	v_and_b32_e32 v7, 7, v7
	v_cmp_eq_u16_e32 vcc, 0, v3
	v_cndmask_b32_e32 v4, v4, v7, vcc
	v_cndmask_b32_e32 v3, v3, v6, vcc
	v_lshlrev_b32_e32 v6, 24, v5
	v_mov_b32_e32 v7, 0x3b800000
	v_lshlrev_b32_e32 v4, 20, v4
	v_and_b32_e32 v6, 0x80000000, v6
	v_lshl_add_u32 v3, v3, 23, v7
	v_or3_b32 v3, v6, v3, v4
.LBB10_616:
	s_or_b64 exec, exec, s[6:7]
	s_nop 0
	v_mfma_f32_16x16x4f32 a[0:3], v2, v3, a[0:3]
	v_lshrrev_b32_e32 v3, 8, v9
	s_movk_i32 s4, 0x7f
	v_cmp_gt_i16_sdwa s[6:7], v3, s4 src0_sel:BYTE_0 src1_sel:DWORD
	s_mov_b64 s[4:5], 0
                                        ; implicit-def: $sgpr10
	s_and_saveexec_b64 s[8:9], s[6:7]
	s_xor_b64 s[6:7], exec, s[8:9]
	s_cbranch_execnz .LBB10_2665
; %bb.617:
	s_or_saveexec_b64 s[6:7], s[6:7]
	v_mov_b32_e32 v2, s10
	s_xor_b64 exec, exec, s[6:7]
	s_cbranch_execnz .LBB10_2668
.LBB10_618:
	s_or_b64 exec, exec, s[6:7]
	s_and_saveexec_b64 s[6:7], s[4:5]
	s_cbranch_execz .LBB10_620
.LBB10_619:
	v_bfe_u32 v2, v9, 8, 3
	v_ffbh_u32_e32 v6, v2
	v_min_u32_e32 v6, 32, v6
	v_lshrrev_b16_e32 v4, 3, v3
	v_subrev_u32_e32 v7, 28, v6
	v_and_b32_e32 v4, 15, v4
	v_lshlrev_b32_e32 v3, v7, v3
	v_sub_u32_e32 v6, 29, v6
	v_and_b32_e32 v3, 7, v3
	v_cmp_eq_u16_e32 vcc, 0, v4
	v_cndmask_b32_e32 v2, v2, v3, vcc
	v_cndmask_b32_e32 v3, v4, v6, vcc
	v_lshlrev_b32_e32 v4, 16, v9
	v_mov_b32_e32 v6, 0x3b800000
	v_lshlrev_b32_e32 v2, 20, v2
	v_and_b32_e32 v4, 0x80000000, v4
	v_lshl_add_u32 v3, v3, 23, v6
	v_or3_b32 v2, v4, v3, v2
.LBB10_620:
	s_or_b64 exec, exec, s[6:7]
	v_lshrrev_b32_e32 v3, 8, v5
	s_movk_i32 s4, 0x7f
	v_cmp_gt_i16_sdwa s[6:7], v3, s4 src0_sel:BYTE_0 src1_sel:DWORD
	s_mov_b64 s[4:5], 0
                                        ; implicit-def: $sgpr10
	s_and_saveexec_b64 s[8:9], s[6:7]
	s_xor_b64 s[6:7], exec, s[8:9]
	s_cbranch_execnz .LBB10_2669
; %bb.621:
	s_or_saveexec_b64 s[6:7], s[6:7]
	v_mov_b32_e32 v4, s10
	s_xor_b64 exec, exec, s[6:7]
	s_cbranch_execnz .LBB10_2672
.LBB10_622:
	s_or_b64 exec, exec, s[6:7]
	s_and_saveexec_b64 s[6:7], s[4:5]
	s_cbranch_execz .LBB10_624
.LBB10_623:
	v_bfe_u32 v4, v5, 8, 3
	v_ffbh_u32_e32 v7, v4
	v_min_u32_e32 v7, 32, v7
	v_lshrrev_b16_e32 v6, 3, v3
	v_subrev_u32_e32 v8, 28, v7
	v_and_b32_e32 v6, 15, v6
	v_lshlrev_b32_e32 v3, v8, v3
	v_sub_u32_e32 v7, 29, v7
	v_and_b32_e32 v3, 7, v3
	v_cmp_eq_u16_e32 vcc, 0, v6
	v_cndmask_b32_e32 v3, v4, v3, vcc
	v_cndmask_b32_e32 v4, v6, v7, vcc
	v_lshlrev_b32_e32 v6, 16, v5
	v_mov_b32_e32 v7, 0x3b800000
	v_lshlrev_b32_e32 v3, 20, v3
	v_and_b32_e32 v6, 0x80000000, v6
	v_lshl_add_u32 v4, v4, 23, v7
	v_or3_b32 v4, v6, v4, v3
.LBB10_624:
	s_or_b64 exec, exec, s[6:7]
	s_nop 0
	v_mfma_f32_16x16x4f32 a[0:3], v2, v4, a[0:3]
	s_movk_i32 s4, 0xff
	v_and_b32_sdwa v3, v9, s4 dst_sel:DWORD dst_unused:UNUSED_PAD src0_sel:WORD_1 src1_sel:DWORD
	s_movk_i32 s4, 0x7f
	v_cmp_lt_i16_e32 vcc, s4, v3
	s_mov_b64 s[4:5], 0
                                        ; implicit-def: $sgpr10
	s_and_saveexec_b64 s[6:7], vcc
	s_xor_b64 s[6:7], exec, s[6:7]
	s_cbranch_execnz .LBB10_2673
; %bb.625:
	s_or_saveexec_b64 s[6:7], s[6:7]
	v_mov_b32_e32 v2, s10
	s_xor_b64 exec, exec, s[6:7]
	s_cbranch_execnz .LBB10_2676
.LBB10_626:
	s_or_b64 exec, exec, s[6:7]
	s_and_saveexec_b64 s[6:7], s[4:5]
	s_cbranch_execz .LBB10_628
.LBB10_627:
	v_bfe_u32 v2, v9, 16, 3
	v_ffbh_u32_e32 v6, v2
	v_min_u32_e32 v6, 32, v6
	v_lshrrev_b32_e32 v3, 19, v9
	v_subrev_u32_e32 v7, 28, v6
	v_and_b32_e32 v3, 15, v3
	v_lshlrev_b32_sdwa v7, v7, v9 dst_sel:DWORD dst_unused:UNUSED_PAD src0_sel:DWORD src1_sel:WORD_1
	v_bfe_u32 v4, v9, 19, 4
	v_sub_u32_e32 v6, 29, v6
	v_and_b32_e32 v7, 7, v7
	v_cmp_eq_u16_e32 vcc, 0, v3
	v_cndmask_b32_e32 v2, v2, v7, vcc
	v_cndmask_b32_e32 v3, v4, v6, vcc
	v_lshlrev_b32_e32 v4, 8, v9
	v_mov_b32_e32 v6, 0x3b800000
	v_lshlrev_b32_e32 v2, 20, v2
	v_and_b32_e32 v4, 0x80000000, v4
	v_lshl_add_u32 v3, v3, 23, v6
	v_or3_b32 v2, v4, v3, v2
.LBB10_628:
	s_or_b64 exec, exec, s[6:7]
	s_movk_i32 s4, 0xff
	v_and_b32_sdwa v3, v5, s4 dst_sel:DWORD dst_unused:UNUSED_PAD src0_sel:WORD_1 src1_sel:DWORD
	s_movk_i32 s4, 0x7f
	v_cmp_lt_i16_e32 vcc, s4, v3
	s_mov_b64 s[4:5], 0
                                        ; implicit-def: $sgpr10
	s_and_saveexec_b64 s[6:7], vcc
	s_xor_b64 s[6:7], exec, s[6:7]
	s_cbranch_execnz .LBB10_2677
; %bb.629:
	s_or_saveexec_b64 s[6:7], s[6:7]
	v_mov_b32_e32 v4, s10
	s_xor_b64 exec, exec, s[6:7]
	s_cbranch_execnz .LBB10_2680
.LBB10_630:
	s_or_b64 exec, exec, s[6:7]
	s_and_saveexec_b64 s[6:7], s[4:5]
	s_cbranch_execz .LBB10_632
.LBB10_631:
	v_bfe_u32 v3, v5, 16, 3
	v_ffbh_u32_e32 v7, v3
	v_min_u32_e32 v7, 32, v7
	v_lshrrev_b32_e32 v4, 19, v5
	v_subrev_u32_e32 v8, 28, v7
	v_and_b32_e32 v4, 15, v4
	v_lshlrev_b32_sdwa v8, v8, v5 dst_sel:DWORD dst_unused:UNUSED_PAD src0_sel:DWORD src1_sel:WORD_1
	v_bfe_u32 v6, v5, 19, 4
	v_sub_u32_e32 v7, 29, v7
	v_and_b32_e32 v8, 7, v8
	v_cmp_eq_u16_e32 vcc, 0, v4
	v_cndmask_b32_e32 v3, v3, v8, vcc
	v_cndmask_b32_e32 v4, v6, v7, vcc
	v_lshlrev_b32_e32 v6, 8, v5
	v_mov_b32_e32 v7, 0x3b800000
	v_lshlrev_b32_e32 v3, 20, v3
	v_and_b32_e32 v6, 0x80000000, v6
	v_lshl_add_u32 v4, v4, 23, v7
	v_or3_b32 v4, v6, v4, v3
.LBB10_632:
	s_or_b64 exec, exec, s[6:7]
	s_nop 0
	v_mfma_f32_16x16x4f32 a[0:3], v2, v4, a[0:3]
	s_movk_i32 s4, 0x7f
	v_cmp_gt_i16_sdwa s[6:7], v9, s4 src0_sel:BYTE_3 src1_sel:DWORD
	s_mov_b64 s[4:5], 0
                                        ; implicit-def: $sgpr10
	s_and_saveexec_b64 s[8:9], s[6:7]
	s_xor_b64 s[6:7], exec, s[8:9]
	s_cbranch_execnz .LBB10_2681
; %bb.633:
	s_or_saveexec_b64 s[6:7], s[6:7]
	v_mov_b32_e32 v2, s10
	s_xor_b64 exec, exec, s[6:7]
	s_cbranch_execnz .LBB10_2684
.LBB10_634:
	s_or_b64 exec, exec, s[6:7]
	s_and_saveexec_b64 s[6:7], s[4:5]
	s_cbranch_execz .LBB10_636
.LBB10_635:
	v_bfe_u32 v2, v9, 24, 3
	v_ffbh_u32_e32 v7, v2
	v_min_u32_e32 v7, 32, v7
	v_lshrrev_b32_e32 v4, 27, v9
	v_subrev_u32_e32 v8, 28, v7
	v_and_b32_e32 v4, 15, v4
	v_lshlrev_b32_sdwa v8, v8, v9 dst_sel:DWORD dst_unused:UNUSED_PAD src0_sel:DWORD src1_sel:BYTE_3
	v_bfe_u32 v6, v9, 27, 4
	v_sub_u32_e32 v7, 29, v7
	v_and_b32_e32 v8, 7, v8
	v_cmp_eq_u16_e32 vcc, 0, v4
	v_cndmask_b32_e32 v2, v2, v8, vcc
	v_cndmask_b32_e32 v4, v6, v7, vcc
	v_mov_b32_e32 v6, 0x3b800000
	v_and_b32_e32 v3, 0x80000000, v9
	v_lshlrev_b32_e32 v2, 20, v2
	v_lshl_add_u32 v4, v4, 23, v6
	v_or3_b32 v2, v3, v4, v2
.LBB10_636:
	s_or_b64 exec, exec, s[6:7]
	s_movk_i32 s4, 0x7f
	v_cmp_gt_i16_sdwa s[6:7], v5, s4 src0_sel:BYTE_3 src1_sel:DWORD
	s_mov_b64 s[4:5], 0
                                        ; implicit-def: $sgpr10
	s_and_saveexec_b64 s[8:9], s[6:7]
	s_xor_b64 s[6:7], exec, s[8:9]
	s_cbranch_execnz .LBB10_2685
; %bb.637:
	s_or_saveexec_b64 s[6:7], s[6:7]
	v_mov_b32_e32 v3, s10
	s_xor_b64 exec, exec, s[6:7]
	s_cbranch_execnz .LBB10_2688
.LBB10_638:
	s_or_b64 exec, exec, s[6:7]
	s_and_saveexec_b64 s[6:7], s[4:5]
	s_cbranch_execz .LBB10_640
.LBB10_639:
	v_bfe_u32 v3, v5, 24, 3
	v_ffbh_u32_e32 v8, v3
	v_min_u32_e32 v8, 32, v8
	v_lshrrev_b32_e32 v6, 27, v5
	v_subrev_u32_e32 v9, 28, v8
	v_and_b32_e32 v4, 0x80000000, v5
	v_and_b32_e32 v6, 15, v6
	v_bfe_u32 v7, v5, 27, 4
	v_lshlrev_b32_sdwa v5, v9, v5 dst_sel:DWORD dst_unused:UNUSED_PAD src0_sel:DWORD src1_sel:BYTE_3
	v_sub_u32_e32 v8, 29, v8
	v_and_b32_e32 v5, 7, v5
	v_cmp_eq_u16_e32 vcc, 0, v6
	v_cndmask_b32_e32 v3, v3, v5, vcc
	v_cndmask_b32_e32 v5, v7, v8, vcc
	v_mov_b32_e32 v6, 0x3b800000
	v_lshlrev_b32_e32 v3, 20, v3
	v_lshl_add_u32 v5, v5, 23, v6
	v_or3_b32 v3, v4, v5, v3
.LBB10_640:
	s_or_b64 exec, exec, s[6:7]
	s_nop 0
	v_mfma_f32_16x16x4f32 a[0:3], v2, v3, a[0:3]
	s_movk_i32 s4, 0x7f
                                        ; implicit-def: $sgpr10
	s_nop 7
	s_nop 1
	flat_store_dwordx4 v[10:11], a[0:3] offset:64
	flat_load_dwordx4 v[12:15], v[0:1] offset:8
	s_nop 0
	flat_load_dwordx2 v[10:11], v[0:1] offset:32
	s_waitcnt vmcnt(0) lgkmcnt(0)
	flat_load_dwordx4 v[6:9], v[12:13] offset:32
	flat_load_dwordx4 v[2:5], v[14:15] offset:32
	s_waitcnt vmcnt(0) lgkmcnt(0)
	v_cmp_gt_i16_sdwa s[6:7], v6, s4 src0_sel:BYTE_0 src1_sel:DWORD
	s_mov_b64 s[4:5], 0
	s_and_saveexec_b64 s[8:9], s[6:7]
	s_xor_b64 s[6:7], exec, s[8:9]
	s_cbranch_execnz .LBB10_2689
; %bb.641:
	s_or_saveexec_b64 s[6:7], s[6:7]
	v_mov_b32_e32 v12, s10
	s_xor_b64 exec, exec, s[6:7]
	s_cbranch_execnz .LBB10_2692
.LBB10_642:
	s_or_b64 exec, exec, s[6:7]
	s_and_saveexec_b64 s[6:7], s[4:5]
	s_cbranch_execz .LBB10_644
.LBB10_643:
	v_and_b32_e32 v12, 7, v6
	v_ffbh_u32_e32 v14, v12
	v_min_u32_e32 v14, 32, v14
	v_lshrrev_b16_e32 v13, 3, v6
	v_subrev_u32_e32 v15, 28, v14
	v_and_b32_e32 v13, 15, v13
	v_lshlrev_b32_e32 v15, v15, v6
	v_sub_u32_e32 v14, 29, v14
	v_and_b32_e32 v15, 7, v15
	v_cmp_eq_u16_e32 vcc, 0, v13
	v_cndmask_b32_e32 v12, v12, v15, vcc
	v_cndmask_b32_e32 v13, v13, v14, vcc
	v_lshlrev_b32_e32 v14, 24, v6
	v_mov_b32_e32 v15, 0x3b800000
	v_lshlrev_b32_e32 v12, 20, v12
	v_and_b32_e32 v14, 0x80000000, v14
	v_lshl_add_u32 v13, v13, 23, v15
	v_or3_b32 v12, v14, v13, v12
.LBB10_644:
	s_or_b64 exec, exec, s[6:7]
	s_movk_i32 s4, 0x7f
	v_cmp_gt_i16_sdwa s[6:7], v2, s4 src0_sel:BYTE_0 src1_sel:DWORD
	s_mov_b64 s[4:5], 0
                                        ; implicit-def: $sgpr10
	s_and_saveexec_b64 s[8:9], s[6:7]
	s_xor_b64 s[6:7], exec, s[8:9]
	s_cbranch_execnz .LBB10_2693
; %bb.645:
	s_or_saveexec_b64 s[6:7], s[6:7]
	v_mov_b32_e32 v13, s10
	s_xor_b64 exec, exec, s[6:7]
	s_cbranch_execnz .LBB10_2696
.LBB10_646:
	s_or_b64 exec, exec, s[6:7]
	s_and_saveexec_b64 s[6:7], s[4:5]
	s_cbranch_execz .LBB10_648
.LBB10_647:
	v_and_b32_e32 v13, 7, v2
	v_ffbh_u32_e32 v15, v13
	v_min_u32_e32 v15, 32, v15
	v_lshrrev_b16_e32 v14, 3, v2
	v_subrev_u32_e32 v16, 28, v15
	v_and_b32_e32 v14, 15, v14
	v_lshlrev_b32_e32 v16, v16, v2
	v_sub_u32_e32 v15, 29, v15
	v_and_b32_e32 v16, 7, v16
	v_cmp_eq_u16_e32 vcc, 0, v14
	v_cndmask_b32_e32 v13, v13, v16, vcc
	v_cndmask_b32_e32 v14, v14, v15, vcc
	v_lshlrev_b32_e32 v15, 24, v2
	v_mov_b32_e32 v16, 0x3b800000
	v_lshlrev_b32_e32 v13, 20, v13
	v_and_b32_e32 v15, 0x80000000, v15
	v_lshl_add_u32 v14, v14, 23, v16
	v_or3_b32 v13, v15, v14, v13
.LBB10_648:
	s_or_b64 exec, exec, s[6:7]
	flat_load_dwordx4 a[0:3], v[10:11] offset:80
	s_movk_i32 s4, 0x7f
                                        ; implicit-def: $sgpr10
	s_waitcnt vmcnt(0) lgkmcnt(0)
	v_mfma_f32_16x16x4f32 a[0:3], v12, v13, a[0:3]
	v_lshrrev_b32_e32 v13, 8, v6
	v_cmp_gt_i16_sdwa s[6:7], v13, s4 src0_sel:BYTE_0 src1_sel:DWORD
	s_mov_b64 s[4:5], 0
	s_and_saveexec_b64 s[8:9], s[6:7]
	s_xor_b64 s[6:7], exec, s[8:9]
	s_cbranch_execnz .LBB10_2697
; %bb.649:
	s_or_saveexec_b64 s[6:7], s[6:7]
	v_mov_b32_e32 v12, s10
	s_xor_b64 exec, exec, s[6:7]
	s_cbranch_execnz .LBB10_2700
.LBB10_650:
	s_or_b64 exec, exec, s[6:7]
	s_and_saveexec_b64 s[6:7], s[4:5]
	s_cbranch_execz .LBB10_652
.LBB10_651:
	v_bfe_u32 v12, v6, 8, 3
	v_ffbh_u32_e32 v15, v12
	v_min_u32_e32 v15, 32, v15
	v_lshrrev_b16_e32 v14, 3, v13
	v_subrev_u32_e32 v16, 28, v15
	v_and_b32_e32 v14, 15, v14
	v_lshlrev_b32_e32 v13, v16, v13
	v_sub_u32_e32 v15, 29, v15
	v_and_b32_e32 v13, 7, v13
	v_cmp_eq_u16_e32 vcc, 0, v14
	v_cndmask_b32_e32 v12, v12, v13, vcc
	v_cndmask_b32_e32 v13, v14, v15, vcc
	v_lshlrev_b32_e32 v14, 16, v6
	v_mov_b32_e32 v15, 0x3b800000
	v_lshlrev_b32_e32 v12, 20, v12
	v_and_b32_e32 v14, 0x80000000, v14
	v_lshl_add_u32 v13, v13, 23, v15
	v_or3_b32 v12, v14, v13, v12
.LBB10_652:
	s_or_b64 exec, exec, s[6:7]
	v_lshrrev_b32_e32 v13, 8, v2
	s_movk_i32 s4, 0x7f
	v_cmp_gt_i16_sdwa s[6:7], v13, s4 src0_sel:BYTE_0 src1_sel:DWORD
	s_mov_b64 s[4:5], 0
                                        ; implicit-def: $sgpr10
	s_and_saveexec_b64 s[8:9], s[6:7]
	s_xor_b64 s[6:7], exec, s[8:9]
	s_cbranch_execnz .LBB10_2701
; %bb.653:
	s_or_saveexec_b64 s[6:7], s[6:7]
	v_mov_b32_e32 v14, s10
	s_xor_b64 exec, exec, s[6:7]
	s_cbranch_execnz .LBB10_2704
.LBB10_654:
	s_or_b64 exec, exec, s[6:7]
	s_and_saveexec_b64 s[6:7], s[4:5]
	s_cbranch_execz .LBB10_656
.LBB10_655:
	v_bfe_u32 v14, v2, 8, 3
	v_ffbh_u32_e32 v16, v14
	v_min_u32_e32 v16, 32, v16
	v_lshrrev_b16_e32 v15, 3, v13
	v_subrev_u32_e32 v17, 28, v16
	v_and_b32_e32 v15, 15, v15
	v_lshlrev_b32_e32 v13, v17, v13
	v_sub_u32_e32 v16, 29, v16
	v_and_b32_e32 v13, 7, v13
	v_cmp_eq_u16_e32 vcc, 0, v15
	v_cndmask_b32_e32 v13, v14, v13, vcc
	v_cndmask_b32_e32 v14, v15, v16, vcc
	v_lshlrev_b32_e32 v15, 16, v2
	v_mov_b32_e32 v16, 0x3b800000
	v_lshlrev_b32_e32 v13, 20, v13
	v_and_b32_e32 v15, 0x80000000, v15
	v_lshl_add_u32 v14, v14, 23, v16
	v_or3_b32 v14, v15, v14, v13
.LBB10_656:
	s_or_b64 exec, exec, s[6:7]
	s_nop 0
	v_mfma_f32_16x16x4f32 a[0:3], v12, v14, a[0:3]
	s_movk_i32 s4, 0xff
	v_and_b32_sdwa v13, v6, s4 dst_sel:DWORD dst_unused:UNUSED_PAD src0_sel:WORD_1 src1_sel:DWORD
	s_movk_i32 s4, 0x7f
	v_cmp_lt_i16_e32 vcc, s4, v13
	s_mov_b64 s[4:5], 0
                                        ; implicit-def: $sgpr10
	s_and_saveexec_b64 s[6:7], vcc
	s_xor_b64 s[6:7], exec, s[6:7]
	s_cbranch_execnz .LBB10_2705
; %bb.657:
	s_or_saveexec_b64 s[6:7], s[6:7]
	v_mov_b32_e32 v12, s10
	s_xor_b64 exec, exec, s[6:7]
	s_cbranch_execnz .LBB10_2708
.LBB10_658:
	s_or_b64 exec, exec, s[6:7]
	s_and_saveexec_b64 s[6:7], s[4:5]
	s_cbranch_execz .LBB10_660
.LBB10_659:
	v_bfe_u32 v12, v6, 16, 3
	v_ffbh_u32_e32 v15, v12
	v_min_u32_e32 v15, 32, v15
	v_lshrrev_b32_e32 v13, 19, v6
	v_subrev_u32_e32 v16, 28, v15
	v_and_b32_e32 v13, 15, v13
	v_lshlrev_b32_sdwa v16, v16, v6 dst_sel:DWORD dst_unused:UNUSED_PAD src0_sel:DWORD src1_sel:WORD_1
	v_bfe_u32 v14, v6, 19, 4
	v_sub_u32_e32 v15, 29, v15
	v_and_b32_e32 v16, 7, v16
	v_cmp_eq_u16_e32 vcc, 0, v13
	v_cndmask_b32_e32 v12, v12, v16, vcc
	v_cndmask_b32_e32 v13, v14, v15, vcc
	v_lshlrev_b32_e32 v14, 8, v6
	v_mov_b32_e32 v15, 0x3b800000
	v_lshlrev_b32_e32 v12, 20, v12
	v_and_b32_e32 v14, 0x80000000, v14
	v_lshl_add_u32 v13, v13, 23, v15
	v_or3_b32 v12, v14, v13, v12
.LBB10_660:
	s_or_b64 exec, exec, s[6:7]
	s_movk_i32 s4, 0xff
	v_and_b32_sdwa v13, v2, s4 dst_sel:DWORD dst_unused:UNUSED_PAD src0_sel:WORD_1 src1_sel:DWORD
	s_movk_i32 s4, 0x7f
	v_cmp_lt_i16_e32 vcc, s4, v13
	s_mov_b64 s[4:5], 0
                                        ; implicit-def: $sgpr10
	s_and_saveexec_b64 s[6:7], vcc
	s_xor_b64 s[6:7], exec, s[6:7]
	s_cbranch_execnz .LBB10_2709
; %bb.661:
	s_or_saveexec_b64 s[6:7], s[6:7]
	v_mov_b32_e32 v14, s10
	s_xor_b64 exec, exec, s[6:7]
	s_cbranch_execnz .LBB10_2712
.LBB10_662:
	s_or_b64 exec, exec, s[6:7]
	s_and_saveexec_b64 s[6:7], s[4:5]
	s_cbranch_execz .LBB10_664
.LBB10_663:
	v_bfe_u32 v13, v2, 16, 3
	v_ffbh_u32_e32 v16, v13
	v_min_u32_e32 v16, 32, v16
	v_lshrrev_b32_e32 v14, 19, v2
	v_subrev_u32_e32 v17, 28, v16
	v_and_b32_e32 v14, 15, v14
	v_lshlrev_b32_sdwa v17, v17, v2 dst_sel:DWORD dst_unused:UNUSED_PAD src0_sel:DWORD src1_sel:WORD_1
	v_bfe_u32 v15, v2, 19, 4
	v_sub_u32_e32 v16, 29, v16
	v_and_b32_e32 v17, 7, v17
	v_cmp_eq_u16_e32 vcc, 0, v14
	v_cndmask_b32_e32 v13, v13, v17, vcc
	v_cndmask_b32_e32 v14, v15, v16, vcc
	v_lshlrev_b32_e32 v15, 8, v2
	v_mov_b32_e32 v16, 0x3b800000
	v_lshlrev_b32_e32 v13, 20, v13
	v_and_b32_e32 v15, 0x80000000, v15
	v_lshl_add_u32 v14, v14, 23, v16
	v_or3_b32 v14, v15, v14, v13
.LBB10_664:
	s_or_b64 exec, exec, s[6:7]
	s_nop 0
	v_mfma_f32_16x16x4f32 a[0:3], v12, v14, a[0:3]
	s_movk_i32 s4, 0x7f
	v_cmp_gt_i16_sdwa s[6:7], v6, s4 src0_sel:BYTE_3 src1_sel:DWORD
	s_mov_b64 s[4:5], 0
                                        ; implicit-def: $sgpr10
	s_and_saveexec_b64 s[8:9], s[6:7]
	s_xor_b64 s[6:7], exec, s[8:9]
	s_cbranch_execnz .LBB10_2713
; %bb.665:
	s_or_saveexec_b64 s[6:7], s[6:7]
	v_mov_b32_e32 v12, s10
	s_xor_b64 exec, exec, s[6:7]
	s_cbranch_execnz .LBB10_2716
.LBB10_666:
	s_or_b64 exec, exec, s[6:7]
	s_and_saveexec_b64 s[6:7], s[4:5]
	s_cbranch_execz .LBB10_668
.LBB10_667:
	v_bfe_u32 v12, v6, 24, 3
	v_ffbh_u32_e32 v16, v12
	v_min_u32_e32 v16, 32, v16
	v_lshrrev_b32_e32 v14, 27, v6
	v_subrev_u32_e32 v17, 28, v16
	v_and_b32_e32 v13, 0x80000000, v6
	v_and_b32_e32 v14, 15, v14
	v_bfe_u32 v15, v6, 27, 4
	v_lshlrev_b32_sdwa v6, v17, v6 dst_sel:DWORD dst_unused:UNUSED_PAD src0_sel:DWORD src1_sel:BYTE_3
	v_sub_u32_e32 v16, 29, v16
	v_and_b32_e32 v6, 7, v6
	v_cmp_eq_u16_e32 vcc, 0, v14
	v_cndmask_b32_e32 v6, v12, v6, vcc
	v_cndmask_b32_e32 v12, v15, v16, vcc
	v_mov_b32_e32 v14, 0x3b800000
	v_lshlrev_b32_e32 v6, 20, v6
	v_lshl_add_u32 v12, v12, 23, v14
	v_or3_b32 v12, v13, v12, v6
.LBB10_668:
	s_or_b64 exec, exec, s[6:7]
	s_movk_i32 s4, 0x7f
	v_cmp_gt_i16_sdwa s[6:7], v2, s4 src0_sel:BYTE_3 src1_sel:DWORD
	s_mov_b64 s[4:5], 0
                                        ; implicit-def: $sgpr10
	s_and_saveexec_b64 s[8:9], s[6:7]
	s_xor_b64 s[6:7], exec, s[8:9]
	s_cbranch_execnz .LBB10_2717
; %bb.669:
	s_or_saveexec_b64 s[6:7], s[6:7]
	v_mov_b32_e32 v6, s10
	s_xor_b64 exec, exec, s[6:7]
	s_cbranch_execnz .LBB10_2720
.LBB10_670:
	s_or_b64 exec, exec, s[6:7]
	s_and_saveexec_b64 s[6:7], s[4:5]
	s_cbranch_execz .LBB10_672
.LBB10_671:
	v_bfe_u32 v6, v2, 24, 3
	v_ffbh_u32_e32 v16, v6
	v_min_u32_e32 v16, 32, v16
	v_lshrrev_b32_e32 v14, 27, v2
	v_subrev_u32_e32 v17, 28, v16
	v_and_b32_e32 v13, 0x80000000, v2
	v_and_b32_e32 v14, 15, v14
	v_bfe_u32 v15, v2, 27, 4
	v_lshlrev_b32_sdwa v2, v17, v2 dst_sel:DWORD dst_unused:UNUSED_PAD src0_sel:DWORD src1_sel:BYTE_3
	v_sub_u32_e32 v16, 29, v16
	v_and_b32_e32 v2, 7, v2
	v_cmp_eq_u16_e32 vcc, 0, v14
	v_cndmask_b32_e32 v2, v6, v2, vcc
	v_cndmask_b32_e32 v6, v15, v16, vcc
	v_mov_b32_e32 v14, 0x3b800000
	v_lshlrev_b32_e32 v2, 20, v2
	v_lshl_add_u32 v6, v6, 23, v14
	v_or3_b32 v6, v13, v6, v2
.LBB10_672:
	s_or_b64 exec, exec, s[6:7]
	s_nop 0
	v_mfma_f32_16x16x4f32 a[0:3], v12, v6, a[0:3]
	s_movk_i32 s4, 0x7f
	v_cmp_gt_i16_sdwa s[6:7], v7, s4 src0_sel:BYTE_0 src1_sel:DWORD
	s_mov_b64 s[4:5], 0
                                        ; implicit-def: $sgpr10
	s_and_saveexec_b64 s[8:9], s[6:7]
	s_xor_b64 s[6:7], exec, s[8:9]
	s_cbranch_execnz .LBB10_2721
; %bb.673:
	s_or_saveexec_b64 s[6:7], s[6:7]
	v_mov_b32_e32 v2, s10
	s_xor_b64 exec, exec, s[6:7]
	s_cbranch_execnz .LBB10_2724
.LBB10_674:
	s_or_b64 exec, exec, s[6:7]
	s_and_saveexec_b64 s[6:7], s[4:5]
	s_cbranch_execz .LBB10_676
.LBB10_675:
	v_and_b32_e32 v2, 7, v7
	v_ffbh_u32_e32 v12, v2
	v_min_u32_e32 v12, 32, v12
	v_lshrrev_b16_e32 v6, 3, v7
	v_subrev_u32_e32 v13, 28, v12
	v_and_b32_e32 v6, 15, v6
	v_lshlrev_b32_e32 v13, v13, v7
	v_sub_u32_e32 v12, 29, v12
	v_and_b32_e32 v13, 7, v13
	v_cmp_eq_u16_e32 vcc, 0, v6
	v_cndmask_b32_e32 v2, v2, v13, vcc
	v_cndmask_b32_e32 v6, v6, v12, vcc
	v_lshlrev_b32_e32 v12, 24, v7
	v_mov_b32_e32 v13, 0x3b800000
	v_lshlrev_b32_e32 v2, 20, v2
	v_and_b32_e32 v12, 0x80000000, v12
	v_lshl_add_u32 v6, v6, 23, v13
	v_or3_b32 v2, v12, v6, v2
.LBB10_676:
	s_or_b64 exec, exec, s[6:7]
	s_movk_i32 s4, 0x7f
	v_cmp_gt_i16_sdwa s[6:7], v3, s4 src0_sel:BYTE_0 src1_sel:DWORD
	s_mov_b64 s[4:5], 0
                                        ; implicit-def: $sgpr10
	s_and_saveexec_b64 s[8:9], s[6:7]
	s_xor_b64 s[6:7], exec, s[8:9]
	s_cbranch_execnz .LBB10_2725
; %bb.677:
	s_or_saveexec_b64 s[6:7], s[6:7]
	v_mov_b32_e32 v6, s10
	s_xor_b64 exec, exec, s[6:7]
	s_cbranch_execnz .LBB10_2728
.LBB10_678:
	s_or_b64 exec, exec, s[6:7]
	s_and_saveexec_b64 s[6:7], s[4:5]
	s_cbranch_execz .LBB10_680
.LBB10_679:
	v_and_b32_e32 v6, 7, v3
	v_ffbh_u32_e32 v13, v6
	v_min_u32_e32 v13, 32, v13
	v_lshrrev_b16_e32 v12, 3, v3
	v_subrev_u32_e32 v14, 28, v13
	v_and_b32_e32 v12, 15, v12
	v_lshlrev_b32_e32 v14, v14, v3
	v_sub_u32_e32 v13, 29, v13
	v_and_b32_e32 v14, 7, v14
	v_cmp_eq_u16_e32 vcc, 0, v12
	v_cndmask_b32_e32 v6, v6, v14, vcc
	v_cndmask_b32_e32 v12, v12, v13, vcc
	v_lshlrev_b32_e32 v13, 24, v3
	v_mov_b32_e32 v14, 0x3b800000
	v_lshlrev_b32_e32 v6, 20, v6
	v_and_b32_e32 v13, 0x80000000, v13
	v_lshl_add_u32 v12, v12, 23, v14
	v_or3_b32 v6, v13, v12, v6
.LBB10_680:
	s_or_b64 exec, exec, s[6:7]
	s_nop 0
	v_mfma_f32_16x16x4f32 a[0:3], v2, v6, a[0:3]
	v_lshrrev_b32_e32 v6, 8, v7
	s_movk_i32 s4, 0x7f
	v_cmp_gt_i16_sdwa s[6:7], v6, s4 src0_sel:BYTE_0 src1_sel:DWORD
	s_mov_b64 s[4:5], 0
                                        ; implicit-def: $sgpr10
	s_and_saveexec_b64 s[8:9], s[6:7]
	s_xor_b64 s[6:7], exec, s[8:9]
	s_cbranch_execnz .LBB10_2729
; %bb.681:
	s_or_saveexec_b64 s[6:7], s[6:7]
	v_mov_b32_e32 v2, s10
	s_xor_b64 exec, exec, s[6:7]
	s_cbranch_execnz .LBB10_2732
.LBB10_682:
	s_or_b64 exec, exec, s[6:7]
	s_and_saveexec_b64 s[6:7], s[4:5]
	s_cbranch_execz .LBB10_684
.LBB10_683:
	v_bfe_u32 v2, v7, 8, 3
	v_ffbh_u32_e32 v13, v2
	v_min_u32_e32 v13, 32, v13
	v_lshrrev_b16_e32 v12, 3, v6
	v_subrev_u32_e32 v14, 28, v13
	v_and_b32_e32 v12, 15, v12
	v_lshlrev_b32_e32 v6, v14, v6
	v_sub_u32_e32 v13, 29, v13
	v_and_b32_e32 v6, 7, v6
	v_cmp_eq_u16_e32 vcc, 0, v12
	v_cndmask_b32_e32 v2, v2, v6, vcc
	v_cndmask_b32_e32 v6, v12, v13, vcc
	v_lshlrev_b32_e32 v12, 16, v7
	v_mov_b32_e32 v13, 0x3b800000
	v_lshlrev_b32_e32 v2, 20, v2
	v_and_b32_e32 v12, 0x80000000, v12
	v_lshl_add_u32 v6, v6, 23, v13
	v_or3_b32 v2, v12, v6, v2
.LBB10_684:
	s_or_b64 exec, exec, s[6:7]
	v_lshrrev_b32_e32 v6, 8, v3
	s_movk_i32 s4, 0x7f
	v_cmp_gt_i16_sdwa s[6:7], v6, s4 src0_sel:BYTE_0 src1_sel:DWORD
	s_mov_b64 s[4:5], 0
                                        ; implicit-def: $sgpr10
	s_and_saveexec_b64 s[8:9], s[6:7]
	s_xor_b64 s[6:7], exec, s[8:9]
	s_cbranch_execnz .LBB10_2733
; %bb.685:
	s_or_saveexec_b64 s[6:7], s[6:7]
	v_mov_b32_e32 v12, s10
	s_xor_b64 exec, exec, s[6:7]
	s_cbranch_execnz .LBB10_2736
.LBB10_686:
	s_or_b64 exec, exec, s[6:7]
	s_and_saveexec_b64 s[6:7], s[4:5]
	s_cbranch_execz .LBB10_688
.LBB10_687:
	v_bfe_u32 v12, v3, 8, 3
	v_ffbh_u32_e32 v14, v12
	v_min_u32_e32 v14, 32, v14
	v_lshrrev_b16_e32 v13, 3, v6
	v_subrev_u32_e32 v15, 28, v14
	v_and_b32_e32 v13, 15, v13
	v_lshlrev_b32_e32 v6, v15, v6
	v_sub_u32_e32 v14, 29, v14
	v_and_b32_e32 v6, 7, v6
	v_cmp_eq_u16_e32 vcc, 0, v13
	v_cndmask_b32_e32 v6, v12, v6, vcc
	v_cndmask_b32_e32 v12, v13, v14, vcc
	v_lshlrev_b32_e32 v13, 16, v3
	v_mov_b32_e32 v14, 0x3b800000
	v_lshlrev_b32_e32 v6, 20, v6
	v_and_b32_e32 v13, 0x80000000, v13
	v_lshl_add_u32 v12, v12, 23, v14
	v_or3_b32 v12, v13, v12, v6
.LBB10_688:
	s_or_b64 exec, exec, s[6:7]
	s_nop 0
	v_mfma_f32_16x16x4f32 a[0:3], v2, v12, a[0:3]
	s_movk_i32 s4, 0xff
	v_and_b32_sdwa v6, v7, s4 dst_sel:DWORD dst_unused:UNUSED_PAD src0_sel:WORD_1 src1_sel:DWORD
	s_movk_i32 s4, 0x7f
	v_cmp_lt_i16_e32 vcc, s4, v6
	s_mov_b64 s[4:5], 0
                                        ; implicit-def: $sgpr10
	s_and_saveexec_b64 s[6:7], vcc
	s_xor_b64 s[6:7], exec, s[6:7]
	s_cbranch_execnz .LBB10_2737
; %bb.689:
	s_or_saveexec_b64 s[6:7], s[6:7]
	v_mov_b32_e32 v2, s10
	s_xor_b64 exec, exec, s[6:7]
	s_cbranch_execnz .LBB10_2740
.LBB10_690:
	s_or_b64 exec, exec, s[6:7]
	s_and_saveexec_b64 s[6:7], s[4:5]
	s_cbranch_execz .LBB10_692
.LBB10_691:
	v_bfe_u32 v2, v7, 16, 3
	v_ffbh_u32_e32 v13, v2
	v_min_u32_e32 v13, 32, v13
	v_lshrrev_b32_e32 v6, 19, v7
	v_subrev_u32_e32 v14, 28, v13
	v_and_b32_e32 v6, 15, v6
	v_lshlrev_b32_sdwa v14, v14, v7 dst_sel:DWORD dst_unused:UNUSED_PAD src0_sel:DWORD src1_sel:WORD_1
	v_bfe_u32 v12, v7, 19, 4
	v_sub_u32_e32 v13, 29, v13
	v_and_b32_e32 v14, 7, v14
	v_cmp_eq_u16_e32 vcc, 0, v6
	v_cndmask_b32_e32 v2, v2, v14, vcc
	v_cndmask_b32_e32 v6, v12, v13, vcc
	v_lshlrev_b32_e32 v12, 8, v7
	v_mov_b32_e32 v13, 0x3b800000
	v_lshlrev_b32_e32 v2, 20, v2
	v_and_b32_e32 v12, 0x80000000, v12
	v_lshl_add_u32 v6, v6, 23, v13
	v_or3_b32 v2, v12, v6, v2
.LBB10_692:
	s_or_b64 exec, exec, s[6:7]
	s_movk_i32 s4, 0xff
	v_and_b32_sdwa v6, v3, s4 dst_sel:DWORD dst_unused:UNUSED_PAD src0_sel:WORD_1 src1_sel:DWORD
	s_movk_i32 s4, 0x7f
	v_cmp_lt_i16_e32 vcc, s4, v6
	s_mov_b64 s[4:5], 0
                                        ; implicit-def: $sgpr10
	s_and_saveexec_b64 s[6:7], vcc
	s_xor_b64 s[6:7], exec, s[6:7]
	s_cbranch_execnz .LBB10_2741
; %bb.693:
	s_or_saveexec_b64 s[6:7], s[6:7]
	v_mov_b32_e32 v12, s10
	s_xor_b64 exec, exec, s[6:7]
	s_cbranch_execnz .LBB10_2744
.LBB10_694:
	s_or_b64 exec, exec, s[6:7]
	s_and_saveexec_b64 s[6:7], s[4:5]
	s_cbranch_execz .LBB10_696
.LBB10_695:
	v_bfe_u32 v6, v3, 16, 3
	v_ffbh_u32_e32 v14, v6
	v_min_u32_e32 v14, 32, v14
	v_lshrrev_b32_e32 v12, 19, v3
	v_subrev_u32_e32 v15, 28, v14
	v_and_b32_e32 v12, 15, v12
	v_lshlrev_b32_sdwa v15, v15, v3 dst_sel:DWORD dst_unused:UNUSED_PAD src0_sel:DWORD src1_sel:WORD_1
	v_bfe_u32 v13, v3, 19, 4
	v_sub_u32_e32 v14, 29, v14
	v_and_b32_e32 v15, 7, v15
	v_cmp_eq_u16_e32 vcc, 0, v12
	v_cndmask_b32_e32 v6, v6, v15, vcc
	v_cndmask_b32_e32 v12, v13, v14, vcc
	v_lshlrev_b32_e32 v13, 8, v3
	v_mov_b32_e32 v14, 0x3b800000
	v_lshlrev_b32_e32 v6, 20, v6
	v_and_b32_e32 v13, 0x80000000, v13
	v_lshl_add_u32 v12, v12, 23, v14
	v_or3_b32 v12, v13, v12, v6
.LBB10_696:
	s_or_b64 exec, exec, s[6:7]
	s_nop 0
	v_mfma_f32_16x16x4f32 a[0:3], v2, v12, a[0:3]
	s_movk_i32 s4, 0x7f
	v_cmp_gt_i16_sdwa s[6:7], v7, s4 src0_sel:BYTE_3 src1_sel:DWORD
	s_mov_b64 s[4:5], 0
                                        ; implicit-def: $sgpr10
	s_and_saveexec_b64 s[8:9], s[6:7]
	s_xor_b64 s[6:7], exec, s[8:9]
	s_cbranch_execnz .LBB10_2745
; %bb.697:
	s_or_saveexec_b64 s[6:7], s[6:7]
	v_mov_b32_e32 v2, s10
	s_xor_b64 exec, exec, s[6:7]
	s_cbranch_execnz .LBB10_2748
.LBB10_698:
	s_or_b64 exec, exec, s[6:7]
	s_and_saveexec_b64 s[6:7], s[4:5]
	s_cbranch_execz .LBB10_700
.LBB10_699:
	v_bfe_u32 v2, v7, 24, 3
	v_ffbh_u32_e32 v14, v2
	v_min_u32_e32 v14, 32, v14
	v_lshrrev_b32_e32 v12, 27, v7
	v_subrev_u32_e32 v15, 28, v14
	v_and_b32_e32 v6, 0x80000000, v7
	v_and_b32_e32 v12, 15, v12
	v_bfe_u32 v13, v7, 27, 4
	v_lshlrev_b32_sdwa v7, v15, v7 dst_sel:DWORD dst_unused:UNUSED_PAD src0_sel:DWORD src1_sel:BYTE_3
	v_sub_u32_e32 v14, 29, v14
	v_and_b32_e32 v7, 7, v7
	v_cmp_eq_u16_e32 vcc, 0, v12
	v_cndmask_b32_e32 v2, v2, v7, vcc
	v_cndmask_b32_e32 v7, v13, v14, vcc
	v_mov_b32_e32 v12, 0x3b800000
	v_lshlrev_b32_e32 v2, 20, v2
	v_lshl_add_u32 v7, v7, 23, v12
	v_or3_b32 v2, v6, v7, v2
.LBB10_700:
	s_or_b64 exec, exec, s[6:7]
	s_movk_i32 s4, 0x7f
	v_cmp_gt_i16_sdwa s[6:7], v3, s4 src0_sel:BYTE_3 src1_sel:DWORD
	s_mov_b64 s[4:5], 0
                                        ; implicit-def: $sgpr10
	s_and_saveexec_b64 s[8:9], s[6:7]
	s_xor_b64 s[6:7], exec, s[8:9]
	s_cbranch_execnz .LBB10_2749
; %bb.701:
	s_or_saveexec_b64 s[6:7], s[6:7]
	v_mov_b32_e32 v6, s10
	s_xor_b64 exec, exec, s[6:7]
	s_cbranch_execnz .LBB10_2752
.LBB10_702:
	s_or_b64 exec, exec, s[6:7]
	s_and_saveexec_b64 s[6:7], s[4:5]
	s_cbranch_execz .LBB10_704
.LBB10_703:
	v_bfe_u32 v6, v3, 24, 3
	v_ffbh_u32_e32 v14, v6
	v_min_u32_e32 v14, 32, v14
	v_lshrrev_b32_e32 v12, 27, v3
	v_subrev_u32_e32 v15, 28, v14
	v_and_b32_e32 v7, 0x80000000, v3
	v_and_b32_e32 v12, 15, v12
	v_bfe_u32 v13, v3, 27, 4
	v_lshlrev_b32_sdwa v3, v15, v3 dst_sel:DWORD dst_unused:UNUSED_PAD src0_sel:DWORD src1_sel:BYTE_3
	v_sub_u32_e32 v14, 29, v14
	v_and_b32_e32 v3, 7, v3
	v_cmp_eq_u16_e32 vcc, 0, v12
	v_cndmask_b32_e32 v3, v6, v3, vcc
	v_cndmask_b32_e32 v6, v13, v14, vcc
	v_mov_b32_e32 v12, 0x3b800000
	v_lshlrev_b32_e32 v3, 20, v3
	v_lshl_add_u32 v6, v6, 23, v12
	v_or3_b32 v6, v7, v6, v3
.LBB10_704:
	s_or_b64 exec, exec, s[6:7]
	s_nop 0
	v_mfma_f32_16x16x4f32 a[0:3], v2, v6, a[0:3]
	s_movk_i32 s4, 0x7f
	v_cmp_gt_i16_sdwa s[6:7], v8, s4 src0_sel:BYTE_0 src1_sel:DWORD
	s_mov_b64 s[4:5], 0
                                        ; implicit-def: $sgpr10
	s_and_saveexec_b64 s[8:9], s[6:7]
	s_xor_b64 s[6:7], exec, s[8:9]
	s_cbranch_execnz .LBB10_2753
; %bb.705:
	s_or_saveexec_b64 s[6:7], s[6:7]
	v_mov_b32_e32 v2, s10
	s_xor_b64 exec, exec, s[6:7]
	s_cbranch_execnz .LBB10_2756
.LBB10_706:
	s_or_b64 exec, exec, s[6:7]
	s_and_saveexec_b64 s[6:7], s[4:5]
	s_cbranch_execz .LBB10_708
.LBB10_707:
	v_and_b32_e32 v2, 7, v8
	v_ffbh_u32_e32 v6, v2
	v_min_u32_e32 v6, 32, v6
	v_lshrrev_b16_e32 v3, 3, v8
	v_subrev_u32_e32 v7, 28, v6
	v_and_b32_e32 v3, 15, v3
	v_lshlrev_b32_e32 v7, v7, v8
	v_sub_u32_e32 v6, 29, v6
	v_and_b32_e32 v7, 7, v7
	v_cmp_eq_u16_e32 vcc, 0, v3
	v_cndmask_b32_e32 v2, v2, v7, vcc
	v_cndmask_b32_e32 v3, v3, v6, vcc
	v_lshlrev_b32_e32 v6, 24, v8
	v_mov_b32_e32 v7, 0x3b800000
	v_lshlrev_b32_e32 v2, 20, v2
	v_and_b32_e32 v6, 0x80000000, v6
	v_lshl_add_u32 v3, v3, 23, v7
	v_or3_b32 v2, v6, v3, v2
.LBB10_708:
	s_or_b64 exec, exec, s[6:7]
	s_movk_i32 s4, 0x7f
	v_cmp_gt_i16_sdwa s[6:7], v4, s4 src0_sel:BYTE_0 src1_sel:DWORD
	s_mov_b64 s[4:5], 0
                                        ; implicit-def: $sgpr10
	s_and_saveexec_b64 s[8:9], s[6:7]
	s_xor_b64 s[6:7], exec, s[8:9]
	s_cbranch_execnz .LBB10_2757
; %bb.709:
	s_or_saveexec_b64 s[6:7], s[6:7]
	v_mov_b32_e32 v3, s10
	s_xor_b64 exec, exec, s[6:7]
	s_cbranch_execnz .LBB10_2760
.LBB10_710:
	s_or_b64 exec, exec, s[6:7]
	s_and_saveexec_b64 s[6:7], s[4:5]
	s_cbranch_execz .LBB10_712
.LBB10_711:
	v_and_b32_e32 v3, 7, v4
	v_ffbh_u32_e32 v7, v3
	v_min_u32_e32 v7, 32, v7
	v_lshrrev_b16_e32 v6, 3, v4
	v_subrev_u32_e32 v12, 28, v7
	v_and_b32_e32 v6, 15, v6
	v_lshlrev_b32_e32 v12, v12, v4
	v_sub_u32_e32 v7, 29, v7
	v_and_b32_e32 v12, 7, v12
	v_cmp_eq_u16_e32 vcc, 0, v6
	v_cndmask_b32_e32 v3, v3, v12, vcc
	v_cndmask_b32_e32 v6, v6, v7, vcc
	v_lshlrev_b32_e32 v7, 24, v4
	v_mov_b32_e32 v12, 0x3b800000
	v_lshlrev_b32_e32 v3, 20, v3
	v_and_b32_e32 v7, 0x80000000, v7
	v_lshl_add_u32 v6, v6, 23, v12
	v_or3_b32 v3, v7, v6, v3
.LBB10_712:
	s_or_b64 exec, exec, s[6:7]
	s_nop 0
	v_mfma_f32_16x16x4f32 a[0:3], v2, v3, a[0:3]
	v_lshrrev_b32_e32 v3, 8, v8
	s_movk_i32 s4, 0x7f
	v_cmp_gt_i16_sdwa s[6:7], v3, s4 src0_sel:BYTE_0 src1_sel:DWORD
	s_mov_b64 s[4:5], 0
                                        ; implicit-def: $sgpr10
	s_and_saveexec_b64 s[8:9], s[6:7]
	s_xor_b64 s[6:7], exec, s[8:9]
	s_cbranch_execnz .LBB10_2761
; %bb.713:
	s_or_saveexec_b64 s[6:7], s[6:7]
	v_mov_b32_e32 v2, s10
	s_xor_b64 exec, exec, s[6:7]
	s_cbranch_execnz .LBB10_2764
.LBB10_714:
	s_or_b64 exec, exec, s[6:7]
	s_and_saveexec_b64 s[6:7], s[4:5]
	s_cbranch_execz .LBB10_716
.LBB10_715:
	v_bfe_u32 v2, v8, 8, 3
	v_ffbh_u32_e32 v7, v2
	v_min_u32_e32 v7, 32, v7
	v_lshrrev_b16_e32 v6, 3, v3
	v_subrev_u32_e32 v12, 28, v7
	v_and_b32_e32 v6, 15, v6
	v_lshlrev_b32_e32 v3, v12, v3
	v_sub_u32_e32 v7, 29, v7
	v_and_b32_e32 v3, 7, v3
	v_cmp_eq_u16_e32 vcc, 0, v6
	v_cndmask_b32_e32 v2, v2, v3, vcc
	v_cndmask_b32_e32 v3, v6, v7, vcc
	v_lshlrev_b32_e32 v6, 16, v8
	v_mov_b32_e32 v7, 0x3b800000
	v_lshlrev_b32_e32 v2, 20, v2
	v_and_b32_e32 v6, 0x80000000, v6
	v_lshl_add_u32 v3, v3, 23, v7
	v_or3_b32 v2, v6, v3, v2
.LBB10_716:
	s_or_b64 exec, exec, s[6:7]
	v_lshrrev_b32_e32 v3, 8, v4
	s_movk_i32 s4, 0x7f
	v_cmp_gt_i16_sdwa s[6:7], v3, s4 src0_sel:BYTE_0 src1_sel:DWORD
	s_mov_b64 s[4:5], 0
                                        ; implicit-def: $sgpr10
	s_and_saveexec_b64 s[8:9], s[6:7]
	s_xor_b64 s[6:7], exec, s[8:9]
	s_cbranch_execnz .LBB10_2765
; %bb.717:
	s_or_saveexec_b64 s[6:7], s[6:7]
	v_mov_b32_e32 v6, s10
	s_xor_b64 exec, exec, s[6:7]
	s_cbranch_execnz .LBB10_2768
.LBB10_718:
	s_or_b64 exec, exec, s[6:7]
	s_and_saveexec_b64 s[6:7], s[4:5]
	s_cbranch_execz .LBB10_720
.LBB10_719:
	v_bfe_u32 v6, v4, 8, 3
	v_ffbh_u32_e32 v12, v6
	v_min_u32_e32 v12, 32, v12
	v_lshrrev_b16_e32 v7, 3, v3
	v_subrev_u32_e32 v13, 28, v12
	v_and_b32_e32 v7, 15, v7
	v_lshlrev_b32_e32 v3, v13, v3
	v_sub_u32_e32 v12, 29, v12
	v_and_b32_e32 v3, 7, v3
	v_cmp_eq_u16_e32 vcc, 0, v7
	v_cndmask_b32_e32 v3, v6, v3, vcc
	v_cndmask_b32_e32 v6, v7, v12, vcc
	v_lshlrev_b32_e32 v7, 16, v4
	v_mov_b32_e32 v12, 0x3b800000
	v_lshlrev_b32_e32 v3, 20, v3
	v_and_b32_e32 v7, 0x80000000, v7
	v_lshl_add_u32 v6, v6, 23, v12
	v_or3_b32 v6, v7, v6, v3
.LBB10_720:
	s_or_b64 exec, exec, s[6:7]
	s_nop 0
	v_mfma_f32_16x16x4f32 a[0:3], v2, v6, a[0:3]
	s_movk_i32 s4, 0xff
	v_and_b32_sdwa v3, v8, s4 dst_sel:DWORD dst_unused:UNUSED_PAD src0_sel:WORD_1 src1_sel:DWORD
	s_movk_i32 s4, 0x7f
	v_cmp_lt_i16_e32 vcc, s4, v3
	s_mov_b64 s[4:5], 0
                                        ; implicit-def: $sgpr10
	s_and_saveexec_b64 s[6:7], vcc
	s_xor_b64 s[6:7], exec, s[6:7]
	s_cbranch_execnz .LBB10_2769
; %bb.721:
	s_or_saveexec_b64 s[6:7], s[6:7]
	v_mov_b32_e32 v2, s10
	s_xor_b64 exec, exec, s[6:7]
	s_cbranch_execnz .LBB10_2772
.LBB10_722:
	s_or_b64 exec, exec, s[6:7]
	s_and_saveexec_b64 s[6:7], s[4:5]
	s_cbranch_execz .LBB10_724
.LBB10_723:
	v_bfe_u32 v2, v8, 16, 3
	v_ffbh_u32_e32 v7, v2
	v_min_u32_e32 v7, 32, v7
	v_lshrrev_b32_e32 v3, 19, v8
	v_subrev_u32_e32 v12, 28, v7
	v_and_b32_e32 v3, 15, v3
	v_lshlrev_b32_sdwa v12, v12, v8 dst_sel:DWORD dst_unused:UNUSED_PAD src0_sel:DWORD src1_sel:WORD_1
	v_bfe_u32 v6, v8, 19, 4
	v_sub_u32_e32 v7, 29, v7
	v_and_b32_e32 v12, 7, v12
	v_cmp_eq_u16_e32 vcc, 0, v3
	v_cndmask_b32_e32 v2, v2, v12, vcc
	v_cndmask_b32_e32 v3, v6, v7, vcc
	v_lshlrev_b32_e32 v6, 8, v8
	v_mov_b32_e32 v7, 0x3b800000
	v_lshlrev_b32_e32 v2, 20, v2
	v_and_b32_e32 v6, 0x80000000, v6
	v_lshl_add_u32 v3, v3, 23, v7
	v_or3_b32 v2, v6, v3, v2
.LBB10_724:
	s_or_b64 exec, exec, s[6:7]
	s_movk_i32 s4, 0xff
	v_and_b32_sdwa v3, v4, s4 dst_sel:DWORD dst_unused:UNUSED_PAD src0_sel:WORD_1 src1_sel:DWORD
	s_movk_i32 s4, 0x7f
	v_cmp_lt_i16_e32 vcc, s4, v3
	s_mov_b64 s[4:5], 0
                                        ; implicit-def: $sgpr10
	s_and_saveexec_b64 s[6:7], vcc
	s_xor_b64 s[6:7], exec, s[6:7]
	s_cbranch_execnz .LBB10_2773
; %bb.725:
	s_or_saveexec_b64 s[6:7], s[6:7]
	v_mov_b32_e32 v6, s10
	s_xor_b64 exec, exec, s[6:7]
	s_cbranch_execnz .LBB10_2776
.LBB10_726:
	s_or_b64 exec, exec, s[6:7]
	s_and_saveexec_b64 s[6:7], s[4:5]
	s_cbranch_execz .LBB10_728
.LBB10_727:
	v_bfe_u32 v3, v4, 16, 3
	v_ffbh_u32_e32 v12, v3
	v_min_u32_e32 v12, 32, v12
	v_lshrrev_b32_e32 v6, 19, v4
	v_subrev_u32_e32 v13, 28, v12
	v_and_b32_e32 v6, 15, v6
	v_lshlrev_b32_sdwa v13, v13, v4 dst_sel:DWORD dst_unused:UNUSED_PAD src0_sel:DWORD src1_sel:WORD_1
	v_bfe_u32 v7, v4, 19, 4
	v_sub_u32_e32 v12, 29, v12
	v_and_b32_e32 v13, 7, v13
	v_cmp_eq_u16_e32 vcc, 0, v6
	v_cndmask_b32_e32 v3, v3, v13, vcc
	v_cndmask_b32_e32 v6, v7, v12, vcc
	v_lshlrev_b32_e32 v7, 8, v4
	v_mov_b32_e32 v12, 0x3b800000
	v_lshlrev_b32_e32 v3, 20, v3
	v_and_b32_e32 v7, 0x80000000, v7
	v_lshl_add_u32 v6, v6, 23, v12
	v_or3_b32 v6, v7, v6, v3
.LBB10_728:
	s_or_b64 exec, exec, s[6:7]
	s_nop 0
	v_mfma_f32_16x16x4f32 a[0:3], v2, v6, a[0:3]
	s_movk_i32 s4, 0x7f
	v_cmp_gt_i16_sdwa s[6:7], v8, s4 src0_sel:BYTE_3 src1_sel:DWORD
	s_mov_b64 s[4:5], 0
                                        ; implicit-def: $sgpr10
	s_and_saveexec_b64 s[8:9], s[6:7]
	s_xor_b64 s[6:7], exec, s[8:9]
	s_cbranch_execnz .LBB10_2777
; %bb.729:
	s_or_saveexec_b64 s[6:7], s[6:7]
	v_mov_b32_e32 v2, s10
	s_xor_b64 exec, exec, s[6:7]
	s_cbranch_execnz .LBB10_2780
.LBB10_730:
	s_or_b64 exec, exec, s[6:7]
	s_and_saveexec_b64 s[6:7], s[4:5]
	s_cbranch_execz .LBB10_732
.LBB10_731:
	v_bfe_u32 v2, v8, 24, 3
	v_ffbh_u32_e32 v12, v2
	v_min_u32_e32 v12, 32, v12
	v_lshrrev_b32_e32 v6, 27, v8
	v_subrev_u32_e32 v13, 28, v12
	v_and_b32_e32 v3, 0x80000000, v8
	v_and_b32_e32 v6, 15, v6
	v_bfe_u32 v7, v8, 27, 4
	v_lshlrev_b32_sdwa v8, v13, v8 dst_sel:DWORD dst_unused:UNUSED_PAD src0_sel:DWORD src1_sel:BYTE_3
	v_sub_u32_e32 v12, 29, v12
	v_and_b32_e32 v8, 7, v8
	v_cmp_eq_u16_e32 vcc, 0, v6
	v_cndmask_b32_e32 v2, v2, v8, vcc
	v_cndmask_b32_e32 v6, v7, v12, vcc
	v_mov_b32_e32 v7, 0x3b800000
	v_lshlrev_b32_e32 v2, 20, v2
	v_lshl_add_u32 v6, v6, 23, v7
	v_or3_b32 v2, v3, v6, v2
.LBB10_732:
	s_or_b64 exec, exec, s[6:7]
	s_movk_i32 s4, 0x7f
	v_cmp_gt_i16_sdwa s[6:7], v4, s4 src0_sel:BYTE_3 src1_sel:DWORD
	s_mov_b64 s[4:5], 0
                                        ; implicit-def: $sgpr10
	s_and_saveexec_b64 s[8:9], s[6:7]
	s_xor_b64 s[6:7], exec, s[8:9]
	s_cbranch_execnz .LBB10_2781
; %bb.733:
	s_or_saveexec_b64 s[6:7], s[6:7]
	v_mov_b32_e32 v3, s10
	s_xor_b64 exec, exec, s[6:7]
	s_cbranch_execnz .LBB10_2784
.LBB10_734:
	s_or_b64 exec, exec, s[6:7]
	s_and_saveexec_b64 s[6:7], s[4:5]
	s_cbranch_execz .LBB10_736
.LBB10_735:
	v_bfe_u32 v3, v4, 24, 3
	v_ffbh_u32_e32 v12, v3
	v_min_u32_e32 v12, 32, v12
	v_lshrrev_b32_e32 v7, 27, v4
	v_subrev_u32_e32 v13, 28, v12
	v_and_b32_e32 v6, 0x80000000, v4
	v_and_b32_e32 v7, 15, v7
	v_bfe_u32 v8, v4, 27, 4
	v_lshlrev_b32_sdwa v4, v13, v4 dst_sel:DWORD dst_unused:UNUSED_PAD src0_sel:DWORD src1_sel:BYTE_3
	v_sub_u32_e32 v12, 29, v12
	v_and_b32_e32 v4, 7, v4
	v_cmp_eq_u16_e32 vcc, 0, v7
	v_cndmask_b32_e32 v3, v3, v4, vcc
	v_cndmask_b32_e32 v4, v8, v12, vcc
	v_mov_b32_e32 v7, 0x3b800000
	v_lshlrev_b32_e32 v3, 20, v3
	v_lshl_add_u32 v4, v4, 23, v7
	v_or3_b32 v3, v6, v4, v3
.LBB10_736:
	s_or_b64 exec, exec, s[6:7]
	s_nop 0
	v_mfma_f32_16x16x4f32 a[0:3], v2, v3, a[0:3]
	s_movk_i32 s4, 0x7f
	v_cmp_gt_i16_sdwa s[6:7], v9, s4 src0_sel:BYTE_0 src1_sel:DWORD
	s_mov_b64 s[4:5], 0
                                        ; implicit-def: $sgpr10
	s_and_saveexec_b64 s[8:9], s[6:7]
	s_xor_b64 s[6:7], exec, s[8:9]
	s_cbranch_execnz .LBB10_2785
; %bb.737:
	s_or_saveexec_b64 s[6:7], s[6:7]
	v_mov_b32_e32 v2, s10
	s_xor_b64 exec, exec, s[6:7]
	s_cbranch_execnz .LBB10_2788
.LBB10_738:
	s_or_b64 exec, exec, s[6:7]
	s_and_saveexec_b64 s[6:7], s[4:5]
	s_cbranch_execz .LBB10_740
.LBB10_739:
	v_mov_b32_e32 v2, 8
	v_and_b32_e32 v3, 7, v9
	v_lshrrev_b32_sdwa v2, v2, v9 dst_sel:BYTE_1 dst_unused:UNUSED_PAD src0_sel:DWORD src1_sel:DWORD
	v_ffbh_u32_e32 v4, v3
	v_or_b32_sdwa v2, v9, v2 dst_sel:DWORD dst_unused:UNUSED_PAD src0_sel:BYTE_0 src1_sel:DWORD
	v_min_u32_e32 v4, 32, v4
	v_lshrrev_b16_e32 v2, 3, v2
	v_subrev_u32_e32 v6, 28, v4
	v_and_b32_e32 v2, 15, v2
	v_lshlrev_b32_e32 v6, v6, v9
	v_sub_u32_e32 v4, 29, v4
	v_and_b32_e32 v6, 7, v6
	v_cmp_eq_u16_e32 vcc, 0, v2
	v_cndmask_b32_e32 v3, v3, v6, vcc
	v_cndmask_b32_e32 v2, v2, v4, vcc
	v_lshlrev_b32_e32 v4, 24, v9
	v_mov_b32_e32 v6, 0x3b800000
	v_lshlrev_b32_e32 v3, 20, v3
	v_and_b32_e32 v4, 0x80000000, v4
	v_lshl_add_u32 v2, v2, 23, v6
	v_or3_b32 v2, v4, v2, v3
.LBB10_740:
	s_or_b64 exec, exec, s[6:7]
	s_movk_i32 s4, 0x7f
	v_cmp_gt_i16_sdwa s[6:7], v5, s4 src0_sel:BYTE_0 src1_sel:DWORD
	s_mov_b64 s[4:5], 0
                                        ; implicit-def: $sgpr10
	s_and_saveexec_b64 s[8:9], s[6:7]
	s_xor_b64 s[6:7], exec, s[8:9]
	s_cbranch_execnz .LBB10_2789
; %bb.741:
	s_or_saveexec_b64 s[6:7], s[6:7]
	v_mov_b32_e32 v3, s10
	s_xor_b64 exec, exec, s[6:7]
	s_cbranch_execnz .LBB10_2792
.LBB10_742:
	s_or_b64 exec, exec, s[6:7]
	s_and_saveexec_b64 s[6:7], s[4:5]
	s_cbranch_execz .LBB10_744
.LBB10_743:
	v_mov_b32_e32 v3, 8
	v_and_b32_e32 v4, 7, v5
	v_lshrrev_b32_sdwa v3, v3, v5 dst_sel:BYTE_1 dst_unused:UNUSED_PAD src0_sel:DWORD src1_sel:DWORD
	v_ffbh_u32_e32 v6, v4
	v_or_b32_sdwa v3, v5, v3 dst_sel:DWORD dst_unused:UNUSED_PAD src0_sel:BYTE_0 src1_sel:DWORD
	v_min_u32_e32 v6, 32, v6
	v_lshrrev_b16_e32 v3, 3, v3
	v_subrev_u32_e32 v7, 28, v6
	v_and_b32_e32 v3, 15, v3
	v_lshlrev_b32_e32 v7, v7, v5
	v_sub_u32_e32 v6, 29, v6
	v_and_b32_e32 v7, 7, v7
	v_cmp_eq_u16_e32 vcc, 0, v3
	v_cndmask_b32_e32 v4, v4, v7, vcc
	v_cndmask_b32_e32 v3, v3, v6, vcc
	v_lshlrev_b32_e32 v6, 24, v5
	v_mov_b32_e32 v7, 0x3b800000
	v_lshlrev_b32_e32 v4, 20, v4
	v_and_b32_e32 v6, 0x80000000, v6
	v_lshl_add_u32 v3, v3, 23, v7
	v_or3_b32 v3, v6, v3, v4
.LBB10_744:
	s_or_b64 exec, exec, s[6:7]
	s_nop 0
	v_mfma_f32_16x16x4f32 a[0:3], v2, v3, a[0:3]
	v_lshrrev_b32_e32 v3, 8, v9
	s_movk_i32 s4, 0x7f
	v_cmp_gt_i16_sdwa s[6:7], v3, s4 src0_sel:BYTE_0 src1_sel:DWORD
	s_mov_b64 s[4:5], 0
                                        ; implicit-def: $sgpr10
	s_and_saveexec_b64 s[8:9], s[6:7]
	s_xor_b64 s[6:7], exec, s[8:9]
	s_cbranch_execnz .LBB10_2793
; %bb.745:
	s_or_saveexec_b64 s[6:7], s[6:7]
	v_mov_b32_e32 v2, s10
	s_xor_b64 exec, exec, s[6:7]
	s_cbranch_execnz .LBB10_2796
.LBB10_746:
	s_or_b64 exec, exec, s[6:7]
	s_and_saveexec_b64 s[6:7], s[4:5]
	s_cbranch_execz .LBB10_748
.LBB10_747:
	v_bfe_u32 v2, v9, 8, 3
	v_ffbh_u32_e32 v6, v2
	v_min_u32_e32 v6, 32, v6
	v_lshrrev_b16_e32 v4, 3, v3
	v_subrev_u32_e32 v7, 28, v6
	v_and_b32_e32 v4, 15, v4
	v_lshlrev_b32_e32 v3, v7, v3
	v_sub_u32_e32 v6, 29, v6
	v_and_b32_e32 v3, 7, v3
	v_cmp_eq_u16_e32 vcc, 0, v4
	v_cndmask_b32_e32 v2, v2, v3, vcc
	v_cndmask_b32_e32 v3, v4, v6, vcc
	v_lshlrev_b32_e32 v4, 16, v9
	v_mov_b32_e32 v6, 0x3b800000
	v_lshlrev_b32_e32 v2, 20, v2
	v_and_b32_e32 v4, 0x80000000, v4
	v_lshl_add_u32 v3, v3, 23, v6
	v_or3_b32 v2, v4, v3, v2
.LBB10_748:
	s_or_b64 exec, exec, s[6:7]
	v_lshrrev_b32_e32 v3, 8, v5
	s_movk_i32 s4, 0x7f
	v_cmp_gt_i16_sdwa s[6:7], v3, s4 src0_sel:BYTE_0 src1_sel:DWORD
	s_mov_b64 s[4:5], 0
                                        ; implicit-def: $sgpr10
	s_and_saveexec_b64 s[8:9], s[6:7]
	s_xor_b64 s[6:7], exec, s[8:9]
	s_cbranch_execnz .LBB10_2797
; %bb.749:
	s_or_saveexec_b64 s[6:7], s[6:7]
	v_mov_b32_e32 v4, s10
	s_xor_b64 exec, exec, s[6:7]
	s_cbranch_execnz .LBB10_2800
.LBB10_750:
	s_or_b64 exec, exec, s[6:7]
	s_and_saveexec_b64 s[6:7], s[4:5]
	s_cbranch_execz .LBB10_752
.LBB10_751:
	v_bfe_u32 v4, v5, 8, 3
	v_ffbh_u32_e32 v7, v4
	v_min_u32_e32 v7, 32, v7
	v_lshrrev_b16_e32 v6, 3, v3
	v_subrev_u32_e32 v8, 28, v7
	v_and_b32_e32 v6, 15, v6
	v_lshlrev_b32_e32 v3, v8, v3
	v_sub_u32_e32 v7, 29, v7
	v_and_b32_e32 v3, 7, v3
	v_cmp_eq_u16_e32 vcc, 0, v6
	v_cndmask_b32_e32 v3, v4, v3, vcc
	v_cndmask_b32_e32 v4, v6, v7, vcc
	v_lshlrev_b32_e32 v6, 16, v5
	v_mov_b32_e32 v7, 0x3b800000
	v_lshlrev_b32_e32 v3, 20, v3
	v_and_b32_e32 v6, 0x80000000, v6
	v_lshl_add_u32 v4, v4, 23, v7
	v_or3_b32 v4, v6, v4, v3
.LBB10_752:
	s_or_b64 exec, exec, s[6:7]
	s_nop 0
	v_mfma_f32_16x16x4f32 a[0:3], v2, v4, a[0:3]
	s_movk_i32 s4, 0xff
	v_and_b32_sdwa v3, v9, s4 dst_sel:DWORD dst_unused:UNUSED_PAD src0_sel:WORD_1 src1_sel:DWORD
	s_movk_i32 s4, 0x7f
	v_cmp_lt_i16_e32 vcc, s4, v3
	s_mov_b64 s[4:5], 0
                                        ; implicit-def: $sgpr10
	s_and_saveexec_b64 s[6:7], vcc
	s_xor_b64 s[6:7], exec, s[6:7]
	s_cbranch_execnz .LBB10_2801
; %bb.753:
	s_or_saveexec_b64 s[6:7], s[6:7]
	v_mov_b32_e32 v2, s10
	s_xor_b64 exec, exec, s[6:7]
	s_cbranch_execnz .LBB10_2804
.LBB10_754:
	s_or_b64 exec, exec, s[6:7]
	s_and_saveexec_b64 s[6:7], s[4:5]
	s_cbranch_execz .LBB10_756
.LBB10_755:
	v_bfe_u32 v2, v9, 16, 3
	v_ffbh_u32_e32 v6, v2
	v_min_u32_e32 v6, 32, v6
	v_lshrrev_b32_e32 v3, 19, v9
	v_subrev_u32_e32 v7, 28, v6
	v_and_b32_e32 v3, 15, v3
	v_lshlrev_b32_sdwa v7, v7, v9 dst_sel:DWORD dst_unused:UNUSED_PAD src0_sel:DWORD src1_sel:WORD_1
	v_bfe_u32 v4, v9, 19, 4
	v_sub_u32_e32 v6, 29, v6
	v_and_b32_e32 v7, 7, v7
	v_cmp_eq_u16_e32 vcc, 0, v3
	v_cndmask_b32_e32 v2, v2, v7, vcc
	v_cndmask_b32_e32 v3, v4, v6, vcc
	v_lshlrev_b32_e32 v4, 8, v9
	v_mov_b32_e32 v6, 0x3b800000
	v_lshlrev_b32_e32 v2, 20, v2
	v_and_b32_e32 v4, 0x80000000, v4
	v_lshl_add_u32 v3, v3, 23, v6
	v_or3_b32 v2, v4, v3, v2
.LBB10_756:
	s_or_b64 exec, exec, s[6:7]
	s_movk_i32 s4, 0xff
	v_and_b32_sdwa v3, v5, s4 dst_sel:DWORD dst_unused:UNUSED_PAD src0_sel:WORD_1 src1_sel:DWORD
	s_movk_i32 s4, 0x7f
	v_cmp_lt_i16_e32 vcc, s4, v3
	s_mov_b64 s[4:5], 0
                                        ; implicit-def: $sgpr10
	s_and_saveexec_b64 s[6:7], vcc
	s_xor_b64 s[6:7], exec, s[6:7]
	s_cbranch_execnz .LBB10_2805
; %bb.757:
	s_or_saveexec_b64 s[6:7], s[6:7]
	v_mov_b32_e32 v4, s10
	s_xor_b64 exec, exec, s[6:7]
	s_cbranch_execnz .LBB10_2808
.LBB10_758:
	s_or_b64 exec, exec, s[6:7]
	s_and_saveexec_b64 s[6:7], s[4:5]
	s_cbranch_execz .LBB10_760
.LBB10_759:
	v_bfe_u32 v3, v5, 16, 3
	v_ffbh_u32_e32 v7, v3
	v_min_u32_e32 v7, 32, v7
	v_lshrrev_b32_e32 v4, 19, v5
	v_subrev_u32_e32 v8, 28, v7
	v_and_b32_e32 v4, 15, v4
	v_lshlrev_b32_sdwa v8, v8, v5 dst_sel:DWORD dst_unused:UNUSED_PAD src0_sel:DWORD src1_sel:WORD_1
	v_bfe_u32 v6, v5, 19, 4
	v_sub_u32_e32 v7, 29, v7
	v_and_b32_e32 v8, 7, v8
	v_cmp_eq_u16_e32 vcc, 0, v4
	v_cndmask_b32_e32 v3, v3, v8, vcc
	v_cndmask_b32_e32 v4, v6, v7, vcc
	v_lshlrev_b32_e32 v6, 8, v5
	v_mov_b32_e32 v7, 0x3b800000
	v_lshlrev_b32_e32 v3, 20, v3
	v_and_b32_e32 v6, 0x80000000, v6
	v_lshl_add_u32 v4, v4, 23, v7
	v_or3_b32 v4, v6, v4, v3
.LBB10_760:
	s_or_b64 exec, exec, s[6:7]
	s_nop 0
	v_mfma_f32_16x16x4f32 a[0:3], v2, v4, a[0:3]
	s_movk_i32 s4, 0x7f
	v_cmp_gt_i16_sdwa s[6:7], v9, s4 src0_sel:BYTE_3 src1_sel:DWORD
	s_mov_b64 s[4:5], 0
                                        ; implicit-def: $sgpr10
	s_and_saveexec_b64 s[8:9], s[6:7]
	s_xor_b64 s[6:7], exec, s[8:9]
	s_cbranch_execnz .LBB10_2809
; %bb.761:
	s_or_saveexec_b64 s[6:7], s[6:7]
	v_mov_b32_e32 v2, s10
	s_xor_b64 exec, exec, s[6:7]
	s_cbranch_execnz .LBB10_2812
.LBB10_762:
	s_or_b64 exec, exec, s[6:7]
	s_and_saveexec_b64 s[6:7], s[4:5]
	s_cbranch_execz .LBB10_764
.LBB10_763:
	v_bfe_u32 v2, v9, 24, 3
	v_ffbh_u32_e32 v7, v2
	v_min_u32_e32 v7, 32, v7
	v_lshrrev_b32_e32 v4, 27, v9
	v_subrev_u32_e32 v8, 28, v7
	v_and_b32_e32 v4, 15, v4
	v_lshlrev_b32_sdwa v8, v8, v9 dst_sel:DWORD dst_unused:UNUSED_PAD src0_sel:DWORD src1_sel:BYTE_3
	v_bfe_u32 v6, v9, 27, 4
	v_sub_u32_e32 v7, 29, v7
	v_and_b32_e32 v8, 7, v8
	v_cmp_eq_u16_e32 vcc, 0, v4
	v_cndmask_b32_e32 v2, v2, v8, vcc
	v_cndmask_b32_e32 v4, v6, v7, vcc
	v_mov_b32_e32 v6, 0x3b800000
	v_and_b32_e32 v3, 0x80000000, v9
	v_lshlrev_b32_e32 v2, 20, v2
	v_lshl_add_u32 v4, v4, 23, v6
	v_or3_b32 v2, v3, v4, v2
.LBB10_764:
	s_or_b64 exec, exec, s[6:7]
	s_movk_i32 s4, 0x7f
	v_cmp_gt_i16_sdwa s[6:7], v5, s4 src0_sel:BYTE_3 src1_sel:DWORD
	s_mov_b64 s[4:5], 0
                                        ; implicit-def: $sgpr10
	s_and_saveexec_b64 s[8:9], s[6:7]
	s_xor_b64 s[6:7], exec, s[8:9]
	s_cbranch_execnz .LBB10_2813
; %bb.765:
	s_or_saveexec_b64 s[6:7], s[6:7]
	v_mov_b32_e32 v3, s10
	s_xor_b64 exec, exec, s[6:7]
	s_cbranch_execnz .LBB10_2816
.LBB10_766:
	s_or_b64 exec, exec, s[6:7]
	s_and_saveexec_b64 s[6:7], s[4:5]
	s_cbranch_execz .LBB10_768
.LBB10_767:
	v_bfe_u32 v3, v5, 24, 3
	v_ffbh_u32_e32 v8, v3
	v_min_u32_e32 v8, 32, v8
	v_lshrrev_b32_e32 v6, 27, v5
	v_subrev_u32_e32 v9, 28, v8
	v_and_b32_e32 v4, 0x80000000, v5
	v_and_b32_e32 v6, 15, v6
	v_bfe_u32 v7, v5, 27, 4
	v_lshlrev_b32_sdwa v5, v9, v5 dst_sel:DWORD dst_unused:UNUSED_PAD src0_sel:DWORD src1_sel:BYTE_3
	v_sub_u32_e32 v8, 29, v8
	v_and_b32_e32 v5, 7, v5
	v_cmp_eq_u16_e32 vcc, 0, v6
	v_cndmask_b32_e32 v3, v3, v5, vcc
	v_cndmask_b32_e32 v5, v7, v8, vcc
	v_mov_b32_e32 v6, 0x3b800000
	v_lshlrev_b32_e32 v3, 20, v3
	v_lshl_add_u32 v5, v5, 23, v6
	v_or3_b32 v3, v4, v5, v3
.LBB10_768:
	s_or_b64 exec, exec, s[6:7]
	s_nop 0
	v_mfma_f32_16x16x4f32 a[0:3], v2, v3, a[0:3]
	s_movk_i32 s4, 0x7f
                                        ; implicit-def: $sgpr10
	s_nop 7
	s_nop 1
	flat_store_dwordx4 v[10:11], a[0:3] offset:80
	flat_load_dwordx4 v[12:15], v[0:1] offset:8
	s_nop 0
	flat_load_dwordx2 v[10:11], v[0:1] offset:32
	s_waitcnt vmcnt(0) lgkmcnt(0)
	flat_load_dwordx4 v[6:9], v[12:13] offset:32
	flat_load_dwordx4 v[2:5], v[14:15] offset:64
	s_waitcnt vmcnt(0) lgkmcnt(0)
	v_cmp_gt_i16_sdwa s[6:7], v6, s4 src0_sel:BYTE_0 src1_sel:DWORD
	s_mov_b64 s[4:5], 0
	s_and_saveexec_b64 s[8:9], s[6:7]
	s_xor_b64 s[6:7], exec, s[8:9]
	s_cbranch_execnz .LBB10_2817
; %bb.769:
	s_or_saveexec_b64 s[6:7], s[6:7]
	v_mov_b32_e32 v12, s10
	s_xor_b64 exec, exec, s[6:7]
	s_cbranch_execnz .LBB10_2820
.LBB10_770:
	s_or_b64 exec, exec, s[6:7]
	s_and_saveexec_b64 s[6:7], s[4:5]
	s_cbranch_execz .LBB10_772
.LBB10_771:
	v_and_b32_e32 v12, 7, v6
	v_ffbh_u32_e32 v14, v12
	v_min_u32_e32 v14, 32, v14
	v_lshrrev_b16_e32 v13, 3, v6
	v_subrev_u32_e32 v15, 28, v14
	v_and_b32_e32 v13, 15, v13
	v_lshlrev_b32_e32 v15, v15, v6
	v_sub_u32_e32 v14, 29, v14
	v_and_b32_e32 v15, 7, v15
	v_cmp_eq_u16_e32 vcc, 0, v13
	v_cndmask_b32_e32 v12, v12, v15, vcc
	v_cndmask_b32_e32 v13, v13, v14, vcc
	v_lshlrev_b32_e32 v14, 24, v6
	v_mov_b32_e32 v15, 0x3b800000
	v_lshlrev_b32_e32 v12, 20, v12
	v_and_b32_e32 v14, 0x80000000, v14
	v_lshl_add_u32 v13, v13, 23, v15
	v_or3_b32 v12, v14, v13, v12
.LBB10_772:
	s_or_b64 exec, exec, s[6:7]
	s_movk_i32 s4, 0x7f
	v_cmp_gt_i16_sdwa s[6:7], v2, s4 src0_sel:BYTE_0 src1_sel:DWORD
	s_mov_b64 s[4:5], 0
                                        ; implicit-def: $sgpr10
	s_and_saveexec_b64 s[8:9], s[6:7]
	s_xor_b64 s[6:7], exec, s[8:9]
	s_cbranch_execnz .LBB10_2821
; %bb.773:
	s_or_saveexec_b64 s[6:7], s[6:7]
	v_mov_b32_e32 v13, s10
	s_xor_b64 exec, exec, s[6:7]
	s_cbranch_execnz .LBB10_2824
.LBB10_774:
	s_or_b64 exec, exec, s[6:7]
	s_and_saveexec_b64 s[6:7], s[4:5]
	s_cbranch_execz .LBB10_776
.LBB10_775:
	v_and_b32_e32 v13, 7, v2
	v_ffbh_u32_e32 v15, v13
	v_min_u32_e32 v15, 32, v15
	v_lshrrev_b16_e32 v14, 3, v2
	v_subrev_u32_e32 v16, 28, v15
	v_and_b32_e32 v14, 15, v14
	v_lshlrev_b32_e32 v16, v16, v2
	v_sub_u32_e32 v15, 29, v15
	v_and_b32_e32 v16, 7, v16
	v_cmp_eq_u16_e32 vcc, 0, v14
	v_cndmask_b32_e32 v13, v13, v16, vcc
	v_cndmask_b32_e32 v14, v14, v15, vcc
	v_lshlrev_b32_e32 v15, 24, v2
	v_mov_b32_e32 v16, 0x3b800000
	v_lshlrev_b32_e32 v13, 20, v13
	v_and_b32_e32 v15, 0x80000000, v15
	v_lshl_add_u32 v14, v14, 23, v16
	v_or3_b32 v13, v15, v14, v13
.LBB10_776:
	s_or_b64 exec, exec, s[6:7]
	flat_load_dwordx4 a[0:3], v[10:11] offset:96
	s_movk_i32 s4, 0x7f
                                        ; implicit-def: $sgpr10
	s_waitcnt vmcnt(0) lgkmcnt(0)
	v_mfma_f32_16x16x4f32 a[0:3], v12, v13, a[0:3]
	v_lshrrev_b32_e32 v13, 8, v6
	v_cmp_gt_i16_sdwa s[6:7], v13, s4 src0_sel:BYTE_0 src1_sel:DWORD
	s_mov_b64 s[4:5], 0
	s_and_saveexec_b64 s[8:9], s[6:7]
	s_xor_b64 s[6:7], exec, s[8:9]
	s_cbranch_execnz .LBB10_2825
; %bb.777:
	s_or_saveexec_b64 s[6:7], s[6:7]
	v_mov_b32_e32 v12, s10
	s_xor_b64 exec, exec, s[6:7]
	s_cbranch_execnz .LBB10_2828
.LBB10_778:
	s_or_b64 exec, exec, s[6:7]
	s_and_saveexec_b64 s[6:7], s[4:5]
	s_cbranch_execz .LBB10_780
.LBB10_779:
	v_bfe_u32 v12, v6, 8, 3
	v_ffbh_u32_e32 v15, v12
	v_min_u32_e32 v15, 32, v15
	v_lshrrev_b16_e32 v14, 3, v13
	v_subrev_u32_e32 v16, 28, v15
	v_and_b32_e32 v14, 15, v14
	v_lshlrev_b32_e32 v13, v16, v13
	v_sub_u32_e32 v15, 29, v15
	v_and_b32_e32 v13, 7, v13
	v_cmp_eq_u16_e32 vcc, 0, v14
	v_cndmask_b32_e32 v12, v12, v13, vcc
	v_cndmask_b32_e32 v13, v14, v15, vcc
	v_lshlrev_b32_e32 v14, 16, v6
	v_mov_b32_e32 v15, 0x3b800000
	v_lshlrev_b32_e32 v12, 20, v12
	v_and_b32_e32 v14, 0x80000000, v14
	v_lshl_add_u32 v13, v13, 23, v15
	v_or3_b32 v12, v14, v13, v12
.LBB10_780:
	s_or_b64 exec, exec, s[6:7]
	v_lshrrev_b32_e32 v13, 8, v2
	s_movk_i32 s4, 0x7f
	v_cmp_gt_i16_sdwa s[6:7], v13, s4 src0_sel:BYTE_0 src1_sel:DWORD
	s_mov_b64 s[4:5], 0
                                        ; implicit-def: $sgpr10
	s_and_saveexec_b64 s[8:9], s[6:7]
	s_xor_b64 s[6:7], exec, s[8:9]
	s_cbranch_execnz .LBB10_2829
; %bb.781:
	s_or_saveexec_b64 s[6:7], s[6:7]
	v_mov_b32_e32 v14, s10
	s_xor_b64 exec, exec, s[6:7]
	s_cbranch_execnz .LBB10_2832
.LBB10_782:
	s_or_b64 exec, exec, s[6:7]
	s_and_saveexec_b64 s[6:7], s[4:5]
	s_cbranch_execz .LBB10_784
.LBB10_783:
	v_bfe_u32 v14, v2, 8, 3
	v_ffbh_u32_e32 v16, v14
	v_min_u32_e32 v16, 32, v16
	v_lshrrev_b16_e32 v15, 3, v13
	v_subrev_u32_e32 v17, 28, v16
	v_and_b32_e32 v15, 15, v15
	v_lshlrev_b32_e32 v13, v17, v13
	v_sub_u32_e32 v16, 29, v16
	v_and_b32_e32 v13, 7, v13
	v_cmp_eq_u16_e32 vcc, 0, v15
	v_cndmask_b32_e32 v13, v14, v13, vcc
	v_cndmask_b32_e32 v14, v15, v16, vcc
	v_lshlrev_b32_e32 v15, 16, v2
	v_mov_b32_e32 v16, 0x3b800000
	v_lshlrev_b32_e32 v13, 20, v13
	v_and_b32_e32 v15, 0x80000000, v15
	v_lshl_add_u32 v14, v14, 23, v16
	v_or3_b32 v14, v15, v14, v13
.LBB10_784:
	s_or_b64 exec, exec, s[6:7]
	s_nop 0
	v_mfma_f32_16x16x4f32 a[0:3], v12, v14, a[0:3]
	s_movk_i32 s4, 0xff
	v_and_b32_sdwa v13, v6, s4 dst_sel:DWORD dst_unused:UNUSED_PAD src0_sel:WORD_1 src1_sel:DWORD
	s_movk_i32 s4, 0x7f
	v_cmp_lt_i16_e32 vcc, s4, v13
	s_mov_b64 s[4:5], 0
                                        ; implicit-def: $sgpr10
	s_and_saveexec_b64 s[6:7], vcc
	s_xor_b64 s[6:7], exec, s[6:7]
	s_cbranch_execnz .LBB10_2833
; %bb.785:
	s_or_saveexec_b64 s[6:7], s[6:7]
	v_mov_b32_e32 v12, s10
	s_xor_b64 exec, exec, s[6:7]
	s_cbranch_execnz .LBB10_2836
.LBB10_786:
	s_or_b64 exec, exec, s[6:7]
	s_and_saveexec_b64 s[6:7], s[4:5]
	s_cbranch_execz .LBB10_788
.LBB10_787:
	v_bfe_u32 v12, v6, 16, 3
	v_ffbh_u32_e32 v15, v12
	v_min_u32_e32 v15, 32, v15
	v_lshrrev_b32_e32 v13, 19, v6
	v_subrev_u32_e32 v16, 28, v15
	v_and_b32_e32 v13, 15, v13
	v_lshlrev_b32_sdwa v16, v16, v6 dst_sel:DWORD dst_unused:UNUSED_PAD src0_sel:DWORD src1_sel:WORD_1
	v_bfe_u32 v14, v6, 19, 4
	v_sub_u32_e32 v15, 29, v15
	v_and_b32_e32 v16, 7, v16
	v_cmp_eq_u16_e32 vcc, 0, v13
	v_cndmask_b32_e32 v12, v12, v16, vcc
	v_cndmask_b32_e32 v13, v14, v15, vcc
	v_lshlrev_b32_e32 v14, 8, v6
	v_mov_b32_e32 v15, 0x3b800000
	v_lshlrev_b32_e32 v12, 20, v12
	v_and_b32_e32 v14, 0x80000000, v14
	v_lshl_add_u32 v13, v13, 23, v15
	v_or3_b32 v12, v14, v13, v12
.LBB10_788:
	s_or_b64 exec, exec, s[6:7]
	s_movk_i32 s4, 0xff
	v_and_b32_sdwa v13, v2, s4 dst_sel:DWORD dst_unused:UNUSED_PAD src0_sel:WORD_1 src1_sel:DWORD
	s_movk_i32 s4, 0x7f
	v_cmp_lt_i16_e32 vcc, s4, v13
	s_mov_b64 s[4:5], 0
                                        ; implicit-def: $sgpr10
	s_and_saveexec_b64 s[6:7], vcc
	s_xor_b64 s[6:7], exec, s[6:7]
	s_cbranch_execnz .LBB10_2837
; %bb.789:
	s_or_saveexec_b64 s[6:7], s[6:7]
	v_mov_b32_e32 v14, s10
	s_xor_b64 exec, exec, s[6:7]
	s_cbranch_execnz .LBB10_2840
.LBB10_790:
	s_or_b64 exec, exec, s[6:7]
	s_and_saveexec_b64 s[6:7], s[4:5]
	s_cbranch_execz .LBB10_792
.LBB10_791:
	v_bfe_u32 v13, v2, 16, 3
	v_ffbh_u32_e32 v16, v13
	v_min_u32_e32 v16, 32, v16
	v_lshrrev_b32_e32 v14, 19, v2
	v_subrev_u32_e32 v17, 28, v16
	v_and_b32_e32 v14, 15, v14
	v_lshlrev_b32_sdwa v17, v17, v2 dst_sel:DWORD dst_unused:UNUSED_PAD src0_sel:DWORD src1_sel:WORD_1
	v_bfe_u32 v15, v2, 19, 4
	v_sub_u32_e32 v16, 29, v16
	v_and_b32_e32 v17, 7, v17
	v_cmp_eq_u16_e32 vcc, 0, v14
	v_cndmask_b32_e32 v13, v13, v17, vcc
	v_cndmask_b32_e32 v14, v15, v16, vcc
	v_lshlrev_b32_e32 v15, 8, v2
	v_mov_b32_e32 v16, 0x3b800000
	v_lshlrev_b32_e32 v13, 20, v13
	v_and_b32_e32 v15, 0x80000000, v15
	v_lshl_add_u32 v14, v14, 23, v16
	v_or3_b32 v14, v15, v14, v13
.LBB10_792:
	s_or_b64 exec, exec, s[6:7]
	s_nop 0
	v_mfma_f32_16x16x4f32 a[0:3], v12, v14, a[0:3]
	s_movk_i32 s4, 0x7f
	v_cmp_gt_i16_sdwa s[6:7], v6, s4 src0_sel:BYTE_3 src1_sel:DWORD
	s_mov_b64 s[4:5], 0
                                        ; implicit-def: $sgpr10
	s_and_saveexec_b64 s[8:9], s[6:7]
	s_xor_b64 s[6:7], exec, s[8:9]
	s_cbranch_execnz .LBB10_2841
; %bb.793:
	s_or_saveexec_b64 s[6:7], s[6:7]
	v_mov_b32_e32 v12, s10
	s_xor_b64 exec, exec, s[6:7]
	s_cbranch_execnz .LBB10_2844
.LBB10_794:
	s_or_b64 exec, exec, s[6:7]
	s_and_saveexec_b64 s[6:7], s[4:5]
	s_cbranch_execz .LBB10_796
.LBB10_795:
	v_bfe_u32 v12, v6, 24, 3
	v_ffbh_u32_e32 v16, v12
	v_min_u32_e32 v16, 32, v16
	v_lshrrev_b32_e32 v14, 27, v6
	v_subrev_u32_e32 v17, 28, v16
	v_and_b32_e32 v13, 0x80000000, v6
	v_and_b32_e32 v14, 15, v14
	v_bfe_u32 v15, v6, 27, 4
	v_lshlrev_b32_sdwa v6, v17, v6 dst_sel:DWORD dst_unused:UNUSED_PAD src0_sel:DWORD src1_sel:BYTE_3
	v_sub_u32_e32 v16, 29, v16
	v_and_b32_e32 v6, 7, v6
	v_cmp_eq_u16_e32 vcc, 0, v14
	v_cndmask_b32_e32 v6, v12, v6, vcc
	v_cndmask_b32_e32 v12, v15, v16, vcc
	v_mov_b32_e32 v14, 0x3b800000
	v_lshlrev_b32_e32 v6, 20, v6
	v_lshl_add_u32 v12, v12, 23, v14
	v_or3_b32 v12, v13, v12, v6
.LBB10_796:
	s_or_b64 exec, exec, s[6:7]
	s_movk_i32 s4, 0x7f
	v_cmp_gt_i16_sdwa s[6:7], v2, s4 src0_sel:BYTE_3 src1_sel:DWORD
	s_mov_b64 s[4:5], 0
                                        ; implicit-def: $sgpr10
	s_and_saveexec_b64 s[8:9], s[6:7]
	s_xor_b64 s[6:7], exec, s[8:9]
	s_cbranch_execnz .LBB10_2845
; %bb.797:
	s_or_saveexec_b64 s[6:7], s[6:7]
	v_mov_b32_e32 v6, s10
	s_xor_b64 exec, exec, s[6:7]
	s_cbranch_execnz .LBB10_2848
.LBB10_798:
	s_or_b64 exec, exec, s[6:7]
	s_and_saveexec_b64 s[6:7], s[4:5]
	s_cbranch_execz .LBB10_800
.LBB10_799:
	v_bfe_u32 v6, v2, 24, 3
	v_ffbh_u32_e32 v16, v6
	v_min_u32_e32 v16, 32, v16
	v_lshrrev_b32_e32 v14, 27, v2
	v_subrev_u32_e32 v17, 28, v16
	v_and_b32_e32 v13, 0x80000000, v2
	v_and_b32_e32 v14, 15, v14
	v_bfe_u32 v15, v2, 27, 4
	v_lshlrev_b32_sdwa v2, v17, v2 dst_sel:DWORD dst_unused:UNUSED_PAD src0_sel:DWORD src1_sel:BYTE_3
	v_sub_u32_e32 v16, 29, v16
	v_and_b32_e32 v2, 7, v2
	v_cmp_eq_u16_e32 vcc, 0, v14
	v_cndmask_b32_e32 v2, v6, v2, vcc
	v_cndmask_b32_e32 v6, v15, v16, vcc
	v_mov_b32_e32 v14, 0x3b800000
	v_lshlrev_b32_e32 v2, 20, v2
	v_lshl_add_u32 v6, v6, 23, v14
	v_or3_b32 v6, v13, v6, v2
.LBB10_800:
	s_or_b64 exec, exec, s[6:7]
	s_nop 0
	v_mfma_f32_16x16x4f32 a[0:3], v12, v6, a[0:3]
	s_movk_i32 s4, 0x7f
	v_cmp_gt_i16_sdwa s[6:7], v7, s4 src0_sel:BYTE_0 src1_sel:DWORD
	s_mov_b64 s[4:5], 0
                                        ; implicit-def: $sgpr10
	s_and_saveexec_b64 s[8:9], s[6:7]
	s_xor_b64 s[6:7], exec, s[8:9]
	s_cbranch_execnz .LBB10_2849
; %bb.801:
	s_or_saveexec_b64 s[6:7], s[6:7]
	v_mov_b32_e32 v2, s10
	s_xor_b64 exec, exec, s[6:7]
	s_cbranch_execnz .LBB10_2852
.LBB10_802:
	s_or_b64 exec, exec, s[6:7]
	s_and_saveexec_b64 s[6:7], s[4:5]
	s_cbranch_execz .LBB10_804
.LBB10_803:
	v_and_b32_e32 v2, 7, v7
	v_ffbh_u32_e32 v12, v2
	v_min_u32_e32 v12, 32, v12
	v_lshrrev_b16_e32 v6, 3, v7
	v_subrev_u32_e32 v13, 28, v12
	v_and_b32_e32 v6, 15, v6
	v_lshlrev_b32_e32 v13, v13, v7
	v_sub_u32_e32 v12, 29, v12
	v_and_b32_e32 v13, 7, v13
	v_cmp_eq_u16_e32 vcc, 0, v6
	v_cndmask_b32_e32 v2, v2, v13, vcc
	v_cndmask_b32_e32 v6, v6, v12, vcc
	v_lshlrev_b32_e32 v12, 24, v7
	v_mov_b32_e32 v13, 0x3b800000
	v_lshlrev_b32_e32 v2, 20, v2
	v_and_b32_e32 v12, 0x80000000, v12
	v_lshl_add_u32 v6, v6, 23, v13
	v_or3_b32 v2, v12, v6, v2
.LBB10_804:
	s_or_b64 exec, exec, s[6:7]
	s_movk_i32 s4, 0x7f
	v_cmp_gt_i16_sdwa s[6:7], v3, s4 src0_sel:BYTE_0 src1_sel:DWORD
	s_mov_b64 s[4:5], 0
                                        ; implicit-def: $sgpr10
	s_and_saveexec_b64 s[8:9], s[6:7]
	s_xor_b64 s[6:7], exec, s[8:9]
	s_cbranch_execnz .LBB10_2853
; %bb.805:
	s_or_saveexec_b64 s[6:7], s[6:7]
	v_mov_b32_e32 v6, s10
	s_xor_b64 exec, exec, s[6:7]
	s_cbranch_execnz .LBB10_2856
.LBB10_806:
	s_or_b64 exec, exec, s[6:7]
	s_and_saveexec_b64 s[6:7], s[4:5]
	s_cbranch_execz .LBB10_808
.LBB10_807:
	v_and_b32_e32 v6, 7, v3
	v_ffbh_u32_e32 v13, v6
	v_min_u32_e32 v13, 32, v13
	v_lshrrev_b16_e32 v12, 3, v3
	v_subrev_u32_e32 v14, 28, v13
	v_and_b32_e32 v12, 15, v12
	v_lshlrev_b32_e32 v14, v14, v3
	v_sub_u32_e32 v13, 29, v13
	v_and_b32_e32 v14, 7, v14
	v_cmp_eq_u16_e32 vcc, 0, v12
	v_cndmask_b32_e32 v6, v6, v14, vcc
	v_cndmask_b32_e32 v12, v12, v13, vcc
	v_lshlrev_b32_e32 v13, 24, v3
	v_mov_b32_e32 v14, 0x3b800000
	v_lshlrev_b32_e32 v6, 20, v6
	v_and_b32_e32 v13, 0x80000000, v13
	v_lshl_add_u32 v12, v12, 23, v14
	v_or3_b32 v6, v13, v12, v6
.LBB10_808:
	s_or_b64 exec, exec, s[6:7]
	s_nop 0
	v_mfma_f32_16x16x4f32 a[0:3], v2, v6, a[0:3]
	v_lshrrev_b32_e32 v6, 8, v7
	s_movk_i32 s4, 0x7f
	v_cmp_gt_i16_sdwa s[6:7], v6, s4 src0_sel:BYTE_0 src1_sel:DWORD
	s_mov_b64 s[4:5], 0
                                        ; implicit-def: $sgpr10
	s_and_saveexec_b64 s[8:9], s[6:7]
	s_xor_b64 s[6:7], exec, s[8:9]
	s_cbranch_execnz .LBB10_2857
; %bb.809:
	s_or_saveexec_b64 s[6:7], s[6:7]
	v_mov_b32_e32 v2, s10
	s_xor_b64 exec, exec, s[6:7]
	s_cbranch_execnz .LBB10_2860
.LBB10_810:
	s_or_b64 exec, exec, s[6:7]
	s_and_saveexec_b64 s[6:7], s[4:5]
	s_cbranch_execz .LBB10_812
.LBB10_811:
	v_bfe_u32 v2, v7, 8, 3
	v_ffbh_u32_e32 v13, v2
	v_min_u32_e32 v13, 32, v13
	v_lshrrev_b16_e32 v12, 3, v6
	v_subrev_u32_e32 v14, 28, v13
	v_and_b32_e32 v12, 15, v12
	v_lshlrev_b32_e32 v6, v14, v6
	v_sub_u32_e32 v13, 29, v13
	v_and_b32_e32 v6, 7, v6
	v_cmp_eq_u16_e32 vcc, 0, v12
	v_cndmask_b32_e32 v2, v2, v6, vcc
	v_cndmask_b32_e32 v6, v12, v13, vcc
	v_lshlrev_b32_e32 v12, 16, v7
	v_mov_b32_e32 v13, 0x3b800000
	v_lshlrev_b32_e32 v2, 20, v2
	v_and_b32_e32 v12, 0x80000000, v12
	v_lshl_add_u32 v6, v6, 23, v13
	v_or3_b32 v2, v12, v6, v2
.LBB10_812:
	s_or_b64 exec, exec, s[6:7]
	v_lshrrev_b32_e32 v6, 8, v3
	s_movk_i32 s4, 0x7f
	v_cmp_gt_i16_sdwa s[6:7], v6, s4 src0_sel:BYTE_0 src1_sel:DWORD
	s_mov_b64 s[4:5], 0
                                        ; implicit-def: $sgpr10
	s_and_saveexec_b64 s[8:9], s[6:7]
	s_xor_b64 s[6:7], exec, s[8:9]
	s_cbranch_execnz .LBB10_2861
; %bb.813:
	s_or_saveexec_b64 s[6:7], s[6:7]
	v_mov_b32_e32 v12, s10
	s_xor_b64 exec, exec, s[6:7]
	s_cbranch_execnz .LBB10_2864
.LBB10_814:
	s_or_b64 exec, exec, s[6:7]
	s_and_saveexec_b64 s[6:7], s[4:5]
	s_cbranch_execz .LBB10_816
.LBB10_815:
	v_bfe_u32 v12, v3, 8, 3
	v_ffbh_u32_e32 v14, v12
	v_min_u32_e32 v14, 32, v14
	v_lshrrev_b16_e32 v13, 3, v6
	v_subrev_u32_e32 v15, 28, v14
	v_and_b32_e32 v13, 15, v13
	v_lshlrev_b32_e32 v6, v15, v6
	v_sub_u32_e32 v14, 29, v14
	v_and_b32_e32 v6, 7, v6
	v_cmp_eq_u16_e32 vcc, 0, v13
	v_cndmask_b32_e32 v6, v12, v6, vcc
	v_cndmask_b32_e32 v12, v13, v14, vcc
	v_lshlrev_b32_e32 v13, 16, v3
	v_mov_b32_e32 v14, 0x3b800000
	v_lshlrev_b32_e32 v6, 20, v6
	v_and_b32_e32 v13, 0x80000000, v13
	v_lshl_add_u32 v12, v12, 23, v14
	v_or3_b32 v12, v13, v12, v6
.LBB10_816:
	s_or_b64 exec, exec, s[6:7]
	s_nop 0
	v_mfma_f32_16x16x4f32 a[0:3], v2, v12, a[0:3]
	s_movk_i32 s4, 0xff
	v_and_b32_sdwa v6, v7, s4 dst_sel:DWORD dst_unused:UNUSED_PAD src0_sel:WORD_1 src1_sel:DWORD
	s_movk_i32 s4, 0x7f
	v_cmp_lt_i16_e32 vcc, s4, v6
	s_mov_b64 s[4:5], 0
                                        ; implicit-def: $sgpr10
	s_and_saveexec_b64 s[6:7], vcc
	s_xor_b64 s[6:7], exec, s[6:7]
	s_cbranch_execnz .LBB10_2865
; %bb.817:
	s_or_saveexec_b64 s[6:7], s[6:7]
	v_mov_b32_e32 v2, s10
	s_xor_b64 exec, exec, s[6:7]
	s_cbranch_execnz .LBB10_2868
.LBB10_818:
	s_or_b64 exec, exec, s[6:7]
	s_and_saveexec_b64 s[6:7], s[4:5]
	s_cbranch_execz .LBB10_820
.LBB10_819:
	v_bfe_u32 v2, v7, 16, 3
	v_ffbh_u32_e32 v13, v2
	v_min_u32_e32 v13, 32, v13
	v_lshrrev_b32_e32 v6, 19, v7
	v_subrev_u32_e32 v14, 28, v13
	v_and_b32_e32 v6, 15, v6
	v_lshlrev_b32_sdwa v14, v14, v7 dst_sel:DWORD dst_unused:UNUSED_PAD src0_sel:DWORD src1_sel:WORD_1
	v_bfe_u32 v12, v7, 19, 4
	v_sub_u32_e32 v13, 29, v13
	v_and_b32_e32 v14, 7, v14
	v_cmp_eq_u16_e32 vcc, 0, v6
	v_cndmask_b32_e32 v2, v2, v14, vcc
	v_cndmask_b32_e32 v6, v12, v13, vcc
	v_lshlrev_b32_e32 v12, 8, v7
	v_mov_b32_e32 v13, 0x3b800000
	v_lshlrev_b32_e32 v2, 20, v2
	v_and_b32_e32 v12, 0x80000000, v12
	v_lshl_add_u32 v6, v6, 23, v13
	v_or3_b32 v2, v12, v6, v2
.LBB10_820:
	s_or_b64 exec, exec, s[6:7]
	s_movk_i32 s4, 0xff
	v_and_b32_sdwa v6, v3, s4 dst_sel:DWORD dst_unused:UNUSED_PAD src0_sel:WORD_1 src1_sel:DWORD
	s_movk_i32 s4, 0x7f
	v_cmp_lt_i16_e32 vcc, s4, v6
	s_mov_b64 s[4:5], 0
                                        ; implicit-def: $sgpr10
	s_and_saveexec_b64 s[6:7], vcc
	s_xor_b64 s[6:7], exec, s[6:7]
	s_cbranch_execnz .LBB10_2869
; %bb.821:
	s_or_saveexec_b64 s[6:7], s[6:7]
	v_mov_b32_e32 v12, s10
	s_xor_b64 exec, exec, s[6:7]
	s_cbranch_execnz .LBB10_2872
.LBB10_822:
	s_or_b64 exec, exec, s[6:7]
	s_and_saveexec_b64 s[6:7], s[4:5]
	s_cbranch_execz .LBB10_824
.LBB10_823:
	v_bfe_u32 v6, v3, 16, 3
	v_ffbh_u32_e32 v14, v6
	v_min_u32_e32 v14, 32, v14
	v_lshrrev_b32_e32 v12, 19, v3
	v_subrev_u32_e32 v15, 28, v14
	v_and_b32_e32 v12, 15, v12
	v_lshlrev_b32_sdwa v15, v15, v3 dst_sel:DWORD dst_unused:UNUSED_PAD src0_sel:DWORD src1_sel:WORD_1
	v_bfe_u32 v13, v3, 19, 4
	v_sub_u32_e32 v14, 29, v14
	v_and_b32_e32 v15, 7, v15
	v_cmp_eq_u16_e32 vcc, 0, v12
	v_cndmask_b32_e32 v6, v6, v15, vcc
	v_cndmask_b32_e32 v12, v13, v14, vcc
	v_lshlrev_b32_e32 v13, 8, v3
	v_mov_b32_e32 v14, 0x3b800000
	v_lshlrev_b32_e32 v6, 20, v6
	v_and_b32_e32 v13, 0x80000000, v13
	v_lshl_add_u32 v12, v12, 23, v14
	v_or3_b32 v12, v13, v12, v6
.LBB10_824:
	s_or_b64 exec, exec, s[6:7]
	s_nop 0
	v_mfma_f32_16x16x4f32 a[0:3], v2, v12, a[0:3]
	s_movk_i32 s4, 0x7f
	v_cmp_gt_i16_sdwa s[6:7], v7, s4 src0_sel:BYTE_3 src1_sel:DWORD
	s_mov_b64 s[4:5], 0
                                        ; implicit-def: $sgpr10
	s_and_saveexec_b64 s[8:9], s[6:7]
	s_xor_b64 s[6:7], exec, s[8:9]
	s_cbranch_execnz .LBB10_2873
; %bb.825:
	s_or_saveexec_b64 s[6:7], s[6:7]
	v_mov_b32_e32 v2, s10
	s_xor_b64 exec, exec, s[6:7]
	s_cbranch_execnz .LBB10_2876
.LBB10_826:
	s_or_b64 exec, exec, s[6:7]
	s_and_saveexec_b64 s[6:7], s[4:5]
	s_cbranch_execz .LBB10_828
.LBB10_827:
	v_bfe_u32 v2, v7, 24, 3
	v_ffbh_u32_e32 v14, v2
	v_min_u32_e32 v14, 32, v14
	v_lshrrev_b32_e32 v12, 27, v7
	v_subrev_u32_e32 v15, 28, v14
	v_and_b32_e32 v6, 0x80000000, v7
	v_and_b32_e32 v12, 15, v12
	v_bfe_u32 v13, v7, 27, 4
	v_lshlrev_b32_sdwa v7, v15, v7 dst_sel:DWORD dst_unused:UNUSED_PAD src0_sel:DWORD src1_sel:BYTE_3
	v_sub_u32_e32 v14, 29, v14
	v_and_b32_e32 v7, 7, v7
	v_cmp_eq_u16_e32 vcc, 0, v12
	v_cndmask_b32_e32 v2, v2, v7, vcc
	v_cndmask_b32_e32 v7, v13, v14, vcc
	v_mov_b32_e32 v12, 0x3b800000
	v_lshlrev_b32_e32 v2, 20, v2
	v_lshl_add_u32 v7, v7, 23, v12
	v_or3_b32 v2, v6, v7, v2
.LBB10_828:
	s_or_b64 exec, exec, s[6:7]
	s_movk_i32 s4, 0x7f
	v_cmp_gt_i16_sdwa s[6:7], v3, s4 src0_sel:BYTE_3 src1_sel:DWORD
	s_mov_b64 s[4:5], 0
                                        ; implicit-def: $sgpr10
	s_and_saveexec_b64 s[8:9], s[6:7]
	s_xor_b64 s[6:7], exec, s[8:9]
	s_cbranch_execnz .LBB10_2877
; %bb.829:
	s_or_saveexec_b64 s[6:7], s[6:7]
	v_mov_b32_e32 v6, s10
	s_xor_b64 exec, exec, s[6:7]
	s_cbranch_execnz .LBB10_2880
.LBB10_830:
	s_or_b64 exec, exec, s[6:7]
	s_and_saveexec_b64 s[6:7], s[4:5]
	s_cbranch_execz .LBB10_832
.LBB10_831:
	v_bfe_u32 v6, v3, 24, 3
	v_ffbh_u32_e32 v14, v6
	v_min_u32_e32 v14, 32, v14
	v_lshrrev_b32_e32 v12, 27, v3
	v_subrev_u32_e32 v15, 28, v14
	v_and_b32_e32 v7, 0x80000000, v3
	v_and_b32_e32 v12, 15, v12
	v_bfe_u32 v13, v3, 27, 4
	v_lshlrev_b32_sdwa v3, v15, v3 dst_sel:DWORD dst_unused:UNUSED_PAD src0_sel:DWORD src1_sel:BYTE_3
	v_sub_u32_e32 v14, 29, v14
	v_and_b32_e32 v3, 7, v3
	v_cmp_eq_u16_e32 vcc, 0, v12
	v_cndmask_b32_e32 v3, v6, v3, vcc
	v_cndmask_b32_e32 v6, v13, v14, vcc
	v_mov_b32_e32 v12, 0x3b800000
	v_lshlrev_b32_e32 v3, 20, v3
	v_lshl_add_u32 v6, v6, 23, v12
	v_or3_b32 v6, v7, v6, v3
.LBB10_832:
	s_or_b64 exec, exec, s[6:7]
	s_nop 0
	v_mfma_f32_16x16x4f32 a[0:3], v2, v6, a[0:3]
	s_movk_i32 s4, 0x7f
	v_cmp_gt_i16_sdwa s[6:7], v8, s4 src0_sel:BYTE_0 src1_sel:DWORD
	s_mov_b64 s[4:5], 0
                                        ; implicit-def: $sgpr10
	s_and_saveexec_b64 s[8:9], s[6:7]
	s_xor_b64 s[6:7], exec, s[8:9]
	s_cbranch_execnz .LBB10_2881
; %bb.833:
	s_or_saveexec_b64 s[6:7], s[6:7]
	v_mov_b32_e32 v2, s10
	s_xor_b64 exec, exec, s[6:7]
	s_cbranch_execnz .LBB10_2884
.LBB10_834:
	s_or_b64 exec, exec, s[6:7]
	s_and_saveexec_b64 s[6:7], s[4:5]
	s_cbranch_execz .LBB10_836
.LBB10_835:
	v_and_b32_e32 v2, 7, v8
	v_ffbh_u32_e32 v6, v2
	v_min_u32_e32 v6, 32, v6
	v_lshrrev_b16_e32 v3, 3, v8
	v_subrev_u32_e32 v7, 28, v6
	v_and_b32_e32 v3, 15, v3
	v_lshlrev_b32_e32 v7, v7, v8
	v_sub_u32_e32 v6, 29, v6
	v_and_b32_e32 v7, 7, v7
	v_cmp_eq_u16_e32 vcc, 0, v3
	v_cndmask_b32_e32 v2, v2, v7, vcc
	v_cndmask_b32_e32 v3, v3, v6, vcc
	v_lshlrev_b32_e32 v6, 24, v8
	v_mov_b32_e32 v7, 0x3b800000
	v_lshlrev_b32_e32 v2, 20, v2
	v_and_b32_e32 v6, 0x80000000, v6
	v_lshl_add_u32 v3, v3, 23, v7
	v_or3_b32 v2, v6, v3, v2
.LBB10_836:
	s_or_b64 exec, exec, s[6:7]
	s_movk_i32 s4, 0x7f
	v_cmp_gt_i16_sdwa s[6:7], v4, s4 src0_sel:BYTE_0 src1_sel:DWORD
	s_mov_b64 s[4:5], 0
                                        ; implicit-def: $sgpr10
	s_and_saveexec_b64 s[8:9], s[6:7]
	s_xor_b64 s[6:7], exec, s[8:9]
	s_cbranch_execnz .LBB10_2885
; %bb.837:
	s_or_saveexec_b64 s[6:7], s[6:7]
	v_mov_b32_e32 v3, s10
	s_xor_b64 exec, exec, s[6:7]
	s_cbranch_execnz .LBB10_2888
.LBB10_838:
	s_or_b64 exec, exec, s[6:7]
	s_and_saveexec_b64 s[6:7], s[4:5]
	s_cbranch_execz .LBB10_840
.LBB10_839:
	v_and_b32_e32 v3, 7, v4
	v_ffbh_u32_e32 v7, v3
	v_min_u32_e32 v7, 32, v7
	v_lshrrev_b16_e32 v6, 3, v4
	v_subrev_u32_e32 v12, 28, v7
	v_and_b32_e32 v6, 15, v6
	v_lshlrev_b32_e32 v12, v12, v4
	v_sub_u32_e32 v7, 29, v7
	v_and_b32_e32 v12, 7, v12
	v_cmp_eq_u16_e32 vcc, 0, v6
	v_cndmask_b32_e32 v3, v3, v12, vcc
	v_cndmask_b32_e32 v6, v6, v7, vcc
	v_lshlrev_b32_e32 v7, 24, v4
	v_mov_b32_e32 v12, 0x3b800000
	v_lshlrev_b32_e32 v3, 20, v3
	v_and_b32_e32 v7, 0x80000000, v7
	v_lshl_add_u32 v6, v6, 23, v12
	v_or3_b32 v3, v7, v6, v3
.LBB10_840:
	s_or_b64 exec, exec, s[6:7]
	s_nop 0
	v_mfma_f32_16x16x4f32 a[0:3], v2, v3, a[0:3]
	v_lshrrev_b32_e32 v3, 8, v8
	s_movk_i32 s4, 0x7f
	v_cmp_gt_i16_sdwa s[6:7], v3, s4 src0_sel:BYTE_0 src1_sel:DWORD
	s_mov_b64 s[4:5], 0
                                        ; implicit-def: $sgpr10
	s_and_saveexec_b64 s[8:9], s[6:7]
	s_xor_b64 s[6:7], exec, s[8:9]
	s_cbranch_execnz .LBB10_2889
; %bb.841:
	s_or_saveexec_b64 s[6:7], s[6:7]
	v_mov_b32_e32 v2, s10
	s_xor_b64 exec, exec, s[6:7]
	s_cbranch_execnz .LBB10_2892
.LBB10_842:
	s_or_b64 exec, exec, s[6:7]
	s_and_saveexec_b64 s[6:7], s[4:5]
	s_cbranch_execz .LBB10_844
.LBB10_843:
	v_bfe_u32 v2, v8, 8, 3
	v_ffbh_u32_e32 v7, v2
	v_min_u32_e32 v7, 32, v7
	v_lshrrev_b16_e32 v6, 3, v3
	v_subrev_u32_e32 v12, 28, v7
	v_and_b32_e32 v6, 15, v6
	v_lshlrev_b32_e32 v3, v12, v3
	v_sub_u32_e32 v7, 29, v7
	v_and_b32_e32 v3, 7, v3
	v_cmp_eq_u16_e32 vcc, 0, v6
	v_cndmask_b32_e32 v2, v2, v3, vcc
	v_cndmask_b32_e32 v3, v6, v7, vcc
	v_lshlrev_b32_e32 v6, 16, v8
	v_mov_b32_e32 v7, 0x3b800000
	v_lshlrev_b32_e32 v2, 20, v2
	v_and_b32_e32 v6, 0x80000000, v6
	v_lshl_add_u32 v3, v3, 23, v7
	v_or3_b32 v2, v6, v3, v2
.LBB10_844:
	s_or_b64 exec, exec, s[6:7]
	v_lshrrev_b32_e32 v3, 8, v4
	s_movk_i32 s4, 0x7f
	v_cmp_gt_i16_sdwa s[6:7], v3, s4 src0_sel:BYTE_0 src1_sel:DWORD
	s_mov_b64 s[4:5], 0
                                        ; implicit-def: $sgpr10
	s_and_saveexec_b64 s[8:9], s[6:7]
	s_xor_b64 s[6:7], exec, s[8:9]
	s_cbranch_execnz .LBB10_2893
; %bb.845:
	s_or_saveexec_b64 s[6:7], s[6:7]
	v_mov_b32_e32 v6, s10
	s_xor_b64 exec, exec, s[6:7]
	s_cbranch_execnz .LBB10_2896
.LBB10_846:
	s_or_b64 exec, exec, s[6:7]
	s_and_saveexec_b64 s[6:7], s[4:5]
	s_cbranch_execz .LBB10_848
.LBB10_847:
	v_bfe_u32 v6, v4, 8, 3
	v_ffbh_u32_e32 v12, v6
	v_min_u32_e32 v12, 32, v12
	v_lshrrev_b16_e32 v7, 3, v3
	v_subrev_u32_e32 v13, 28, v12
	v_and_b32_e32 v7, 15, v7
	v_lshlrev_b32_e32 v3, v13, v3
	v_sub_u32_e32 v12, 29, v12
	v_and_b32_e32 v3, 7, v3
	v_cmp_eq_u16_e32 vcc, 0, v7
	v_cndmask_b32_e32 v3, v6, v3, vcc
	v_cndmask_b32_e32 v6, v7, v12, vcc
	v_lshlrev_b32_e32 v7, 16, v4
	v_mov_b32_e32 v12, 0x3b800000
	v_lshlrev_b32_e32 v3, 20, v3
	v_and_b32_e32 v7, 0x80000000, v7
	v_lshl_add_u32 v6, v6, 23, v12
	v_or3_b32 v6, v7, v6, v3
.LBB10_848:
	s_or_b64 exec, exec, s[6:7]
	s_nop 0
	v_mfma_f32_16x16x4f32 a[0:3], v2, v6, a[0:3]
	s_movk_i32 s4, 0xff
	v_and_b32_sdwa v3, v8, s4 dst_sel:DWORD dst_unused:UNUSED_PAD src0_sel:WORD_1 src1_sel:DWORD
	s_movk_i32 s4, 0x7f
	v_cmp_lt_i16_e32 vcc, s4, v3
	s_mov_b64 s[4:5], 0
                                        ; implicit-def: $sgpr10
	s_and_saveexec_b64 s[6:7], vcc
	s_xor_b64 s[6:7], exec, s[6:7]
	s_cbranch_execnz .LBB10_2897
; %bb.849:
	s_or_saveexec_b64 s[6:7], s[6:7]
	v_mov_b32_e32 v2, s10
	s_xor_b64 exec, exec, s[6:7]
	s_cbranch_execnz .LBB10_2900
.LBB10_850:
	s_or_b64 exec, exec, s[6:7]
	s_and_saveexec_b64 s[6:7], s[4:5]
	s_cbranch_execz .LBB10_852
.LBB10_851:
	v_bfe_u32 v2, v8, 16, 3
	v_ffbh_u32_e32 v7, v2
	v_min_u32_e32 v7, 32, v7
	v_lshrrev_b32_e32 v3, 19, v8
	v_subrev_u32_e32 v12, 28, v7
	v_and_b32_e32 v3, 15, v3
	v_lshlrev_b32_sdwa v12, v12, v8 dst_sel:DWORD dst_unused:UNUSED_PAD src0_sel:DWORD src1_sel:WORD_1
	v_bfe_u32 v6, v8, 19, 4
	v_sub_u32_e32 v7, 29, v7
	v_and_b32_e32 v12, 7, v12
	v_cmp_eq_u16_e32 vcc, 0, v3
	v_cndmask_b32_e32 v2, v2, v12, vcc
	v_cndmask_b32_e32 v3, v6, v7, vcc
	v_lshlrev_b32_e32 v6, 8, v8
	v_mov_b32_e32 v7, 0x3b800000
	v_lshlrev_b32_e32 v2, 20, v2
	v_and_b32_e32 v6, 0x80000000, v6
	v_lshl_add_u32 v3, v3, 23, v7
	v_or3_b32 v2, v6, v3, v2
.LBB10_852:
	s_or_b64 exec, exec, s[6:7]
	s_movk_i32 s4, 0xff
	v_and_b32_sdwa v3, v4, s4 dst_sel:DWORD dst_unused:UNUSED_PAD src0_sel:WORD_1 src1_sel:DWORD
	s_movk_i32 s4, 0x7f
	v_cmp_lt_i16_e32 vcc, s4, v3
	s_mov_b64 s[4:5], 0
                                        ; implicit-def: $sgpr10
	s_and_saveexec_b64 s[6:7], vcc
	s_xor_b64 s[6:7], exec, s[6:7]
	s_cbranch_execnz .LBB10_2901
; %bb.853:
	s_or_saveexec_b64 s[6:7], s[6:7]
	v_mov_b32_e32 v6, s10
	s_xor_b64 exec, exec, s[6:7]
	s_cbranch_execnz .LBB10_2904
.LBB10_854:
	s_or_b64 exec, exec, s[6:7]
	s_and_saveexec_b64 s[6:7], s[4:5]
	s_cbranch_execz .LBB10_856
.LBB10_855:
	v_bfe_u32 v3, v4, 16, 3
	v_ffbh_u32_e32 v12, v3
	v_min_u32_e32 v12, 32, v12
	v_lshrrev_b32_e32 v6, 19, v4
	v_subrev_u32_e32 v13, 28, v12
	v_and_b32_e32 v6, 15, v6
	v_lshlrev_b32_sdwa v13, v13, v4 dst_sel:DWORD dst_unused:UNUSED_PAD src0_sel:DWORD src1_sel:WORD_1
	v_bfe_u32 v7, v4, 19, 4
	v_sub_u32_e32 v12, 29, v12
	v_and_b32_e32 v13, 7, v13
	v_cmp_eq_u16_e32 vcc, 0, v6
	v_cndmask_b32_e32 v3, v3, v13, vcc
	v_cndmask_b32_e32 v6, v7, v12, vcc
	v_lshlrev_b32_e32 v7, 8, v4
	v_mov_b32_e32 v12, 0x3b800000
	v_lshlrev_b32_e32 v3, 20, v3
	v_and_b32_e32 v7, 0x80000000, v7
	v_lshl_add_u32 v6, v6, 23, v12
	v_or3_b32 v6, v7, v6, v3
.LBB10_856:
	s_or_b64 exec, exec, s[6:7]
	s_nop 0
	v_mfma_f32_16x16x4f32 a[0:3], v2, v6, a[0:3]
	s_movk_i32 s4, 0x7f
	v_cmp_gt_i16_sdwa s[6:7], v8, s4 src0_sel:BYTE_3 src1_sel:DWORD
	s_mov_b64 s[4:5], 0
                                        ; implicit-def: $sgpr10
	s_and_saveexec_b64 s[8:9], s[6:7]
	s_xor_b64 s[6:7], exec, s[8:9]
	s_cbranch_execnz .LBB10_2905
; %bb.857:
	s_or_saveexec_b64 s[6:7], s[6:7]
	v_mov_b32_e32 v2, s10
	s_xor_b64 exec, exec, s[6:7]
	s_cbranch_execnz .LBB10_2908
.LBB10_858:
	s_or_b64 exec, exec, s[6:7]
	s_and_saveexec_b64 s[6:7], s[4:5]
	s_cbranch_execz .LBB10_860
.LBB10_859:
	v_bfe_u32 v2, v8, 24, 3
	v_ffbh_u32_e32 v12, v2
	v_min_u32_e32 v12, 32, v12
	v_lshrrev_b32_e32 v6, 27, v8
	v_subrev_u32_e32 v13, 28, v12
	v_and_b32_e32 v3, 0x80000000, v8
	v_and_b32_e32 v6, 15, v6
	v_bfe_u32 v7, v8, 27, 4
	v_lshlrev_b32_sdwa v8, v13, v8 dst_sel:DWORD dst_unused:UNUSED_PAD src0_sel:DWORD src1_sel:BYTE_3
	v_sub_u32_e32 v12, 29, v12
	v_and_b32_e32 v8, 7, v8
	v_cmp_eq_u16_e32 vcc, 0, v6
	v_cndmask_b32_e32 v2, v2, v8, vcc
	v_cndmask_b32_e32 v6, v7, v12, vcc
	v_mov_b32_e32 v7, 0x3b800000
	v_lshlrev_b32_e32 v2, 20, v2
	v_lshl_add_u32 v6, v6, 23, v7
	v_or3_b32 v2, v3, v6, v2
.LBB10_860:
	s_or_b64 exec, exec, s[6:7]
	s_movk_i32 s4, 0x7f
	v_cmp_gt_i16_sdwa s[6:7], v4, s4 src0_sel:BYTE_3 src1_sel:DWORD
	s_mov_b64 s[4:5], 0
                                        ; implicit-def: $sgpr10
	s_and_saveexec_b64 s[8:9], s[6:7]
	s_xor_b64 s[6:7], exec, s[8:9]
	s_cbranch_execnz .LBB10_2909
; %bb.861:
	s_or_saveexec_b64 s[6:7], s[6:7]
	v_mov_b32_e32 v3, s10
	s_xor_b64 exec, exec, s[6:7]
	s_cbranch_execnz .LBB10_2912
.LBB10_862:
	s_or_b64 exec, exec, s[6:7]
	s_and_saveexec_b64 s[6:7], s[4:5]
	s_cbranch_execz .LBB10_864
.LBB10_863:
	v_bfe_u32 v3, v4, 24, 3
	v_ffbh_u32_e32 v12, v3
	v_min_u32_e32 v12, 32, v12
	v_lshrrev_b32_e32 v7, 27, v4
	v_subrev_u32_e32 v13, 28, v12
	v_and_b32_e32 v6, 0x80000000, v4
	v_and_b32_e32 v7, 15, v7
	v_bfe_u32 v8, v4, 27, 4
	v_lshlrev_b32_sdwa v4, v13, v4 dst_sel:DWORD dst_unused:UNUSED_PAD src0_sel:DWORD src1_sel:BYTE_3
	v_sub_u32_e32 v12, 29, v12
	v_and_b32_e32 v4, 7, v4
	v_cmp_eq_u16_e32 vcc, 0, v7
	v_cndmask_b32_e32 v3, v3, v4, vcc
	v_cndmask_b32_e32 v4, v8, v12, vcc
	v_mov_b32_e32 v7, 0x3b800000
	v_lshlrev_b32_e32 v3, 20, v3
	v_lshl_add_u32 v4, v4, 23, v7
	v_or3_b32 v3, v6, v4, v3
.LBB10_864:
	s_or_b64 exec, exec, s[6:7]
	s_nop 0
	v_mfma_f32_16x16x4f32 a[0:3], v2, v3, a[0:3]
	s_movk_i32 s4, 0x7f
	v_cmp_gt_i16_sdwa s[6:7], v9, s4 src0_sel:BYTE_0 src1_sel:DWORD
	s_mov_b64 s[4:5], 0
                                        ; implicit-def: $sgpr10
	s_and_saveexec_b64 s[8:9], s[6:7]
	s_xor_b64 s[6:7], exec, s[8:9]
	s_cbranch_execnz .LBB10_2913
; %bb.865:
	s_or_saveexec_b64 s[6:7], s[6:7]
	v_mov_b32_e32 v2, s10
	s_xor_b64 exec, exec, s[6:7]
	s_cbranch_execnz .LBB10_2916
.LBB10_866:
	s_or_b64 exec, exec, s[6:7]
	s_and_saveexec_b64 s[6:7], s[4:5]
	s_cbranch_execz .LBB10_868
.LBB10_867:
	v_mov_b32_e32 v2, 8
	v_and_b32_e32 v3, 7, v9
	v_lshrrev_b32_sdwa v2, v2, v9 dst_sel:BYTE_1 dst_unused:UNUSED_PAD src0_sel:DWORD src1_sel:DWORD
	v_ffbh_u32_e32 v4, v3
	v_or_b32_sdwa v2, v9, v2 dst_sel:DWORD dst_unused:UNUSED_PAD src0_sel:BYTE_0 src1_sel:DWORD
	v_min_u32_e32 v4, 32, v4
	v_lshrrev_b16_e32 v2, 3, v2
	v_subrev_u32_e32 v6, 28, v4
	v_and_b32_e32 v2, 15, v2
	v_lshlrev_b32_e32 v6, v6, v9
	v_sub_u32_e32 v4, 29, v4
	v_and_b32_e32 v6, 7, v6
	v_cmp_eq_u16_e32 vcc, 0, v2
	v_cndmask_b32_e32 v3, v3, v6, vcc
	v_cndmask_b32_e32 v2, v2, v4, vcc
	v_lshlrev_b32_e32 v4, 24, v9
	v_mov_b32_e32 v6, 0x3b800000
	v_lshlrev_b32_e32 v3, 20, v3
	v_and_b32_e32 v4, 0x80000000, v4
	v_lshl_add_u32 v2, v2, 23, v6
	v_or3_b32 v2, v4, v2, v3
.LBB10_868:
	s_or_b64 exec, exec, s[6:7]
	s_movk_i32 s4, 0x7f
	v_cmp_gt_i16_sdwa s[6:7], v5, s4 src0_sel:BYTE_0 src1_sel:DWORD
	s_mov_b64 s[4:5], 0
                                        ; implicit-def: $sgpr10
	s_and_saveexec_b64 s[8:9], s[6:7]
	s_xor_b64 s[6:7], exec, s[8:9]
	s_cbranch_execnz .LBB10_2917
; %bb.869:
	s_or_saveexec_b64 s[6:7], s[6:7]
	v_mov_b32_e32 v3, s10
	s_xor_b64 exec, exec, s[6:7]
	s_cbranch_execnz .LBB10_2920
.LBB10_870:
	s_or_b64 exec, exec, s[6:7]
	s_and_saveexec_b64 s[6:7], s[4:5]
	s_cbranch_execz .LBB10_872
.LBB10_871:
	v_mov_b32_e32 v3, 8
	v_and_b32_e32 v4, 7, v5
	v_lshrrev_b32_sdwa v3, v3, v5 dst_sel:BYTE_1 dst_unused:UNUSED_PAD src0_sel:DWORD src1_sel:DWORD
	v_ffbh_u32_e32 v6, v4
	v_or_b32_sdwa v3, v5, v3 dst_sel:DWORD dst_unused:UNUSED_PAD src0_sel:BYTE_0 src1_sel:DWORD
	v_min_u32_e32 v6, 32, v6
	v_lshrrev_b16_e32 v3, 3, v3
	v_subrev_u32_e32 v7, 28, v6
	v_and_b32_e32 v3, 15, v3
	v_lshlrev_b32_e32 v7, v7, v5
	v_sub_u32_e32 v6, 29, v6
	v_and_b32_e32 v7, 7, v7
	v_cmp_eq_u16_e32 vcc, 0, v3
	v_cndmask_b32_e32 v4, v4, v7, vcc
	v_cndmask_b32_e32 v3, v3, v6, vcc
	v_lshlrev_b32_e32 v6, 24, v5
	v_mov_b32_e32 v7, 0x3b800000
	v_lshlrev_b32_e32 v4, 20, v4
	v_and_b32_e32 v6, 0x80000000, v6
	v_lshl_add_u32 v3, v3, 23, v7
	v_or3_b32 v3, v6, v3, v4
.LBB10_872:
	s_or_b64 exec, exec, s[6:7]
	s_nop 0
	v_mfma_f32_16x16x4f32 a[0:3], v2, v3, a[0:3]
	v_lshrrev_b32_e32 v3, 8, v9
	s_movk_i32 s4, 0x7f
	v_cmp_gt_i16_sdwa s[6:7], v3, s4 src0_sel:BYTE_0 src1_sel:DWORD
	s_mov_b64 s[4:5], 0
                                        ; implicit-def: $sgpr10
	s_and_saveexec_b64 s[8:9], s[6:7]
	s_xor_b64 s[6:7], exec, s[8:9]
	s_cbranch_execnz .LBB10_2921
; %bb.873:
	s_or_saveexec_b64 s[6:7], s[6:7]
	v_mov_b32_e32 v2, s10
	s_xor_b64 exec, exec, s[6:7]
	s_cbranch_execnz .LBB10_2924
.LBB10_874:
	s_or_b64 exec, exec, s[6:7]
	s_and_saveexec_b64 s[6:7], s[4:5]
	s_cbranch_execz .LBB10_876
.LBB10_875:
	v_bfe_u32 v2, v9, 8, 3
	v_ffbh_u32_e32 v6, v2
	v_min_u32_e32 v6, 32, v6
	v_lshrrev_b16_e32 v4, 3, v3
	v_subrev_u32_e32 v7, 28, v6
	v_and_b32_e32 v4, 15, v4
	v_lshlrev_b32_e32 v3, v7, v3
	v_sub_u32_e32 v6, 29, v6
	v_and_b32_e32 v3, 7, v3
	v_cmp_eq_u16_e32 vcc, 0, v4
	v_cndmask_b32_e32 v2, v2, v3, vcc
	v_cndmask_b32_e32 v3, v4, v6, vcc
	v_lshlrev_b32_e32 v4, 16, v9
	v_mov_b32_e32 v6, 0x3b800000
	v_lshlrev_b32_e32 v2, 20, v2
	v_and_b32_e32 v4, 0x80000000, v4
	v_lshl_add_u32 v3, v3, 23, v6
	v_or3_b32 v2, v4, v3, v2
.LBB10_876:
	s_or_b64 exec, exec, s[6:7]
	v_lshrrev_b32_e32 v3, 8, v5
	s_movk_i32 s4, 0x7f
	v_cmp_gt_i16_sdwa s[6:7], v3, s4 src0_sel:BYTE_0 src1_sel:DWORD
	s_mov_b64 s[4:5], 0
                                        ; implicit-def: $sgpr10
	s_and_saveexec_b64 s[8:9], s[6:7]
	s_xor_b64 s[6:7], exec, s[8:9]
	s_cbranch_execnz .LBB10_2925
; %bb.877:
	s_or_saveexec_b64 s[6:7], s[6:7]
	v_mov_b32_e32 v4, s10
	s_xor_b64 exec, exec, s[6:7]
	s_cbranch_execnz .LBB10_2928
.LBB10_878:
	s_or_b64 exec, exec, s[6:7]
	s_and_saveexec_b64 s[6:7], s[4:5]
	s_cbranch_execz .LBB10_880
.LBB10_879:
	v_bfe_u32 v4, v5, 8, 3
	v_ffbh_u32_e32 v7, v4
	v_min_u32_e32 v7, 32, v7
	v_lshrrev_b16_e32 v6, 3, v3
	v_subrev_u32_e32 v8, 28, v7
	v_and_b32_e32 v6, 15, v6
	v_lshlrev_b32_e32 v3, v8, v3
	v_sub_u32_e32 v7, 29, v7
	v_and_b32_e32 v3, 7, v3
	v_cmp_eq_u16_e32 vcc, 0, v6
	v_cndmask_b32_e32 v3, v4, v3, vcc
	v_cndmask_b32_e32 v4, v6, v7, vcc
	v_lshlrev_b32_e32 v6, 16, v5
	v_mov_b32_e32 v7, 0x3b800000
	v_lshlrev_b32_e32 v3, 20, v3
	v_and_b32_e32 v6, 0x80000000, v6
	v_lshl_add_u32 v4, v4, 23, v7
	v_or3_b32 v4, v6, v4, v3
.LBB10_880:
	s_or_b64 exec, exec, s[6:7]
	s_nop 0
	v_mfma_f32_16x16x4f32 a[0:3], v2, v4, a[0:3]
	s_movk_i32 s4, 0xff
	v_and_b32_sdwa v3, v9, s4 dst_sel:DWORD dst_unused:UNUSED_PAD src0_sel:WORD_1 src1_sel:DWORD
	s_movk_i32 s4, 0x7f
	v_cmp_lt_i16_e32 vcc, s4, v3
	s_mov_b64 s[4:5], 0
                                        ; implicit-def: $sgpr10
	s_and_saveexec_b64 s[6:7], vcc
	s_xor_b64 s[6:7], exec, s[6:7]
	s_cbranch_execnz .LBB10_2929
; %bb.881:
	s_or_saveexec_b64 s[6:7], s[6:7]
	v_mov_b32_e32 v2, s10
	s_xor_b64 exec, exec, s[6:7]
	s_cbranch_execnz .LBB10_2932
.LBB10_882:
	s_or_b64 exec, exec, s[6:7]
	s_and_saveexec_b64 s[6:7], s[4:5]
	s_cbranch_execz .LBB10_884
.LBB10_883:
	v_bfe_u32 v2, v9, 16, 3
	v_ffbh_u32_e32 v6, v2
	v_min_u32_e32 v6, 32, v6
	v_lshrrev_b32_e32 v3, 19, v9
	v_subrev_u32_e32 v7, 28, v6
	v_and_b32_e32 v3, 15, v3
	v_lshlrev_b32_sdwa v7, v7, v9 dst_sel:DWORD dst_unused:UNUSED_PAD src0_sel:DWORD src1_sel:WORD_1
	v_bfe_u32 v4, v9, 19, 4
	v_sub_u32_e32 v6, 29, v6
	v_and_b32_e32 v7, 7, v7
	v_cmp_eq_u16_e32 vcc, 0, v3
	v_cndmask_b32_e32 v2, v2, v7, vcc
	v_cndmask_b32_e32 v3, v4, v6, vcc
	v_lshlrev_b32_e32 v4, 8, v9
	v_mov_b32_e32 v6, 0x3b800000
	v_lshlrev_b32_e32 v2, 20, v2
	v_and_b32_e32 v4, 0x80000000, v4
	v_lshl_add_u32 v3, v3, 23, v6
	v_or3_b32 v2, v4, v3, v2
.LBB10_884:
	s_or_b64 exec, exec, s[6:7]
	s_movk_i32 s4, 0xff
	v_and_b32_sdwa v3, v5, s4 dst_sel:DWORD dst_unused:UNUSED_PAD src0_sel:WORD_1 src1_sel:DWORD
	s_movk_i32 s4, 0x7f
	v_cmp_lt_i16_e32 vcc, s4, v3
	s_mov_b64 s[4:5], 0
                                        ; implicit-def: $sgpr10
	s_and_saveexec_b64 s[6:7], vcc
	s_xor_b64 s[6:7], exec, s[6:7]
	s_cbranch_execnz .LBB10_2933
; %bb.885:
	s_or_saveexec_b64 s[6:7], s[6:7]
	v_mov_b32_e32 v4, s10
	s_xor_b64 exec, exec, s[6:7]
	s_cbranch_execnz .LBB10_2936
.LBB10_886:
	s_or_b64 exec, exec, s[6:7]
	s_and_saveexec_b64 s[6:7], s[4:5]
	s_cbranch_execz .LBB10_888
.LBB10_887:
	v_bfe_u32 v3, v5, 16, 3
	v_ffbh_u32_e32 v7, v3
	v_min_u32_e32 v7, 32, v7
	v_lshrrev_b32_e32 v4, 19, v5
	v_subrev_u32_e32 v8, 28, v7
	v_and_b32_e32 v4, 15, v4
	v_lshlrev_b32_sdwa v8, v8, v5 dst_sel:DWORD dst_unused:UNUSED_PAD src0_sel:DWORD src1_sel:WORD_1
	v_bfe_u32 v6, v5, 19, 4
	v_sub_u32_e32 v7, 29, v7
	v_and_b32_e32 v8, 7, v8
	v_cmp_eq_u16_e32 vcc, 0, v4
	v_cndmask_b32_e32 v3, v3, v8, vcc
	v_cndmask_b32_e32 v4, v6, v7, vcc
	v_lshlrev_b32_e32 v6, 8, v5
	v_mov_b32_e32 v7, 0x3b800000
	v_lshlrev_b32_e32 v3, 20, v3
	v_and_b32_e32 v6, 0x80000000, v6
	v_lshl_add_u32 v4, v4, 23, v7
	v_or3_b32 v4, v6, v4, v3
.LBB10_888:
	s_or_b64 exec, exec, s[6:7]
	s_nop 0
	v_mfma_f32_16x16x4f32 a[0:3], v2, v4, a[0:3]
	s_movk_i32 s4, 0x7f
	v_cmp_gt_i16_sdwa s[6:7], v9, s4 src0_sel:BYTE_3 src1_sel:DWORD
	s_mov_b64 s[4:5], 0
                                        ; implicit-def: $sgpr10
	s_and_saveexec_b64 s[8:9], s[6:7]
	s_xor_b64 s[6:7], exec, s[8:9]
	s_cbranch_execnz .LBB10_2937
; %bb.889:
	s_or_saveexec_b64 s[6:7], s[6:7]
	v_mov_b32_e32 v2, s10
	s_xor_b64 exec, exec, s[6:7]
	s_cbranch_execnz .LBB10_2940
.LBB10_890:
	s_or_b64 exec, exec, s[6:7]
	s_and_saveexec_b64 s[6:7], s[4:5]
	s_cbranch_execz .LBB10_892
.LBB10_891:
	v_bfe_u32 v2, v9, 24, 3
	v_ffbh_u32_e32 v7, v2
	v_min_u32_e32 v7, 32, v7
	v_lshrrev_b32_e32 v4, 27, v9
	v_subrev_u32_e32 v8, 28, v7
	v_and_b32_e32 v4, 15, v4
	v_lshlrev_b32_sdwa v8, v8, v9 dst_sel:DWORD dst_unused:UNUSED_PAD src0_sel:DWORD src1_sel:BYTE_3
	v_bfe_u32 v6, v9, 27, 4
	v_sub_u32_e32 v7, 29, v7
	v_and_b32_e32 v8, 7, v8
	v_cmp_eq_u16_e32 vcc, 0, v4
	v_cndmask_b32_e32 v2, v2, v8, vcc
	v_cndmask_b32_e32 v4, v6, v7, vcc
	v_mov_b32_e32 v6, 0x3b800000
	v_and_b32_e32 v3, 0x80000000, v9
	v_lshlrev_b32_e32 v2, 20, v2
	v_lshl_add_u32 v4, v4, 23, v6
	v_or3_b32 v2, v3, v4, v2
.LBB10_892:
	s_or_b64 exec, exec, s[6:7]
	s_movk_i32 s4, 0x7f
	v_cmp_gt_i16_sdwa s[6:7], v5, s4 src0_sel:BYTE_3 src1_sel:DWORD
	s_mov_b64 s[4:5], 0
                                        ; implicit-def: $sgpr10
	s_and_saveexec_b64 s[8:9], s[6:7]
	s_xor_b64 s[6:7], exec, s[8:9]
	s_cbranch_execnz .LBB10_2941
; %bb.893:
	s_or_saveexec_b64 s[6:7], s[6:7]
	v_mov_b32_e32 v3, s10
	s_xor_b64 exec, exec, s[6:7]
	s_cbranch_execnz .LBB10_2944
.LBB10_894:
	s_or_b64 exec, exec, s[6:7]
	s_and_saveexec_b64 s[6:7], s[4:5]
	s_cbranch_execz .LBB10_896
.LBB10_895:
	v_bfe_u32 v3, v5, 24, 3
	v_ffbh_u32_e32 v8, v3
	v_min_u32_e32 v8, 32, v8
	v_lshrrev_b32_e32 v6, 27, v5
	v_subrev_u32_e32 v9, 28, v8
	v_and_b32_e32 v4, 0x80000000, v5
	v_and_b32_e32 v6, 15, v6
	v_bfe_u32 v7, v5, 27, 4
	v_lshlrev_b32_sdwa v5, v9, v5 dst_sel:DWORD dst_unused:UNUSED_PAD src0_sel:DWORD src1_sel:BYTE_3
	v_sub_u32_e32 v8, 29, v8
	v_and_b32_e32 v5, 7, v5
	v_cmp_eq_u16_e32 vcc, 0, v6
	v_cndmask_b32_e32 v3, v3, v5, vcc
	v_cndmask_b32_e32 v5, v7, v8, vcc
	v_mov_b32_e32 v6, 0x3b800000
	v_lshlrev_b32_e32 v3, 20, v3
	v_lshl_add_u32 v5, v5, 23, v6
	v_or3_b32 v3, v4, v5, v3
.LBB10_896:
	s_or_b64 exec, exec, s[6:7]
	s_nop 0
	v_mfma_f32_16x16x4f32 a[0:3], v2, v3, a[0:3]
	s_movk_i32 s4, 0x7f
                                        ; implicit-def: $sgpr10
	s_nop 7
	s_nop 1
	flat_store_dwordx4 v[10:11], a[0:3] offset:96
	flat_load_dwordx4 v[12:15], v[0:1] offset:8
	s_nop 0
	flat_load_dwordx2 v[10:11], v[0:1] offset:32
	s_waitcnt vmcnt(0) lgkmcnt(0)
	flat_load_dwordx4 v[6:9], v[12:13] offset:32
	flat_load_dwordx4 v[2:5], v[14:15] offset:96
	s_waitcnt vmcnt(0) lgkmcnt(0)
	v_cmp_gt_i16_sdwa s[6:7], v6, s4 src0_sel:BYTE_0 src1_sel:DWORD
	s_mov_b64 s[4:5], 0
	s_and_saveexec_b64 s[8:9], s[6:7]
	s_xor_b64 s[6:7], exec, s[8:9]
	s_cbranch_execnz .LBB10_2945
; %bb.897:
	s_or_saveexec_b64 s[6:7], s[6:7]
	v_mov_b32_e32 v12, s10
	s_xor_b64 exec, exec, s[6:7]
	s_cbranch_execnz .LBB10_2948
.LBB10_898:
	s_or_b64 exec, exec, s[6:7]
	s_and_saveexec_b64 s[6:7], s[4:5]
	s_cbranch_execz .LBB10_900
.LBB10_899:
	v_and_b32_e32 v12, 7, v6
	v_ffbh_u32_e32 v14, v12
	v_min_u32_e32 v14, 32, v14
	v_lshrrev_b16_e32 v13, 3, v6
	v_subrev_u32_e32 v15, 28, v14
	v_and_b32_e32 v13, 15, v13
	v_lshlrev_b32_e32 v15, v15, v6
	v_sub_u32_e32 v14, 29, v14
	v_and_b32_e32 v15, 7, v15
	v_cmp_eq_u16_e32 vcc, 0, v13
	v_cndmask_b32_e32 v12, v12, v15, vcc
	v_cndmask_b32_e32 v13, v13, v14, vcc
	v_lshlrev_b32_e32 v14, 24, v6
	v_mov_b32_e32 v15, 0x3b800000
	v_lshlrev_b32_e32 v12, 20, v12
	v_and_b32_e32 v14, 0x80000000, v14
	v_lshl_add_u32 v13, v13, 23, v15
	v_or3_b32 v12, v14, v13, v12
.LBB10_900:
	s_or_b64 exec, exec, s[6:7]
	s_movk_i32 s4, 0x7f
	v_cmp_gt_i16_sdwa s[6:7], v2, s4 src0_sel:BYTE_0 src1_sel:DWORD
	s_mov_b64 s[4:5], 0
                                        ; implicit-def: $sgpr10
	s_and_saveexec_b64 s[8:9], s[6:7]
	s_xor_b64 s[6:7], exec, s[8:9]
	s_cbranch_execnz .LBB10_2949
; %bb.901:
	s_or_saveexec_b64 s[6:7], s[6:7]
	v_mov_b32_e32 v13, s10
	s_xor_b64 exec, exec, s[6:7]
	s_cbranch_execnz .LBB10_2952
.LBB10_902:
	s_or_b64 exec, exec, s[6:7]
	s_and_saveexec_b64 s[6:7], s[4:5]
	s_cbranch_execz .LBB10_904
.LBB10_903:
	v_and_b32_e32 v13, 7, v2
	v_ffbh_u32_e32 v15, v13
	v_min_u32_e32 v15, 32, v15
	v_lshrrev_b16_e32 v14, 3, v2
	v_subrev_u32_e32 v16, 28, v15
	v_and_b32_e32 v14, 15, v14
	v_lshlrev_b32_e32 v16, v16, v2
	v_sub_u32_e32 v15, 29, v15
	v_and_b32_e32 v16, 7, v16
	v_cmp_eq_u16_e32 vcc, 0, v14
	v_cndmask_b32_e32 v13, v13, v16, vcc
	v_cndmask_b32_e32 v14, v14, v15, vcc
	v_lshlrev_b32_e32 v15, 24, v2
	v_mov_b32_e32 v16, 0x3b800000
	v_lshlrev_b32_e32 v13, 20, v13
	v_and_b32_e32 v15, 0x80000000, v15
	v_lshl_add_u32 v14, v14, 23, v16
	v_or3_b32 v13, v15, v14, v13
.LBB10_904:
	s_or_b64 exec, exec, s[6:7]
	flat_load_dwordx4 a[0:3], v[10:11] offset:112
	s_movk_i32 s4, 0x7f
                                        ; implicit-def: $sgpr10
	s_waitcnt vmcnt(0) lgkmcnt(0)
	v_mfma_f32_16x16x4f32 a[0:3], v12, v13, a[0:3]
	v_lshrrev_b32_e32 v13, 8, v6
	v_cmp_gt_i16_sdwa s[6:7], v13, s4 src0_sel:BYTE_0 src1_sel:DWORD
	s_mov_b64 s[4:5], 0
	s_and_saveexec_b64 s[8:9], s[6:7]
	s_xor_b64 s[6:7], exec, s[8:9]
	s_cbranch_execnz .LBB10_2953
; %bb.905:
	s_or_saveexec_b64 s[6:7], s[6:7]
	v_mov_b32_e32 v12, s10
	s_xor_b64 exec, exec, s[6:7]
	s_cbranch_execnz .LBB10_2956
.LBB10_906:
	s_or_b64 exec, exec, s[6:7]
	s_and_saveexec_b64 s[6:7], s[4:5]
	s_cbranch_execz .LBB10_908
.LBB10_907:
	v_bfe_u32 v12, v6, 8, 3
	v_ffbh_u32_e32 v15, v12
	v_min_u32_e32 v15, 32, v15
	v_lshrrev_b16_e32 v14, 3, v13
	v_subrev_u32_e32 v16, 28, v15
	v_and_b32_e32 v14, 15, v14
	v_lshlrev_b32_e32 v13, v16, v13
	v_sub_u32_e32 v15, 29, v15
	v_and_b32_e32 v13, 7, v13
	v_cmp_eq_u16_e32 vcc, 0, v14
	v_cndmask_b32_e32 v12, v12, v13, vcc
	v_cndmask_b32_e32 v13, v14, v15, vcc
	v_lshlrev_b32_e32 v14, 16, v6
	v_mov_b32_e32 v15, 0x3b800000
	v_lshlrev_b32_e32 v12, 20, v12
	v_and_b32_e32 v14, 0x80000000, v14
	v_lshl_add_u32 v13, v13, 23, v15
	v_or3_b32 v12, v14, v13, v12
.LBB10_908:
	s_or_b64 exec, exec, s[6:7]
	v_lshrrev_b32_e32 v13, 8, v2
	s_movk_i32 s4, 0x7f
	v_cmp_gt_i16_sdwa s[6:7], v13, s4 src0_sel:BYTE_0 src1_sel:DWORD
	s_mov_b64 s[4:5], 0
                                        ; implicit-def: $sgpr10
	s_and_saveexec_b64 s[8:9], s[6:7]
	s_xor_b64 s[6:7], exec, s[8:9]
	s_cbranch_execnz .LBB10_2957
; %bb.909:
	s_or_saveexec_b64 s[6:7], s[6:7]
	v_mov_b32_e32 v14, s10
	s_xor_b64 exec, exec, s[6:7]
	s_cbranch_execnz .LBB10_2960
.LBB10_910:
	s_or_b64 exec, exec, s[6:7]
	s_and_saveexec_b64 s[6:7], s[4:5]
	s_cbranch_execz .LBB10_912
.LBB10_911:
	v_bfe_u32 v14, v2, 8, 3
	v_ffbh_u32_e32 v16, v14
	v_min_u32_e32 v16, 32, v16
	v_lshrrev_b16_e32 v15, 3, v13
	v_subrev_u32_e32 v17, 28, v16
	v_and_b32_e32 v15, 15, v15
	v_lshlrev_b32_e32 v13, v17, v13
	v_sub_u32_e32 v16, 29, v16
	v_and_b32_e32 v13, 7, v13
	v_cmp_eq_u16_e32 vcc, 0, v15
	v_cndmask_b32_e32 v13, v14, v13, vcc
	v_cndmask_b32_e32 v14, v15, v16, vcc
	v_lshlrev_b32_e32 v15, 16, v2
	v_mov_b32_e32 v16, 0x3b800000
	v_lshlrev_b32_e32 v13, 20, v13
	v_and_b32_e32 v15, 0x80000000, v15
	v_lshl_add_u32 v14, v14, 23, v16
	v_or3_b32 v14, v15, v14, v13
.LBB10_912:
	s_or_b64 exec, exec, s[6:7]
	s_nop 0
	v_mfma_f32_16x16x4f32 a[0:3], v12, v14, a[0:3]
	s_movk_i32 s4, 0xff
	v_and_b32_sdwa v13, v6, s4 dst_sel:DWORD dst_unused:UNUSED_PAD src0_sel:WORD_1 src1_sel:DWORD
	s_movk_i32 s4, 0x7f
	v_cmp_lt_i16_e32 vcc, s4, v13
	s_mov_b64 s[4:5], 0
                                        ; implicit-def: $sgpr10
	s_and_saveexec_b64 s[6:7], vcc
	s_xor_b64 s[6:7], exec, s[6:7]
	s_cbranch_execnz .LBB10_2961
; %bb.913:
	s_or_saveexec_b64 s[6:7], s[6:7]
	v_mov_b32_e32 v12, s10
	s_xor_b64 exec, exec, s[6:7]
	s_cbranch_execnz .LBB10_2964
.LBB10_914:
	s_or_b64 exec, exec, s[6:7]
	s_and_saveexec_b64 s[6:7], s[4:5]
	s_cbranch_execz .LBB10_916
.LBB10_915:
	v_bfe_u32 v12, v6, 16, 3
	v_ffbh_u32_e32 v15, v12
	v_min_u32_e32 v15, 32, v15
	v_lshrrev_b32_e32 v13, 19, v6
	v_subrev_u32_e32 v16, 28, v15
	v_and_b32_e32 v13, 15, v13
	v_lshlrev_b32_sdwa v16, v16, v6 dst_sel:DWORD dst_unused:UNUSED_PAD src0_sel:DWORD src1_sel:WORD_1
	v_bfe_u32 v14, v6, 19, 4
	v_sub_u32_e32 v15, 29, v15
	v_and_b32_e32 v16, 7, v16
	v_cmp_eq_u16_e32 vcc, 0, v13
	v_cndmask_b32_e32 v12, v12, v16, vcc
	v_cndmask_b32_e32 v13, v14, v15, vcc
	v_lshlrev_b32_e32 v14, 8, v6
	v_mov_b32_e32 v15, 0x3b800000
	v_lshlrev_b32_e32 v12, 20, v12
	v_and_b32_e32 v14, 0x80000000, v14
	v_lshl_add_u32 v13, v13, 23, v15
	v_or3_b32 v12, v14, v13, v12
.LBB10_916:
	s_or_b64 exec, exec, s[6:7]
	s_movk_i32 s4, 0xff
	v_and_b32_sdwa v13, v2, s4 dst_sel:DWORD dst_unused:UNUSED_PAD src0_sel:WORD_1 src1_sel:DWORD
	s_movk_i32 s4, 0x7f
	v_cmp_lt_i16_e32 vcc, s4, v13
	s_mov_b64 s[4:5], 0
                                        ; implicit-def: $sgpr10
	s_and_saveexec_b64 s[6:7], vcc
	s_xor_b64 s[6:7], exec, s[6:7]
	s_cbranch_execnz .LBB10_2965
; %bb.917:
	s_or_saveexec_b64 s[6:7], s[6:7]
	v_mov_b32_e32 v14, s10
	s_xor_b64 exec, exec, s[6:7]
	s_cbranch_execnz .LBB10_2968
.LBB10_918:
	s_or_b64 exec, exec, s[6:7]
	s_and_saveexec_b64 s[6:7], s[4:5]
	s_cbranch_execz .LBB10_920
.LBB10_919:
	v_bfe_u32 v13, v2, 16, 3
	v_ffbh_u32_e32 v16, v13
	v_min_u32_e32 v16, 32, v16
	v_lshrrev_b32_e32 v14, 19, v2
	v_subrev_u32_e32 v17, 28, v16
	v_and_b32_e32 v14, 15, v14
	v_lshlrev_b32_sdwa v17, v17, v2 dst_sel:DWORD dst_unused:UNUSED_PAD src0_sel:DWORD src1_sel:WORD_1
	v_bfe_u32 v15, v2, 19, 4
	v_sub_u32_e32 v16, 29, v16
	v_and_b32_e32 v17, 7, v17
	v_cmp_eq_u16_e32 vcc, 0, v14
	v_cndmask_b32_e32 v13, v13, v17, vcc
	v_cndmask_b32_e32 v14, v15, v16, vcc
	v_lshlrev_b32_e32 v15, 8, v2
	v_mov_b32_e32 v16, 0x3b800000
	v_lshlrev_b32_e32 v13, 20, v13
	v_and_b32_e32 v15, 0x80000000, v15
	v_lshl_add_u32 v14, v14, 23, v16
	v_or3_b32 v14, v15, v14, v13
.LBB10_920:
	s_or_b64 exec, exec, s[6:7]
	s_nop 0
	v_mfma_f32_16x16x4f32 a[0:3], v12, v14, a[0:3]
	s_movk_i32 s4, 0x7f
	v_cmp_gt_i16_sdwa s[6:7], v6, s4 src0_sel:BYTE_3 src1_sel:DWORD
	s_mov_b64 s[4:5], 0
                                        ; implicit-def: $sgpr10
	s_and_saveexec_b64 s[8:9], s[6:7]
	s_xor_b64 s[6:7], exec, s[8:9]
	s_cbranch_execnz .LBB10_2969
; %bb.921:
	s_or_saveexec_b64 s[6:7], s[6:7]
	v_mov_b32_e32 v12, s10
	s_xor_b64 exec, exec, s[6:7]
	s_cbranch_execnz .LBB10_2972
.LBB10_922:
	s_or_b64 exec, exec, s[6:7]
	s_and_saveexec_b64 s[6:7], s[4:5]
	s_cbranch_execz .LBB10_924
.LBB10_923:
	v_bfe_u32 v12, v6, 24, 3
	v_ffbh_u32_e32 v16, v12
	v_min_u32_e32 v16, 32, v16
	v_lshrrev_b32_e32 v14, 27, v6
	v_subrev_u32_e32 v17, 28, v16
	v_and_b32_e32 v13, 0x80000000, v6
	v_and_b32_e32 v14, 15, v14
	v_bfe_u32 v15, v6, 27, 4
	v_lshlrev_b32_sdwa v6, v17, v6 dst_sel:DWORD dst_unused:UNUSED_PAD src0_sel:DWORD src1_sel:BYTE_3
	v_sub_u32_e32 v16, 29, v16
	v_and_b32_e32 v6, 7, v6
	v_cmp_eq_u16_e32 vcc, 0, v14
	v_cndmask_b32_e32 v6, v12, v6, vcc
	v_cndmask_b32_e32 v12, v15, v16, vcc
	v_mov_b32_e32 v14, 0x3b800000
	v_lshlrev_b32_e32 v6, 20, v6
	v_lshl_add_u32 v12, v12, 23, v14
	v_or3_b32 v12, v13, v12, v6
.LBB10_924:
	s_or_b64 exec, exec, s[6:7]
	s_movk_i32 s4, 0x7f
	v_cmp_gt_i16_sdwa s[6:7], v2, s4 src0_sel:BYTE_3 src1_sel:DWORD
	s_mov_b64 s[4:5], 0
                                        ; implicit-def: $sgpr10
	s_and_saveexec_b64 s[8:9], s[6:7]
	s_xor_b64 s[6:7], exec, s[8:9]
	s_cbranch_execnz .LBB10_2973
; %bb.925:
	s_or_saveexec_b64 s[6:7], s[6:7]
	v_mov_b32_e32 v6, s10
	s_xor_b64 exec, exec, s[6:7]
	s_cbranch_execnz .LBB10_2976
.LBB10_926:
	s_or_b64 exec, exec, s[6:7]
	s_and_saveexec_b64 s[6:7], s[4:5]
	s_cbranch_execz .LBB10_928
.LBB10_927:
	v_bfe_u32 v6, v2, 24, 3
	v_ffbh_u32_e32 v16, v6
	v_min_u32_e32 v16, 32, v16
	v_lshrrev_b32_e32 v14, 27, v2
	v_subrev_u32_e32 v17, 28, v16
	v_and_b32_e32 v13, 0x80000000, v2
	v_and_b32_e32 v14, 15, v14
	v_bfe_u32 v15, v2, 27, 4
	v_lshlrev_b32_sdwa v2, v17, v2 dst_sel:DWORD dst_unused:UNUSED_PAD src0_sel:DWORD src1_sel:BYTE_3
	v_sub_u32_e32 v16, 29, v16
	v_and_b32_e32 v2, 7, v2
	v_cmp_eq_u16_e32 vcc, 0, v14
	v_cndmask_b32_e32 v2, v6, v2, vcc
	v_cndmask_b32_e32 v6, v15, v16, vcc
	v_mov_b32_e32 v14, 0x3b800000
	v_lshlrev_b32_e32 v2, 20, v2
	v_lshl_add_u32 v6, v6, 23, v14
	v_or3_b32 v6, v13, v6, v2
.LBB10_928:
	s_or_b64 exec, exec, s[6:7]
	s_nop 0
	v_mfma_f32_16x16x4f32 a[0:3], v12, v6, a[0:3]
	s_movk_i32 s4, 0x7f
	v_cmp_gt_i16_sdwa s[6:7], v7, s4 src0_sel:BYTE_0 src1_sel:DWORD
	s_mov_b64 s[4:5], 0
                                        ; implicit-def: $sgpr10
	s_and_saveexec_b64 s[8:9], s[6:7]
	s_xor_b64 s[6:7], exec, s[8:9]
	s_cbranch_execnz .LBB10_2977
; %bb.929:
	s_or_saveexec_b64 s[6:7], s[6:7]
	v_mov_b32_e32 v2, s10
	s_xor_b64 exec, exec, s[6:7]
	s_cbranch_execnz .LBB10_2980
.LBB10_930:
	s_or_b64 exec, exec, s[6:7]
	s_and_saveexec_b64 s[6:7], s[4:5]
	s_cbranch_execz .LBB10_932
.LBB10_931:
	v_and_b32_e32 v2, 7, v7
	v_ffbh_u32_e32 v12, v2
	v_min_u32_e32 v12, 32, v12
	v_lshrrev_b16_e32 v6, 3, v7
	v_subrev_u32_e32 v13, 28, v12
	v_and_b32_e32 v6, 15, v6
	v_lshlrev_b32_e32 v13, v13, v7
	v_sub_u32_e32 v12, 29, v12
	v_and_b32_e32 v13, 7, v13
	v_cmp_eq_u16_e32 vcc, 0, v6
	v_cndmask_b32_e32 v2, v2, v13, vcc
	v_cndmask_b32_e32 v6, v6, v12, vcc
	v_lshlrev_b32_e32 v12, 24, v7
	v_mov_b32_e32 v13, 0x3b800000
	v_lshlrev_b32_e32 v2, 20, v2
	v_and_b32_e32 v12, 0x80000000, v12
	v_lshl_add_u32 v6, v6, 23, v13
	v_or3_b32 v2, v12, v6, v2
.LBB10_932:
	s_or_b64 exec, exec, s[6:7]
	s_movk_i32 s4, 0x7f
	v_cmp_gt_i16_sdwa s[6:7], v3, s4 src0_sel:BYTE_0 src1_sel:DWORD
	s_mov_b64 s[4:5], 0
                                        ; implicit-def: $sgpr10
	s_and_saveexec_b64 s[8:9], s[6:7]
	s_xor_b64 s[6:7], exec, s[8:9]
	s_cbranch_execnz .LBB10_2981
; %bb.933:
	s_or_saveexec_b64 s[6:7], s[6:7]
	v_mov_b32_e32 v6, s10
	s_xor_b64 exec, exec, s[6:7]
	s_cbranch_execnz .LBB10_2984
.LBB10_934:
	s_or_b64 exec, exec, s[6:7]
	s_and_saveexec_b64 s[6:7], s[4:5]
	s_cbranch_execz .LBB10_936
.LBB10_935:
	v_and_b32_e32 v6, 7, v3
	v_ffbh_u32_e32 v13, v6
	v_min_u32_e32 v13, 32, v13
	v_lshrrev_b16_e32 v12, 3, v3
	v_subrev_u32_e32 v14, 28, v13
	v_and_b32_e32 v12, 15, v12
	v_lshlrev_b32_e32 v14, v14, v3
	v_sub_u32_e32 v13, 29, v13
	v_and_b32_e32 v14, 7, v14
	v_cmp_eq_u16_e32 vcc, 0, v12
	v_cndmask_b32_e32 v6, v6, v14, vcc
	v_cndmask_b32_e32 v12, v12, v13, vcc
	v_lshlrev_b32_e32 v13, 24, v3
	v_mov_b32_e32 v14, 0x3b800000
	v_lshlrev_b32_e32 v6, 20, v6
	v_and_b32_e32 v13, 0x80000000, v13
	v_lshl_add_u32 v12, v12, 23, v14
	v_or3_b32 v6, v13, v12, v6
.LBB10_936:
	s_or_b64 exec, exec, s[6:7]
	s_nop 0
	v_mfma_f32_16x16x4f32 a[0:3], v2, v6, a[0:3]
	v_lshrrev_b32_e32 v6, 8, v7
	s_movk_i32 s4, 0x7f
	v_cmp_gt_i16_sdwa s[6:7], v6, s4 src0_sel:BYTE_0 src1_sel:DWORD
	s_mov_b64 s[4:5], 0
                                        ; implicit-def: $sgpr10
	s_and_saveexec_b64 s[8:9], s[6:7]
	s_xor_b64 s[6:7], exec, s[8:9]
	s_cbranch_execnz .LBB10_2985
; %bb.937:
	s_or_saveexec_b64 s[6:7], s[6:7]
	v_mov_b32_e32 v2, s10
	s_xor_b64 exec, exec, s[6:7]
	s_cbranch_execnz .LBB10_2988
.LBB10_938:
	s_or_b64 exec, exec, s[6:7]
	s_and_saveexec_b64 s[6:7], s[4:5]
	s_cbranch_execz .LBB10_940
.LBB10_939:
	v_bfe_u32 v2, v7, 8, 3
	v_ffbh_u32_e32 v13, v2
	v_min_u32_e32 v13, 32, v13
	v_lshrrev_b16_e32 v12, 3, v6
	v_subrev_u32_e32 v14, 28, v13
	v_and_b32_e32 v12, 15, v12
	v_lshlrev_b32_e32 v6, v14, v6
	v_sub_u32_e32 v13, 29, v13
	v_and_b32_e32 v6, 7, v6
	v_cmp_eq_u16_e32 vcc, 0, v12
	v_cndmask_b32_e32 v2, v2, v6, vcc
	v_cndmask_b32_e32 v6, v12, v13, vcc
	v_lshlrev_b32_e32 v12, 16, v7
	v_mov_b32_e32 v13, 0x3b800000
	v_lshlrev_b32_e32 v2, 20, v2
	v_and_b32_e32 v12, 0x80000000, v12
	v_lshl_add_u32 v6, v6, 23, v13
	v_or3_b32 v2, v12, v6, v2
.LBB10_940:
	s_or_b64 exec, exec, s[6:7]
	v_lshrrev_b32_e32 v6, 8, v3
	s_movk_i32 s4, 0x7f
	v_cmp_gt_i16_sdwa s[6:7], v6, s4 src0_sel:BYTE_0 src1_sel:DWORD
	s_mov_b64 s[4:5], 0
                                        ; implicit-def: $sgpr10
	s_and_saveexec_b64 s[8:9], s[6:7]
	s_xor_b64 s[6:7], exec, s[8:9]
	s_cbranch_execnz .LBB10_2989
; %bb.941:
	s_or_saveexec_b64 s[6:7], s[6:7]
	v_mov_b32_e32 v12, s10
	s_xor_b64 exec, exec, s[6:7]
	s_cbranch_execnz .LBB10_2992
.LBB10_942:
	s_or_b64 exec, exec, s[6:7]
	s_and_saveexec_b64 s[6:7], s[4:5]
	s_cbranch_execz .LBB10_944
.LBB10_943:
	v_bfe_u32 v12, v3, 8, 3
	v_ffbh_u32_e32 v14, v12
	v_min_u32_e32 v14, 32, v14
	v_lshrrev_b16_e32 v13, 3, v6
	v_subrev_u32_e32 v15, 28, v14
	v_and_b32_e32 v13, 15, v13
	v_lshlrev_b32_e32 v6, v15, v6
	v_sub_u32_e32 v14, 29, v14
	v_and_b32_e32 v6, 7, v6
	v_cmp_eq_u16_e32 vcc, 0, v13
	v_cndmask_b32_e32 v6, v12, v6, vcc
	v_cndmask_b32_e32 v12, v13, v14, vcc
	v_lshlrev_b32_e32 v13, 16, v3
	v_mov_b32_e32 v14, 0x3b800000
	v_lshlrev_b32_e32 v6, 20, v6
	v_and_b32_e32 v13, 0x80000000, v13
	v_lshl_add_u32 v12, v12, 23, v14
	v_or3_b32 v12, v13, v12, v6
.LBB10_944:
	s_or_b64 exec, exec, s[6:7]
	s_nop 0
	v_mfma_f32_16x16x4f32 a[0:3], v2, v12, a[0:3]
	s_movk_i32 s4, 0xff
	v_and_b32_sdwa v6, v7, s4 dst_sel:DWORD dst_unused:UNUSED_PAD src0_sel:WORD_1 src1_sel:DWORD
	s_movk_i32 s4, 0x7f
	v_cmp_lt_i16_e32 vcc, s4, v6
	s_mov_b64 s[4:5], 0
                                        ; implicit-def: $sgpr10
	s_and_saveexec_b64 s[6:7], vcc
	s_xor_b64 s[6:7], exec, s[6:7]
	s_cbranch_execnz .LBB10_2993
; %bb.945:
	s_or_saveexec_b64 s[6:7], s[6:7]
	v_mov_b32_e32 v2, s10
	s_xor_b64 exec, exec, s[6:7]
	s_cbranch_execnz .LBB10_2996
.LBB10_946:
	s_or_b64 exec, exec, s[6:7]
	s_and_saveexec_b64 s[6:7], s[4:5]
	s_cbranch_execz .LBB10_948
.LBB10_947:
	v_bfe_u32 v2, v7, 16, 3
	v_ffbh_u32_e32 v13, v2
	v_min_u32_e32 v13, 32, v13
	v_lshrrev_b32_e32 v6, 19, v7
	v_subrev_u32_e32 v14, 28, v13
	v_and_b32_e32 v6, 15, v6
	v_lshlrev_b32_sdwa v14, v14, v7 dst_sel:DWORD dst_unused:UNUSED_PAD src0_sel:DWORD src1_sel:WORD_1
	v_bfe_u32 v12, v7, 19, 4
	v_sub_u32_e32 v13, 29, v13
	v_and_b32_e32 v14, 7, v14
	v_cmp_eq_u16_e32 vcc, 0, v6
	v_cndmask_b32_e32 v2, v2, v14, vcc
	v_cndmask_b32_e32 v6, v12, v13, vcc
	v_lshlrev_b32_e32 v12, 8, v7
	v_mov_b32_e32 v13, 0x3b800000
	v_lshlrev_b32_e32 v2, 20, v2
	v_and_b32_e32 v12, 0x80000000, v12
	v_lshl_add_u32 v6, v6, 23, v13
	v_or3_b32 v2, v12, v6, v2
.LBB10_948:
	s_or_b64 exec, exec, s[6:7]
	s_movk_i32 s4, 0xff
	v_and_b32_sdwa v6, v3, s4 dst_sel:DWORD dst_unused:UNUSED_PAD src0_sel:WORD_1 src1_sel:DWORD
	s_movk_i32 s4, 0x7f
	v_cmp_lt_i16_e32 vcc, s4, v6
	s_mov_b64 s[4:5], 0
                                        ; implicit-def: $sgpr10
	s_and_saveexec_b64 s[6:7], vcc
	s_xor_b64 s[6:7], exec, s[6:7]
	s_cbranch_execnz .LBB10_2997
; %bb.949:
	s_or_saveexec_b64 s[6:7], s[6:7]
	v_mov_b32_e32 v12, s10
	s_xor_b64 exec, exec, s[6:7]
	s_cbranch_execnz .LBB10_3000
.LBB10_950:
	s_or_b64 exec, exec, s[6:7]
	s_and_saveexec_b64 s[6:7], s[4:5]
	s_cbranch_execz .LBB10_952
.LBB10_951:
	v_bfe_u32 v6, v3, 16, 3
	v_ffbh_u32_e32 v14, v6
	v_min_u32_e32 v14, 32, v14
	v_lshrrev_b32_e32 v12, 19, v3
	v_subrev_u32_e32 v15, 28, v14
	v_and_b32_e32 v12, 15, v12
	v_lshlrev_b32_sdwa v15, v15, v3 dst_sel:DWORD dst_unused:UNUSED_PAD src0_sel:DWORD src1_sel:WORD_1
	v_bfe_u32 v13, v3, 19, 4
	v_sub_u32_e32 v14, 29, v14
	v_and_b32_e32 v15, 7, v15
	v_cmp_eq_u16_e32 vcc, 0, v12
	v_cndmask_b32_e32 v6, v6, v15, vcc
	v_cndmask_b32_e32 v12, v13, v14, vcc
	v_lshlrev_b32_e32 v13, 8, v3
	v_mov_b32_e32 v14, 0x3b800000
	v_lshlrev_b32_e32 v6, 20, v6
	v_and_b32_e32 v13, 0x80000000, v13
	v_lshl_add_u32 v12, v12, 23, v14
	v_or3_b32 v12, v13, v12, v6
.LBB10_952:
	s_or_b64 exec, exec, s[6:7]
	s_nop 0
	v_mfma_f32_16x16x4f32 a[0:3], v2, v12, a[0:3]
	s_movk_i32 s4, 0x7f
	v_cmp_gt_i16_sdwa s[6:7], v7, s4 src0_sel:BYTE_3 src1_sel:DWORD
	s_mov_b64 s[4:5], 0
                                        ; implicit-def: $sgpr10
	s_and_saveexec_b64 s[8:9], s[6:7]
	s_xor_b64 s[6:7], exec, s[8:9]
	s_cbranch_execnz .LBB10_3001
; %bb.953:
	s_or_saveexec_b64 s[6:7], s[6:7]
	v_mov_b32_e32 v2, s10
	s_xor_b64 exec, exec, s[6:7]
	s_cbranch_execnz .LBB10_3004
.LBB10_954:
	s_or_b64 exec, exec, s[6:7]
	s_and_saveexec_b64 s[6:7], s[4:5]
	s_cbranch_execz .LBB10_956
.LBB10_955:
	v_bfe_u32 v2, v7, 24, 3
	v_ffbh_u32_e32 v14, v2
	v_min_u32_e32 v14, 32, v14
	v_lshrrev_b32_e32 v12, 27, v7
	v_subrev_u32_e32 v15, 28, v14
	v_and_b32_e32 v6, 0x80000000, v7
	v_and_b32_e32 v12, 15, v12
	v_bfe_u32 v13, v7, 27, 4
	v_lshlrev_b32_sdwa v7, v15, v7 dst_sel:DWORD dst_unused:UNUSED_PAD src0_sel:DWORD src1_sel:BYTE_3
	v_sub_u32_e32 v14, 29, v14
	v_and_b32_e32 v7, 7, v7
	v_cmp_eq_u16_e32 vcc, 0, v12
	v_cndmask_b32_e32 v2, v2, v7, vcc
	v_cndmask_b32_e32 v7, v13, v14, vcc
	v_mov_b32_e32 v12, 0x3b800000
	v_lshlrev_b32_e32 v2, 20, v2
	v_lshl_add_u32 v7, v7, 23, v12
	v_or3_b32 v2, v6, v7, v2
.LBB10_956:
	s_or_b64 exec, exec, s[6:7]
	s_movk_i32 s4, 0x7f
	v_cmp_gt_i16_sdwa s[6:7], v3, s4 src0_sel:BYTE_3 src1_sel:DWORD
	s_mov_b64 s[4:5], 0
                                        ; implicit-def: $sgpr10
	s_and_saveexec_b64 s[8:9], s[6:7]
	s_xor_b64 s[6:7], exec, s[8:9]
	s_cbranch_execnz .LBB10_3005
; %bb.957:
	s_or_saveexec_b64 s[6:7], s[6:7]
	v_mov_b32_e32 v6, s10
	s_xor_b64 exec, exec, s[6:7]
	s_cbranch_execnz .LBB10_3008
.LBB10_958:
	s_or_b64 exec, exec, s[6:7]
	s_and_saveexec_b64 s[6:7], s[4:5]
	s_cbranch_execz .LBB10_960
.LBB10_959:
	v_bfe_u32 v6, v3, 24, 3
	v_ffbh_u32_e32 v14, v6
	v_min_u32_e32 v14, 32, v14
	v_lshrrev_b32_e32 v12, 27, v3
	v_subrev_u32_e32 v15, 28, v14
	v_and_b32_e32 v7, 0x80000000, v3
	v_and_b32_e32 v12, 15, v12
	v_bfe_u32 v13, v3, 27, 4
	v_lshlrev_b32_sdwa v3, v15, v3 dst_sel:DWORD dst_unused:UNUSED_PAD src0_sel:DWORD src1_sel:BYTE_3
	v_sub_u32_e32 v14, 29, v14
	v_and_b32_e32 v3, 7, v3
	v_cmp_eq_u16_e32 vcc, 0, v12
	v_cndmask_b32_e32 v3, v6, v3, vcc
	v_cndmask_b32_e32 v6, v13, v14, vcc
	v_mov_b32_e32 v12, 0x3b800000
	v_lshlrev_b32_e32 v3, 20, v3
	v_lshl_add_u32 v6, v6, 23, v12
	v_or3_b32 v6, v7, v6, v3
.LBB10_960:
	s_or_b64 exec, exec, s[6:7]
	s_nop 0
	v_mfma_f32_16x16x4f32 a[0:3], v2, v6, a[0:3]
	s_movk_i32 s4, 0x7f
	v_cmp_gt_i16_sdwa s[6:7], v8, s4 src0_sel:BYTE_0 src1_sel:DWORD
	s_mov_b64 s[4:5], 0
                                        ; implicit-def: $sgpr10
	s_and_saveexec_b64 s[8:9], s[6:7]
	s_xor_b64 s[6:7], exec, s[8:9]
	s_cbranch_execnz .LBB10_3009
; %bb.961:
	s_or_saveexec_b64 s[6:7], s[6:7]
	v_mov_b32_e32 v2, s10
	s_xor_b64 exec, exec, s[6:7]
	s_cbranch_execnz .LBB10_3012
.LBB10_962:
	s_or_b64 exec, exec, s[6:7]
	s_and_saveexec_b64 s[6:7], s[4:5]
	s_cbranch_execz .LBB10_964
.LBB10_963:
	v_and_b32_e32 v2, 7, v8
	v_ffbh_u32_e32 v6, v2
	v_min_u32_e32 v6, 32, v6
	v_lshrrev_b16_e32 v3, 3, v8
	v_subrev_u32_e32 v7, 28, v6
	v_and_b32_e32 v3, 15, v3
	v_lshlrev_b32_e32 v7, v7, v8
	v_sub_u32_e32 v6, 29, v6
	v_and_b32_e32 v7, 7, v7
	v_cmp_eq_u16_e32 vcc, 0, v3
	v_cndmask_b32_e32 v2, v2, v7, vcc
	v_cndmask_b32_e32 v3, v3, v6, vcc
	v_lshlrev_b32_e32 v6, 24, v8
	v_mov_b32_e32 v7, 0x3b800000
	v_lshlrev_b32_e32 v2, 20, v2
	v_and_b32_e32 v6, 0x80000000, v6
	v_lshl_add_u32 v3, v3, 23, v7
	v_or3_b32 v2, v6, v3, v2
.LBB10_964:
	s_or_b64 exec, exec, s[6:7]
	s_movk_i32 s4, 0x7f
	v_cmp_gt_i16_sdwa s[6:7], v4, s4 src0_sel:BYTE_0 src1_sel:DWORD
	s_mov_b64 s[4:5], 0
                                        ; implicit-def: $sgpr10
	s_and_saveexec_b64 s[8:9], s[6:7]
	s_xor_b64 s[6:7], exec, s[8:9]
	s_cbranch_execnz .LBB10_3013
; %bb.965:
	s_or_saveexec_b64 s[6:7], s[6:7]
	v_mov_b32_e32 v3, s10
	s_xor_b64 exec, exec, s[6:7]
	s_cbranch_execnz .LBB10_3016
.LBB10_966:
	s_or_b64 exec, exec, s[6:7]
	s_and_saveexec_b64 s[6:7], s[4:5]
	s_cbranch_execz .LBB10_968
.LBB10_967:
	v_and_b32_e32 v3, 7, v4
	v_ffbh_u32_e32 v7, v3
	v_min_u32_e32 v7, 32, v7
	v_lshrrev_b16_e32 v6, 3, v4
	v_subrev_u32_e32 v12, 28, v7
	v_and_b32_e32 v6, 15, v6
	v_lshlrev_b32_e32 v12, v12, v4
	v_sub_u32_e32 v7, 29, v7
	v_and_b32_e32 v12, 7, v12
	v_cmp_eq_u16_e32 vcc, 0, v6
	v_cndmask_b32_e32 v3, v3, v12, vcc
	v_cndmask_b32_e32 v6, v6, v7, vcc
	v_lshlrev_b32_e32 v7, 24, v4
	v_mov_b32_e32 v12, 0x3b800000
	v_lshlrev_b32_e32 v3, 20, v3
	v_and_b32_e32 v7, 0x80000000, v7
	v_lshl_add_u32 v6, v6, 23, v12
	v_or3_b32 v3, v7, v6, v3
.LBB10_968:
	s_or_b64 exec, exec, s[6:7]
	s_nop 0
	v_mfma_f32_16x16x4f32 a[0:3], v2, v3, a[0:3]
	v_lshrrev_b32_e32 v3, 8, v8
	s_movk_i32 s4, 0x7f
	v_cmp_gt_i16_sdwa s[6:7], v3, s4 src0_sel:BYTE_0 src1_sel:DWORD
	s_mov_b64 s[4:5], 0
                                        ; implicit-def: $sgpr10
	s_and_saveexec_b64 s[8:9], s[6:7]
	s_xor_b64 s[6:7], exec, s[8:9]
	s_cbranch_execnz .LBB10_3017
; %bb.969:
	s_or_saveexec_b64 s[6:7], s[6:7]
	v_mov_b32_e32 v2, s10
	s_xor_b64 exec, exec, s[6:7]
	s_cbranch_execnz .LBB10_3020
.LBB10_970:
	s_or_b64 exec, exec, s[6:7]
	s_and_saveexec_b64 s[6:7], s[4:5]
	s_cbranch_execz .LBB10_972
.LBB10_971:
	v_bfe_u32 v2, v8, 8, 3
	v_ffbh_u32_e32 v7, v2
	v_min_u32_e32 v7, 32, v7
	v_lshrrev_b16_e32 v6, 3, v3
	v_subrev_u32_e32 v12, 28, v7
	v_and_b32_e32 v6, 15, v6
	v_lshlrev_b32_e32 v3, v12, v3
	v_sub_u32_e32 v7, 29, v7
	v_and_b32_e32 v3, 7, v3
	v_cmp_eq_u16_e32 vcc, 0, v6
	v_cndmask_b32_e32 v2, v2, v3, vcc
	v_cndmask_b32_e32 v3, v6, v7, vcc
	v_lshlrev_b32_e32 v6, 16, v8
	v_mov_b32_e32 v7, 0x3b800000
	v_lshlrev_b32_e32 v2, 20, v2
	v_and_b32_e32 v6, 0x80000000, v6
	v_lshl_add_u32 v3, v3, 23, v7
	v_or3_b32 v2, v6, v3, v2
.LBB10_972:
	s_or_b64 exec, exec, s[6:7]
	v_lshrrev_b32_e32 v3, 8, v4
	s_movk_i32 s4, 0x7f
	v_cmp_gt_i16_sdwa s[6:7], v3, s4 src0_sel:BYTE_0 src1_sel:DWORD
	s_mov_b64 s[4:5], 0
                                        ; implicit-def: $sgpr10
	s_and_saveexec_b64 s[8:9], s[6:7]
	s_xor_b64 s[6:7], exec, s[8:9]
	s_cbranch_execnz .LBB10_3021
; %bb.973:
	s_or_saveexec_b64 s[6:7], s[6:7]
	v_mov_b32_e32 v6, s10
	s_xor_b64 exec, exec, s[6:7]
	s_cbranch_execnz .LBB10_3024
.LBB10_974:
	s_or_b64 exec, exec, s[6:7]
	s_and_saveexec_b64 s[6:7], s[4:5]
	s_cbranch_execz .LBB10_976
.LBB10_975:
	v_bfe_u32 v6, v4, 8, 3
	v_ffbh_u32_e32 v12, v6
	v_min_u32_e32 v12, 32, v12
	v_lshrrev_b16_e32 v7, 3, v3
	v_subrev_u32_e32 v13, 28, v12
	v_and_b32_e32 v7, 15, v7
	v_lshlrev_b32_e32 v3, v13, v3
	v_sub_u32_e32 v12, 29, v12
	v_and_b32_e32 v3, 7, v3
	v_cmp_eq_u16_e32 vcc, 0, v7
	v_cndmask_b32_e32 v3, v6, v3, vcc
	v_cndmask_b32_e32 v6, v7, v12, vcc
	v_lshlrev_b32_e32 v7, 16, v4
	v_mov_b32_e32 v12, 0x3b800000
	v_lshlrev_b32_e32 v3, 20, v3
	v_and_b32_e32 v7, 0x80000000, v7
	v_lshl_add_u32 v6, v6, 23, v12
	v_or3_b32 v6, v7, v6, v3
.LBB10_976:
	s_or_b64 exec, exec, s[6:7]
	s_nop 0
	v_mfma_f32_16x16x4f32 a[0:3], v2, v6, a[0:3]
	s_movk_i32 s4, 0xff
	v_and_b32_sdwa v3, v8, s4 dst_sel:DWORD dst_unused:UNUSED_PAD src0_sel:WORD_1 src1_sel:DWORD
	s_movk_i32 s4, 0x7f
	v_cmp_lt_i16_e32 vcc, s4, v3
	s_mov_b64 s[4:5], 0
                                        ; implicit-def: $sgpr10
	s_and_saveexec_b64 s[6:7], vcc
	s_xor_b64 s[6:7], exec, s[6:7]
	s_cbranch_execnz .LBB10_3025
; %bb.977:
	s_or_saveexec_b64 s[6:7], s[6:7]
	v_mov_b32_e32 v2, s10
	s_xor_b64 exec, exec, s[6:7]
	s_cbranch_execnz .LBB10_3028
.LBB10_978:
	s_or_b64 exec, exec, s[6:7]
	s_and_saveexec_b64 s[6:7], s[4:5]
	s_cbranch_execz .LBB10_980
.LBB10_979:
	v_bfe_u32 v2, v8, 16, 3
	v_ffbh_u32_e32 v7, v2
	v_min_u32_e32 v7, 32, v7
	v_lshrrev_b32_e32 v3, 19, v8
	v_subrev_u32_e32 v12, 28, v7
	v_and_b32_e32 v3, 15, v3
	v_lshlrev_b32_sdwa v12, v12, v8 dst_sel:DWORD dst_unused:UNUSED_PAD src0_sel:DWORD src1_sel:WORD_1
	v_bfe_u32 v6, v8, 19, 4
	v_sub_u32_e32 v7, 29, v7
	v_and_b32_e32 v12, 7, v12
	v_cmp_eq_u16_e32 vcc, 0, v3
	v_cndmask_b32_e32 v2, v2, v12, vcc
	v_cndmask_b32_e32 v3, v6, v7, vcc
	v_lshlrev_b32_e32 v6, 8, v8
	v_mov_b32_e32 v7, 0x3b800000
	v_lshlrev_b32_e32 v2, 20, v2
	v_and_b32_e32 v6, 0x80000000, v6
	v_lshl_add_u32 v3, v3, 23, v7
	v_or3_b32 v2, v6, v3, v2
.LBB10_980:
	s_or_b64 exec, exec, s[6:7]
	s_movk_i32 s4, 0xff
	v_and_b32_sdwa v3, v4, s4 dst_sel:DWORD dst_unused:UNUSED_PAD src0_sel:WORD_1 src1_sel:DWORD
	s_movk_i32 s4, 0x7f
	v_cmp_lt_i16_e32 vcc, s4, v3
	s_mov_b64 s[4:5], 0
                                        ; implicit-def: $sgpr10
	s_and_saveexec_b64 s[6:7], vcc
	s_xor_b64 s[6:7], exec, s[6:7]
	s_cbranch_execnz .LBB10_3029
; %bb.981:
	s_or_saveexec_b64 s[6:7], s[6:7]
	v_mov_b32_e32 v6, s10
	s_xor_b64 exec, exec, s[6:7]
	s_cbranch_execnz .LBB10_3032
.LBB10_982:
	s_or_b64 exec, exec, s[6:7]
	s_and_saveexec_b64 s[6:7], s[4:5]
	s_cbranch_execz .LBB10_984
.LBB10_983:
	v_bfe_u32 v3, v4, 16, 3
	v_ffbh_u32_e32 v12, v3
	v_min_u32_e32 v12, 32, v12
	v_lshrrev_b32_e32 v6, 19, v4
	v_subrev_u32_e32 v13, 28, v12
	v_and_b32_e32 v6, 15, v6
	v_lshlrev_b32_sdwa v13, v13, v4 dst_sel:DWORD dst_unused:UNUSED_PAD src0_sel:DWORD src1_sel:WORD_1
	v_bfe_u32 v7, v4, 19, 4
	v_sub_u32_e32 v12, 29, v12
	v_and_b32_e32 v13, 7, v13
	v_cmp_eq_u16_e32 vcc, 0, v6
	v_cndmask_b32_e32 v3, v3, v13, vcc
	v_cndmask_b32_e32 v6, v7, v12, vcc
	v_lshlrev_b32_e32 v7, 8, v4
	v_mov_b32_e32 v12, 0x3b800000
	v_lshlrev_b32_e32 v3, 20, v3
	v_and_b32_e32 v7, 0x80000000, v7
	v_lshl_add_u32 v6, v6, 23, v12
	v_or3_b32 v6, v7, v6, v3
.LBB10_984:
	s_or_b64 exec, exec, s[6:7]
	s_nop 0
	v_mfma_f32_16x16x4f32 a[0:3], v2, v6, a[0:3]
	s_movk_i32 s4, 0x7f
	v_cmp_gt_i16_sdwa s[6:7], v8, s4 src0_sel:BYTE_3 src1_sel:DWORD
	s_mov_b64 s[4:5], 0
                                        ; implicit-def: $sgpr10
	s_and_saveexec_b64 s[8:9], s[6:7]
	s_xor_b64 s[6:7], exec, s[8:9]
	s_cbranch_execnz .LBB10_3033
; %bb.985:
	s_or_saveexec_b64 s[6:7], s[6:7]
	v_mov_b32_e32 v2, s10
	s_xor_b64 exec, exec, s[6:7]
	s_cbranch_execnz .LBB10_3036
.LBB10_986:
	s_or_b64 exec, exec, s[6:7]
	s_and_saveexec_b64 s[6:7], s[4:5]
	s_cbranch_execz .LBB10_988
.LBB10_987:
	v_bfe_u32 v2, v8, 24, 3
	v_ffbh_u32_e32 v12, v2
	v_min_u32_e32 v12, 32, v12
	v_lshrrev_b32_e32 v6, 27, v8
	v_subrev_u32_e32 v13, 28, v12
	v_and_b32_e32 v3, 0x80000000, v8
	v_and_b32_e32 v6, 15, v6
	v_bfe_u32 v7, v8, 27, 4
	v_lshlrev_b32_sdwa v8, v13, v8 dst_sel:DWORD dst_unused:UNUSED_PAD src0_sel:DWORD src1_sel:BYTE_3
	v_sub_u32_e32 v12, 29, v12
	v_and_b32_e32 v8, 7, v8
	v_cmp_eq_u16_e32 vcc, 0, v6
	v_cndmask_b32_e32 v2, v2, v8, vcc
	v_cndmask_b32_e32 v6, v7, v12, vcc
	v_mov_b32_e32 v7, 0x3b800000
	v_lshlrev_b32_e32 v2, 20, v2
	v_lshl_add_u32 v6, v6, 23, v7
	v_or3_b32 v2, v3, v6, v2
.LBB10_988:
	s_or_b64 exec, exec, s[6:7]
	s_movk_i32 s4, 0x7f
	v_cmp_gt_i16_sdwa s[6:7], v4, s4 src0_sel:BYTE_3 src1_sel:DWORD
	s_mov_b64 s[4:5], 0
                                        ; implicit-def: $sgpr10
	s_and_saveexec_b64 s[8:9], s[6:7]
	s_xor_b64 s[6:7], exec, s[8:9]
	s_cbranch_execnz .LBB10_3037
; %bb.989:
	s_or_saveexec_b64 s[6:7], s[6:7]
	v_mov_b32_e32 v3, s10
	s_xor_b64 exec, exec, s[6:7]
	s_cbranch_execnz .LBB10_3040
.LBB10_990:
	s_or_b64 exec, exec, s[6:7]
	s_and_saveexec_b64 s[6:7], s[4:5]
	s_cbranch_execz .LBB10_992
.LBB10_991:
	v_bfe_u32 v3, v4, 24, 3
	v_ffbh_u32_e32 v12, v3
	v_min_u32_e32 v12, 32, v12
	v_lshrrev_b32_e32 v7, 27, v4
	v_subrev_u32_e32 v13, 28, v12
	v_and_b32_e32 v6, 0x80000000, v4
	v_and_b32_e32 v7, 15, v7
	v_bfe_u32 v8, v4, 27, 4
	v_lshlrev_b32_sdwa v4, v13, v4 dst_sel:DWORD dst_unused:UNUSED_PAD src0_sel:DWORD src1_sel:BYTE_3
	v_sub_u32_e32 v12, 29, v12
	v_and_b32_e32 v4, 7, v4
	v_cmp_eq_u16_e32 vcc, 0, v7
	v_cndmask_b32_e32 v3, v3, v4, vcc
	v_cndmask_b32_e32 v4, v8, v12, vcc
	v_mov_b32_e32 v7, 0x3b800000
	v_lshlrev_b32_e32 v3, 20, v3
	v_lshl_add_u32 v4, v4, 23, v7
	v_or3_b32 v3, v6, v4, v3
.LBB10_992:
	s_or_b64 exec, exec, s[6:7]
	s_nop 0
	v_mfma_f32_16x16x4f32 a[0:3], v2, v3, a[0:3]
	s_movk_i32 s4, 0x7f
	v_cmp_gt_i16_sdwa s[6:7], v9, s4 src0_sel:BYTE_0 src1_sel:DWORD
	s_mov_b64 s[4:5], 0
                                        ; implicit-def: $sgpr10
	s_and_saveexec_b64 s[8:9], s[6:7]
	s_xor_b64 s[6:7], exec, s[8:9]
	s_cbranch_execnz .LBB10_3041
; %bb.993:
	s_or_saveexec_b64 s[6:7], s[6:7]
	v_mov_b32_e32 v2, s10
	s_xor_b64 exec, exec, s[6:7]
	s_cbranch_execnz .LBB10_3044
.LBB10_994:
	s_or_b64 exec, exec, s[6:7]
	s_and_saveexec_b64 s[6:7], s[4:5]
	s_cbranch_execz .LBB10_996
.LBB10_995:
	v_mov_b32_e32 v2, 8
	v_and_b32_e32 v3, 7, v9
	v_lshrrev_b32_sdwa v2, v2, v9 dst_sel:BYTE_1 dst_unused:UNUSED_PAD src0_sel:DWORD src1_sel:DWORD
	v_ffbh_u32_e32 v4, v3
	v_or_b32_sdwa v2, v9, v2 dst_sel:DWORD dst_unused:UNUSED_PAD src0_sel:BYTE_0 src1_sel:DWORD
	v_min_u32_e32 v4, 32, v4
	v_lshrrev_b16_e32 v2, 3, v2
	v_subrev_u32_e32 v6, 28, v4
	v_and_b32_e32 v2, 15, v2
	v_lshlrev_b32_e32 v6, v6, v9
	v_sub_u32_e32 v4, 29, v4
	v_and_b32_e32 v6, 7, v6
	v_cmp_eq_u16_e32 vcc, 0, v2
	v_cndmask_b32_e32 v3, v3, v6, vcc
	v_cndmask_b32_e32 v2, v2, v4, vcc
	v_lshlrev_b32_e32 v4, 24, v9
	v_mov_b32_e32 v6, 0x3b800000
	v_lshlrev_b32_e32 v3, 20, v3
	v_and_b32_e32 v4, 0x80000000, v4
	v_lshl_add_u32 v2, v2, 23, v6
	v_or3_b32 v2, v4, v2, v3
.LBB10_996:
	s_or_b64 exec, exec, s[6:7]
	s_movk_i32 s4, 0x7f
	v_cmp_gt_i16_sdwa s[6:7], v5, s4 src0_sel:BYTE_0 src1_sel:DWORD
	s_mov_b64 s[4:5], 0
                                        ; implicit-def: $sgpr10
	s_and_saveexec_b64 s[8:9], s[6:7]
	s_xor_b64 s[6:7], exec, s[8:9]
	s_cbranch_execnz .LBB10_3045
; %bb.997:
	s_or_saveexec_b64 s[6:7], s[6:7]
	v_mov_b32_e32 v3, s10
	s_xor_b64 exec, exec, s[6:7]
	s_cbranch_execnz .LBB10_3048
.LBB10_998:
	s_or_b64 exec, exec, s[6:7]
	s_and_saveexec_b64 s[6:7], s[4:5]
	s_cbranch_execz .LBB10_1000
.LBB10_999:
	v_mov_b32_e32 v3, 8
	v_and_b32_e32 v4, 7, v5
	v_lshrrev_b32_sdwa v3, v3, v5 dst_sel:BYTE_1 dst_unused:UNUSED_PAD src0_sel:DWORD src1_sel:DWORD
	v_ffbh_u32_e32 v6, v4
	v_or_b32_sdwa v3, v5, v3 dst_sel:DWORD dst_unused:UNUSED_PAD src0_sel:BYTE_0 src1_sel:DWORD
	v_min_u32_e32 v6, 32, v6
	v_lshrrev_b16_e32 v3, 3, v3
	v_subrev_u32_e32 v7, 28, v6
	v_and_b32_e32 v3, 15, v3
	v_lshlrev_b32_e32 v7, v7, v5
	v_sub_u32_e32 v6, 29, v6
	v_and_b32_e32 v7, 7, v7
	v_cmp_eq_u16_e32 vcc, 0, v3
	v_cndmask_b32_e32 v4, v4, v7, vcc
	v_cndmask_b32_e32 v3, v3, v6, vcc
	v_lshlrev_b32_e32 v6, 24, v5
	v_mov_b32_e32 v7, 0x3b800000
	v_lshlrev_b32_e32 v4, 20, v4
	v_and_b32_e32 v6, 0x80000000, v6
	v_lshl_add_u32 v3, v3, 23, v7
	v_or3_b32 v3, v6, v3, v4
.LBB10_1000:
	s_or_b64 exec, exec, s[6:7]
	s_nop 0
	v_mfma_f32_16x16x4f32 a[0:3], v2, v3, a[0:3]
	v_lshrrev_b32_e32 v3, 8, v9
	s_movk_i32 s4, 0x7f
	v_cmp_gt_i16_sdwa s[6:7], v3, s4 src0_sel:BYTE_0 src1_sel:DWORD
	s_mov_b64 s[4:5], 0
                                        ; implicit-def: $sgpr10
	s_and_saveexec_b64 s[8:9], s[6:7]
	s_xor_b64 s[6:7], exec, s[8:9]
	s_cbranch_execnz .LBB10_3049
; %bb.1001:
	s_or_saveexec_b64 s[6:7], s[6:7]
	v_mov_b32_e32 v2, s10
	s_xor_b64 exec, exec, s[6:7]
	s_cbranch_execnz .LBB10_3052
.LBB10_1002:
	s_or_b64 exec, exec, s[6:7]
	s_and_saveexec_b64 s[6:7], s[4:5]
	s_cbranch_execz .LBB10_1004
.LBB10_1003:
	v_bfe_u32 v2, v9, 8, 3
	v_ffbh_u32_e32 v6, v2
	v_min_u32_e32 v6, 32, v6
	v_lshrrev_b16_e32 v4, 3, v3
	v_subrev_u32_e32 v7, 28, v6
	v_and_b32_e32 v4, 15, v4
	v_lshlrev_b32_e32 v3, v7, v3
	v_sub_u32_e32 v6, 29, v6
	v_and_b32_e32 v3, 7, v3
	v_cmp_eq_u16_e32 vcc, 0, v4
	v_cndmask_b32_e32 v2, v2, v3, vcc
	v_cndmask_b32_e32 v3, v4, v6, vcc
	v_lshlrev_b32_e32 v4, 16, v9
	v_mov_b32_e32 v6, 0x3b800000
	v_lshlrev_b32_e32 v2, 20, v2
	v_and_b32_e32 v4, 0x80000000, v4
	v_lshl_add_u32 v3, v3, 23, v6
	v_or3_b32 v2, v4, v3, v2
.LBB10_1004:
	s_or_b64 exec, exec, s[6:7]
	v_lshrrev_b32_e32 v3, 8, v5
	s_movk_i32 s4, 0x7f
	v_cmp_gt_i16_sdwa s[6:7], v3, s4 src0_sel:BYTE_0 src1_sel:DWORD
	s_mov_b64 s[4:5], 0
                                        ; implicit-def: $sgpr10
	s_and_saveexec_b64 s[8:9], s[6:7]
	s_xor_b64 s[6:7], exec, s[8:9]
	s_cbranch_execnz .LBB10_3053
; %bb.1005:
	s_or_saveexec_b64 s[6:7], s[6:7]
	v_mov_b32_e32 v4, s10
	s_xor_b64 exec, exec, s[6:7]
	s_cbranch_execnz .LBB10_3056
.LBB10_1006:
	s_or_b64 exec, exec, s[6:7]
	s_and_saveexec_b64 s[6:7], s[4:5]
	s_cbranch_execz .LBB10_1008
.LBB10_1007:
	v_bfe_u32 v4, v5, 8, 3
	v_ffbh_u32_e32 v7, v4
	v_min_u32_e32 v7, 32, v7
	v_lshrrev_b16_e32 v6, 3, v3
	v_subrev_u32_e32 v8, 28, v7
	v_and_b32_e32 v6, 15, v6
	v_lshlrev_b32_e32 v3, v8, v3
	v_sub_u32_e32 v7, 29, v7
	v_and_b32_e32 v3, 7, v3
	v_cmp_eq_u16_e32 vcc, 0, v6
	v_cndmask_b32_e32 v3, v4, v3, vcc
	v_cndmask_b32_e32 v4, v6, v7, vcc
	v_lshlrev_b32_e32 v6, 16, v5
	v_mov_b32_e32 v7, 0x3b800000
	v_lshlrev_b32_e32 v3, 20, v3
	v_and_b32_e32 v6, 0x80000000, v6
	v_lshl_add_u32 v4, v4, 23, v7
	v_or3_b32 v4, v6, v4, v3
.LBB10_1008:
	s_or_b64 exec, exec, s[6:7]
	s_nop 0
	v_mfma_f32_16x16x4f32 a[0:3], v2, v4, a[0:3]
	s_movk_i32 s4, 0xff
	v_and_b32_sdwa v3, v9, s4 dst_sel:DWORD dst_unused:UNUSED_PAD src0_sel:WORD_1 src1_sel:DWORD
	s_movk_i32 s4, 0x7f
	v_cmp_lt_i16_e32 vcc, s4, v3
	s_mov_b64 s[4:5], 0
                                        ; implicit-def: $sgpr10
	s_and_saveexec_b64 s[6:7], vcc
	s_xor_b64 s[6:7], exec, s[6:7]
	s_cbranch_execnz .LBB10_3057
; %bb.1009:
	s_or_saveexec_b64 s[6:7], s[6:7]
	v_mov_b32_e32 v2, s10
	s_xor_b64 exec, exec, s[6:7]
	s_cbranch_execnz .LBB10_3060
.LBB10_1010:
	s_or_b64 exec, exec, s[6:7]
	s_and_saveexec_b64 s[6:7], s[4:5]
	s_cbranch_execz .LBB10_1012
.LBB10_1011:
	v_bfe_u32 v2, v9, 16, 3
	v_ffbh_u32_e32 v6, v2
	v_min_u32_e32 v6, 32, v6
	v_lshrrev_b32_e32 v3, 19, v9
	v_subrev_u32_e32 v7, 28, v6
	v_and_b32_e32 v3, 15, v3
	v_lshlrev_b32_sdwa v7, v7, v9 dst_sel:DWORD dst_unused:UNUSED_PAD src0_sel:DWORD src1_sel:WORD_1
	v_bfe_u32 v4, v9, 19, 4
	v_sub_u32_e32 v6, 29, v6
	v_and_b32_e32 v7, 7, v7
	v_cmp_eq_u16_e32 vcc, 0, v3
	v_cndmask_b32_e32 v2, v2, v7, vcc
	v_cndmask_b32_e32 v3, v4, v6, vcc
	v_lshlrev_b32_e32 v4, 8, v9
	v_mov_b32_e32 v6, 0x3b800000
	v_lshlrev_b32_e32 v2, 20, v2
	v_and_b32_e32 v4, 0x80000000, v4
	v_lshl_add_u32 v3, v3, 23, v6
	v_or3_b32 v2, v4, v3, v2
.LBB10_1012:
	s_or_b64 exec, exec, s[6:7]
	s_movk_i32 s4, 0xff
	v_and_b32_sdwa v3, v5, s4 dst_sel:DWORD dst_unused:UNUSED_PAD src0_sel:WORD_1 src1_sel:DWORD
	s_movk_i32 s4, 0x7f
	v_cmp_lt_i16_e32 vcc, s4, v3
	s_mov_b64 s[4:5], 0
                                        ; implicit-def: $sgpr10
	s_and_saveexec_b64 s[6:7], vcc
	s_xor_b64 s[6:7], exec, s[6:7]
	s_cbranch_execnz .LBB10_3061
; %bb.1013:
	s_or_saveexec_b64 s[6:7], s[6:7]
	v_mov_b32_e32 v4, s10
	s_xor_b64 exec, exec, s[6:7]
	s_cbranch_execnz .LBB10_3064
.LBB10_1014:
	s_or_b64 exec, exec, s[6:7]
	s_and_saveexec_b64 s[6:7], s[4:5]
	s_cbranch_execz .LBB10_1016
.LBB10_1015:
	v_bfe_u32 v3, v5, 16, 3
	v_ffbh_u32_e32 v7, v3
	v_min_u32_e32 v7, 32, v7
	v_lshrrev_b32_e32 v4, 19, v5
	v_subrev_u32_e32 v8, 28, v7
	v_and_b32_e32 v4, 15, v4
	v_lshlrev_b32_sdwa v8, v8, v5 dst_sel:DWORD dst_unused:UNUSED_PAD src0_sel:DWORD src1_sel:WORD_1
	v_bfe_u32 v6, v5, 19, 4
	v_sub_u32_e32 v7, 29, v7
	v_and_b32_e32 v8, 7, v8
	v_cmp_eq_u16_e32 vcc, 0, v4
	v_cndmask_b32_e32 v3, v3, v8, vcc
	v_cndmask_b32_e32 v4, v6, v7, vcc
	v_lshlrev_b32_e32 v6, 8, v5
	v_mov_b32_e32 v7, 0x3b800000
	v_lshlrev_b32_e32 v3, 20, v3
	v_and_b32_e32 v6, 0x80000000, v6
	v_lshl_add_u32 v4, v4, 23, v7
	v_or3_b32 v4, v6, v4, v3
.LBB10_1016:
	s_or_b64 exec, exec, s[6:7]
	s_nop 0
	v_mfma_f32_16x16x4f32 a[0:3], v2, v4, a[0:3]
	s_movk_i32 s4, 0x7f
	v_cmp_gt_i16_sdwa s[6:7], v9, s4 src0_sel:BYTE_3 src1_sel:DWORD
	s_mov_b64 s[4:5], 0
                                        ; implicit-def: $sgpr10
	s_and_saveexec_b64 s[8:9], s[6:7]
	s_xor_b64 s[6:7], exec, s[8:9]
	s_cbranch_execnz .LBB10_3065
; %bb.1017:
	s_or_saveexec_b64 s[6:7], s[6:7]
	v_mov_b32_e32 v2, s10
	s_xor_b64 exec, exec, s[6:7]
	s_cbranch_execnz .LBB10_3068
.LBB10_1018:
	s_or_b64 exec, exec, s[6:7]
	s_and_saveexec_b64 s[6:7], s[4:5]
	s_cbranch_execz .LBB10_1020
.LBB10_1019:
	v_bfe_u32 v2, v9, 24, 3
	v_ffbh_u32_e32 v7, v2
	v_min_u32_e32 v7, 32, v7
	v_lshrrev_b32_e32 v4, 27, v9
	v_subrev_u32_e32 v8, 28, v7
	v_and_b32_e32 v4, 15, v4
	v_lshlrev_b32_sdwa v8, v8, v9 dst_sel:DWORD dst_unused:UNUSED_PAD src0_sel:DWORD src1_sel:BYTE_3
	v_bfe_u32 v6, v9, 27, 4
	v_sub_u32_e32 v7, 29, v7
	v_and_b32_e32 v8, 7, v8
	v_cmp_eq_u16_e32 vcc, 0, v4
	v_cndmask_b32_e32 v2, v2, v8, vcc
	v_cndmask_b32_e32 v4, v6, v7, vcc
	v_mov_b32_e32 v6, 0x3b800000
	v_and_b32_e32 v3, 0x80000000, v9
	v_lshlrev_b32_e32 v2, 20, v2
	v_lshl_add_u32 v4, v4, 23, v6
	v_or3_b32 v2, v3, v4, v2
.LBB10_1020:
	s_or_b64 exec, exec, s[6:7]
	s_movk_i32 s4, 0x7f
	v_cmp_gt_i16_sdwa s[6:7], v5, s4 src0_sel:BYTE_3 src1_sel:DWORD
	s_mov_b64 s[4:5], 0
                                        ; implicit-def: $sgpr10
	s_and_saveexec_b64 s[8:9], s[6:7]
	s_xor_b64 s[6:7], exec, s[8:9]
	s_cbranch_execnz .LBB10_3069
; %bb.1021:
	s_or_saveexec_b64 s[6:7], s[6:7]
	v_mov_b32_e32 v3, s10
	s_xor_b64 exec, exec, s[6:7]
	s_cbranch_execnz .LBB10_3072
.LBB10_1022:
	s_or_b64 exec, exec, s[6:7]
	s_and_saveexec_b64 s[6:7], s[4:5]
	s_cbranch_execz .LBB10_1024
.LBB10_1023:
	v_bfe_u32 v3, v5, 24, 3
	v_ffbh_u32_e32 v8, v3
	v_min_u32_e32 v8, 32, v8
	v_lshrrev_b32_e32 v6, 27, v5
	v_subrev_u32_e32 v9, 28, v8
	v_and_b32_e32 v4, 0x80000000, v5
	v_and_b32_e32 v6, 15, v6
	v_bfe_u32 v7, v5, 27, 4
	v_lshlrev_b32_sdwa v5, v9, v5 dst_sel:DWORD dst_unused:UNUSED_PAD src0_sel:DWORD src1_sel:BYTE_3
	v_sub_u32_e32 v8, 29, v8
	v_and_b32_e32 v5, 7, v5
	v_cmp_eq_u16_e32 vcc, 0, v6
	v_cndmask_b32_e32 v3, v3, v5, vcc
	v_cndmask_b32_e32 v5, v7, v8, vcc
	v_mov_b32_e32 v6, 0x3b800000
	v_lshlrev_b32_e32 v3, 20, v3
	v_lshl_add_u32 v5, v5, 23, v6
	v_or3_b32 v3, v4, v5, v3
.LBB10_1024:
	s_or_b64 exec, exec, s[6:7]
	s_nop 0
	v_mfma_f32_16x16x4f32 a[0:3], v2, v3, a[0:3]
	s_movk_i32 s4, 0x7f
                                        ; implicit-def: $sgpr10
	s_nop 7
	s_nop 1
	flat_store_dwordx4 v[10:11], a[0:3] offset:112
	flat_load_dwordx4 v[12:15], v[0:1] offset:8
	s_nop 0
	flat_load_dwordx2 v[10:11], v[0:1] offset:32
	s_waitcnt vmcnt(0) lgkmcnt(0)
	flat_load_dwordx4 v[6:9], v[12:13] offset:64
	flat_load_dwordx4 v[2:5], v[14:15]
	s_waitcnt vmcnt(0) lgkmcnt(0)
	v_cmp_gt_i16_sdwa s[6:7], v6, s4 src0_sel:BYTE_0 src1_sel:DWORD
	s_mov_b64 s[4:5], 0
	s_and_saveexec_b64 s[8:9], s[6:7]
	s_xor_b64 s[6:7], exec, s[8:9]
	s_cbranch_execnz .LBB10_3073
; %bb.1025:
	s_or_saveexec_b64 s[6:7], s[6:7]
	v_mov_b32_e32 v12, s10
	s_xor_b64 exec, exec, s[6:7]
	s_cbranch_execnz .LBB10_3076
.LBB10_1026:
	s_or_b64 exec, exec, s[6:7]
	s_and_saveexec_b64 s[6:7], s[4:5]
	s_cbranch_execz .LBB10_1028
.LBB10_1027:
	v_and_b32_e32 v12, 7, v6
	v_ffbh_u32_e32 v14, v12
	v_min_u32_e32 v14, 32, v14
	v_lshrrev_b16_e32 v13, 3, v6
	v_subrev_u32_e32 v15, 28, v14
	v_and_b32_e32 v13, 15, v13
	v_lshlrev_b32_e32 v15, v15, v6
	v_sub_u32_e32 v14, 29, v14
	v_and_b32_e32 v15, 7, v15
	v_cmp_eq_u16_e32 vcc, 0, v13
	v_cndmask_b32_e32 v12, v12, v15, vcc
	v_cndmask_b32_e32 v13, v13, v14, vcc
	v_lshlrev_b32_e32 v14, 24, v6
	v_mov_b32_e32 v15, 0x3b800000
	v_lshlrev_b32_e32 v12, 20, v12
	v_and_b32_e32 v14, 0x80000000, v14
	v_lshl_add_u32 v13, v13, 23, v15
	v_or3_b32 v12, v14, v13, v12
.LBB10_1028:
	s_or_b64 exec, exec, s[6:7]
	s_movk_i32 s4, 0x7f
	v_cmp_gt_i16_sdwa s[6:7], v2, s4 src0_sel:BYTE_0 src1_sel:DWORD
	s_mov_b64 s[4:5], 0
                                        ; implicit-def: $sgpr10
	s_and_saveexec_b64 s[8:9], s[6:7]
	s_xor_b64 s[6:7], exec, s[8:9]
	s_cbranch_execnz .LBB10_3077
; %bb.1029:
	s_or_saveexec_b64 s[6:7], s[6:7]
	v_mov_b32_e32 v13, s10
	s_xor_b64 exec, exec, s[6:7]
	s_cbranch_execnz .LBB10_3080
.LBB10_1030:
	s_or_b64 exec, exec, s[6:7]
	s_and_saveexec_b64 s[6:7], s[4:5]
	s_cbranch_execz .LBB10_1032
.LBB10_1031:
	v_and_b32_e32 v13, 7, v2
	v_ffbh_u32_e32 v15, v13
	v_min_u32_e32 v15, 32, v15
	v_lshrrev_b16_e32 v14, 3, v2
	v_subrev_u32_e32 v16, 28, v15
	v_and_b32_e32 v14, 15, v14
	v_lshlrev_b32_e32 v16, v16, v2
	v_sub_u32_e32 v15, 29, v15
	v_and_b32_e32 v16, 7, v16
	v_cmp_eq_u16_e32 vcc, 0, v14
	v_cndmask_b32_e32 v13, v13, v16, vcc
	v_cndmask_b32_e32 v14, v14, v15, vcc
	v_lshlrev_b32_e32 v15, 24, v2
	v_mov_b32_e32 v16, 0x3b800000
	v_lshlrev_b32_e32 v13, 20, v13
	v_and_b32_e32 v15, 0x80000000, v15
	v_lshl_add_u32 v14, v14, 23, v16
	v_or3_b32 v13, v15, v14, v13
.LBB10_1032:
	s_or_b64 exec, exec, s[6:7]
	flat_load_dwordx4 a[0:3], v[10:11] offset:128
	s_movk_i32 s4, 0x7f
                                        ; implicit-def: $sgpr10
	s_waitcnt vmcnt(0) lgkmcnt(0)
	v_mfma_f32_16x16x4f32 a[0:3], v12, v13, a[0:3]
	v_lshrrev_b32_e32 v13, 8, v6
	v_cmp_gt_i16_sdwa s[6:7], v13, s4 src0_sel:BYTE_0 src1_sel:DWORD
	s_mov_b64 s[4:5], 0
	s_and_saveexec_b64 s[8:9], s[6:7]
	s_xor_b64 s[6:7], exec, s[8:9]
	s_cbranch_execnz .LBB10_3081
; %bb.1033:
	s_or_saveexec_b64 s[6:7], s[6:7]
	v_mov_b32_e32 v12, s10
	s_xor_b64 exec, exec, s[6:7]
	s_cbranch_execnz .LBB10_3084
.LBB10_1034:
	s_or_b64 exec, exec, s[6:7]
	s_and_saveexec_b64 s[6:7], s[4:5]
	s_cbranch_execz .LBB10_1036
.LBB10_1035:
	v_bfe_u32 v12, v6, 8, 3
	v_ffbh_u32_e32 v15, v12
	v_min_u32_e32 v15, 32, v15
	v_lshrrev_b16_e32 v14, 3, v13
	v_subrev_u32_e32 v16, 28, v15
	v_and_b32_e32 v14, 15, v14
	v_lshlrev_b32_e32 v13, v16, v13
	v_sub_u32_e32 v15, 29, v15
	v_and_b32_e32 v13, 7, v13
	v_cmp_eq_u16_e32 vcc, 0, v14
	v_cndmask_b32_e32 v12, v12, v13, vcc
	v_cndmask_b32_e32 v13, v14, v15, vcc
	v_lshlrev_b32_e32 v14, 16, v6
	v_mov_b32_e32 v15, 0x3b800000
	v_lshlrev_b32_e32 v12, 20, v12
	v_and_b32_e32 v14, 0x80000000, v14
	v_lshl_add_u32 v13, v13, 23, v15
	v_or3_b32 v12, v14, v13, v12
.LBB10_1036:
	s_or_b64 exec, exec, s[6:7]
	v_lshrrev_b32_e32 v13, 8, v2
	s_movk_i32 s4, 0x7f
	v_cmp_gt_i16_sdwa s[6:7], v13, s4 src0_sel:BYTE_0 src1_sel:DWORD
	s_mov_b64 s[4:5], 0
                                        ; implicit-def: $sgpr10
	s_and_saveexec_b64 s[8:9], s[6:7]
	s_xor_b64 s[6:7], exec, s[8:9]
	s_cbranch_execnz .LBB10_3085
; %bb.1037:
	s_or_saveexec_b64 s[6:7], s[6:7]
	v_mov_b32_e32 v14, s10
	s_xor_b64 exec, exec, s[6:7]
	s_cbranch_execnz .LBB10_3088
.LBB10_1038:
	s_or_b64 exec, exec, s[6:7]
	s_and_saveexec_b64 s[6:7], s[4:5]
	s_cbranch_execz .LBB10_1040
.LBB10_1039:
	v_bfe_u32 v14, v2, 8, 3
	v_ffbh_u32_e32 v16, v14
	v_min_u32_e32 v16, 32, v16
	v_lshrrev_b16_e32 v15, 3, v13
	v_subrev_u32_e32 v17, 28, v16
	v_and_b32_e32 v15, 15, v15
	v_lshlrev_b32_e32 v13, v17, v13
	v_sub_u32_e32 v16, 29, v16
	v_and_b32_e32 v13, 7, v13
	v_cmp_eq_u16_e32 vcc, 0, v15
	v_cndmask_b32_e32 v13, v14, v13, vcc
	v_cndmask_b32_e32 v14, v15, v16, vcc
	v_lshlrev_b32_e32 v15, 16, v2
	v_mov_b32_e32 v16, 0x3b800000
	v_lshlrev_b32_e32 v13, 20, v13
	v_and_b32_e32 v15, 0x80000000, v15
	v_lshl_add_u32 v14, v14, 23, v16
	v_or3_b32 v14, v15, v14, v13
.LBB10_1040:
	s_or_b64 exec, exec, s[6:7]
	s_nop 0
	v_mfma_f32_16x16x4f32 a[0:3], v12, v14, a[0:3]
	s_movk_i32 s4, 0xff
	v_and_b32_sdwa v13, v6, s4 dst_sel:DWORD dst_unused:UNUSED_PAD src0_sel:WORD_1 src1_sel:DWORD
	s_movk_i32 s4, 0x7f
	v_cmp_lt_i16_e32 vcc, s4, v13
	s_mov_b64 s[4:5], 0
                                        ; implicit-def: $sgpr10
	s_and_saveexec_b64 s[6:7], vcc
	s_xor_b64 s[6:7], exec, s[6:7]
	s_cbranch_execnz .LBB10_3089
; %bb.1041:
	s_or_saveexec_b64 s[6:7], s[6:7]
	v_mov_b32_e32 v12, s10
	s_xor_b64 exec, exec, s[6:7]
	s_cbranch_execnz .LBB10_3092
.LBB10_1042:
	s_or_b64 exec, exec, s[6:7]
	s_and_saveexec_b64 s[6:7], s[4:5]
	s_cbranch_execz .LBB10_1044
.LBB10_1043:
	v_bfe_u32 v12, v6, 16, 3
	v_ffbh_u32_e32 v15, v12
	v_min_u32_e32 v15, 32, v15
	v_lshrrev_b32_e32 v13, 19, v6
	v_subrev_u32_e32 v16, 28, v15
	v_and_b32_e32 v13, 15, v13
	v_lshlrev_b32_sdwa v16, v16, v6 dst_sel:DWORD dst_unused:UNUSED_PAD src0_sel:DWORD src1_sel:WORD_1
	v_bfe_u32 v14, v6, 19, 4
	v_sub_u32_e32 v15, 29, v15
	v_and_b32_e32 v16, 7, v16
	v_cmp_eq_u16_e32 vcc, 0, v13
	v_cndmask_b32_e32 v12, v12, v16, vcc
	v_cndmask_b32_e32 v13, v14, v15, vcc
	v_lshlrev_b32_e32 v14, 8, v6
	v_mov_b32_e32 v15, 0x3b800000
	v_lshlrev_b32_e32 v12, 20, v12
	v_and_b32_e32 v14, 0x80000000, v14
	v_lshl_add_u32 v13, v13, 23, v15
	v_or3_b32 v12, v14, v13, v12
.LBB10_1044:
	s_or_b64 exec, exec, s[6:7]
	s_movk_i32 s4, 0xff
	v_and_b32_sdwa v13, v2, s4 dst_sel:DWORD dst_unused:UNUSED_PAD src0_sel:WORD_1 src1_sel:DWORD
	s_movk_i32 s4, 0x7f
	v_cmp_lt_i16_e32 vcc, s4, v13
	s_mov_b64 s[4:5], 0
                                        ; implicit-def: $sgpr10
	s_and_saveexec_b64 s[6:7], vcc
	s_xor_b64 s[6:7], exec, s[6:7]
	s_cbranch_execnz .LBB10_3093
; %bb.1045:
	s_or_saveexec_b64 s[6:7], s[6:7]
	v_mov_b32_e32 v14, s10
	s_xor_b64 exec, exec, s[6:7]
	s_cbranch_execnz .LBB10_3096
.LBB10_1046:
	s_or_b64 exec, exec, s[6:7]
	s_and_saveexec_b64 s[6:7], s[4:5]
	s_cbranch_execz .LBB10_1048
.LBB10_1047:
	v_bfe_u32 v13, v2, 16, 3
	v_ffbh_u32_e32 v16, v13
	v_min_u32_e32 v16, 32, v16
	v_lshrrev_b32_e32 v14, 19, v2
	v_subrev_u32_e32 v17, 28, v16
	v_and_b32_e32 v14, 15, v14
	v_lshlrev_b32_sdwa v17, v17, v2 dst_sel:DWORD dst_unused:UNUSED_PAD src0_sel:DWORD src1_sel:WORD_1
	v_bfe_u32 v15, v2, 19, 4
	v_sub_u32_e32 v16, 29, v16
	v_and_b32_e32 v17, 7, v17
	v_cmp_eq_u16_e32 vcc, 0, v14
	v_cndmask_b32_e32 v13, v13, v17, vcc
	v_cndmask_b32_e32 v14, v15, v16, vcc
	v_lshlrev_b32_e32 v15, 8, v2
	v_mov_b32_e32 v16, 0x3b800000
	v_lshlrev_b32_e32 v13, 20, v13
	v_and_b32_e32 v15, 0x80000000, v15
	v_lshl_add_u32 v14, v14, 23, v16
	v_or3_b32 v14, v15, v14, v13
.LBB10_1048:
	s_or_b64 exec, exec, s[6:7]
	s_nop 0
	v_mfma_f32_16x16x4f32 a[0:3], v12, v14, a[0:3]
	s_movk_i32 s4, 0x7f
	v_cmp_gt_i16_sdwa s[6:7], v6, s4 src0_sel:BYTE_3 src1_sel:DWORD
	s_mov_b64 s[4:5], 0
                                        ; implicit-def: $sgpr10
	s_and_saveexec_b64 s[8:9], s[6:7]
	s_xor_b64 s[6:7], exec, s[8:9]
	s_cbranch_execnz .LBB10_3097
; %bb.1049:
	s_or_saveexec_b64 s[6:7], s[6:7]
	v_mov_b32_e32 v12, s10
	s_xor_b64 exec, exec, s[6:7]
	s_cbranch_execnz .LBB10_3100
.LBB10_1050:
	s_or_b64 exec, exec, s[6:7]
	s_and_saveexec_b64 s[6:7], s[4:5]
	s_cbranch_execz .LBB10_1052
.LBB10_1051:
	v_bfe_u32 v12, v6, 24, 3
	v_ffbh_u32_e32 v16, v12
	v_min_u32_e32 v16, 32, v16
	v_lshrrev_b32_e32 v14, 27, v6
	v_subrev_u32_e32 v17, 28, v16
	v_and_b32_e32 v13, 0x80000000, v6
	v_and_b32_e32 v14, 15, v14
	v_bfe_u32 v15, v6, 27, 4
	v_lshlrev_b32_sdwa v6, v17, v6 dst_sel:DWORD dst_unused:UNUSED_PAD src0_sel:DWORD src1_sel:BYTE_3
	v_sub_u32_e32 v16, 29, v16
	v_and_b32_e32 v6, 7, v6
	v_cmp_eq_u16_e32 vcc, 0, v14
	v_cndmask_b32_e32 v6, v12, v6, vcc
	v_cndmask_b32_e32 v12, v15, v16, vcc
	v_mov_b32_e32 v14, 0x3b800000
	v_lshlrev_b32_e32 v6, 20, v6
	v_lshl_add_u32 v12, v12, 23, v14
	v_or3_b32 v12, v13, v12, v6
.LBB10_1052:
	s_or_b64 exec, exec, s[6:7]
	s_movk_i32 s4, 0x7f
	v_cmp_gt_i16_sdwa s[6:7], v2, s4 src0_sel:BYTE_3 src1_sel:DWORD
	s_mov_b64 s[4:5], 0
                                        ; implicit-def: $sgpr10
	s_and_saveexec_b64 s[8:9], s[6:7]
	s_xor_b64 s[6:7], exec, s[8:9]
	s_cbranch_execnz .LBB10_3101
; %bb.1053:
	s_or_saveexec_b64 s[6:7], s[6:7]
	v_mov_b32_e32 v6, s10
	s_xor_b64 exec, exec, s[6:7]
	s_cbranch_execnz .LBB10_3104
.LBB10_1054:
	s_or_b64 exec, exec, s[6:7]
	s_and_saveexec_b64 s[6:7], s[4:5]
	s_cbranch_execz .LBB10_1056
.LBB10_1055:
	v_bfe_u32 v6, v2, 24, 3
	v_ffbh_u32_e32 v16, v6
	v_min_u32_e32 v16, 32, v16
	v_lshrrev_b32_e32 v14, 27, v2
	v_subrev_u32_e32 v17, 28, v16
	v_and_b32_e32 v13, 0x80000000, v2
	v_and_b32_e32 v14, 15, v14
	v_bfe_u32 v15, v2, 27, 4
	v_lshlrev_b32_sdwa v2, v17, v2 dst_sel:DWORD dst_unused:UNUSED_PAD src0_sel:DWORD src1_sel:BYTE_3
	v_sub_u32_e32 v16, 29, v16
	v_and_b32_e32 v2, 7, v2
	v_cmp_eq_u16_e32 vcc, 0, v14
	v_cndmask_b32_e32 v2, v6, v2, vcc
	v_cndmask_b32_e32 v6, v15, v16, vcc
	v_mov_b32_e32 v14, 0x3b800000
	v_lshlrev_b32_e32 v2, 20, v2
	v_lshl_add_u32 v6, v6, 23, v14
	v_or3_b32 v6, v13, v6, v2
.LBB10_1056:
	s_or_b64 exec, exec, s[6:7]
	s_nop 0
	v_mfma_f32_16x16x4f32 a[0:3], v12, v6, a[0:3]
	s_movk_i32 s4, 0x7f
	v_cmp_gt_i16_sdwa s[6:7], v7, s4 src0_sel:BYTE_0 src1_sel:DWORD
	s_mov_b64 s[4:5], 0
                                        ; implicit-def: $sgpr10
	s_and_saveexec_b64 s[8:9], s[6:7]
	s_xor_b64 s[6:7], exec, s[8:9]
	s_cbranch_execnz .LBB10_3105
; %bb.1057:
	s_or_saveexec_b64 s[6:7], s[6:7]
	v_mov_b32_e32 v2, s10
	s_xor_b64 exec, exec, s[6:7]
	s_cbranch_execnz .LBB10_3108
.LBB10_1058:
	s_or_b64 exec, exec, s[6:7]
	s_and_saveexec_b64 s[6:7], s[4:5]
	s_cbranch_execz .LBB10_1060
.LBB10_1059:
	v_and_b32_e32 v2, 7, v7
	v_ffbh_u32_e32 v12, v2
	v_min_u32_e32 v12, 32, v12
	v_lshrrev_b16_e32 v6, 3, v7
	v_subrev_u32_e32 v13, 28, v12
	v_and_b32_e32 v6, 15, v6
	v_lshlrev_b32_e32 v13, v13, v7
	v_sub_u32_e32 v12, 29, v12
	v_and_b32_e32 v13, 7, v13
	v_cmp_eq_u16_e32 vcc, 0, v6
	v_cndmask_b32_e32 v2, v2, v13, vcc
	v_cndmask_b32_e32 v6, v6, v12, vcc
	v_lshlrev_b32_e32 v12, 24, v7
	v_mov_b32_e32 v13, 0x3b800000
	v_lshlrev_b32_e32 v2, 20, v2
	v_and_b32_e32 v12, 0x80000000, v12
	v_lshl_add_u32 v6, v6, 23, v13
	v_or3_b32 v2, v12, v6, v2
.LBB10_1060:
	s_or_b64 exec, exec, s[6:7]
	s_movk_i32 s4, 0x7f
	v_cmp_gt_i16_sdwa s[6:7], v3, s4 src0_sel:BYTE_0 src1_sel:DWORD
	s_mov_b64 s[4:5], 0
                                        ; implicit-def: $sgpr10
	s_and_saveexec_b64 s[8:9], s[6:7]
	s_xor_b64 s[6:7], exec, s[8:9]
	s_cbranch_execnz .LBB10_3109
; %bb.1061:
	s_or_saveexec_b64 s[6:7], s[6:7]
	v_mov_b32_e32 v6, s10
	s_xor_b64 exec, exec, s[6:7]
	s_cbranch_execnz .LBB10_3112
.LBB10_1062:
	s_or_b64 exec, exec, s[6:7]
	s_and_saveexec_b64 s[6:7], s[4:5]
	s_cbranch_execz .LBB10_1064
.LBB10_1063:
	v_and_b32_e32 v6, 7, v3
	v_ffbh_u32_e32 v13, v6
	v_min_u32_e32 v13, 32, v13
	v_lshrrev_b16_e32 v12, 3, v3
	v_subrev_u32_e32 v14, 28, v13
	v_and_b32_e32 v12, 15, v12
	v_lshlrev_b32_e32 v14, v14, v3
	v_sub_u32_e32 v13, 29, v13
	v_and_b32_e32 v14, 7, v14
	v_cmp_eq_u16_e32 vcc, 0, v12
	v_cndmask_b32_e32 v6, v6, v14, vcc
	v_cndmask_b32_e32 v12, v12, v13, vcc
	v_lshlrev_b32_e32 v13, 24, v3
	v_mov_b32_e32 v14, 0x3b800000
	v_lshlrev_b32_e32 v6, 20, v6
	v_and_b32_e32 v13, 0x80000000, v13
	v_lshl_add_u32 v12, v12, 23, v14
	v_or3_b32 v6, v13, v12, v6
.LBB10_1064:
	s_or_b64 exec, exec, s[6:7]
	s_nop 0
	v_mfma_f32_16x16x4f32 a[0:3], v2, v6, a[0:3]
	v_lshrrev_b32_e32 v6, 8, v7
	s_movk_i32 s4, 0x7f
	v_cmp_gt_i16_sdwa s[6:7], v6, s4 src0_sel:BYTE_0 src1_sel:DWORD
	s_mov_b64 s[4:5], 0
                                        ; implicit-def: $sgpr10
	s_and_saveexec_b64 s[8:9], s[6:7]
	s_xor_b64 s[6:7], exec, s[8:9]
	s_cbranch_execnz .LBB10_3113
; %bb.1065:
	s_or_saveexec_b64 s[6:7], s[6:7]
	v_mov_b32_e32 v2, s10
	s_xor_b64 exec, exec, s[6:7]
	s_cbranch_execnz .LBB10_3116
.LBB10_1066:
	s_or_b64 exec, exec, s[6:7]
	s_and_saveexec_b64 s[6:7], s[4:5]
	s_cbranch_execz .LBB10_1068
.LBB10_1067:
	v_bfe_u32 v2, v7, 8, 3
	v_ffbh_u32_e32 v13, v2
	v_min_u32_e32 v13, 32, v13
	v_lshrrev_b16_e32 v12, 3, v6
	v_subrev_u32_e32 v14, 28, v13
	v_and_b32_e32 v12, 15, v12
	v_lshlrev_b32_e32 v6, v14, v6
	v_sub_u32_e32 v13, 29, v13
	v_and_b32_e32 v6, 7, v6
	v_cmp_eq_u16_e32 vcc, 0, v12
	v_cndmask_b32_e32 v2, v2, v6, vcc
	v_cndmask_b32_e32 v6, v12, v13, vcc
	v_lshlrev_b32_e32 v12, 16, v7
	v_mov_b32_e32 v13, 0x3b800000
	v_lshlrev_b32_e32 v2, 20, v2
	v_and_b32_e32 v12, 0x80000000, v12
	v_lshl_add_u32 v6, v6, 23, v13
	v_or3_b32 v2, v12, v6, v2
.LBB10_1068:
	s_or_b64 exec, exec, s[6:7]
	v_lshrrev_b32_e32 v6, 8, v3
	s_movk_i32 s4, 0x7f
	v_cmp_gt_i16_sdwa s[6:7], v6, s4 src0_sel:BYTE_0 src1_sel:DWORD
	s_mov_b64 s[4:5], 0
                                        ; implicit-def: $sgpr10
	s_and_saveexec_b64 s[8:9], s[6:7]
	s_xor_b64 s[6:7], exec, s[8:9]
	s_cbranch_execnz .LBB10_3117
; %bb.1069:
	s_or_saveexec_b64 s[6:7], s[6:7]
	v_mov_b32_e32 v12, s10
	s_xor_b64 exec, exec, s[6:7]
	s_cbranch_execnz .LBB10_3120
.LBB10_1070:
	s_or_b64 exec, exec, s[6:7]
	s_and_saveexec_b64 s[6:7], s[4:5]
	s_cbranch_execz .LBB10_1072
.LBB10_1071:
	v_bfe_u32 v12, v3, 8, 3
	v_ffbh_u32_e32 v14, v12
	v_min_u32_e32 v14, 32, v14
	v_lshrrev_b16_e32 v13, 3, v6
	v_subrev_u32_e32 v15, 28, v14
	v_and_b32_e32 v13, 15, v13
	v_lshlrev_b32_e32 v6, v15, v6
	v_sub_u32_e32 v14, 29, v14
	v_and_b32_e32 v6, 7, v6
	v_cmp_eq_u16_e32 vcc, 0, v13
	v_cndmask_b32_e32 v6, v12, v6, vcc
	v_cndmask_b32_e32 v12, v13, v14, vcc
	v_lshlrev_b32_e32 v13, 16, v3
	v_mov_b32_e32 v14, 0x3b800000
	v_lshlrev_b32_e32 v6, 20, v6
	v_and_b32_e32 v13, 0x80000000, v13
	v_lshl_add_u32 v12, v12, 23, v14
	v_or3_b32 v12, v13, v12, v6
.LBB10_1072:
	s_or_b64 exec, exec, s[6:7]
	s_nop 0
	v_mfma_f32_16x16x4f32 a[0:3], v2, v12, a[0:3]
	s_movk_i32 s4, 0xff
	v_and_b32_sdwa v6, v7, s4 dst_sel:DWORD dst_unused:UNUSED_PAD src0_sel:WORD_1 src1_sel:DWORD
	s_movk_i32 s4, 0x7f
	v_cmp_lt_i16_e32 vcc, s4, v6
	s_mov_b64 s[4:5], 0
                                        ; implicit-def: $sgpr10
	s_and_saveexec_b64 s[6:7], vcc
	s_xor_b64 s[6:7], exec, s[6:7]
	s_cbranch_execnz .LBB10_3121
; %bb.1073:
	s_or_saveexec_b64 s[6:7], s[6:7]
	v_mov_b32_e32 v2, s10
	s_xor_b64 exec, exec, s[6:7]
	s_cbranch_execnz .LBB10_3124
.LBB10_1074:
	s_or_b64 exec, exec, s[6:7]
	s_and_saveexec_b64 s[6:7], s[4:5]
	s_cbranch_execz .LBB10_1076
.LBB10_1075:
	v_bfe_u32 v2, v7, 16, 3
	v_ffbh_u32_e32 v13, v2
	v_min_u32_e32 v13, 32, v13
	v_lshrrev_b32_e32 v6, 19, v7
	v_subrev_u32_e32 v14, 28, v13
	v_and_b32_e32 v6, 15, v6
	v_lshlrev_b32_sdwa v14, v14, v7 dst_sel:DWORD dst_unused:UNUSED_PAD src0_sel:DWORD src1_sel:WORD_1
	v_bfe_u32 v12, v7, 19, 4
	v_sub_u32_e32 v13, 29, v13
	v_and_b32_e32 v14, 7, v14
	v_cmp_eq_u16_e32 vcc, 0, v6
	v_cndmask_b32_e32 v2, v2, v14, vcc
	v_cndmask_b32_e32 v6, v12, v13, vcc
	v_lshlrev_b32_e32 v12, 8, v7
	v_mov_b32_e32 v13, 0x3b800000
	v_lshlrev_b32_e32 v2, 20, v2
	v_and_b32_e32 v12, 0x80000000, v12
	v_lshl_add_u32 v6, v6, 23, v13
	v_or3_b32 v2, v12, v6, v2
.LBB10_1076:
	s_or_b64 exec, exec, s[6:7]
	s_movk_i32 s4, 0xff
	v_and_b32_sdwa v6, v3, s4 dst_sel:DWORD dst_unused:UNUSED_PAD src0_sel:WORD_1 src1_sel:DWORD
	s_movk_i32 s4, 0x7f
	v_cmp_lt_i16_e32 vcc, s4, v6
	s_mov_b64 s[4:5], 0
                                        ; implicit-def: $sgpr10
	s_and_saveexec_b64 s[6:7], vcc
	s_xor_b64 s[6:7], exec, s[6:7]
	s_cbranch_execnz .LBB10_3125
; %bb.1077:
	s_or_saveexec_b64 s[6:7], s[6:7]
	v_mov_b32_e32 v12, s10
	s_xor_b64 exec, exec, s[6:7]
	s_cbranch_execnz .LBB10_3128
.LBB10_1078:
	s_or_b64 exec, exec, s[6:7]
	s_and_saveexec_b64 s[6:7], s[4:5]
	s_cbranch_execz .LBB10_1080
.LBB10_1079:
	v_bfe_u32 v6, v3, 16, 3
	v_ffbh_u32_e32 v14, v6
	v_min_u32_e32 v14, 32, v14
	v_lshrrev_b32_e32 v12, 19, v3
	v_subrev_u32_e32 v15, 28, v14
	v_and_b32_e32 v12, 15, v12
	v_lshlrev_b32_sdwa v15, v15, v3 dst_sel:DWORD dst_unused:UNUSED_PAD src0_sel:DWORD src1_sel:WORD_1
	v_bfe_u32 v13, v3, 19, 4
	v_sub_u32_e32 v14, 29, v14
	v_and_b32_e32 v15, 7, v15
	v_cmp_eq_u16_e32 vcc, 0, v12
	v_cndmask_b32_e32 v6, v6, v15, vcc
	v_cndmask_b32_e32 v12, v13, v14, vcc
	v_lshlrev_b32_e32 v13, 8, v3
	v_mov_b32_e32 v14, 0x3b800000
	v_lshlrev_b32_e32 v6, 20, v6
	v_and_b32_e32 v13, 0x80000000, v13
	v_lshl_add_u32 v12, v12, 23, v14
	v_or3_b32 v12, v13, v12, v6
.LBB10_1080:
	s_or_b64 exec, exec, s[6:7]
	s_nop 0
	v_mfma_f32_16x16x4f32 a[0:3], v2, v12, a[0:3]
	s_movk_i32 s4, 0x7f
	v_cmp_gt_i16_sdwa s[6:7], v7, s4 src0_sel:BYTE_3 src1_sel:DWORD
	s_mov_b64 s[4:5], 0
                                        ; implicit-def: $sgpr10
	s_and_saveexec_b64 s[8:9], s[6:7]
	s_xor_b64 s[6:7], exec, s[8:9]
	s_cbranch_execnz .LBB10_3129
; %bb.1081:
	s_or_saveexec_b64 s[6:7], s[6:7]
	v_mov_b32_e32 v2, s10
	s_xor_b64 exec, exec, s[6:7]
	s_cbranch_execnz .LBB10_3132
.LBB10_1082:
	s_or_b64 exec, exec, s[6:7]
	s_and_saveexec_b64 s[6:7], s[4:5]
	s_cbranch_execz .LBB10_1084
.LBB10_1083:
	v_bfe_u32 v2, v7, 24, 3
	v_ffbh_u32_e32 v14, v2
	v_min_u32_e32 v14, 32, v14
	v_lshrrev_b32_e32 v12, 27, v7
	v_subrev_u32_e32 v15, 28, v14
	v_and_b32_e32 v6, 0x80000000, v7
	v_and_b32_e32 v12, 15, v12
	v_bfe_u32 v13, v7, 27, 4
	v_lshlrev_b32_sdwa v7, v15, v7 dst_sel:DWORD dst_unused:UNUSED_PAD src0_sel:DWORD src1_sel:BYTE_3
	v_sub_u32_e32 v14, 29, v14
	v_and_b32_e32 v7, 7, v7
	v_cmp_eq_u16_e32 vcc, 0, v12
	v_cndmask_b32_e32 v2, v2, v7, vcc
	v_cndmask_b32_e32 v7, v13, v14, vcc
	v_mov_b32_e32 v12, 0x3b800000
	v_lshlrev_b32_e32 v2, 20, v2
	v_lshl_add_u32 v7, v7, 23, v12
	v_or3_b32 v2, v6, v7, v2
.LBB10_1084:
	s_or_b64 exec, exec, s[6:7]
	s_movk_i32 s4, 0x7f
	v_cmp_gt_i16_sdwa s[6:7], v3, s4 src0_sel:BYTE_3 src1_sel:DWORD
	s_mov_b64 s[4:5], 0
                                        ; implicit-def: $sgpr10
	s_and_saveexec_b64 s[8:9], s[6:7]
	s_xor_b64 s[6:7], exec, s[8:9]
	s_cbranch_execnz .LBB10_3133
; %bb.1085:
	s_or_saveexec_b64 s[6:7], s[6:7]
	v_mov_b32_e32 v6, s10
	s_xor_b64 exec, exec, s[6:7]
	s_cbranch_execnz .LBB10_3136
.LBB10_1086:
	s_or_b64 exec, exec, s[6:7]
	s_and_saveexec_b64 s[6:7], s[4:5]
	s_cbranch_execz .LBB10_1088
.LBB10_1087:
	v_bfe_u32 v6, v3, 24, 3
	v_ffbh_u32_e32 v14, v6
	v_min_u32_e32 v14, 32, v14
	v_lshrrev_b32_e32 v12, 27, v3
	v_subrev_u32_e32 v15, 28, v14
	v_and_b32_e32 v7, 0x80000000, v3
	v_and_b32_e32 v12, 15, v12
	v_bfe_u32 v13, v3, 27, 4
	v_lshlrev_b32_sdwa v3, v15, v3 dst_sel:DWORD dst_unused:UNUSED_PAD src0_sel:DWORD src1_sel:BYTE_3
	v_sub_u32_e32 v14, 29, v14
	v_and_b32_e32 v3, 7, v3
	v_cmp_eq_u16_e32 vcc, 0, v12
	v_cndmask_b32_e32 v3, v6, v3, vcc
	v_cndmask_b32_e32 v6, v13, v14, vcc
	v_mov_b32_e32 v12, 0x3b800000
	v_lshlrev_b32_e32 v3, 20, v3
	v_lshl_add_u32 v6, v6, 23, v12
	v_or3_b32 v6, v7, v6, v3
.LBB10_1088:
	s_or_b64 exec, exec, s[6:7]
	s_nop 0
	v_mfma_f32_16x16x4f32 a[0:3], v2, v6, a[0:3]
	s_movk_i32 s4, 0x7f
	v_cmp_gt_i16_sdwa s[6:7], v8, s4 src0_sel:BYTE_0 src1_sel:DWORD
	s_mov_b64 s[4:5], 0
                                        ; implicit-def: $sgpr10
	s_and_saveexec_b64 s[8:9], s[6:7]
	s_xor_b64 s[6:7], exec, s[8:9]
	s_cbranch_execnz .LBB10_3137
; %bb.1089:
	s_or_saveexec_b64 s[6:7], s[6:7]
	v_mov_b32_e32 v2, s10
	s_xor_b64 exec, exec, s[6:7]
	s_cbranch_execnz .LBB10_3140
.LBB10_1090:
	s_or_b64 exec, exec, s[6:7]
	s_and_saveexec_b64 s[6:7], s[4:5]
	s_cbranch_execz .LBB10_1092
.LBB10_1091:
	v_and_b32_e32 v2, 7, v8
	v_ffbh_u32_e32 v6, v2
	v_min_u32_e32 v6, 32, v6
	v_lshrrev_b16_e32 v3, 3, v8
	v_subrev_u32_e32 v7, 28, v6
	v_and_b32_e32 v3, 15, v3
	v_lshlrev_b32_e32 v7, v7, v8
	v_sub_u32_e32 v6, 29, v6
	v_and_b32_e32 v7, 7, v7
	v_cmp_eq_u16_e32 vcc, 0, v3
	v_cndmask_b32_e32 v2, v2, v7, vcc
	v_cndmask_b32_e32 v3, v3, v6, vcc
	v_lshlrev_b32_e32 v6, 24, v8
	v_mov_b32_e32 v7, 0x3b800000
	v_lshlrev_b32_e32 v2, 20, v2
	v_and_b32_e32 v6, 0x80000000, v6
	v_lshl_add_u32 v3, v3, 23, v7
	v_or3_b32 v2, v6, v3, v2
.LBB10_1092:
	s_or_b64 exec, exec, s[6:7]
	s_movk_i32 s4, 0x7f
	v_cmp_gt_i16_sdwa s[6:7], v4, s4 src0_sel:BYTE_0 src1_sel:DWORD
	s_mov_b64 s[4:5], 0
                                        ; implicit-def: $sgpr10
	s_and_saveexec_b64 s[8:9], s[6:7]
	s_xor_b64 s[6:7], exec, s[8:9]
	s_cbranch_execnz .LBB10_3141
; %bb.1093:
	s_or_saveexec_b64 s[6:7], s[6:7]
	v_mov_b32_e32 v3, s10
	s_xor_b64 exec, exec, s[6:7]
	s_cbranch_execnz .LBB10_3144
.LBB10_1094:
	s_or_b64 exec, exec, s[6:7]
	s_and_saveexec_b64 s[6:7], s[4:5]
	s_cbranch_execz .LBB10_1096
.LBB10_1095:
	v_and_b32_e32 v3, 7, v4
	v_ffbh_u32_e32 v7, v3
	v_min_u32_e32 v7, 32, v7
	v_lshrrev_b16_e32 v6, 3, v4
	v_subrev_u32_e32 v12, 28, v7
	v_and_b32_e32 v6, 15, v6
	v_lshlrev_b32_e32 v12, v12, v4
	v_sub_u32_e32 v7, 29, v7
	v_and_b32_e32 v12, 7, v12
	v_cmp_eq_u16_e32 vcc, 0, v6
	v_cndmask_b32_e32 v3, v3, v12, vcc
	v_cndmask_b32_e32 v6, v6, v7, vcc
	v_lshlrev_b32_e32 v7, 24, v4
	v_mov_b32_e32 v12, 0x3b800000
	v_lshlrev_b32_e32 v3, 20, v3
	v_and_b32_e32 v7, 0x80000000, v7
	v_lshl_add_u32 v6, v6, 23, v12
	v_or3_b32 v3, v7, v6, v3
.LBB10_1096:
	s_or_b64 exec, exec, s[6:7]
	s_nop 0
	v_mfma_f32_16x16x4f32 a[0:3], v2, v3, a[0:3]
	v_lshrrev_b32_e32 v3, 8, v8
	s_movk_i32 s4, 0x7f
	v_cmp_gt_i16_sdwa s[6:7], v3, s4 src0_sel:BYTE_0 src1_sel:DWORD
	s_mov_b64 s[4:5], 0
                                        ; implicit-def: $sgpr10
	s_and_saveexec_b64 s[8:9], s[6:7]
	s_xor_b64 s[6:7], exec, s[8:9]
	s_cbranch_execnz .LBB10_3145
; %bb.1097:
	s_or_saveexec_b64 s[6:7], s[6:7]
	v_mov_b32_e32 v2, s10
	s_xor_b64 exec, exec, s[6:7]
	s_cbranch_execnz .LBB10_3148
.LBB10_1098:
	s_or_b64 exec, exec, s[6:7]
	s_and_saveexec_b64 s[6:7], s[4:5]
	s_cbranch_execz .LBB10_1100
.LBB10_1099:
	v_bfe_u32 v2, v8, 8, 3
	v_ffbh_u32_e32 v7, v2
	v_min_u32_e32 v7, 32, v7
	v_lshrrev_b16_e32 v6, 3, v3
	v_subrev_u32_e32 v12, 28, v7
	v_and_b32_e32 v6, 15, v6
	v_lshlrev_b32_e32 v3, v12, v3
	v_sub_u32_e32 v7, 29, v7
	v_and_b32_e32 v3, 7, v3
	v_cmp_eq_u16_e32 vcc, 0, v6
	v_cndmask_b32_e32 v2, v2, v3, vcc
	v_cndmask_b32_e32 v3, v6, v7, vcc
	v_lshlrev_b32_e32 v6, 16, v8
	v_mov_b32_e32 v7, 0x3b800000
	v_lshlrev_b32_e32 v2, 20, v2
	v_and_b32_e32 v6, 0x80000000, v6
	v_lshl_add_u32 v3, v3, 23, v7
	v_or3_b32 v2, v6, v3, v2
.LBB10_1100:
	s_or_b64 exec, exec, s[6:7]
	v_lshrrev_b32_e32 v3, 8, v4
	s_movk_i32 s4, 0x7f
	v_cmp_gt_i16_sdwa s[6:7], v3, s4 src0_sel:BYTE_0 src1_sel:DWORD
	s_mov_b64 s[4:5], 0
                                        ; implicit-def: $sgpr10
	s_and_saveexec_b64 s[8:9], s[6:7]
	s_xor_b64 s[6:7], exec, s[8:9]
	s_cbranch_execnz .LBB10_3149
; %bb.1101:
	s_or_saveexec_b64 s[6:7], s[6:7]
	v_mov_b32_e32 v6, s10
	s_xor_b64 exec, exec, s[6:7]
	s_cbranch_execnz .LBB10_3152
.LBB10_1102:
	s_or_b64 exec, exec, s[6:7]
	s_and_saveexec_b64 s[6:7], s[4:5]
	s_cbranch_execz .LBB10_1104
.LBB10_1103:
	v_bfe_u32 v6, v4, 8, 3
	v_ffbh_u32_e32 v12, v6
	v_min_u32_e32 v12, 32, v12
	v_lshrrev_b16_e32 v7, 3, v3
	v_subrev_u32_e32 v13, 28, v12
	v_and_b32_e32 v7, 15, v7
	v_lshlrev_b32_e32 v3, v13, v3
	v_sub_u32_e32 v12, 29, v12
	v_and_b32_e32 v3, 7, v3
	v_cmp_eq_u16_e32 vcc, 0, v7
	v_cndmask_b32_e32 v3, v6, v3, vcc
	v_cndmask_b32_e32 v6, v7, v12, vcc
	v_lshlrev_b32_e32 v7, 16, v4
	v_mov_b32_e32 v12, 0x3b800000
	v_lshlrev_b32_e32 v3, 20, v3
	v_and_b32_e32 v7, 0x80000000, v7
	v_lshl_add_u32 v6, v6, 23, v12
	v_or3_b32 v6, v7, v6, v3
.LBB10_1104:
	s_or_b64 exec, exec, s[6:7]
	s_nop 0
	v_mfma_f32_16x16x4f32 a[0:3], v2, v6, a[0:3]
	s_movk_i32 s4, 0xff
	v_and_b32_sdwa v3, v8, s4 dst_sel:DWORD dst_unused:UNUSED_PAD src0_sel:WORD_1 src1_sel:DWORD
	s_movk_i32 s4, 0x7f
	v_cmp_lt_i16_e32 vcc, s4, v3
	s_mov_b64 s[4:5], 0
                                        ; implicit-def: $sgpr10
	s_and_saveexec_b64 s[6:7], vcc
	s_xor_b64 s[6:7], exec, s[6:7]
	s_cbranch_execnz .LBB10_3153
; %bb.1105:
	s_or_saveexec_b64 s[6:7], s[6:7]
	v_mov_b32_e32 v2, s10
	s_xor_b64 exec, exec, s[6:7]
	s_cbranch_execnz .LBB10_3156
.LBB10_1106:
	s_or_b64 exec, exec, s[6:7]
	s_and_saveexec_b64 s[6:7], s[4:5]
	s_cbranch_execz .LBB10_1108
.LBB10_1107:
	v_bfe_u32 v2, v8, 16, 3
	v_ffbh_u32_e32 v7, v2
	v_min_u32_e32 v7, 32, v7
	v_lshrrev_b32_e32 v3, 19, v8
	v_subrev_u32_e32 v12, 28, v7
	v_and_b32_e32 v3, 15, v3
	v_lshlrev_b32_sdwa v12, v12, v8 dst_sel:DWORD dst_unused:UNUSED_PAD src0_sel:DWORD src1_sel:WORD_1
	v_bfe_u32 v6, v8, 19, 4
	v_sub_u32_e32 v7, 29, v7
	v_and_b32_e32 v12, 7, v12
	v_cmp_eq_u16_e32 vcc, 0, v3
	v_cndmask_b32_e32 v2, v2, v12, vcc
	v_cndmask_b32_e32 v3, v6, v7, vcc
	v_lshlrev_b32_e32 v6, 8, v8
	v_mov_b32_e32 v7, 0x3b800000
	v_lshlrev_b32_e32 v2, 20, v2
	v_and_b32_e32 v6, 0x80000000, v6
	v_lshl_add_u32 v3, v3, 23, v7
	v_or3_b32 v2, v6, v3, v2
.LBB10_1108:
	s_or_b64 exec, exec, s[6:7]
	s_movk_i32 s4, 0xff
	v_and_b32_sdwa v3, v4, s4 dst_sel:DWORD dst_unused:UNUSED_PAD src0_sel:WORD_1 src1_sel:DWORD
	s_movk_i32 s4, 0x7f
	v_cmp_lt_i16_e32 vcc, s4, v3
	s_mov_b64 s[4:5], 0
                                        ; implicit-def: $sgpr10
	s_and_saveexec_b64 s[6:7], vcc
	s_xor_b64 s[6:7], exec, s[6:7]
	s_cbranch_execnz .LBB10_3157
; %bb.1109:
	s_or_saveexec_b64 s[6:7], s[6:7]
	v_mov_b32_e32 v6, s10
	s_xor_b64 exec, exec, s[6:7]
	s_cbranch_execnz .LBB10_3160
.LBB10_1110:
	s_or_b64 exec, exec, s[6:7]
	s_and_saveexec_b64 s[6:7], s[4:5]
	s_cbranch_execz .LBB10_1112
.LBB10_1111:
	v_bfe_u32 v3, v4, 16, 3
	v_ffbh_u32_e32 v12, v3
	v_min_u32_e32 v12, 32, v12
	v_lshrrev_b32_e32 v6, 19, v4
	v_subrev_u32_e32 v13, 28, v12
	v_and_b32_e32 v6, 15, v6
	v_lshlrev_b32_sdwa v13, v13, v4 dst_sel:DWORD dst_unused:UNUSED_PAD src0_sel:DWORD src1_sel:WORD_1
	v_bfe_u32 v7, v4, 19, 4
	v_sub_u32_e32 v12, 29, v12
	v_and_b32_e32 v13, 7, v13
	v_cmp_eq_u16_e32 vcc, 0, v6
	v_cndmask_b32_e32 v3, v3, v13, vcc
	v_cndmask_b32_e32 v6, v7, v12, vcc
	v_lshlrev_b32_e32 v7, 8, v4
	v_mov_b32_e32 v12, 0x3b800000
	v_lshlrev_b32_e32 v3, 20, v3
	v_and_b32_e32 v7, 0x80000000, v7
	v_lshl_add_u32 v6, v6, 23, v12
	v_or3_b32 v6, v7, v6, v3
.LBB10_1112:
	s_or_b64 exec, exec, s[6:7]
	s_nop 0
	v_mfma_f32_16x16x4f32 a[0:3], v2, v6, a[0:3]
	s_movk_i32 s4, 0x7f
	v_cmp_gt_i16_sdwa s[6:7], v8, s4 src0_sel:BYTE_3 src1_sel:DWORD
	s_mov_b64 s[4:5], 0
                                        ; implicit-def: $sgpr10
	s_and_saveexec_b64 s[8:9], s[6:7]
	s_xor_b64 s[6:7], exec, s[8:9]
	s_cbranch_execnz .LBB10_3161
; %bb.1113:
	s_or_saveexec_b64 s[6:7], s[6:7]
	v_mov_b32_e32 v2, s10
	s_xor_b64 exec, exec, s[6:7]
	s_cbranch_execnz .LBB10_3164
.LBB10_1114:
	s_or_b64 exec, exec, s[6:7]
	s_and_saveexec_b64 s[6:7], s[4:5]
	s_cbranch_execz .LBB10_1116
.LBB10_1115:
	v_bfe_u32 v2, v8, 24, 3
	v_ffbh_u32_e32 v12, v2
	v_min_u32_e32 v12, 32, v12
	v_lshrrev_b32_e32 v6, 27, v8
	v_subrev_u32_e32 v13, 28, v12
	v_and_b32_e32 v3, 0x80000000, v8
	v_and_b32_e32 v6, 15, v6
	v_bfe_u32 v7, v8, 27, 4
	v_lshlrev_b32_sdwa v8, v13, v8 dst_sel:DWORD dst_unused:UNUSED_PAD src0_sel:DWORD src1_sel:BYTE_3
	v_sub_u32_e32 v12, 29, v12
	v_and_b32_e32 v8, 7, v8
	v_cmp_eq_u16_e32 vcc, 0, v6
	v_cndmask_b32_e32 v2, v2, v8, vcc
	v_cndmask_b32_e32 v6, v7, v12, vcc
	v_mov_b32_e32 v7, 0x3b800000
	v_lshlrev_b32_e32 v2, 20, v2
	v_lshl_add_u32 v6, v6, 23, v7
	v_or3_b32 v2, v3, v6, v2
.LBB10_1116:
	s_or_b64 exec, exec, s[6:7]
	s_movk_i32 s4, 0x7f
	v_cmp_gt_i16_sdwa s[6:7], v4, s4 src0_sel:BYTE_3 src1_sel:DWORD
	s_mov_b64 s[4:5], 0
                                        ; implicit-def: $sgpr10
	s_and_saveexec_b64 s[8:9], s[6:7]
	s_xor_b64 s[6:7], exec, s[8:9]
	s_cbranch_execnz .LBB10_3165
; %bb.1117:
	s_or_saveexec_b64 s[6:7], s[6:7]
	v_mov_b32_e32 v3, s10
	s_xor_b64 exec, exec, s[6:7]
	s_cbranch_execnz .LBB10_3168
.LBB10_1118:
	s_or_b64 exec, exec, s[6:7]
	s_and_saveexec_b64 s[6:7], s[4:5]
	s_cbranch_execz .LBB10_1120
.LBB10_1119:
	v_bfe_u32 v3, v4, 24, 3
	v_ffbh_u32_e32 v12, v3
	v_min_u32_e32 v12, 32, v12
	v_lshrrev_b32_e32 v7, 27, v4
	v_subrev_u32_e32 v13, 28, v12
	v_and_b32_e32 v6, 0x80000000, v4
	v_and_b32_e32 v7, 15, v7
	v_bfe_u32 v8, v4, 27, 4
	v_lshlrev_b32_sdwa v4, v13, v4 dst_sel:DWORD dst_unused:UNUSED_PAD src0_sel:DWORD src1_sel:BYTE_3
	v_sub_u32_e32 v12, 29, v12
	v_and_b32_e32 v4, 7, v4
	v_cmp_eq_u16_e32 vcc, 0, v7
	v_cndmask_b32_e32 v3, v3, v4, vcc
	v_cndmask_b32_e32 v4, v8, v12, vcc
	v_mov_b32_e32 v7, 0x3b800000
	v_lshlrev_b32_e32 v3, 20, v3
	v_lshl_add_u32 v4, v4, 23, v7
	v_or3_b32 v3, v6, v4, v3
.LBB10_1120:
	s_or_b64 exec, exec, s[6:7]
	s_nop 0
	v_mfma_f32_16x16x4f32 a[0:3], v2, v3, a[0:3]
	s_movk_i32 s4, 0x7f
	v_cmp_gt_i16_sdwa s[6:7], v9, s4 src0_sel:BYTE_0 src1_sel:DWORD
	s_mov_b64 s[4:5], 0
                                        ; implicit-def: $sgpr10
	s_and_saveexec_b64 s[8:9], s[6:7]
	s_xor_b64 s[6:7], exec, s[8:9]
	s_cbranch_execnz .LBB10_3169
; %bb.1121:
	s_or_saveexec_b64 s[6:7], s[6:7]
	v_mov_b32_e32 v2, s10
	s_xor_b64 exec, exec, s[6:7]
	s_cbranch_execnz .LBB10_3172
.LBB10_1122:
	s_or_b64 exec, exec, s[6:7]
	s_and_saveexec_b64 s[6:7], s[4:5]
	s_cbranch_execz .LBB10_1124
.LBB10_1123:
	v_mov_b32_e32 v2, 8
	v_and_b32_e32 v3, 7, v9
	v_lshrrev_b32_sdwa v2, v2, v9 dst_sel:BYTE_1 dst_unused:UNUSED_PAD src0_sel:DWORD src1_sel:DWORD
	v_ffbh_u32_e32 v4, v3
	v_or_b32_sdwa v2, v9, v2 dst_sel:DWORD dst_unused:UNUSED_PAD src0_sel:BYTE_0 src1_sel:DWORD
	v_min_u32_e32 v4, 32, v4
	v_lshrrev_b16_e32 v2, 3, v2
	v_subrev_u32_e32 v6, 28, v4
	v_and_b32_e32 v2, 15, v2
	v_lshlrev_b32_e32 v6, v6, v9
	v_sub_u32_e32 v4, 29, v4
	v_and_b32_e32 v6, 7, v6
	v_cmp_eq_u16_e32 vcc, 0, v2
	v_cndmask_b32_e32 v3, v3, v6, vcc
	v_cndmask_b32_e32 v2, v2, v4, vcc
	v_lshlrev_b32_e32 v4, 24, v9
	v_mov_b32_e32 v6, 0x3b800000
	v_lshlrev_b32_e32 v3, 20, v3
	v_and_b32_e32 v4, 0x80000000, v4
	v_lshl_add_u32 v2, v2, 23, v6
	v_or3_b32 v2, v4, v2, v3
.LBB10_1124:
	s_or_b64 exec, exec, s[6:7]
	s_movk_i32 s4, 0x7f
	v_cmp_gt_i16_sdwa s[6:7], v5, s4 src0_sel:BYTE_0 src1_sel:DWORD
	s_mov_b64 s[4:5], 0
                                        ; implicit-def: $sgpr10
	s_and_saveexec_b64 s[8:9], s[6:7]
	s_xor_b64 s[6:7], exec, s[8:9]
	s_cbranch_execnz .LBB10_3173
; %bb.1125:
	s_or_saveexec_b64 s[6:7], s[6:7]
	v_mov_b32_e32 v3, s10
	s_xor_b64 exec, exec, s[6:7]
	s_cbranch_execnz .LBB10_3176
.LBB10_1126:
	s_or_b64 exec, exec, s[6:7]
	s_and_saveexec_b64 s[6:7], s[4:5]
	s_cbranch_execz .LBB10_1128
.LBB10_1127:
	v_mov_b32_e32 v3, 8
	v_and_b32_e32 v4, 7, v5
	v_lshrrev_b32_sdwa v3, v3, v5 dst_sel:BYTE_1 dst_unused:UNUSED_PAD src0_sel:DWORD src1_sel:DWORD
	v_ffbh_u32_e32 v6, v4
	v_or_b32_sdwa v3, v5, v3 dst_sel:DWORD dst_unused:UNUSED_PAD src0_sel:BYTE_0 src1_sel:DWORD
	v_min_u32_e32 v6, 32, v6
	v_lshrrev_b16_e32 v3, 3, v3
	v_subrev_u32_e32 v7, 28, v6
	v_and_b32_e32 v3, 15, v3
	v_lshlrev_b32_e32 v7, v7, v5
	v_sub_u32_e32 v6, 29, v6
	v_and_b32_e32 v7, 7, v7
	v_cmp_eq_u16_e32 vcc, 0, v3
	v_cndmask_b32_e32 v4, v4, v7, vcc
	v_cndmask_b32_e32 v3, v3, v6, vcc
	v_lshlrev_b32_e32 v6, 24, v5
	v_mov_b32_e32 v7, 0x3b800000
	v_lshlrev_b32_e32 v4, 20, v4
	v_and_b32_e32 v6, 0x80000000, v6
	v_lshl_add_u32 v3, v3, 23, v7
	v_or3_b32 v3, v6, v3, v4
.LBB10_1128:
	s_or_b64 exec, exec, s[6:7]
	s_nop 0
	v_mfma_f32_16x16x4f32 a[0:3], v2, v3, a[0:3]
	v_lshrrev_b32_e32 v3, 8, v9
	s_movk_i32 s4, 0x7f
	v_cmp_gt_i16_sdwa s[6:7], v3, s4 src0_sel:BYTE_0 src1_sel:DWORD
	s_mov_b64 s[4:5], 0
                                        ; implicit-def: $sgpr10
	s_and_saveexec_b64 s[8:9], s[6:7]
	s_xor_b64 s[6:7], exec, s[8:9]
	s_cbranch_execnz .LBB10_3177
; %bb.1129:
	s_or_saveexec_b64 s[6:7], s[6:7]
	v_mov_b32_e32 v2, s10
	s_xor_b64 exec, exec, s[6:7]
	s_cbranch_execnz .LBB10_3180
.LBB10_1130:
	s_or_b64 exec, exec, s[6:7]
	s_and_saveexec_b64 s[6:7], s[4:5]
	s_cbranch_execz .LBB10_1132
.LBB10_1131:
	v_bfe_u32 v2, v9, 8, 3
	v_ffbh_u32_e32 v6, v2
	v_min_u32_e32 v6, 32, v6
	v_lshrrev_b16_e32 v4, 3, v3
	v_subrev_u32_e32 v7, 28, v6
	v_and_b32_e32 v4, 15, v4
	v_lshlrev_b32_e32 v3, v7, v3
	v_sub_u32_e32 v6, 29, v6
	v_and_b32_e32 v3, 7, v3
	v_cmp_eq_u16_e32 vcc, 0, v4
	v_cndmask_b32_e32 v2, v2, v3, vcc
	v_cndmask_b32_e32 v3, v4, v6, vcc
	v_lshlrev_b32_e32 v4, 16, v9
	v_mov_b32_e32 v6, 0x3b800000
	v_lshlrev_b32_e32 v2, 20, v2
	v_and_b32_e32 v4, 0x80000000, v4
	v_lshl_add_u32 v3, v3, 23, v6
	v_or3_b32 v2, v4, v3, v2
.LBB10_1132:
	s_or_b64 exec, exec, s[6:7]
	v_lshrrev_b32_e32 v3, 8, v5
	s_movk_i32 s4, 0x7f
	v_cmp_gt_i16_sdwa s[6:7], v3, s4 src0_sel:BYTE_0 src1_sel:DWORD
	s_mov_b64 s[4:5], 0
                                        ; implicit-def: $sgpr10
	s_and_saveexec_b64 s[8:9], s[6:7]
	s_xor_b64 s[6:7], exec, s[8:9]
	s_cbranch_execnz .LBB10_3181
; %bb.1133:
	s_or_saveexec_b64 s[6:7], s[6:7]
	v_mov_b32_e32 v4, s10
	s_xor_b64 exec, exec, s[6:7]
	s_cbranch_execnz .LBB10_3184
.LBB10_1134:
	s_or_b64 exec, exec, s[6:7]
	s_and_saveexec_b64 s[6:7], s[4:5]
	s_cbranch_execz .LBB10_1136
.LBB10_1135:
	v_bfe_u32 v4, v5, 8, 3
	v_ffbh_u32_e32 v7, v4
	v_min_u32_e32 v7, 32, v7
	v_lshrrev_b16_e32 v6, 3, v3
	v_subrev_u32_e32 v8, 28, v7
	v_and_b32_e32 v6, 15, v6
	v_lshlrev_b32_e32 v3, v8, v3
	v_sub_u32_e32 v7, 29, v7
	v_and_b32_e32 v3, 7, v3
	v_cmp_eq_u16_e32 vcc, 0, v6
	v_cndmask_b32_e32 v3, v4, v3, vcc
	v_cndmask_b32_e32 v4, v6, v7, vcc
	v_lshlrev_b32_e32 v6, 16, v5
	v_mov_b32_e32 v7, 0x3b800000
	v_lshlrev_b32_e32 v3, 20, v3
	v_and_b32_e32 v6, 0x80000000, v6
	v_lshl_add_u32 v4, v4, 23, v7
	v_or3_b32 v4, v6, v4, v3
.LBB10_1136:
	s_or_b64 exec, exec, s[6:7]
	s_nop 0
	v_mfma_f32_16x16x4f32 a[0:3], v2, v4, a[0:3]
	s_movk_i32 s4, 0xff
	v_and_b32_sdwa v3, v9, s4 dst_sel:DWORD dst_unused:UNUSED_PAD src0_sel:WORD_1 src1_sel:DWORD
	s_movk_i32 s4, 0x7f
	v_cmp_lt_i16_e32 vcc, s4, v3
	s_mov_b64 s[4:5], 0
                                        ; implicit-def: $sgpr10
	s_and_saveexec_b64 s[6:7], vcc
	s_xor_b64 s[6:7], exec, s[6:7]
	s_cbranch_execnz .LBB10_3185
; %bb.1137:
	s_or_saveexec_b64 s[6:7], s[6:7]
	v_mov_b32_e32 v2, s10
	s_xor_b64 exec, exec, s[6:7]
	s_cbranch_execnz .LBB10_3188
.LBB10_1138:
	s_or_b64 exec, exec, s[6:7]
	s_and_saveexec_b64 s[6:7], s[4:5]
	s_cbranch_execz .LBB10_1140
.LBB10_1139:
	v_bfe_u32 v2, v9, 16, 3
	v_ffbh_u32_e32 v6, v2
	v_min_u32_e32 v6, 32, v6
	v_lshrrev_b32_e32 v3, 19, v9
	v_subrev_u32_e32 v7, 28, v6
	v_and_b32_e32 v3, 15, v3
	v_lshlrev_b32_sdwa v7, v7, v9 dst_sel:DWORD dst_unused:UNUSED_PAD src0_sel:DWORD src1_sel:WORD_1
	v_bfe_u32 v4, v9, 19, 4
	v_sub_u32_e32 v6, 29, v6
	v_and_b32_e32 v7, 7, v7
	v_cmp_eq_u16_e32 vcc, 0, v3
	v_cndmask_b32_e32 v2, v2, v7, vcc
	v_cndmask_b32_e32 v3, v4, v6, vcc
	v_lshlrev_b32_e32 v4, 8, v9
	v_mov_b32_e32 v6, 0x3b800000
	v_lshlrev_b32_e32 v2, 20, v2
	v_and_b32_e32 v4, 0x80000000, v4
	v_lshl_add_u32 v3, v3, 23, v6
	v_or3_b32 v2, v4, v3, v2
.LBB10_1140:
	s_or_b64 exec, exec, s[6:7]
	s_movk_i32 s4, 0xff
	v_and_b32_sdwa v3, v5, s4 dst_sel:DWORD dst_unused:UNUSED_PAD src0_sel:WORD_1 src1_sel:DWORD
	s_movk_i32 s4, 0x7f
	v_cmp_lt_i16_e32 vcc, s4, v3
	s_mov_b64 s[4:5], 0
                                        ; implicit-def: $sgpr10
	s_and_saveexec_b64 s[6:7], vcc
	s_xor_b64 s[6:7], exec, s[6:7]
	s_cbranch_execnz .LBB10_3189
; %bb.1141:
	s_or_saveexec_b64 s[6:7], s[6:7]
	v_mov_b32_e32 v4, s10
	s_xor_b64 exec, exec, s[6:7]
	s_cbranch_execnz .LBB10_3192
.LBB10_1142:
	s_or_b64 exec, exec, s[6:7]
	s_and_saveexec_b64 s[6:7], s[4:5]
	s_cbranch_execz .LBB10_1144
.LBB10_1143:
	v_bfe_u32 v3, v5, 16, 3
	v_ffbh_u32_e32 v7, v3
	v_min_u32_e32 v7, 32, v7
	v_lshrrev_b32_e32 v4, 19, v5
	v_subrev_u32_e32 v8, 28, v7
	v_and_b32_e32 v4, 15, v4
	v_lshlrev_b32_sdwa v8, v8, v5 dst_sel:DWORD dst_unused:UNUSED_PAD src0_sel:DWORD src1_sel:WORD_1
	v_bfe_u32 v6, v5, 19, 4
	v_sub_u32_e32 v7, 29, v7
	v_and_b32_e32 v8, 7, v8
	v_cmp_eq_u16_e32 vcc, 0, v4
	v_cndmask_b32_e32 v3, v3, v8, vcc
	v_cndmask_b32_e32 v4, v6, v7, vcc
	v_lshlrev_b32_e32 v6, 8, v5
	v_mov_b32_e32 v7, 0x3b800000
	v_lshlrev_b32_e32 v3, 20, v3
	v_and_b32_e32 v6, 0x80000000, v6
	v_lshl_add_u32 v4, v4, 23, v7
	v_or3_b32 v4, v6, v4, v3
.LBB10_1144:
	s_or_b64 exec, exec, s[6:7]
	s_nop 0
	v_mfma_f32_16x16x4f32 a[0:3], v2, v4, a[0:3]
	s_movk_i32 s4, 0x7f
	v_cmp_gt_i16_sdwa s[6:7], v9, s4 src0_sel:BYTE_3 src1_sel:DWORD
	s_mov_b64 s[4:5], 0
                                        ; implicit-def: $sgpr10
	s_and_saveexec_b64 s[8:9], s[6:7]
	s_xor_b64 s[6:7], exec, s[8:9]
	s_cbranch_execnz .LBB10_3193
; %bb.1145:
	s_or_saveexec_b64 s[6:7], s[6:7]
	v_mov_b32_e32 v2, s10
	s_xor_b64 exec, exec, s[6:7]
	s_cbranch_execnz .LBB10_3196
.LBB10_1146:
	s_or_b64 exec, exec, s[6:7]
	s_and_saveexec_b64 s[6:7], s[4:5]
	s_cbranch_execz .LBB10_1148
.LBB10_1147:
	v_bfe_u32 v2, v9, 24, 3
	v_ffbh_u32_e32 v7, v2
	v_min_u32_e32 v7, 32, v7
	v_lshrrev_b32_e32 v4, 27, v9
	v_subrev_u32_e32 v8, 28, v7
	v_and_b32_e32 v4, 15, v4
	v_lshlrev_b32_sdwa v8, v8, v9 dst_sel:DWORD dst_unused:UNUSED_PAD src0_sel:DWORD src1_sel:BYTE_3
	v_bfe_u32 v6, v9, 27, 4
	v_sub_u32_e32 v7, 29, v7
	v_and_b32_e32 v8, 7, v8
	v_cmp_eq_u16_e32 vcc, 0, v4
	v_cndmask_b32_e32 v2, v2, v8, vcc
	v_cndmask_b32_e32 v4, v6, v7, vcc
	v_mov_b32_e32 v6, 0x3b800000
	v_and_b32_e32 v3, 0x80000000, v9
	v_lshlrev_b32_e32 v2, 20, v2
	v_lshl_add_u32 v4, v4, 23, v6
	v_or3_b32 v2, v3, v4, v2
.LBB10_1148:
	s_or_b64 exec, exec, s[6:7]
	s_movk_i32 s4, 0x7f
	v_cmp_gt_i16_sdwa s[6:7], v5, s4 src0_sel:BYTE_3 src1_sel:DWORD
	s_mov_b64 s[4:5], 0
                                        ; implicit-def: $sgpr10
	s_and_saveexec_b64 s[8:9], s[6:7]
	s_xor_b64 s[6:7], exec, s[8:9]
	s_cbranch_execnz .LBB10_3197
; %bb.1149:
	s_or_saveexec_b64 s[6:7], s[6:7]
	v_mov_b32_e32 v3, s10
	s_xor_b64 exec, exec, s[6:7]
	s_cbranch_execnz .LBB10_3200
.LBB10_1150:
	s_or_b64 exec, exec, s[6:7]
	s_and_saveexec_b64 s[6:7], s[4:5]
	s_cbranch_execz .LBB10_1152
.LBB10_1151:
	v_bfe_u32 v3, v5, 24, 3
	v_ffbh_u32_e32 v8, v3
	v_min_u32_e32 v8, 32, v8
	v_lshrrev_b32_e32 v6, 27, v5
	v_subrev_u32_e32 v9, 28, v8
	v_and_b32_e32 v4, 0x80000000, v5
	v_and_b32_e32 v6, 15, v6
	v_bfe_u32 v7, v5, 27, 4
	v_lshlrev_b32_sdwa v5, v9, v5 dst_sel:DWORD dst_unused:UNUSED_PAD src0_sel:DWORD src1_sel:BYTE_3
	v_sub_u32_e32 v8, 29, v8
	v_and_b32_e32 v5, 7, v5
	v_cmp_eq_u16_e32 vcc, 0, v6
	v_cndmask_b32_e32 v3, v3, v5, vcc
	v_cndmask_b32_e32 v5, v7, v8, vcc
	v_mov_b32_e32 v6, 0x3b800000
	v_lshlrev_b32_e32 v3, 20, v3
	v_lshl_add_u32 v5, v5, 23, v6
	v_or3_b32 v3, v4, v5, v3
.LBB10_1152:
	s_or_b64 exec, exec, s[6:7]
	s_nop 0
	v_mfma_f32_16x16x4f32 a[0:3], v2, v3, a[0:3]
	s_movk_i32 s4, 0x7f
                                        ; implicit-def: $sgpr10
	s_nop 7
	s_nop 1
	flat_store_dwordx4 v[10:11], a[0:3] offset:128
	flat_load_dwordx4 v[12:15], v[0:1] offset:8
	s_nop 0
	flat_load_dwordx2 v[10:11], v[0:1] offset:32
	s_waitcnt vmcnt(0) lgkmcnt(0)
	flat_load_dwordx4 v[6:9], v[12:13] offset:64
	flat_load_dwordx4 v[2:5], v[14:15] offset:32
	s_waitcnt vmcnt(0) lgkmcnt(0)
	v_cmp_gt_i16_sdwa s[6:7], v6, s4 src0_sel:BYTE_0 src1_sel:DWORD
	s_mov_b64 s[4:5], 0
	s_and_saveexec_b64 s[8:9], s[6:7]
	s_xor_b64 s[6:7], exec, s[8:9]
	s_cbranch_execnz .LBB10_3201
; %bb.1153:
	s_or_saveexec_b64 s[6:7], s[6:7]
	v_mov_b32_e32 v12, s10
	s_xor_b64 exec, exec, s[6:7]
	s_cbranch_execnz .LBB10_3204
.LBB10_1154:
	s_or_b64 exec, exec, s[6:7]
	s_and_saveexec_b64 s[6:7], s[4:5]
	s_cbranch_execz .LBB10_1156
.LBB10_1155:
	v_and_b32_e32 v12, 7, v6
	v_ffbh_u32_e32 v14, v12
	v_min_u32_e32 v14, 32, v14
	v_lshrrev_b16_e32 v13, 3, v6
	v_subrev_u32_e32 v15, 28, v14
	v_and_b32_e32 v13, 15, v13
	v_lshlrev_b32_e32 v15, v15, v6
	v_sub_u32_e32 v14, 29, v14
	v_and_b32_e32 v15, 7, v15
	v_cmp_eq_u16_e32 vcc, 0, v13
	v_cndmask_b32_e32 v12, v12, v15, vcc
	v_cndmask_b32_e32 v13, v13, v14, vcc
	v_lshlrev_b32_e32 v14, 24, v6
	v_mov_b32_e32 v15, 0x3b800000
	v_lshlrev_b32_e32 v12, 20, v12
	v_and_b32_e32 v14, 0x80000000, v14
	v_lshl_add_u32 v13, v13, 23, v15
	v_or3_b32 v12, v14, v13, v12
.LBB10_1156:
	s_or_b64 exec, exec, s[6:7]
	s_movk_i32 s4, 0x7f
	v_cmp_gt_i16_sdwa s[6:7], v2, s4 src0_sel:BYTE_0 src1_sel:DWORD
	s_mov_b64 s[4:5], 0
                                        ; implicit-def: $sgpr10
	s_and_saveexec_b64 s[8:9], s[6:7]
	s_xor_b64 s[6:7], exec, s[8:9]
	s_cbranch_execnz .LBB10_3205
; %bb.1157:
	s_or_saveexec_b64 s[6:7], s[6:7]
	v_mov_b32_e32 v13, s10
	s_xor_b64 exec, exec, s[6:7]
	s_cbranch_execnz .LBB10_3208
.LBB10_1158:
	s_or_b64 exec, exec, s[6:7]
	s_and_saveexec_b64 s[6:7], s[4:5]
	s_cbranch_execz .LBB10_1160
.LBB10_1159:
	v_and_b32_e32 v13, 7, v2
	v_ffbh_u32_e32 v15, v13
	v_min_u32_e32 v15, 32, v15
	v_lshrrev_b16_e32 v14, 3, v2
	v_subrev_u32_e32 v16, 28, v15
	v_and_b32_e32 v14, 15, v14
	v_lshlrev_b32_e32 v16, v16, v2
	v_sub_u32_e32 v15, 29, v15
	v_and_b32_e32 v16, 7, v16
	v_cmp_eq_u16_e32 vcc, 0, v14
	v_cndmask_b32_e32 v13, v13, v16, vcc
	v_cndmask_b32_e32 v14, v14, v15, vcc
	v_lshlrev_b32_e32 v15, 24, v2
	v_mov_b32_e32 v16, 0x3b800000
	v_lshlrev_b32_e32 v13, 20, v13
	v_and_b32_e32 v15, 0x80000000, v15
	v_lshl_add_u32 v14, v14, 23, v16
	v_or3_b32 v13, v15, v14, v13
.LBB10_1160:
	s_or_b64 exec, exec, s[6:7]
	flat_load_dwordx4 a[0:3], v[10:11] offset:144
	s_movk_i32 s4, 0x7f
                                        ; implicit-def: $sgpr10
	s_waitcnt vmcnt(0) lgkmcnt(0)
	v_mfma_f32_16x16x4f32 a[0:3], v12, v13, a[0:3]
	v_lshrrev_b32_e32 v13, 8, v6
	v_cmp_gt_i16_sdwa s[6:7], v13, s4 src0_sel:BYTE_0 src1_sel:DWORD
	s_mov_b64 s[4:5], 0
	s_and_saveexec_b64 s[8:9], s[6:7]
	s_xor_b64 s[6:7], exec, s[8:9]
	s_cbranch_execnz .LBB10_3209
; %bb.1161:
	s_or_saveexec_b64 s[6:7], s[6:7]
	v_mov_b32_e32 v12, s10
	s_xor_b64 exec, exec, s[6:7]
	s_cbranch_execnz .LBB10_3212
.LBB10_1162:
	s_or_b64 exec, exec, s[6:7]
	s_and_saveexec_b64 s[6:7], s[4:5]
	s_cbranch_execz .LBB10_1164
.LBB10_1163:
	v_bfe_u32 v12, v6, 8, 3
	v_ffbh_u32_e32 v15, v12
	v_min_u32_e32 v15, 32, v15
	v_lshrrev_b16_e32 v14, 3, v13
	v_subrev_u32_e32 v16, 28, v15
	v_and_b32_e32 v14, 15, v14
	v_lshlrev_b32_e32 v13, v16, v13
	v_sub_u32_e32 v15, 29, v15
	v_and_b32_e32 v13, 7, v13
	v_cmp_eq_u16_e32 vcc, 0, v14
	v_cndmask_b32_e32 v12, v12, v13, vcc
	v_cndmask_b32_e32 v13, v14, v15, vcc
	v_lshlrev_b32_e32 v14, 16, v6
	v_mov_b32_e32 v15, 0x3b800000
	v_lshlrev_b32_e32 v12, 20, v12
	v_and_b32_e32 v14, 0x80000000, v14
	v_lshl_add_u32 v13, v13, 23, v15
	v_or3_b32 v12, v14, v13, v12
.LBB10_1164:
	s_or_b64 exec, exec, s[6:7]
	v_lshrrev_b32_e32 v13, 8, v2
	s_movk_i32 s4, 0x7f
	v_cmp_gt_i16_sdwa s[6:7], v13, s4 src0_sel:BYTE_0 src1_sel:DWORD
	s_mov_b64 s[4:5], 0
                                        ; implicit-def: $sgpr10
	s_and_saveexec_b64 s[8:9], s[6:7]
	s_xor_b64 s[6:7], exec, s[8:9]
	s_cbranch_execnz .LBB10_3213
; %bb.1165:
	s_or_saveexec_b64 s[6:7], s[6:7]
	v_mov_b32_e32 v14, s10
	s_xor_b64 exec, exec, s[6:7]
	s_cbranch_execnz .LBB10_3216
.LBB10_1166:
	s_or_b64 exec, exec, s[6:7]
	s_and_saveexec_b64 s[6:7], s[4:5]
	s_cbranch_execz .LBB10_1168
.LBB10_1167:
	v_bfe_u32 v14, v2, 8, 3
	v_ffbh_u32_e32 v16, v14
	v_min_u32_e32 v16, 32, v16
	v_lshrrev_b16_e32 v15, 3, v13
	v_subrev_u32_e32 v17, 28, v16
	v_and_b32_e32 v15, 15, v15
	v_lshlrev_b32_e32 v13, v17, v13
	v_sub_u32_e32 v16, 29, v16
	v_and_b32_e32 v13, 7, v13
	v_cmp_eq_u16_e32 vcc, 0, v15
	v_cndmask_b32_e32 v13, v14, v13, vcc
	v_cndmask_b32_e32 v14, v15, v16, vcc
	v_lshlrev_b32_e32 v15, 16, v2
	v_mov_b32_e32 v16, 0x3b800000
	v_lshlrev_b32_e32 v13, 20, v13
	v_and_b32_e32 v15, 0x80000000, v15
	v_lshl_add_u32 v14, v14, 23, v16
	v_or3_b32 v14, v15, v14, v13
.LBB10_1168:
	s_or_b64 exec, exec, s[6:7]
	s_nop 0
	v_mfma_f32_16x16x4f32 a[0:3], v12, v14, a[0:3]
	s_movk_i32 s4, 0xff
	v_and_b32_sdwa v13, v6, s4 dst_sel:DWORD dst_unused:UNUSED_PAD src0_sel:WORD_1 src1_sel:DWORD
	s_movk_i32 s4, 0x7f
	v_cmp_lt_i16_e32 vcc, s4, v13
	s_mov_b64 s[4:5], 0
                                        ; implicit-def: $sgpr10
	s_and_saveexec_b64 s[6:7], vcc
	s_xor_b64 s[6:7], exec, s[6:7]
	s_cbranch_execnz .LBB10_3217
; %bb.1169:
	s_or_saveexec_b64 s[6:7], s[6:7]
	v_mov_b32_e32 v12, s10
	s_xor_b64 exec, exec, s[6:7]
	s_cbranch_execnz .LBB10_3220
.LBB10_1170:
	s_or_b64 exec, exec, s[6:7]
	s_and_saveexec_b64 s[6:7], s[4:5]
	s_cbranch_execz .LBB10_1172
.LBB10_1171:
	v_bfe_u32 v12, v6, 16, 3
	v_ffbh_u32_e32 v15, v12
	v_min_u32_e32 v15, 32, v15
	v_lshrrev_b32_e32 v13, 19, v6
	v_subrev_u32_e32 v16, 28, v15
	v_and_b32_e32 v13, 15, v13
	v_lshlrev_b32_sdwa v16, v16, v6 dst_sel:DWORD dst_unused:UNUSED_PAD src0_sel:DWORD src1_sel:WORD_1
	v_bfe_u32 v14, v6, 19, 4
	v_sub_u32_e32 v15, 29, v15
	v_and_b32_e32 v16, 7, v16
	v_cmp_eq_u16_e32 vcc, 0, v13
	v_cndmask_b32_e32 v12, v12, v16, vcc
	v_cndmask_b32_e32 v13, v14, v15, vcc
	v_lshlrev_b32_e32 v14, 8, v6
	v_mov_b32_e32 v15, 0x3b800000
	v_lshlrev_b32_e32 v12, 20, v12
	v_and_b32_e32 v14, 0x80000000, v14
	v_lshl_add_u32 v13, v13, 23, v15
	v_or3_b32 v12, v14, v13, v12
.LBB10_1172:
	s_or_b64 exec, exec, s[6:7]
	s_movk_i32 s4, 0xff
	v_and_b32_sdwa v13, v2, s4 dst_sel:DWORD dst_unused:UNUSED_PAD src0_sel:WORD_1 src1_sel:DWORD
	s_movk_i32 s4, 0x7f
	v_cmp_lt_i16_e32 vcc, s4, v13
	s_mov_b64 s[4:5], 0
                                        ; implicit-def: $sgpr10
	s_and_saveexec_b64 s[6:7], vcc
	s_xor_b64 s[6:7], exec, s[6:7]
	s_cbranch_execnz .LBB10_3221
; %bb.1173:
	s_or_saveexec_b64 s[6:7], s[6:7]
	v_mov_b32_e32 v14, s10
	s_xor_b64 exec, exec, s[6:7]
	s_cbranch_execnz .LBB10_3224
.LBB10_1174:
	s_or_b64 exec, exec, s[6:7]
	s_and_saveexec_b64 s[6:7], s[4:5]
	s_cbranch_execz .LBB10_1176
.LBB10_1175:
	v_bfe_u32 v13, v2, 16, 3
	v_ffbh_u32_e32 v16, v13
	v_min_u32_e32 v16, 32, v16
	v_lshrrev_b32_e32 v14, 19, v2
	v_subrev_u32_e32 v17, 28, v16
	v_and_b32_e32 v14, 15, v14
	v_lshlrev_b32_sdwa v17, v17, v2 dst_sel:DWORD dst_unused:UNUSED_PAD src0_sel:DWORD src1_sel:WORD_1
	v_bfe_u32 v15, v2, 19, 4
	v_sub_u32_e32 v16, 29, v16
	v_and_b32_e32 v17, 7, v17
	v_cmp_eq_u16_e32 vcc, 0, v14
	v_cndmask_b32_e32 v13, v13, v17, vcc
	v_cndmask_b32_e32 v14, v15, v16, vcc
	v_lshlrev_b32_e32 v15, 8, v2
	v_mov_b32_e32 v16, 0x3b800000
	v_lshlrev_b32_e32 v13, 20, v13
	v_and_b32_e32 v15, 0x80000000, v15
	v_lshl_add_u32 v14, v14, 23, v16
	v_or3_b32 v14, v15, v14, v13
.LBB10_1176:
	s_or_b64 exec, exec, s[6:7]
	s_nop 0
	v_mfma_f32_16x16x4f32 a[0:3], v12, v14, a[0:3]
	s_movk_i32 s4, 0x7f
	v_cmp_gt_i16_sdwa s[6:7], v6, s4 src0_sel:BYTE_3 src1_sel:DWORD
	s_mov_b64 s[4:5], 0
                                        ; implicit-def: $sgpr10
	s_and_saveexec_b64 s[8:9], s[6:7]
	s_xor_b64 s[6:7], exec, s[8:9]
	s_cbranch_execnz .LBB10_3225
; %bb.1177:
	s_or_saveexec_b64 s[6:7], s[6:7]
	v_mov_b32_e32 v12, s10
	s_xor_b64 exec, exec, s[6:7]
	s_cbranch_execnz .LBB10_3228
.LBB10_1178:
	s_or_b64 exec, exec, s[6:7]
	s_and_saveexec_b64 s[6:7], s[4:5]
	s_cbranch_execz .LBB10_1180
.LBB10_1179:
	v_bfe_u32 v12, v6, 24, 3
	v_ffbh_u32_e32 v16, v12
	v_min_u32_e32 v16, 32, v16
	v_lshrrev_b32_e32 v14, 27, v6
	v_subrev_u32_e32 v17, 28, v16
	v_and_b32_e32 v13, 0x80000000, v6
	v_and_b32_e32 v14, 15, v14
	v_bfe_u32 v15, v6, 27, 4
	v_lshlrev_b32_sdwa v6, v17, v6 dst_sel:DWORD dst_unused:UNUSED_PAD src0_sel:DWORD src1_sel:BYTE_3
	v_sub_u32_e32 v16, 29, v16
	v_and_b32_e32 v6, 7, v6
	v_cmp_eq_u16_e32 vcc, 0, v14
	v_cndmask_b32_e32 v6, v12, v6, vcc
	v_cndmask_b32_e32 v12, v15, v16, vcc
	v_mov_b32_e32 v14, 0x3b800000
	v_lshlrev_b32_e32 v6, 20, v6
	v_lshl_add_u32 v12, v12, 23, v14
	v_or3_b32 v12, v13, v12, v6
.LBB10_1180:
	s_or_b64 exec, exec, s[6:7]
	s_movk_i32 s4, 0x7f
	v_cmp_gt_i16_sdwa s[6:7], v2, s4 src0_sel:BYTE_3 src1_sel:DWORD
	s_mov_b64 s[4:5], 0
                                        ; implicit-def: $sgpr10
	s_and_saveexec_b64 s[8:9], s[6:7]
	s_xor_b64 s[6:7], exec, s[8:9]
	s_cbranch_execnz .LBB10_3229
; %bb.1181:
	s_or_saveexec_b64 s[6:7], s[6:7]
	v_mov_b32_e32 v6, s10
	s_xor_b64 exec, exec, s[6:7]
	s_cbranch_execnz .LBB10_3232
.LBB10_1182:
	s_or_b64 exec, exec, s[6:7]
	s_and_saveexec_b64 s[6:7], s[4:5]
	s_cbranch_execz .LBB10_1184
.LBB10_1183:
	v_bfe_u32 v6, v2, 24, 3
	v_ffbh_u32_e32 v16, v6
	v_min_u32_e32 v16, 32, v16
	v_lshrrev_b32_e32 v14, 27, v2
	v_subrev_u32_e32 v17, 28, v16
	v_and_b32_e32 v13, 0x80000000, v2
	v_and_b32_e32 v14, 15, v14
	v_bfe_u32 v15, v2, 27, 4
	v_lshlrev_b32_sdwa v2, v17, v2 dst_sel:DWORD dst_unused:UNUSED_PAD src0_sel:DWORD src1_sel:BYTE_3
	v_sub_u32_e32 v16, 29, v16
	v_and_b32_e32 v2, 7, v2
	v_cmp_eq_u16_e32 vcc, 0, v14
	v_cndmask_b32_e32 v2, v6, v2, vcc
	v_cndmask_b32_e32 v6, v15, v16, vcc
	v_mov_b32_e32 v14, 0x3b800000
	v_lshlrev_b32_e32 v2, 20, v2
	v_lshl_add_u32 v6, v6, 23, v14
	v_or3_b32 v6, v13, v6, v2
.LBB10_1184:
	s_or_b64 exec, exec, s[6:7]
	s_nop 0
	v_mfma_f32_16x16x4f32 a[0:3], v12, v6, a[0:3]
	s_movk_i32 s4, 0x7f
	v_cmp_gt_i16_sdwa s[6:7], v7, s4 src0_sel:BYTE_0 src1_sel:DWORD
	s_mov_b64 s[4:5], 0
                                        ; implicit-def: $sgpr10
	s_and_saveexec_b64 s[8:9], s[6:7]
	s_xor_b64 s[6:7], exec, s[8:9]
	s_cbranch_execnz .LBB10_3233
; %bb.1185:
	s_or_saveexec_b64 s[6:7], s[6:7]
	v_mov_b32_e32 v2, s10
	s_xor_b64 exec, exec, s[6:7]
	s_cbranch_execnz .LBB10_3236
.LBB10_1186:
	s_or_b64 exec, exec, s[6:7]
	s_and_saveexec_b64 s[6:7], s[4:5]
	s_cbranch_execz .LBB10_1188
.LBB10_1187:
	v_and_b32_e32 v2, 7, v7
	v_ffbh_u32_e32 v12, v2
	v_min_u32_e32 v12, 32, v12
	v_lshrrev_b16_e32 v6, 3, v7
	v_subrev_u32_e32 v13, 28, v12
	v_and_b32_e32 v6, 15, v6
	v_lshlrev_b32_e32 v13, v13, v7
	v_sub_u32_e32 v12, 29, v12
	v_and_b32_e32 v13, 7, v13
	v_cmp_eq_u16_e32 vcc, 0, v6
	v_cndmask_b32_e32 v2, v2, v13, vcc
	v_cndmask_b32_e32 v6, v6, v12, vcc
	v_lshlrev_b32_e32 v12, 24, v7
	v_mov_b32_e32 v13, 0x3b800000
	v_lshlrev_b32_e32 v2, 20, v2
	v_and_b32_e32 v12, 0x80000000, v12
	v_lshl_add_u32 v6, v6, 23, v13
	v_or3_b32 v2, v12, v6, v2
.LBB10_1188:
	s_or_b64 exec, exec, s[6:7]
	s_movk_i32 s4, 0x7f
	v_cmp_gt_i16_sdwa s[6:7], v3, s4 src0_sel:BYTE_0 src1_sel:DWORD
	s_mov_b64 s[4:5], 0
                                        ; implicit-def: $sgpr10
	s_and_saveexec_b64 s[8:9], s[6:7]
	s_xor_b64 s[6:7], exec, s[8:9]
	s_cbranch_execnz .LBB10_3237
; %bb.1189:
	s_or_saveexec_b64 s[6:7], s[6:7]
	v_mov_b32_e32 v6, s10
	s_xor_b64 exec, exec, s[6:7]
	s_cbranch_execnz .LBB10_3240
.LBB10_1190:
	s_or_b64 exec, exec, s[6:7]
	s_and_saveexec_b64 s[6:7], s[4:5]
	s_cbranch_execz .LBB10_1192
.LBB10_1191:
	v_and_b32_e32 v6, 7, v3
	v_ffbh_u32_e32 v13, v6
	v_min_u32_e32 v13, 32, v13
	v_lshrrev_b16_e32 v12, 3, v3
	v_subrev_u32_e32 v14, 28, v13
	v_and_b32_e32 v12, 15, v12
	v_lshlrev_b32_e32 v14, v14, v3
	v_sub_u32_e32 v13, 29, v13
	v_and_b32_e32 v14, 7, v14
	v_cmp_eq_u16_e32 vcc, 0, v12
	v_cndmask_b32_e32 v6, v6, v14, vcc
	v_cndmask_b32_e32 v12, v12, v13, vcc
	v_lshlrev_b32_e32 v13, 24, v3
	v_mov_b32_e32 v14, 0x3b800000
	v_lshlrev_b32_e32 v6, 20, v6
	v_and_b32_e32 v13, 0x80000000, v13
	v_lshl_add_u32 v12, v12, 23, v14
	v_or3_b32 v6, v13, v12, v6
.LBB10_1192:
	s_or_b64 exec, exec, s[6:7]
	s_nop 0
	v_mfma_f32_16x16x4f32 a[0:3], v2, v6, a[0:3]
	v_lshrrev_b32_e32 v6, 8, v7
	s_movk_i32 s4, 0x7f
	v_cmp_gt_i16_sdwa s[6:7], v6, s4 src0_sel:BYTE_0 src1_sel:DWORD
	s_mov_b64 s[4:5], 0
                                        ; implicit-def: $sgpr10
	s_and_saveexec_b64 s[8:9], s[6:7]
	s_xor_b64 s[6:7], exec, s[8:9]
	s_cbranch_execnz .LBB10_3241
; %bb.1193:
	s_or_saveexec_b64 s[6:7], s[6:7]
	v_mov_b32_e32 v2, s10
	s_xor_b64 exec, exec, s[6:7]
	s_cbranch_execnz .LBB10_3244
.LBB10_1194:
	s_or_b64 exec, exec, s[6:7]
	s_and_saveexec_b64 s[6:7], s[4:5]
	s_cbranch_execz .LBB10_1196
.LBB10_1195:
	v_bfe_u32 v2, v7, 8, 3
	v_ffbh_u32_e32 v13, v2
	v_min_u32_e32 v13, 32, v13
	v_lshrrev_b16_e32 v12, 3, v6
	v_subrev_u32_e32 v14, 28, v13
	v_and_b32_e32 v12, 15, v12
	v_lshlrev_b32_e32 v6, v14, v6
	v_sub_u32_e32 v13, 29, v13
	v_and_b32_e32 v6, 7, v6
	v_cmp_eq_u16_e32 vcc, 0, v12
	v_cndmask_b32_e32 v2, v2, v6, vcc
	v_cndmask_b32_e32 v6, v12, v13, vcc
	v_lshlrev_b32_e32 v12, 16, v7
	v_mov_b32_e32 v13, 0x3b800000
	v_lshlrev_b32_e32 v2, 20, v2
	v_and_b32_e32 v12, 0x80000000, v12
	v_lshl_add_u32 v6, v6, 23, v13
	v_or3_b32 v2, v12, v6, v2
.LBB10_1196:
	s_or_b64 exec, exec, s[6:7]
	v_lshrrev_b32_e32 v6, 8, v3
	s_movk_i32 s4, 0x7f
	v_cmp_gt_i16_sdwa s[6:7], v6, s4 src0_sel:BYTE_0 src1_sel:DWORD
	s_mov_b64 s[4:5], 0
                                        ; implicit-def: $sgpr10
	s_and_saveexec_b64 s[8:9], s[6:7]
	s_xor_b64 s[6:7], exec, s[8:9]
	s_cbranch_execnz .LBB10_3245
; %bb.1197:
	s_or_saveexec_b64 s[6:7], s[6:7]
	v_mov_b32_e32 v12, s10
	s_xor_b64 exec, exec, s[6:7]
	s_cbranch_execnz .LBB10_3248
.LBB10_1198:
	s_or_b64 exec, exec, s[6:7]
	s_and_saveexec_b64 s[6:7], s[4:5]
	s_cbranch_execz .LBB10_1200
.LBB10_1199:
	v_bfe_u32 v12, v3, 8, 3
	v_ffbh_u32_e32 v14, v12
	v_min_u32_e32 v14, 32, v14
	v_lshrrev_b16_e32 v13, 3, v6
	v_subrev_u32_e32 v15, 28, v14
	v_and_b32_e32 v13, 15, v13
	v_lshlrev_b32_e32 v6, v15, v6
	v_sub_u32_e32 v14, 29, v14
	v_and_b32_e32 v6, 7, v6
	v_cmp_eq_u16_e32 vcc, 0, v13
	v_cndmask_b32_e32 v6, v12, v6, vcc
	v_cndmask_b32_e32 v12, v13, v14, vcc
	v_lshlrev_b32_e32 v13, 16, v3
	v_mov_b32_e32 v14, 0x3b800000
	v_lshlrev_b32_e32 v6, 20, v6
	v_and_b32_e32 v13, 0x80000000, v13
	v_lshl_add_u32 v12, v12, 23, v14
	v_or3_b32 v12, v13, v12, v6
.LBB10_1200:
	s_or_b64 exec, exec, s[6:7]
	s_nop 0
	v_mfma_f32_16x16x4f32 a[0:3], v2, v12, a[0:3]
	s_movk_i32 s4, 0xff
	v_and_b32_sdwa v6, v7, s4 dst_sel:DWORD dst_unused:UNUSED_PAD src0_sel:WORD_1 src1_sel:DWORD
	s_movk_i32 s4, 0x7f
	v_cmp_lt_i16_e32 vcc, s4, v6
	s_mov_b64 s[4:5], 0
                                        ; implicit-def: $sgpr10
	s_and_saveexec_b64 s[6:7], vcc
	s_xor_b64 s[6:7], exec, s[6:7]
	s_cbranch_execnz .LBB10_3249
; %bb.1201:
	s_or_saveexec_b64 s[6:7], s[6:7]
	v_mov_b32_e32 v2, s10
	s_xor_b64 exec, exec, s[6:7]
	s_cbranch_execnz .LBB10_3252
.LBB10_1202:
	s_or_b64 exec, exec, s[6:7]
	s_and_saveexec_b64 s[6:7], s[4:5]
	s_cbranch_execz .LBB10_1204
.LBB10_1203:
	v_bfe_u32 v2, v7, 16, 3
	v_ffbh_u32_e32 v13, v2
	v_min_u32_e32 v13, 32, v13
	v_lshrrev_b32_e32 v6, 19, v7
	v_subrev_u32_e32 v14, 28, v13
	v_and_b32_e32 v6, 15, v6
	v_lshlrev_b32_sdwa v14, v14, v7 dst_sel:DWORD dst_unused:UNUSED_PAD src0_sel:DWORD src1_sel:WORD_1
	v_bfe_u32 v12, v7, 19, 4
	v_sub_u32_e32 v13, 29, v13
	v_and_b32_e32 v14, 7, v14
	v_cmp_eq_u16_e32 vcc, 0, v6
	v_cndmask_b32_e32 v2, v2, v14, vcc
	v_cndmask_b32_e32 v6, v12, v13, vcc
	v_lshlrev_b32_e32 v12, 8, v7
	v_mov_b32_e32 v13, 0x3b800000
	v_lshlrev_b32_e32 v2, 20, v2
	v_and_b32_e32 v12, 0x80000000, v12
	v_lshl_add_u32 v6, v6, 23, v13
	v_or3_b32 v2, v12, v6, v2
.LBB10_1204:
	s_or_b64 exec, exec, s[6:7]
	s_movk_i32 s4, 0xff
	v_and_b32_sdwa v6, v3, s4 dst_sel:DWORD dst_unused:UNUSED_PAD src0_sel:WORD_1 src1_sel:DWORD
	s_movk_i32 s4, 0x7f
	v_cmp_lt_i16_e32 vcc, s4, v6
	s_mov_b64 s[4:5], 0
                                        ; implicit-def: $sgpr10
	s_and_saveexec_b64 s[6:7], vcc
	s_xor_b64 s[6:7], exec, s[6:7]
	s_cbranch_execnz .LBB10_3253
; %bb.1205:
	s_or_saveexec_b64 s[6:7], s[6:7]
	v_mov_b32_e32 v12, s10
	s_xor_b64 exec, exec, s[6:7]
	s_cbranch_execnz .LBB10_3256
.LBB10_1206:
	s_or_b64 exec, exec, s[6:7]
	s_and_saveexec_b64 s[6:7], s[4:5]
	s_cbranch_execz .LBB10_1208
.LBB10_1207:
	v_bfe_u32 v6, v3, 16, 3
	v_ffbh_u32_e32 v14, v6
	v_min_u32_e32 v14, 32, v14
	v_lshrrev_b32_e32 v12, 19, v3
	v_subrev_u32_e32 v15, 28, v14
	v_and_b32_e32 v12, 15, v12
	v_lshlrev_b32_sdwa v15, v15, v3 dst_sel:DWORD dst_unused:UNUSED_PAD src0_sel:DWORD src1_sel:WORD_1
	v_bfe_u32 v13, v3, 19, 4
	v_sub_u32_e32 v14, 29, v14
	v_and_b32_e32 v15, 7, v15
	v_cmp_eq_u16_e32 vcc, 0, v12
	v_cndmask_b32_e32 v6, v6, v15, vcc
	v_cndmask_b32_e32 v12, v13, v14, vcc
	v_lshlrev_b32_e32 v13, 8, v3
	v_mov_b32_e32 v14, 0x3b800000
	v_lshlrev_b32_e32 v6, 20, v6
	v_and_b32_e32 v13, 0x80000000, v13
	v_lshl_add_u32 v12, v12, 23, v14
	v_or3_b32 v12, v13, v12, v6
.LBB10_1208:
	s_or_b64 exec, exec, s[6:7]
	s_nop 0
	v_mfma_f32_16x16x4f32 a[0:3], v2, v12, a[0:3]
	s_movk_i32 s4, 0x7f
	v_cmp_gt_i16_sdwa s[6:7], v7, s4 src0_sel:BYTE_3 src1_sel:DWORD
	s_mov_b64 s[4:5], 0
                                        ; implicit-def: $sgpr10
	s_and_saveexec_b64 s[8:9], s[6:7]
	s_xor_b64 s[6:7], exec, s[8:9]
	s_cbranch_execnz .LBB10_3257
; %bb.1209:
	s_or_saveexec_b64 s[6:7], s[6:7]
	v_mov_b32_e32 v2, s10
	s_xor_b64 exec, exec, s[6:7]
	s_cbranch_execnz .LBB10_3260
.LBB10_1210:
	s_or_b64 exec, exec, s[6:7]
	s_and_saveexec_b64 s[6:7], s[4:5]
	s_cbranch_execz .LBB10_1212
.LBB10_1211:
	v_bfe_u32 v2, v7, 24, 3
	v_ffbh_u32_e32 v14, v2
	v_min_u32_e32 v14, 32, v14
	v_lshrrev_b32_e32 v12, 27, v7
	v_subrev_u32_e32 v15, 28, v14
	v_and_b32_e32 v6, 0x80000000, v7
	v_and_b32_e32 v12, 15, v12
	v_bfe_u32 v13, v7, 27, 4
	v_lshlrev_b32_sdwa v7, v15, v7 dst_sel:DWORD dst_unused:UNUSED_PAD src0_sel:DWORD src1_sel:BYTE_3
	v_sub_u32_e32 v14, 29, v14
	v_and_b32_e32 v7, 7, v7
	v_cmp_eq_u16_e32 vcc, 0, v12
	v_cndmask_b32_e32 v2, v2, v7, vcc
	v_cndmask_b32_e32 v7, v13, v14, vcc
	v_mov_b32_e32 v12, 0x3b800000
	v_lshlrev_b32_e32 v2, 20, v2
	v_lshl_add_u32 v7, v7, 23, v12
	v_or3_b32 v2, v6, v7, v2
.LBB10_1212:
	s_or_b64 exec, exec, s[6:7]
	s_movk_i32 s4, 0x7f
	v_cmp_gt_i16_sdwa s[6:7], v3, s4 src0_sel:BYTE_3 src1_sel:DWORD
	s_mov_b64 s[4:5], 0
                                        ; implicit-def: $sgpr10
	s_and_saveexec_b64 s[8:9], s[6:7]
	s_xor_b64 s[6:7], exec, s[8:9]
	s_cbranch_execnz .LBB10_3261
; %bb.1213:
	s_or_saveexec_b64 s[6:7], s[6:7]
	v_mov_b32_e32 v6, s10
	s_xor_b64 exec, exec, s[6:7]
	s_cbranch_execnz .LBB10_3264
.LBB10_1214:
	s_or_b64 exec, exec, s[6:7]
	s_and_saveexec_b64 s[6:7], s[4:5]
	s_cbranch_execz .LBB10_1216
.LBB10_1215:
	v_bfe_u32 v6, v3, 24, 3
	v_ffbh_u32_e32 v14, v6
	v_min_u32_e32 v14, 32, v14
	v_lshrrev_b32_e32 v12, 27, v3
	v_subrev_u32_e32 v15, 28, v14
	v_and_b32_e32 v7, 0x80000000, v3
	v_and_b32_e32 v12, 15, v12
	v_bfe_u32 v13, v3, 27, 4
	v_lshlrev_b32_sdwa v3, v15, v3 dst_sel:DWORD dst_unused:UNUSED_PAD src0_sel:DWORD src1_sel:BYTE_3
	v_sub_u32_e32 v14, 29, v14
	v_and_b32_e32 v3, 7, v3
	v_cmp_eq_u16_e32 vcc, 0, v12
	v_cndmask_b32_e32 v3, v6, v3, vcc
	v_cndmask_b32_e32 v6, v13, v14, vcc
	v_mov_b32_e32 v12, 0x3b800000
	v_lshlrev_b32_e32 v3, 20, v3
	v_lshl_add_u32 v6, v6, 23, v12
	v_or3_b32 v6, v7, v6, v3
.LBB10_1216:
	s_or_b64 exec, exec, s[6:7]
	s_nop 0
	v_mfma_f32_16x16x4f32 a[0:3], v2, v6, a[0:3]
	s_movk_i32 s4, 0x7f
	v_cmp_gt_i16_sdwa s[6:7], v8, s4 src0_sel:BYTE_0 src1_sel:DWORD
	s_mov_b64 s[4:5], 0
                                        ; implicit-def: $sgpr10
	s_and_saveexec_b64 s[8:9], s[6:7]
	s_xor_b64 s[6:7], exec, s[8:9]
	s_cbranch_execnz .LBB10_3265
; %bb.1217:
	s_or_saveexec_b64 s[6:7], s[6:7]
	v_mov_b32_e32 v2, s10
	s_xor_b64 exec, exec, s[6:7]
	s_cbranch_execnz .LBB10_3268
.LBB10_1218:
	s_or_b64 exec, exec, s[6:7]
	s_and_saveexec_b64 s[6:7], s[4:5]
	s_cbranch_execz .LBB10_1220
.LBB10_1219:
	v_and_b32_e32 v2, 7, v8
	v_ffbh_u32_e32 v6, v2
	v_min_u32_e32 v6, 32, v6
	v_lshrrev_b16_e32 v3, 3, v8
	v_subrev_u32_e32 v7, 28, v6
	v_and_b32_e32 v3, 15, v3
	v_lshlrev_b32_e32 v7, v7, v8
	v_sub_u32_e32 v6, 29, v6
	v_and_b32_e32 v7, 7, v7
	v_cmp_eq_u16_e32 vcc, 0, v3
	v_cndmask_b32_e32 v2, v2, v7, vcc
	v_cndmask_b32_e32 v3, v3, v6, vcc
	v_lshlrev_b32_e32 v6, 24, v8
	v_mov_b32_e32 v7, 0x3b800000
	v_lshlrev_b32_e32 v2, 20, v2
	v_and_b32_e32 v6, 0x80000000, v6
	v_lshl_add_u32 v3, v3, 23, v7
	v_or3_b32 v2, v6, v3, v2
.LBB10_1220:
	s_or_b64 exec, exec, s[6:7]
	s_movk_i32 s4, 0x7f
	v_cmp_gt_i16_sdwa s[6:7], v4, s4 src0_sel:BYTE_0 src1_sel:DWORD
	s_mov_b64 s[4:5], 0
                                        ; implicit-def: $sgpr10
	s_and_saveexec_b64 s[8:9], s[6:7]
	s_xor_b64 s[6:7], exec, s[8:9]
	s_cbranch_execnz .LBB10_3269
; %bb.1221:
	s_or_saveexec_b64 s[6:7], s[6:7]
	v_mov_b32_e32 v3, s10
	s_xor_b64 exec, exec, s[6:7]
	s_cbranch_execnz .LBB10_3272
.LBB10_1222:
	s_or_b64 exec, exec, s[6:7]
	s_and_saveexec_b64 s[6:7], s[4:5]
	s_cbranch_execz .LBB10_1224
.LBB10_1223:
	v_and_b32_e32 v3, 7, v4
	v_ffbh_u32_e32 v7, v3
	v_min_u32_e32 v7, 32, v7
	v_lshrrev_b16_e32 v6, 3, v4
	v_subrev_u32_e32 v12, 28, v7
	v_and_b32_e32 v6, 15, v6
	v_lshlrev_b32_e32 v12, v12, v4
	v_sub_u32_e32 v7, 29, v7
	v_and_b32_e32 v12, 7, v12
	v_cmp_eq_u16_e32 vcc, 0, v6
	v_cndmask_b32_e32 v3, v3, v12, vcc
	v_cndmask_b32_e32 v6, v6, v7, vcc
	v_lshlrev_b32_e32 v7, 24, v4
	v_mov_b32_e32 v12, 0x3b800000
	v_lshlrev_b32_e32 v3, 20, v3
	v_and_b32_e32 v7, 0x80000000, v7
	v_lshl_add_u32 v6, v6, 23, v12
	v_or3_b32 v3, v7, v6, v3
.LBB10_1224:
	s_or_b64 exec, exec, s[6:7]
	s_nop 0
	v_mfma_f32_16x16x4f32 a[0:3], v2, v3, a[0:3]
	v_lshrrev_b32_e32 v3, 8, v8
	s_movk_i32 s4, 0x7f
	v_cmp_gt_i16_sdwa s[6:7], v3, s4 src0_sel:BYTE_0 src1_sel:DWORD
	s_mov_b64 s[4:5], 0
                                        ; implicit-def: $sgpr10
	s_and_saveexec_b64 s[8:9], s[6:7]
	s_xor_b64 s[6:7], exec, s[8:9]
	s_cbranch_execnz .LBB10_3273
; %bb.1225:
	s_or_saveexec_b64 s[6:7], s[6:7]
	v_mov_b32_e32 v2, s10
	s_xor_b64 exec, exec, s[6:7]
	s_cbranch_execnz .LBB10_3276
.LBB10_1226:
	s_or_b64 exec, exec, s[6:7]
	s_and_saveexec_b64 s[6:7], s[4:5]
	s_cbranch_execz .LBB10_1228
.LBB10_1227:
	v_bfe_u32 v2, v8, 8, 3
	v_ffbh_u32_e32 v7, v2
	v_min_u32_e32 v7, 32, v7
	v_lshrrev_b16_e32 v6, 3, v3
	v_subrev_u32_e32 v12, 28, v7
	v_and_b32_e32 v6, 15, v6
	v_lshlrev_b32_e32 v3, v12, v3
	v_sub_u32_e32 v7, 29, v7
	v_and_b32_e32 v3, 7, v3
	v_cmp_eq_u16_e32 vcc, 0, v6
	v_cndmask_b32_e32 v2, v2, v3, vcc
	v_cndmask_b32_e32 v3, v6, v7, vcc
	v_lshlrev_b32_e32 v6, 16, v8
	v_mov_b32_e32 v7, 0x3b800000
	v_lshlrev_b32_e32 v2, 20, v2
	v_and_b32_e32 v6, 0x80000000, v6
	v_lshl_add_u32 v3, v3, 23, v7
	v_or3_b32 v2, v6, v3, v2
.LBB10_1228:
	s_or_b64 exec, exec, s[6:7]
	v_lshrrev_b32_e32 v3, 8, v4
	s_movk_i32 s4, 0x7f
	v_cmp_gt_i16_sdwa s[6:7], v3, s4 src0_sel:BYTE_0 src1_sel:DWORD
	s_mov_b64 s[4:5], 0
                                        ; implicit-def: $sgpr10
	s_and_saveexec_b64 s[8:9], s[6:7]
	s_xor_b64 s[6:7], exec, s[8:9]
	s_cbranch_execnz .LBB10_3277
; %bb.1229:
	s_or_saveexec_b64 s[6:7], s[6:7]
	v_mov_b32_e32 v6, s10
	s_xor_b64 exec, exec, s[6:7]
	s_cbranch_execnz .LBB10_3280
.LBB10_1230:
	s_or_b64 exec, exec, s[6:7]
	s_and_saveexec_b64 s[6:7], s[4:5]
	s_cbranch_execz .LBB10_1232
.LBB10_1231:
	v_bfe_u32 v6, v4, 8, 3
	v_ffbh_u32_e32 v12, v6
	v_min_u32_e32 v12, 32, v12
	v_lshrrev_b16_e32 v7, 3, v3
	v_subrev_u32_e32 v13, 28, v12
	v_and_b32_e32 v7, 15, v7
	v_lshlrev_b32_e32 v3, v13, v3
	v_sub_u32_e32 v12, 29, v12
	v_and_b32_e32 v3, 7, v3
	v_cmp_eq_u16_e32 vcc, 0, v7
	v_cndmask_b32_e32 v3, v6, v3, vcc
	v_cndmask_b32_e32 v6, v7, v12, vcc
	v_lshlrev_b32_e32 v7, 16, v4
	v_mov_b32_e32 v12, 0x3b800000
	v_lshlrev_b32_e32 v3, 20, v3
	v_and_b32_e32 v7, 0x80000000, v7
	v_lshl_add_u32 v6, v6, 23, v12
	v_or3_b32 v6, v7, v6, v3
.LBB10_1232:
	s_or_b64 exec, exec, s[6:7]
	s_nop 0
	v_mfma_f32_16x16x4f32 a[0:3], v2, v6, a[0:3]
	s_movk_i32 s4, 0xff
	v_and_b32_sdwa v3, v8, s4 dst_sel:DWORD dst_unused:UNUSED_PAD src0_sel:WORD_1 src1_sel:DWORD
	s_movk_i32 s4, 0x7f
	v_cmp_lt_i16_e32 vcc, s4, v3
	s_mov_b64 s[4:5], 0
                                        ; implicit-def: $sgpr10
	s_and_saveexec_b64 s[6:7], vcc
	s_xor_b64 s[6:7], exec, s[6:7]
	s_cbranch_execnz .LBB10_3281
; %bb.1233:
	s_or_saveexec_b64 s[6:7], s[6:7]
	v_mov_b32_e32 v2, s10
	s_xor_b64 exec, exec, s[6:7]
	s_cbranch_execnz .LBB10_3284
.LBB10_1234:
	s_or_b64 exec, exec, s[6:7]
	s_and_saveexec_b64 s[6:7], s[4:5]
	s_cbranch_execz .LBB10_1236
.LBB10_1235:
	v_bfe_u32 v2, v8, 16, 3
	v_ffbh_u32_e32 v7, v2
	v_min_u32_e32 v7, 32, v7
	v_lshrrev_b32_e32 v3, 19, v8
	v_subrev_u32_e32 v12, 28, v7
	v_and_b32_e32 v3, 15, v3
	v_lshlrev_b32_sdwa v12, v12, v8 dst_sel:DWORD dst_unused:UNUSED_PAD src0_sel:DWORD src1_sel:WORD_1
	v_bfe_u32 v6, v8, 19, 4
	v_sub_u32_e32 v7, 29, v7
	v_and_b32_e32 v12, 7, v12
	v_cmp_eq_u16_e32 vcc, 0, v3
	v_cndmask_b32_e32 v2, v2, v12, vcc
	v_cndmask_b32_e32 v3, v6, v7, vcc
	v_lshlrev_b32_e32 v6, 8, v8
	v_mov_b32_e32 v7, 0x3b800000
	v_lshlrev_b32_e32 v2, 20, v2
	v_and_b32_e32 v6, 0x80000000, v6
	v_lshl_add_u32 v3, v3, 23, v7
	v_or3_b32 v2, v6, v3, v2
.LBB10_1236:
	s_or_b64 exec, exec, s[6:7]
	s_movk_i32 s4, 0xff
	v_and_b32_sdwa v3, v4, s4 dst_sel:DWORD dst_unused:UNUSED_PAD src0_sel:WORD_1 src1_sel:DWORD
	s_movk_i32 s4, 0x7f
	v_cmp_lt_i16_e32 vcc, s4, v3
	s_mov_b64 s[4:5], 0
                                        ; implicit-def: $sgpr10
	s_and_saveexec_b64 s[6:7], vcc
	s_xor_b64 s[6:7], exec, s[6:7]
	s_cbranch_execnz .LBB10_3285
; %bb.1237:
	s_or_saveexec_b64 s[6:7], s[6:7]
	v_mov_b32_e32 v6, s10
	s_xor_b64 exec, exec, s[6:7]
	s_cbranch_execnz .LBB10_3288
.LBB10_1238:
	s_or_b64 exec, exec, s[6:7]
	s_and_saveexec_b64 s[6:7], s[4:5]
	s_cbranch_execz .LBB10_1240
.LBB10_1239:
	v_bfe_u32 v3, v4, 16, 3
	v_ffbh_u32_e32 v12, v3
	v_min_u32_e32 v12, 32, v12
	v_lshrrev_b32_e32 v6, 19, v4
	v_subrev_u32_e32 v13, 28, v12
	v_and_b32_e32 v6, 15, v6
	v_lshlrev_b32_sdwa v13, v13, v4 dst_sel:DWORD dst_unused:UNUSED_PAD src0_sel:DWORD src1_sel:WORD_1
	v_bfe_u32 v7, v4, 19, 4
	v_sub_u32_e32 v12, 29, v12
	v_and_b32_e32 v13, 7, v13
	v_cmp_eq_u16_e32 vcc, 0, v6
	v_cndmask_b32_e32 v3, v3, v13, vcc
	v_cndmask_b32_e32 v6, v7, v12, vcc
	v_lshlrev_b32_e32 v7, 8, v4
	v_mov_b32_e32 v12, 0x3b800000
	v_lshlrev_b32_e32 v3, 20, v3
	v_and_b32_e32 v7, 0x80000000, v7
	v_lshl_add_u32 v6, v6, 23, v12
	v_or3_b32 v6, v7, v6, v3
.LBB10_1240:
	s_or_b64 exec, exec, s[6:7]
	s_nop 0
	v_mfma_f32_16x16x4f32 a[0:3], v2, v6, a[0:3]
	s_movk_i32 s4, 0x7f
	v_cmp_gt_i16_sdwa s[6:7], v8, s4 src0_sel:BYTE_3 src1_sel:DWORD
	s_mov_b64 s[4:5], 0
                                        ; implicit-def: $sgpr10
	s_and_saveexec_b64 s[8:9], s[6:7]
	s_xor_b64 s[6:7], exec, s[8:9]
	s_cbranch_execnz .LBB10_3289
; %bb.1241:
	s_or_saveexec_b64 s[6:7], s[6:7]
	v_mov_b32_e32 v2, s10
	s_xor_b64 exec, exec, s[6:7]
	s_cbranch_execnz .LBB10_3292
.LBB10_1242:
	s_or_b64 exec, exec, s[6:7]
	s_and_saveexec_b64 s[6:7], s[4:5]
	s_cbranch_execz .LBB10_1244
.LBB10_1243:
	v_bfe_u32 v2, v8, 24, 3
	v_ffbh_u32_e32 v12, v2
	v_min_u32_e32 v12, 32, v12
	v_lshrrev_b32_e32 v6, 27, v8
	v_subrev_u32_e32 v13, 28, v12
	v_and_b32_e32 v3, 0x80000000, v8
	v_and_b32_e32 v6, 15, v6
	v_bfe_u32 v7, v8, 27, 4
	v_lshlrev_b32_sdwa v8, v13, v8 dst_sel:DWORD dst_unused:UNUSED_PAD src0_sel:DWORD src1_sel:BYTE_3
	v_sub_u32_e32 v12, 29, v12
	v_and_b32_e32 v8, 7, v8
	v_cmp_eq_u16_e32 vcc, 0, v6
	v_cndmask_b32_e32 v2, v2, v8, vcc
	v_cndmask_b32_e32 v6, v7, v12, vcc
	v_mov_b32_e32 v7, 0x3b800000
	v_lshlrev_b32_e32 v2, 20, v2
	v_lshl_add_u32 v6, v6, 23, v7
	v_or3_b32 v2, v3, v6, v2
.LBB10_1244:
	s_or_b64 exec, exec, s[6:7]
	s_movk_i32 s4, 0x7f
	v_cmp_gt_i16_sdwa s[6:7], v4, s4 src0_sel:BYTE_3 src1_sel:DWORD
	s_mov_b64 s[4:5], 0
                                        ; implicit-def: $sgpr10
	s_and_saveexec_b64 s[8:9], s[6:7]
	s_xor_b64 s[6:7], exec, s[8:9]
	s_cbranch_execnz .LBB10_3293
; %bb.1245:
	s_or_saveexec_b64 s[6:7], s[6:7]
	v_mov_b32_e32 v3, s10
	s_xor_b64 exec, exec, s[6:7]
	s_cbranch_execnz .LBB10_3296
.LBB10_1246:
	s_or_b64 exec, exec, s[6:7]
	s_and_saveexec_b64 s[6:7], s[4:5]
	s_cbranch_execz .LBB10_1248
.LBB10_1247:
	v_bfe_u32 v3, v4, 24, 3
	v_ffbh_u32_e32 v12, v3
	v_min_u32_e32 v12, 32, v12
	v_lshrrev_b32_e32 v7, 27, v4
	v_subrev_u32_e32 v13, 28, v12
	v_and_b32_e32 v6, 0x80000000, v4
	v_and_b32_e32 v7, 15, v7
	v_bfe_u32 v8, v4, 27, 4
	v_lshlrev_b32_sdwa v4, v13, v4 dst_sel:DWORD dst_unused:UNUSED_PAD src0_sel:DWORD src1_sel:BYTE_3
	v_sub_u32_e32 v12, 29, v12
	v_and_b32_e32 v4, 7, v4
	v_cmp_eq_u16_e32 vcc, 0, v7
	v_cndmask_b32_e32 v3, v3, v4, vcc
	v_cndmask_b32_e32 v4, v8, v12, vcc
	v_mov_b32_e32 v7, 0x3b800000
	v_lshlrev_b32_e32 v3, 20, v3
	v_lshl_add_u32 v4, v4, 23, v7
	v_or3_b32 v3, v6, v4, v3
.LBB10_1248:
	s_or_b64 exec, exec, s[6:7]
	s_nop 0
	v_mfma_f32_16x16x4f32 a[0:3], v2, v3, a[0:3]
	s_movk_i32 s4, 0x7f
	v_cmp_gt_i16_sdwa s[6:7], v9, s4 src0_sel:BYTE_0 src1_sel:DWORD
	s_mov_b64 s[4:5], 0
                                        ; implicit-def: $sgpr10
	s_and_saveexec_b64 s[8:9], s[6:7]
	s_xor_b64 s[6:7], exec, s[8:9]
	s_cbranch_execnz .LBB10_3297
; %bb.1249:
	s_or_saveexec_b64 s[6:7], s[6:7]
	v_mov_b32_e32 v2, s10
	s_xor_b64 exec, exec, s[6:7]
	s_cbranch_execnz .LBB10_3300
.LBB10_1250:
	s_or_b64 exec, exec, s[6:7]
	s_and_saveexec_b64 s[6:7], s[4:5]
	s_cbranch_execz .LBB10_1252
.LBB10_1251:
	v_mov_b32_e32 v2, 8
	v_and_b32_e32 v3, 7, v9
	v_lshrrev_b32_sdwa v2, v2, v9 dst_sel:BYTE_1 dst_unused:UNUSED_PAD src0_sel:DWORD src1_sel:DWORD
	v_ffbh_u32_e32 v4, v3
	v_or_b32_sdwa v2, v9, v2 dst_sel:DWORD dst_unused:UNUSED_PAD src0_sel:BYTE_0 src1_sel:DWORD
	v_min_u32_e32 v4, 32, v4
	v_lshrrev_b16_e32 v2, 3, v2
	v_subrev_u32_e32 v6, 28, v4
	v_and_b32_e32 v2, 15, v2
	v_lshlrev_b32_e32 v6, v6, v9
	v_sub_u32_e32 v4, 29, v4
	v_and_b32_e32 v6, 7, v6
	v_cmp_eq_u16_e32 vcc, 0, v2
	v_cndmask_b32_e32 v3, v3, v6, vcc
	v_cndmask_b32_e32 v2, v2, v4, vcc
	v_lshlrev_b32_e32 v4, 24, v9
	v_mov_b32_e32 v6, 0x3b800000
	v_lshlrev_b32_e32 v3, 20, v3
	v_and_b32_e32 v4, 0x80000000, v4
	v_lshl_add_u32 v2, v2, 23, v6
	v_or3_b32 v2, v4, v2, v3
.LBB10_1252:
	s_or_b64 exec, exec, s[6:7]
	s_movk_i32 s4, 0x7f
	v_cmp_gt_i16_sdwa s[6:7], v5, s4 src0_sel:BYTE_0 src1_sel:DWORD
	s_mov_b64 s[4:5], 0
                                        ; implicit-def: $sgpr10
	s_and_saveexec_b64 s[8:9], s[6:7]
	s_xor_b64 s[6:7], exec, s[8:9]
	s_cbranch_execnz .LBB10_3301
; %bb.1253:
	s_or_saveexec_b64 s[6:7], s[6:7]
	v_mov_b32_e32 v3, s10
	s_xor_b64 exec, exec, s[6:7]
	s_cbranch_execnz .LBB10_3304
.LBB10_1254:
	s_or_b64 exec, exec, s[6:7]
	s_and_saveexec_b64 s[6:7], s[4:5]
	s_cbranch_execz .LBB10_1256
.LBB10_1255:
	v_mov_b32_e32 v3, 8
	v_and_b32_e32 v4, 7, v5
	v_lshrrev_b32_sdwa v3, v3, v5 dst_sel:BYTE_1 dst_unused:UNUSED_PAD src0_sel:DWORD src1_sel:DWORD
	v_ffbh_u32_e32 v6, v4
	v_or_b32_sdwa v3, v5, v3 dst_sel:DWORD dst_unused:UNUSED_PAD src0_sel:BYTE_0 src1_sel:DWORD
	v_min_u32_e32 v6, 32, v6
	v_lshrrev_b16_e32 v3, 3, v3
	v_subrev_u32_e32 v7, 28, v6
	v_and_b32_e32 v3, 15, v3
	v_lshlrev_b32_e32 v7, v7, v5
	v_sub_u32_e32 v6, 29, v6
	v_and_b32_e32 v7, 7, v7
	v_cmp_eq_u16_e32 vcc, 0, v3
	v_cndmask_b32_e32 v4, v4, v7, vcc
	v_cndmask_b32_e32 v3, v3, v6, vcc
	v_lshlrev_b32_e32 v6, 24, v5
	v_mov_b32_e32 v7, 0x3b800000
	v_lshlrev_b32_e32 v4, 20, v4
	v_and_b32_e32 v6, 0x80000000, v6
	v_lshl_add_u32 v3, v3, 23, v7
	v_or3_b32 v3, v6, v3, v4
.LBB10_1256:
	s_or_b64 exec, exec, s[6:7]
	s_nop 0
	v_mfma_f32_16x16x4f32 a[0:3], v2, v3, a[0:3]
	v_lshrrev_b32_e32 v3, 8, v9
	s_movk_i32 s4, 0x7f
	v_cmp_gt_i16_sdwa s[6:7], v3, s4 src0_sel:BYTE_0 src1_sel:DWORD
	s_mov_b64 s[4:5], 0
                                        ; implicit-def: $sgpr10
	s_and_saveexec_b64 s[8:9], s[6:7]
	s_xor_b64 s[6:7], exec, s[8:9]
	s_cbranch_execnz .LBB10_3305
; %bb.1257:
	s_or_saveexec_b64 s[6:7], s[6:7]
	v_mov_b32_e32 v2, s10
	s_xor_b64 exec, exec, s[6:7]
	s_cbranch_execnz .LBB10_3308
.LBB10_1258:
	s_or_b64 exec, exec, s[6:7]
	s_and_saveexec_b64 s[6:7], s[4:5]
	s_cbranch_execz .LBB10_1260
.LBB10_1259:
	v_bfe_u32 v2, v9, 8, 3
	v_ffbh_u32_e32 v6, v2
	v_min_u32_e32 v6, 32, v6
	v_lshrrev_b16_e32 v4, 3, v3
	v_subrev_u32_e32 v7, 28, v6
	v_and_b32_e32 v4, 15, v4
	v_lshlrev_b32_e32 v3, v7, v3
	v_sub_u32_e32 v6, 29, v6
	v_and_b32_e32 v3, 7, v3
	v_cmp_eq_u16_e32 vcc, 0, v4
	v_cndmask_b32_e32 v2, v2, v3, vcc
	v_cndmask_b32_e32 v3, v4, v6, vcc
	v_lshlrev_b32_e32 v4, 16, v9
	v_mov_b32_e32 v6, 0x3b800000
	v_lshlrev_b32_e32 v2, 20, v2
	v_and_b32_e32 v4, 0x80000000, v4
	v_lshl_add_u32 v3, v3, 23, v6
	v_or3_b32 v2, v4, v3, v2
.LBB10_1260:
	s_or_b64 exec, exec, s[6:7]
	v_lshrrev_b32_e32 v3, 8, v5
	s_movk_i32 s4, 0x7f
	v_cmp_gt_i16_sdwa s[6:7], v3, s4 src0_sel:BYTE_0 src1_sel:DWORD
	s_mov_b64 s[4:5], 0
                                        ; implicit-def: $sgpr10
	s_and_saveexec_b64 s[8:9], s[6:7]
	s_xor_b64 s[6:7], exec, s[8:9]
	s_cbranch_execnz .LBB10_3309
; %bb.1261:
	s_or_saveexec_b64 s[6:7], s[6:7]
	v_mov_b32_e32 v4, s10
	s_xor_b64 exec, exec, s[6:7]
	s_cbranch_execnz .LBB10_3312
.LBB10_1262:
	s_or_b64 exec, exec, s[6:7]
	s_and_saveexec_b64 s[6:7], s[4:5]
	s_cbranch_execz .LBB10_1264
.LBB10_1263:
	v_bfe_u32 v4, v5, 8, 3
	v_ffbh_u32_e32 v7, v4
	v_min_u32_e32 v7, 32, v7
	v_lshrrev_b16_e32 v6, 3, v3
	v_subrev_u32_e32 v8, 28, v7
	v_and_b32_e32 v6, 15, v6
	v_lshlrev_b32_e32 v3, v8, v3
	v_sub_u32_e32 v7, 29, v7
	v_and_b32_e32 v3, 7, v3
	v_cmp_eq_u16_e32 vcc, 0, v6
	v_cndmask_b32_e32 v3, v4, v3, vcc
	v_cndmask_b32_e32 v4, v6, v7, vcc
	v_lshlrev_b32_e32 v6, 16, v5
	v_mov_b32_e32 v7, 0x3b800000
	v_lshlrev_b32_e32 v3, 20, v3
	v_and_b32_e32 v6, 0x80000000, v6
	v_lshl_add_u32 v4, v4, 23, v7
	v_or3_b32 v4, v6, v4, v3
.LBB10_1264:
	s_or_b64 exec, exec, s[6:7]
	s_nop 0
	v_mfma_f32_16x16x4f32 a[0:3], v2, v4, a[0:3]
	s_movk_i32 s4, 0xff
	v_and_b32_sdwa v3, v9, s4 dst_sel:DWORD dst_unused:UNUSED_PAD src0_sel:WORD_1 src1_sel:DWORD
	s_movk_i32 s4, 0x7f
	v_cmp_lt_i16_e32 vcc, s4, v3
	s_mov_b64 s[4:5], 0
                                        ; implicit-def: $sgpr10
	s_and_saveexec_b64 s[6:7], vcc
	s_xor_b64 s[6:7], exec, s[6:7]
	s_cbranch_execnz .LBB10_3313
; %bb.1265:
	s_or_saveexec_b64 s[6:7], s[6:7]
	v_mov_b32_e32 v2, s10
	s_xor_b64 exec, exec, s[6:7]
	s_cbranch_execnz .LBB10_3316
.LBB10_1266:
	s_or_b64 exec, exec, s[6:7]
	s_and_saveexec_b64 s[6:7], s[4:5]
	s_cbranch_execz .LBB10_1268
.LBB10_1267:
	v_bfe_u32 v2, v9, 16, 3
	v_ffbh_u32_e32 v6, v2
	v_min_u32_e32 v6, 32, v6
	v_lshrrev_b32_e32 v3, 19, v9
	v_subrev_u32_e32 v7, 28, v6
	v_and_b32_e32 v3, 15, v3
	v_lshlrev_b32_sdwa v7, v7, v9 dst_sel:DWORD dst_unused:UNUSED_PAD src0_sel:DWORD src1_sel:WORD_1
	v_bfe_u32 v4, v9, 19, 4
	v_sub_u32_e32 v6, 29, v6
	v_and_b32_e32 v7, 7, v7
	v_cmp_eq_u16_e32 vcc, 0, v3
	v_cndmask_b32_e32 v2, v2, v7, vcc
	v_cndmask_b32_e32 v3, v4, v6, vcc
	v_lshlrev_b32_e32 v4, 8, v9
	v_mov_b32_e32 v6, 0x3b800000
	v_lshlrev_b32_e32 v2, 20, v2
	v_and_b32_e32 v4, 0x80000000, v4
	v_lshl_add_u32 v3, v3, 23, v6
	v_or3_b32 v2, v4, v3, v2
.LBB10_1268:
	s_or_b64 exec, exec, s[6:7]
	s_movk_i32 s4, 0xff
	v_and_b32_sdwa v3, v5, s4 dst_sel:DWORD dst_unused:UNUSED_PAD src0_sel:WORD_1 src1_sel:DWORD
	s_movk_i32 s4, 0x7f
	v_cmp_lt_i16_e32 vcc, s4, v3
	s_mov_b64 s[4:5], 0
                                        ; implicit-def: $sgpr10
	s_and_saveexec_b64 s[6:7], vcc
	s_xor_b64 s[6:7], exec, s[6:7]
	s_cbranch_execnz .LBB10_3317
; %bb.1269:
	s_or_saveexec_b64 s[6:7], s[6:7]
	v_mov_b32_e32 v4, s10
	s_xor_b64 exec, exec, s[6:7]
	s_cbranch_execnz .LBB10_3320
.LBB10_1270:
	s_or_b64 exec, exec, s[6:7]
	s_and_saveexec_b64 s[6:7], s[4:5]
	s_cbranch_execz .LBB10_1272
.LBB10_1271:
	v_bfe_u32 v3, v5, 16, 3
	v_ffbh_u32_e32 v7, v3
	v_min_u32_e32 v7, 32, v7
	v_lshrrev_b32_e32 v4, 19, v5
	v_subrev_u32_e32 v8, 28, v7
	v_and_b32_e32 v4, 15, v4
	v_lshlrev_b32_sdwa v8, v8, v5 dst_sel:DWORD dst_unused:UNUSED_PAD src0_sel:DWORD src1_sel:WORD_1
	v_bfe_u32 v6, v5, 19, 4
	v_sub_u32_e32 v7, 29, v7
	v_and_b32_e32 v8, 7, v8
	v_cmp_eq_u16_e32 vcc, 0, v4
	v_cndmask_b32_e32 v3, v3, v8, vcc
	v_cndmask_b32_e32 v4, v6, v7, vcc
	v_lshlrev_b32_e32 v6, 8, v5
	v_mov_b32_e32 v7, 0x3b800000
	v_lshlrev_b32_e32 v3, 20, v3
	v_and_b32_e32 v6, 0x80000000, v6
	v_lshl_add_u32 v4, v4, 23, v7
	v_or3_b32 v4, v6, v4, v3
.LBB10_1272:
	s_or_b64 exec, exec, s[6:7]
	s_nop 0
	v_mfma_f32_16x16x4f32 a[0:3], v2, v4, a[0:3]
	s_movk_i32 s4, 0x7f
	v_cmp_gt_i16_sdwa s[6:7], v9, s4 src0_sel:BYTE_3 src1_sel:DWORD
	s_mov_b64 s[4:5], 0
                                        ; implicit-def: $sgpr10
	s_and_saveexec_b64 s[8:9], s[6:7]
	s_xor_b64 s[6:7], exec, s[8:9]
	s_cbranch_execnz .LBB10_3321
; %bb.1273:
	s_or_saveexec_b64 s[6:7], s[6:7]
	v_mov_b32_e32 v2, s10
	s_xor_b64 exec, exec, s[6:7]
	s_cbranch_execnz .LBB10_3324
.LBB10_1274:
	s_or_b64 exec, exec, s[6:7]
	s_and_saveexec_b64 s[6:7], s[4:5]
	s_cbranch_execz .LBB10_1276
.LBB10_1275:
	v_bfe_u32 v2, v9, 24, 3
	v_ffbh_u32_e32 v7, v2
	v_min_u32_e32 v7, 32, v7
	v_lshrrev_b32_e32 v4, 27, v9
	v_subrev_u32_e32 v8, 28, v7
	v_and_b32_e32 v4, 15, v4
	v_lshlrev_b32_sdwa v8, v8, v9 dst_sel:DWORD dst_unused:UNUSED_PAD src0_sel:DWORD src1_sel:BYTE_3
	v_bfe_u32 v6, v9, 27, 4
	v_sub_u32_e32 v7, 29, v7
	v_and_b32_e32 v8, 7, v8
	v_cmp_eq_u16_e32 vcc, 0, v4
	v_cndmask_b32_e32 v2, v2, v8, vcc
	v_cndmask_b32_e32 v4, v6, v7, vcc
	v_mov_b32_e32 v6, 0x3b800000
	v_and_b32_e32 v3, 0x80000000, v9
	v_lshlrev_b32_e32 v2, 20, v2
	v_lshl_add_u32 v4, v4, 23, v6
	v_or3_b32 v2, v3, v4, v2
.LBB10_1276:
	s_or_b64 exec, exec, s[6:7]
	s_movk_i32 s4, 0x7f
	v_cmp_gt_i16_sdwa s[6:7], v5, s4 src0_sel:BYTE_3 src1_sel:DWORD
	s_mov_b64 s[4:5], 0
                                        ; implicit-def: $sgpr10
	s_and_saveexec_b64 s[8:9], s[6:7]
	s_xor_b64 s[6:7], exec, s[8:9]
	s_cbranch_execnz .LBB10_3325
; %bb.1277:
	s_or_saveexec_b64 s[6:7], s[6:7]
	v_mov_b32_e32 v3, s10
	s_xor_b64 exec, exec, s[6:7]
	s_cbranch_execnz .LBB10_3328
.LBB10_1278:
	s_or_b64 exec, exec, s[6:7]
	s_and_saveexec_b64 s[6:7], s[4:5]
	s_cbranch_execz .LBB10_1280
.LBB10_1279:
	v_bfe_u32 v3, v5, 24, 3
	v_ffbh_u32_e32 v8, v3
	v_min_u32_e32 v8, 32, v8
	v_lshrrev_b32_e32 v6, 27, v5
	v_subrev_u32_e32 v9, 28, v8
	v_and_b32_e32 v4, 0x80000000, v5
	v_and_b32_e32 v6, 15, v6
	v_bfe_u32 v7, v5, 27, 4
	v_lshlrev_b32_sdwa v5, v9, v5 dst_sel:DWORD dst_unused:UNUSED_PAD src0_sel:DWORD src1_sel:BYTE_3
	v_sub_u32_e32 v8, 29, v8
	v_and_b32_e32 v5, 7, v5
	v_cmp_eq_u16_e32 vcc, 0, v6
	v_cndmask_b32_e32 v3, v3, v5, vcc
	v_cndmask_b32_e32 v5, v7, v8, vcc
	v_mov_b32_e32 v6, 0x3b800000
	v_lshlrev_b32_e32 v3, 20, v3
	v_lshl_add_u32 v5, v5, 23, v6
	v_or3_b32 v3, v4, v5, v3
.LBB10_1280:
	s_or_b64 exec, exec, s[6:7]
	s_nop 0
	v_mfma_f32_16x16x4f32 a[0:3], v2, v3, a[0:3]
	s_movk_i32 s4, 0x7f
                                        ; implicit-def: $sgpr10
	s_nop 7
	s_nop 1
	flat_store_dwordx4 v[10:11], a[0:3] offset:144
	flat_load_dwordx4 v[12:15], v[0:1] offset:8
	s_nop 0
	flat_load_dwordx2 v[10:11], v[0:1] offset:32
	s_waitcnt vmcnt(0) lgkmcnt(0)
	flat_load_dwordx4 v[6:9], v[12:13] offset:64
	flat_load_dwordx4 v[2:5], v[14:15] offset:64
	s_waitcnt vmcnt(0) lgkmcnt(0)
	v_cmp_gt_i16_sdwa s[6:7], v6, s4 src0_sel:BYTE_0 src1_sel:DWORD
	s_mov_b64 s[4:5], 0
	s_and_saveexec_b64 s[8:9], s[6:7]
	s_xor_b64 s[6:7], exec, s[8:9]
	s_cbranch_execnz .LBB10_3329
; %bb.1281:
	s_or_saveexec_b64 s[6:7], s[6:7]
	v_mov_b32_e32 v12, s10
	s_xor_b64 exec, exec, s[6:7]
	s_cbranch_execnz .LBB10_3332
.LBB10_1282:
	s_or_b64 exec, exec, s[6:7]
	s_and_saveexec_b64 s[6:7], s[4:5]
	s_cbranch_execz .LBB10_1284
.LBB10_1283:
	v_and_b32_e32 v12, 7, v6
	v_ffbh_u32_e32 v14, v12
	v_min_u32_e32 v14, 32, v14
	v_lshrrev_b16_e32 v13, 3, v6
	v_subrev_u32_e32 v15, 28, v14
	v_and_b32_e32 v13, 15, v13
	v_lshlrev_b32_e32 v15, v15, v6
	v_sub_u32_e32 v14, 29, v14
	v_and_b32_e32 v15, 7, v15
	v_cmp_eq_u16_e32 vcc, 0, v13
	v_cndmask_b32_e32 v12, v12, v15, vcc
	v_cndmask_b32_e32 v13, v13, v14, vcc
	v_lshlrev_b32_e32 v14, 24, v6
	v_mov_b32_e32 v15, 0x3b800000
	v_lshlrev_b32_e32 v12, 20, v12
	v_and_b32_e32 v14, 0x80000000, v14
	v_lshl_add_u32 v13, v13, 23, v15
	v_or3_b32 v12, v14, v13, v12
.LBB10_1284:
	s_or_b64 exec, exec, s[6:7]
	s_movk_i32 s4, 0x7f
	v_cmp_gt_i16_sdwa s[6:7], v2, s4 src0_sel:BYTE_0 src1_sel:DWORD
	s_mov_b64 s[4:5], 0
                                        ; implicit-def: $sgpr10
	s_and_saveexec_b64 s[8:9], s[6:7]
	s_xor_b64 s[6:7], exec, s[8:9]
	s_cbranch_execnz .LBB10_3333
; %bb.1285:
	s_or_saveexec_b64 s[6:7], s[6:7]
	v_mov_b32_e32 v13, s10
	s_xor_b64 exec, exec, s[6:7]
	s_cbranch_execnz .LBB10_3336
.LBB10_1286:
	s_or_b64 exec, exec, s[6:7]
	s_and_saveexec_b64 s[6:7], s[4:5]
	s_cbranch_execz .LBB10_1288
.LBB10_1287:
	v_and_b32_e32 v13, 7, v2
	v_ffbh_u32_e32 v15, v13
	v_min_u32_e32 v15, 32, v15
	v_lshrrev_b16_e32 v14, 3, v2
	v_subrev_u32_e32 v16, 28, v15
	v_and_b32_e32 v14, 15, v14
	v_lshlrev_b32_e32 v16, v16, v2
	v_sub_u32_e32 v15, 29, v15
	v_and_b32_e32 v16, 7, v16
	v_cmp_eq_u16_e32 vcc, 0, v14
	v_cndmask_b32_e32 v13, v13, v16, vcc
	v_cndmask_b32_e32 v14, v14, v15, vcc
	v_lshlrev_b32_e32 v15, 24, v2
	v_mov_b32_e32 v16, 0x3b800000
	v_lshlrev_b32_e32 v13, 20, v13
	v_and_b32_e32 v15, 0x80000000, v15
	v_lshl_add_u32 v14, v14, 23, v16
	v_or3_b32 v13, v15, v14, v13
.LBB10_1288:
	s_or_b64 exec, exec, s[6:7]
	flat_load_dwordx4 a[0:3], v[10:11] offset:160
	s_movk_i32 s4, 0x7f
                                        ; implicit-def: $sgpr10
	s_waitcnt vmcnt(0) lgkmcnt(0)
	v_mfma_f32_16x16x4f32 a[0:3], v12, v13, a[0:3]
	v_lshrrev_b32_e32 v13, 8, v6
	v_cmp_gt_i16_sdwa s[6:7], v13, s4 src0_sel:BYTE_0 src1_sel:DWORD
	s_mov_b64 s[4:5], 0
	s_and_saveexec_b64 s[8:9], s[6:7]
	s_xor_b64 s[6:7], exec, s[8:9]
	s_cbranch_execnz .LBB10_3337
; %bb.1289:
	s_or_saveexec_b64 s[6:7], s[6:7]
	v_mov_b32_e32 v12, s10
	s_xor_b64 exec, exec, s[6:7]
	s_cbranch_execnz .LBB10_3340
.LBB10_1290:
	s_or_b64 exec, exec, s[6:7]
	s_and_saveexec_b64 s[6:7], s[4:5]
	s_cbranch_execz .LBB10_1292
.LBB10_1291:
	v_bfe_u32 v12, v6, 8, 3
	v_ffbh_u32_e32 v15, v12
	v_min_u32_e32 v15, 32, v15
	v_lshrrev_b16_e32 v14, 3, v13
	v_subrev_u32_e32 v16, 28, v15
	v_and_b32_e32 v14, 15, v14
	v_lshlrev_b32_e32 v13, v16, v13
	v_sub_u32_e32 v15, 29, v15
	v_and_b32_e32 v13, 7, v13
	v_cmp_eq_u16_e32 vcc, 0, v14
	v_cndmask_b32_e32 v12, v12, v13, vcc
	v_cndmask_b32_e32 v13, v14, v15, vcc
	v_lshlrev_b32_e32 v14, 16, v6
	v_mov_b32_e32 v15, 0x3b800000
	v_lshlrev_b32_e32 v12, 20, v12
	v_and_b32_e32 v14, 0x80000000, v14
	v_lshl_add_u32 v13, v13, 23, v15
	v_or3_b32 v12, v14, v13, v12
.LBB10_1292:
	s_or_b64 exec, exec, s[6:7]
	v_lshrrev_b32_e32 v13, 8, v2
	s_movk_i32 s4, 0x7f
	v_cmp_gt_i16_sdwa s[6:7], v13, s4 src0_sel:BYTE_0 src1_sel:DWORD
	s_mov_b64 s[4:5], 0
                                        ; implicit-def: $sgpr10
	s_and_saveexec_b64 s[8:9], s[6:7]
	s_xor_b64 s[6:7], exec, s[8:9]
	s_cbranch_execnz .LBB10_3341
; %bb.1293:
	s_or_saveexec_b64 s[6:7], s[6:7]
	v_mov_b32_e32 v14, s10
	s_xor_b64 exec, exec, s[6:7]
	s_cbranch_execnz .LBB10_3344
.LBB10_1294:
	s_or_b64 exec, exec, s[6:7]
	s_and_saveexec_b64 s[6:7], s[4:5]
	s_cbranch_execz .LBB10_1296
.LBB10_1295:
	v_bfe_u32 v14, v2, 8, 3
	v_ffbh_u32_e32 v16, v14
	v_min_u32_e32 v16, 32, v16
	v_lshrrev_b16_e32 v15, 3, v13
	v_subrev_u32_e32 v17, 28, v16
	v_and_b32_e32 v15, 15, v15
	v_lshlrev_b32_e32 v13, v17, v13
	v_sub_u32_e32 v16, 29, v16
	v_and_b32_e32 v13, 7, v13
	v_cmp_eq_u16_e32 vcc, 0, v15
	v_cndmask_b32_e32 v13, v14, v13, vcc
	v_cndmask_b32_e32 v14, v15, v16, vcc
	v_lshlrev_b32_e32 v15, 16, v2
	v_mov_b32_e32 v16, 0x3b800000
	v_lshlrev_b32_e32 v13, 20, v13
	v_and_b32_e32 v15, 0x80000000, v15
	v_lshl_add_u32 v14, v14, 23, v16
	v_or3_b32 v14, v15, v14, v13
.LBB10_1296:
	s_or_b64 exec, exec, s[6:7]
	s_nop 0
	v_mfma_f32_16x16x4f32 a[0:3], v12, v14, a[0:3]
	s_movk_i32 s4, 0xff
	v_and_b32_sdwa v13, v6, s4 dst_sel:DWORD dst_unused:UNUSED_PAD src0_sel:WORD_1 src1_sel:DWORD
	s_movk_i32 s4, 0x7f
	v_cmp_lt_i16_e32 vcc, s4, v13
	s_mov_b64 s[4:5], 0
                                        ; implicit-def: $sgpr10
	s_and_saveexec_b64 s[6:7], vcc
	s_xor_b64 s[6:7], exec, s[6:7]
	s_cbranch_execnz .LBB10_3345
; %bb.1297:
	s_or_saveexec_b64 s[6:7], s[6:7]
	v_mov_b32_e32 v12, s10
	s_xor_b64 exec, exec, s[6:7]
	s_cbranch_execnz .LBB10_3348
.LBB10_1298:
	s_or_b64 exec, exec, s[6:7]
	s_and_saveexec_b64 s[6:7], s[4:5]
	s_cbranch_execz .LBB10_1300
.LBB10_1299:
	v_bfe_u32 v12, v6, 16, 3
	v_ffbh_u32_e32 v15, v12
	v_min_u32_e32 v15, 32, v15
	v_lshrrev_b32_e32 v13, 19, v6
	v_subrev_u32_e32 v16, 28, v15
	v_and_b32_e32 v13, 15, v13
	v_lshlrev_b32_sdwa v16, v16, v6 dst_sel:DWORD dst_unused:UNUSED_PAD src0_sel:DWORD src1_sel:WORD_1
	v_bfe_u32 v14, v6, 19, 4
	v_sub_u32_e32 v15, 29, v15
	v_and_b32_e32 v16, 7, v16
	v_cmp_eq_u16_e32 vcc, 0, v13
	v_cndmask_b32_e32 v12, v12, v16, vcc
	v_cndmask_b32_e32 v13, v14, v15, vcc
	v_lshlrev_b32_e32 v14, 8, v6
	v_mov_b32_e32 v15, 0x3b800000
	v_lshlrev_b32_e32 v12, 20, v12
	v_and_b32_e32 v14, 0x80000000, v14
	v_lshl_add_u32 v13, v13, 23, v15
	v_or3_b32 v12, v14, v13, v12
.LBB10_1300:
	s_or_b64 exec, exec, s[6:7]
	s_movk_i32 s4, 0xff
	v_and_b32_sdwa v13, v2, s4 dst_sel:DWORD dst_unused:UNUSED_PAD src0_sel:WORD_1 src1_sel:DWORD
	s_movk_i32 s4, 0x7f
	v_cmp_lt_i16_e32 vcc, s4, v13
	s_mov_b64 s[4:5], 0
                                        ; implicit-def: $sgpr10
	s_and_saveexec_b64 s[6:7], vcc
	s_xor_b64 s[6:7], exec, s[6:7]
	s_cbranch_execnz .LBB10_3349
; %bb.1301:
	s_or_saveexec_b64 s[6:7], s[6:7]
	v_mov_b32_e32 v14, s10
	s_xor_b64 exec, exec, s[6:7]
	s_cbranch_execnz .LBB10_3352
.LBB10_1302:
	s_or_b64 exec, exec, s[6:7]
	s_and_saveexec_b64 s[6:7], s[4:5]
	s_cbranch_execz .LBB10_1304
.LBB10_1303:
	v_bfe_u32 v13, v2, 16, 3
	v_ffbh_u32_e32 v16, v13
	v_min_u32_e32 v16, 32, v16
	v_lshrrev_b32_e32 v14, 19, v2
	v_subrev_u32_e32 v17, 28, v16
	v_and_b32_e32 v14, 15, v14
	v_lshlrev_b32_sdwa v17, v17, v2 dst_sel:DWORD dst_unused:UNUSED_PAD src0_sel:DWORD src1_sel:WORD_1
	v_bfe_u32 v15, v2, 19, 4
	v_sub_u32_e32 v16, 29, v16
	v_and_b32_e32 v17, 7, v17
	v_cmp_eq_u16_e32 vcc, 0, v14
	v_cndmask_b32_e32 v13, v13, v17, vcc
	v_cndmask_b32_e32 v14, v15, v16, vcc
	v_lshlrev_b32_e32 v15, 8, v2
	v_mov_b32_e32 v16, 0x3b800000
	v_lshlrev_b32_e32 v13, 20, v13
	v_and_b32_e32 v15, 0x80000000, v15
	v_lshl_add_u32 v14, v14, 23, v16
	v_or3_b32 v14, v15, v14, v13
.LBB10_1304:
	s_or_b64 exec, exec, s[6:7]
	s_nop 0
	v_mfma_f32_16x16x4f32 a[0:3], v12, v14, a[0:3]
	s_movk_i32 s4, 0x7f
	v_cmp_gt_i16_sdwa s[6:7], v6, s4 src0_sel:BYTE_3 src1_sel:DWORD
	s_mov_b64 s[4:5], 0
                                        ; implicit-def: $sgpr10
	s_and_saveexec_b64 s[8:9], s[6:7]
	s_xor_b64 s[6:7], exec, s[8:9]
	s_cbranch_execnz .LBB10_3353
; %bb.1305:
	s_or_saveexec_b64 s[6:7], s[6:7]
	v_mov_b32_e32 v12, s10
	s_xor_b64 exec, exec, s[6:7]
	s_cbranch_execnz .LBB10_3356
.LBB10_1306:
	s_or_b64 exec, exec, s[6:7]
	s_and_saveexec_b64 s[6:7], s[4:5]
	s_cbranch_execz .LBB10_1308
.LBB10_1307:
	v_bfe_u32 v12, v6, 24, 3
	v_ffbh_u32_e32 v16, v12
	v_min_u32_e32 v16, 32, v16
	v_lshrrev_b32_e32 v14, 27, v6
	v_subrev_u32_e32 v17, 28, v16
	v_and_b32_e32 v13, 0x80000000, v6
	v_and_b32_e32 v14, 15, v14
	v_bfe_u32 v15, v6, 27, 4
	v_lshlrev_b32_sdwa v6, v17, v6 dst_sel:DWORD dst_unused:UNUSED_PAD src0_sel:DWORD src1_sel:BYTE_3
	v_sub_u32_e32 v16, 29, v16
	v_and_b32_e32 v6, 7, v6
	v_cmp_eq_u16_e32 vcc, 0, v14
	v_cndmask_b32_e32 v6, v12, v6, vcc
	v_cndmask_b32_e32 v12, v15, v16, vcc
	v_mov_b32_e32 v14, 0x3b800000
	v_lshlrev_b32_e32 v6, 20, v6
	v_lshl_add_u32 v12, v12, 23, v14
	v_or3_b32 v12, v13, v12, v6
.LBB10_1308:
	s_or_b64 exec, exec, s[6:7]
	s_movk_i32 s4, 0x7f
	v_cmp_gt_i16_sdwa s[6:7], v2, s4 src0_sel:BYTE_3 src1_sel:DWORD
	s_mov_b64 s[4:5], 0
                                        ; implicit-def: $sgpr10
	s_and_saveexec_b64 s[8:9], s[6:7]
	s_xor_b64 s[6:7], exec, s[8:9]
	s_cbranch_execnz .LBB10_3357
; %bb.1309:
	s_or_saveexec_b64 s[6:7], s[6:7]
	v_mov_b32_e32 v6, s10
	s_xor_b64 exec, exec, s[6:7]
	s_cbranch_execnz .LBB10_3360
.LBB10_1310:
	s_or_b64 exec, exec, s[6:7]
	s_and_saveexec_b64 s[6:7], s[4:5]
	s_cbranch_execz .LBB10_1312
.LBB10_1311:
	v_bfe_u32 v6, v2, 24, 3
	v_ffbh_u32_e32 v16, v6
	v_min_u32_e32 v16, 32, v16
	v_lshrrev_b32_e32 v14, 27, v2
	v_subrev_u32_e32 v17, 28, v16
	v_and_b32_e32 v13, 0x80000000, v2
	v_and_b32_e32 v14, 15, v14
	v_bfe_u32 v15, v2, 27, 4
	v_lshlrev_b32_sdwa v2, v17, v2 dst_sel:DWORD dst_unused:UNUSED_PAD src0_sel:DWORD src1_sel:BYTE_3
	v_sub_u32_e32 v16, 29, v16
	v_and_b32_e32 v2, 7, v2
	v_cmp_eq_u16_e32 vcc, 0, v14
	v_cndmask_b32_e32 v2, v6, v2, vcc
	v_cndmask_b32_e32 v6, v15, v16, vcc
	v_mov_b32_e32 v14, 0x3b800000
	v_lshlrev_b32_e32 v2, 20, v2
	v_lshl_add_u32 v6, v6, 23, v14
	v_or3_b32 v6, v13, v6, v2
.LBB10_1312:
	s_or_b64 exec, exec, s[6:7]
	s_nop 0
	v_mfma_f32_16x16x4f32 a[0:3], v12, v6, a[0:3]
	s_movk_i32 s4, 0x7f
	v_cmp_gt_i16_sdwa s[6:7], v7, s4 src0_sel:BYTE_0 src1_sel:DWORD
	s_mov_b64 s[4:5], 0
                                        ; implicit-def: $sgpr10
	s_and_saveexec_b64 s[8:9], s[6:7]
	s_xor_b64 s[6:7], exec, s[8:9]
	s_cbranch_execnz .LBB10_3361
; %bb.1313:
	s_or_saveexec_b64 s[6:7], s[6:7]
	v_mov_b32_e32 v2, s10
	s_xor_b64 exec, exec, s[6:7]
	s_cbranch_execnz .LBB10_3364
.LBB10_1314:
	s_or_b64 exec, exec, s[6:7]
	s_and_saveexec_b64 s[6:7], s[4:5]
	s_cbranch_execz .LBB10_1316
.LBB10_1315:
	v_and_b32_e32 v2, 7, v7
	v_ffbh_u32_e32 v12, v2
	v_min_u32_e32 v12, 32, v12
	v_lshrrev_b16_e32 v6, 3, v7
	v_subrev_u32_e32 v13, 28, v12
	v_and_b32_e32 v6, 15, v6
	v_lshlrev_b32_e32 v13, v13, v7
	v_sub_u32_e32 v12, 29, v12
	v_and_b32_e32 v13, 7, v13
	v_cmp_eq_u16_e32 vcc, 0, v6
	v_cndmask_b32_e32 v2, v2, v13, vcc
	v_cndmask_b32_e32 v6, v6, v12, vcc
	v_lshlrev_b32_e32 v12, 24, v7
	v_mov_b32_e32 v13, 0x3b800000
	v_lshlrev_b32_e32 v2, 20, v2
	v_and_b32_e32 v12, 0x80000000, v12
	v_lshl_add_u32 v6, v6, 23, v13
	v_or3_b32 v2, v12, v6, v2
.LBB10_1316:
	s_or_b64 exec, exec, s[6:7]
	s_movk_i32 s4, 0x7f
	v_cmp_gt_i16_sdwa s[6:7], v3, s4 src0_sel:BYTE_0 src1_sel:DWORD
	s_mov_b64 s[4:5], 0
                                        ; implicit-def: $sgpr10
	s_and_saveexec_b64 s[8:9], s[6:7]
	s_xor_b64 s[6:7], exec, s[8:9]
	s_cbranch_execnz .LBB10_3365
; %bb.1317:
	s_or_saveexec_b64 s[6:7], s[6:7]
	v_mov_b32_e32 v6, s10
	s_xor_b64 exec, exec, s[6:7]
	s_cbranch_execnz .LBB10_3368
.LBB10_1318:
	s_or_b64 exec, exec, s[6:7]
	s_and_saveexec_b64 s[6:7], s[4:5]
	s_cbranch_execz .LBB10_1320
.LBB10_1319:
	v_and_b32_e32 v6, 7, v3
	v_ffbh_u32_e32 v13, v6
	v_min_u32_e32 v13, 32, v13
	v_lshrrev_b16_e32 v12, 3, v3
	v_subrev_u32_e32 v14, 28, v13
	v_and_b32_e32 v12, 15, v12
	v_lshlrev_b32_e32 v14, v14, v3
	v_sub_u32_e32 v13, 29, v13
	v_and_b32_e32 v14, 7, v14
	v_cmp_eq_u16_e32 vcc, 0, v12
	v_cndmask_b32_e32 v6, v6, v14, vcc
	v_cndmask_b32_e32 v12, v12, v13, vcc
	v_lshlrev_b32_e32 v13, 24, v3
	v_mov_b32_e32 v14, 0x3b800000
	v_lshlrev_b32_e32 v6, 20, v6
	v_and_b32_e32 v13, 0x80000000, v13
	v_lshl_add_u32 v12, v12, 23, v14
	v_or3_b32 v6, v13, v12, v6
.LBB10_1320:
	s_or_b64 exec, exec, s[6:7]
	s_nop 0
	v_mfma_f32_16x16x4f32 a[0:3], v2, v6, a[0:3]
	v_lshrrev_b32_e32 v6, 8, v7
	s_movk_i32 s4, 0x7f
	v_cmp_gt_i16_sdwa s[6:7], v6, s4 src0_sel:BYTE_0 src1_sel:DWORD
	s_mov_b64 s[4:5], 0
                                        ; implicit-def: $sgpr10
	s_and_saveexec_b64 s[8:9], s[6:7]
	s_xor_b64 s[6:7], exec, s[8:9]
	s_cbranch_execnz .LBB10_3369
; %bb.1321:
	s_or_saveexec_b64 s[6:7], s[6:7]
	v_mov_b32_e32 v2, s10
	s_xor_b64 exec, exec, s[6:7]
	s_cbranch_execnz .LBB10_3372
.LBB10_1322:
	s_or_b64 exec, exec, s[6:7]
	s_and_saveexec_b64 s[6:7], s[4:5]
	s_cbranch_execz .LBB10_1324
.LBB10_1323:
	v_bfe_u32 v2, v7, 8, 3
	v_ffbh_u32_e32 v13, v2
	v_min_u32_e32 v13, 32, v13
	v_lshrrev_b16_e32 v12, 3, v6
	v_subrev_u32_e32 v14, 28, v13
	v_and_b32_e32 v12, 15, v12
	v_lshlrev_b32_e32 v6, v14, v6
	v_sub_u32_e32 v13, 29, v13
	v_and_b32_e32 v6, 7, v6
	v_cmp_eq_u16_e32 vcc, 0, v12
	v_cndmask_b32_e32 v2, v2, v6, vcc
	v_cndmask_b32_e32 v6, v12, v13, vcc
	v_lshlrev_b32_e32 v12, 16, v7
	v_mov_b32_e32 v13, 0x3b800000
	v_lshlrev_b32_e32 v2, 20, v2
	v_and_b32_e32 v12, 0x80000000, v12
	v_lshl_add_u32 v6, v6, 23, v13
	v_or3_b32 v2, v12, v6, v2
.LBB10_1324:
	s_or_b64 exec, exec, s[6:7]
	v_lshrrev_b32_e32 v6, 8, v3
	s_movk_i32 s4, 0x7f
	v_cmp_gt_i16_sdwa s[6:7], v6, s4 src0_sel:BYTE_0 src1_sel:DWORD
	s_mov_b64 s[4:5], 0
                                        ; implicit-def: $sgpr10
	s_and_saveexec_b64 s[8:9], s[6:7]
	s_xor_b64 s[6:7], exec, s[8:9]
	s_cbranch_execnz .LBB10_3373
; %bb.1325:
	s_or_saveexec_b64 s[6:7], s[6:7]
	v_mov_b32_e32 v12, s10
	s_xor_b64 exec, exec, s[6:7]
	s_cbranch_execnz .LBB10_3376
.LBB10_1326:
	s_or_b64 exec, exec, s[6:7]
	s_and_saveexec_b64 s[6:7], s[4:5]
	s_cbranch_execz .LBB10_1328
.LBB10_1327:
	v_bfe_u32 v12, v3, 8, 3
	v_ffbh_u32_e32 v14, v12
	v_min_u32_e32 v14, 32, v14
	v_lshrrev_b16_e32 v13, 3, v6
	v_subrev_u32_e32 v15, 28, v14
	v_and_b32_e32 v13, 15, v13
	v_lshlrev_b32_e32 v6, v15, v6
	v_sub_u32_e32 v14, 29, v14
	v_and_b32_e32 v6, 7, v6
	v_cmp_eq_u16_e32 vcc, 0, v13
	v_cndmask_b32_e32 v6, v12, v6, vcc
	v_cndmask_b32_e32 v12, v13, v14, vcc
	v_lshlrev_b32_e32 v13, 16, v3
	v_mov_b32_e32 v14, 0x3b800000
	v_lshlrev_b32_e32 v6, 20, v6
	v_and_b32_e32 v13, 0x80000000, v13
	v_lshl_add_u32 v12, v12, 23, v14
	v_or3_b32 v12, v13, v12, v6
.LBB10_1328:
	s_or_b64 exec, exec, s[6:7]
	s_nop 0
	v_mfma_f32_16x16x4f32 a[0:3], v2, v12, a[0:3]
	s_movk_i32 s4, 0xff
	v_and_b32_sdwa v6, v7, s4 dst_sel:DWORD dst_unused:UNUSED_PAD src0_sel:WORD_1 src1_sel:DWORD
	s_movk_i32 s4, 0x7f
	v_cmp_lt_i16_e32 vcc, s4, v6
	s_mov_b64 s[4:5], 0
                                        ; implicit-def: $sgpr10
	s_and_saveexec_b64 s[6:7], vcc
	s_xor_b64 s[6:7], exec, s[6:7]
	s_cbranch_execnz .LBB10_3377
; %bb.1329:
	s_or_saveexec_b64 s[6:7], s[6:7]
	v_mov_b32_e32 v2, s10
	s_xor_b64 exec, exec, s[6:7]
	s_cbranch_execnz .LBB10_3380
.LBB10_1330:
	s_or_b64 exec, exec, s[6:7]
	s_and_saveexec_b64 s[6:7], s[4:5]
	s_cbranch_execz .LBB10_1332
.LBB10_1331:
	v_bfe_u32 v2, v7, 16, 3
	v_ffbh_u32_e32 v13, v2
	v_min_u32_e32 v13, 32, v13
	v_lshrrev_b32_e32 v6, 19, v7
	v_subrev_u32_e32 v14, 28, v13
	v_and_b32_e32 v6, 15, v6
	v_lshlrev_b32_sdwa v14, v14, v7 dst_sel:DWORD dst_unused:UNUSED_PAD src0_sel:DWORD src1_sel:WORD_1
	v_bfe_u32 v12, v7, 19, 4
	v_sub_u32_e32 v13, 29, v13
	v_and_b32_e32 v14, 7, v14
	v_cmp_eq_u16_e32 vcc, 0, v6
	v_cndmask_b32_e32 v2, v2, v14, vcc
	v_cndmask_b32_e32 v6, v12, v13, vcc
	v_lshlrev_b32_e32 v12, 8, v7
	v_mov_b32_e32 v13, 0x3b800000
	v_lshlrev_b32_e32 v2, 20, v2
	v_and_b32_e32 v12, 0x80000000, v12
	v_lshl_add_u32 v6, v6, 23, v13
	v_or3_b32 v2, v12, v6, v2
.LBB10_1332:
	s_or_b64 exec, exec, s[6:7]
	s_movk_i32 s4, 0xff
	v_and_b32_sdwa v6, v3, s4 dst_sel:DWORD dst_unused:UNUSED_PAD src0_sel:WORD_1 src1_sel:DWORD
	s_movk_i32 s4, 0x7f
	v_cmp_lt_i16_e32 vcc, s4, v6
	s_mov_b64 s[4:5], 0
                                        ; implicit-def: $sgpr10
	s_and_saveexec_b64 s[6:7], vcc
	s_xor_b64 s[6:7], exec, s[6:7]
	s_cbranch_execnz .LBB10_3381
; %bb.1333:
	s_or_saveexec_b64 s[6:7], s[6:7]
	v_mov_b32_e32 v12, s10
	s_xor_b64 exec, exec, s[6:7]
	s_cbranch_execnz .LBB10_3384
.LBB10_1334:
	s_or_b64 exec, exec, s[6:7]
	s_and_saveexec_b64 s[6:7], s[4:5]
	s_cbranch_execz .LBB10_1336
.LBB10_1335:
	v_bfe_u32 v6, v3, 16, 3
	v_ffbh_u32_e32 v14, v6
	v_min_u32_e32 v14, 32, v14
	v_lshrrev_b32_e32 v12, 19, v3
	v_subrev_u32_e32 v15, 28, v14
	v_and_b32_e32 v12, 15, v12
	v_lshlrev_b32_sdwa v15, v15, v3 dst_sel:DWORD dst_unused:UNUSED_PAD src0_sel:DWORD src1_sel:WORD_1
	v_bfe_u32 v13, v3, 19, 4
	v_sub_u32_e32 v14, 29, v14
	v_and_b32_e32 v15, 7, v15
	v_cmp_eq_u16_e32 vcc, 0, v12
	v_cndmask_b32_e32 v6, v6, v15, vcc
	v_cndmask_b32_e32 v12, v13, v14, vcc
	v_lshlrev_b32_e32 v13, 8, v3
	v_mov_b32_e32 v14, 0x3b800000
	v_lshlrev_b32_e32 v6, 20, v6
	v_and_b32_e32 v13, 0x80000000, v13
	v_lshl_add_u32 v12, v12, 23, v14
	v_or3_b32 v12, v13, v12, v6
.LBB10_1336:
	s_or_b64 exec, exec, s[6:7]
	s_nop 0
	v_mfma_f32_16x16x4f32 a[0:3], v2, v12, a[0:3]
	s_movk_i32 s4, 0x7f
	v_cmp_gt_i16_sdwa s[6:7], v7, s4 src0_sel:BYTE_3 src1_sel:DWORD
	s_mov_b64 s[4:5], 0
                                        ; implicit-def: $sgpr10
	s_and_saveexec_b64 s[8:9], s[6:7]
	s_xor_b64 s[6:7], exec, s[8:9]
	s_cbranch_execnz .LBB10_3385
; %bb.1337:
	s_or_saveexec_b64 s[6:7], s[6:7]
	v_mov_b32_e32 v2, s10
	s_xor_b64 exec, exec, s[6:7]
	s_cbranch_execnz .LBB10_3388
.LBB10_1338:
	s_or_b64 exec, exec, s[6:7]
	s_and_saveexec_b64 s[6:7], s[4:5]
	s_cbranch_execz .LBB10_1340
.LBB10_1339:
	v_bfe_u32 v2, v7, 24, 3
	v_ffbh_u32_e32 v14, v2
	v_min_u32_e32 v14, 32, v14
	v_lshrrev_b32_e32 v12, 27, v7
	v_subrev_u32_e32 v15, 28, v14
	v_and_b32_e32 v6, 0x80000000, v7
	v_and_b32_e32 v12, 15, v12
	v_bfe_u32 v13, v7, 27, 4
	v_lshlrev_b32_sdwa v7, v15, v7 dst_sel:DWORD dst_unused:UNUSED_PAD src0_sel:DWORD src1_sel:BYTE_3
	v_sub_u32_e32 v14, 29, v14
	v_and_b32_e32 v7, 7, v7
	v_cmp_eq_u16_e32 vcc, 0, v12
	v_cndmask_b32_e32 v2, v2, v7, vcc
	v_cndmask_b32_e32 v7, v13, v14, vcc
	v_mov_b32_e32 v12, 0x3b800000
	v_lshlrev_b32_e32 v2, 20, v2
	v_lshl_add_u32 v7, v7, 23, v12
	v_or3_b32 v2, v6, v7, v2
.LBB10_1340:
	s_or_b64 exec, exec, s[6:7]
	s_movk_i32 s4, 0x7f
	v_cmp_gt_i16_sdwa s[6:7], v3, s4 src0_sel:BYTE_3 src1_sel:DWORD
	s_mov_b64 s[4:5], 0
                                        ; implicit-def: $sgpr10
	s_and_saveexec_b64 s[8:9], s[6:7]
	s_xor_b64 s[6:7], exec, s[8:9]
	s_cbranch_execnz .LBB10_3389
; %bb.1341:
	s_or_saveexec_b64 s[6:7], s[6:7]
	v_mov_b32_e32 v6, s10
	s_xor_b64 exec, exec, s[6:7]
	s_cbranch_execnz .LBB10_3392
.LBB10_1342:
	s_or_b64 exec, exec, s[6:7]
	s_and_saveexec_b64 s[6:7], s[4:5]
	s_cbranch_execz .LBB10_1344
.LBB10_1343:
	v_bfe_u32 v6, v3, 24, 3
	v_ffbh_u32_e32 v14, v6
	v_min_u32_e32 v14, 32, v14
	v_lshrrev_b32_e32 v12, 27, v3
	v_subrev_u32_e32 v15, 28, v14
	v_and_b32_e32 v7, 0x80000000, v3
	v_and_b32_e32 v12, 15, v12
	v_bfe_u32 v13, v3, 27, 4
	v_lshlrev_b32_sdwa v3, v15, v3 dst_sel:DWORD dst_unused:UNUSED_PAD src0_sel:DWORD src1_sel:BYTE_3
	v_sub_u32_e32 v14, 29, v14
	v_and_b32_e32 v3, 7, v3
	v_cmp_eq_u16_e32 vcc, 0, v12
	v_cndmask_b32_e32 v3, v6, v3, vcc
	v_cndmask_b32_e32 v6, v13, v14, vcc
	v_mov_b32_e32 v12, 0x3b800000
	v_lshlrev_b32_e32 v3, 20, v3
	v_lshl_add_u32 v6, v6, 23, v12
	v_or3_b32 v6, v7, v6, v3
.LBB10_1344:
	s_or_b64 exec, exec, s[6:7]
	s_nop 0
	v_mfma_f32_16x16x4f32 a[0:3], v2, v6, a[0:3]
	s_movk_i32 s4, 0x7f
	v_cmp_gt_i16_sdwa s[6:7], v8, s4 src0_sel:BYTE_0 src1_sel:DWORD
	s_mov_b64 s[4:5], 0
                                        ; implicit-def: $sgpr10
	s_and_saveexec_b64 s[8:9], s[6:7]
	s_xor_b64 s[6:7], exec, s[8:9]
	s_cbranch_execnz .LBB10_3393
; %bb.1345:
	s_or_saveexec_b64 s[6:7], s[6:7]
	v_mov_b32_e32 v2, s10
	s_xor_b64 exec, exec, s[6:7]
	s_cbranch_execnz .LBB10_3396
.LBB10_1346:
	s_or_b64 exec, exec, s[6:7]
	s_and_saveexec_b64 s[6:7], s[4:5]
	s_cbranch_execz .LBB10_1348
.LBB10_1347:
	v_and_b32_e32 v2, 7, v8
	v_ffbh_u32_e32 v6, v2
	v_min_u32_e32 v6, 32, v6
	v_lshrrev_b16_e32 v3, 3, v8
	v_subrev_u32_e32 v7, 28, v6
	v_and_b32_e32 v3, 15, v3
	v_lshlrev_b32_e32 v7, v7, v8
	v_sub_u32_e32 v6, 29, v6
	v_and_b32_e32 v7, 7, v7
	v_cmp_eq_u16_e32 vcc, 0, v3
	v_cndmask_b32_e32 v2, v2, v7, vcc
	v_cndmask_b32_e32 v3, v3, v6, vcc
	v_lshlrev_b32_e32 v6, 24, v8
	v_mov_b32_e32 v7, 0x3b800000
	v_lshlrev_b32_e32 v2, 20, v2
	v_and_b32_e32 v6, 0x80000000, v6
	v_lshl_add_u32 v3, v3, 23, v7
	v_or3_b32 v2, v6, v3, v2
.LBB10_1348:
	s_or_b64 exec, exec, s[6:7]
	s_movk_i32 s4, 0x7f
	v_cmp_gt_i16_sdwa s[6:7], v4, s4 src0_sel:BYTE_0 src1_sel:DWORD
	s_mov_b64 s[4:5], 0
                                        ; implicit-def: $sgpr10
	s_and_saveexec_b64 s[8:9], s[6:7]
	s_xor_b64 s[6:7], exec, s[8:9]
	s_cbranch_execnz .LBB10_3397
; %bb.1349:
	s_or_saveexec_b64 s[6:7], s[6:7]
	v_mov_b32_e32 v3, s10
	s_xor_b64 exec, exec, s[6:7]
	s_cbranch_execnz .LBB10_3400
.LBB10_1350:
	s_or_b64 exec, exec, s[6:7]
	s_and_saveexec_b64 s[6:7], s[4:5]
	s_cbranch_execz .LBB10_1352
.LBB10_1351:
	v_and_b32_e32 v3, 7, v4
	v_ffbh_u32_e32 v7, v3
	v_min_u32_e32 v7, 32, v7
	v_lshrrev_b16_e32 v6, 3, v4
	v_subrev_u32_e32 v12, 28, v7
	v_and_b32_e32 v6, 15, v6
	v_lshlrev_b32_e32 v12, v12, v4
	v_sub_u32_e32 v7, 29, v7
	v_and_b32_e32 v12, 7, v12
	v_cmp_eq_u16_e32 vcc, 0, v6
	v_cndmask_b32_e32 v3, v3, v12, vcc
	v_cndmask_b32_e32 v6, v6, v7, vcc
	v_lshlrev_b32_e32 v7, 24, v4
	v_mov_b32_e32 v12, 0x3b800000
	v_lshlrev_b32_e32 v3, 20, v3
	v_and_b32_e32 v7, 0x80000000, v7
	v_lshl_add_u32 v6, v6, 23, v12
	v_or3_b32 v3, v7, v6, v3
.LBB10_1352:
	s_or_b64 exec, exec, s[6:7]
	s_nop 0
	v_mfma_f32_16x16x4f32 a[0:3], v2, v3, a[0:3]
	v_lshrrev_b32_e32 v3, 8, v8
	s_movk_i32 s4, 0x7f
	v_cmp_gt_i16_sdwa s[6:7], v3, s4 src0_sel:BYTE_0 src1_sel:DWORD
	s_mov_b64 s[4:5], 0
                                        ; implicit-def: $sgpr10
	s_and_saveexec_b64 s[8:9], s[6:7]
	s_xor_b64 s[6:7], exec, s[8:9]
	s_cbranch_execnz .LBB10_3401
; %bb.1353:
	s_or_saveexec_b64 s[6:7], s[6:7]
	v_mov_b32_e32 v2, s10
	s_xor_b64 exec, exec, s[6:7]
	s_cbranch_execnz .LBB10_3404
.LBB10_1354:
	s_or_b64 exec, exec, s[6:7]
	s_and_saveexec_b64 s[6:7], s[4:5]
	s_cbranch_execz .LBB10_1356
.LBB10_1355:
	v_bfe_u32 v2, v8, 8, 3
	v_ffbh_u32_e32 v7, v2
	v_min_u32_e32 v7, 32, v7
	v_lshrrev_b16_e32 v6, 3, v3
	v_subrev_u32_e32 v12, 28, v7
	v_and_b32_e32 v6, 15, v6
	v_lshlrev_b32_e32 v3, v12, v3
	v_sub_u32_e32 v7, 29, v7
	v_and_b32_e32 v3, 7, v3
	v_cmp_eq_u16_e32 vcc, 0, v6
	v_cndmask_b32_e32 v2, v2, v3, vcc
	v_cndmask_b32_e32 v3, v6, v7, vcc
	v_lshlrev_b32_e32 v6, 16, v8
	v_mov_b32_e32 v7, 0x3b800000
	v_lshlrev_b32_e32 v2, 20, v2
	v_and_b32_e32 v6, 0x80000000, v6
	v_lshl_add_u32 v3, v3, 23, v7
	v_or3_b32 v2, v6, v3, v2
.LBB10_1356:
	s_or_b64 exec, exec, s[6:7]
	v_lshrrev_b32_e32 v3, 8, v4
	s_movk_i32 s4, 0x7f
	v_cmp_gt_i16_sdwa s[6:7], v3, s4 src0_sel:BYTE_0 src1_sel:DWORD
	s_mov_b64 s[4:5], 0
                                        ; implicit-def: $sgpr10
	s_and_saveexec_b64 s[8:9], s[6:7]
	s_xor_b64 s[6:7], exec, s[8:9]
	s_cbranch_execnz .LBB10_3405
; %bb.1357:
	s_or_saveexec_b64 s[6:7], s[6:7]
	v_mov_b32_e32 v6, s10
	s_xor_b64 exec, exec, s[6:7]
	s_cbranch_execnz .LBB10_3408
.LBB10_1358:
	s_or_b64 exec, exec, s[6:7]
	s_and_saveexec_b64 s[6:7], s[4:5]
	s_cbranch_execz .LBB10_1360
.LBB10_1359:
	v_bfe_u32 v6, v4, 8, 3
	v_ffbh_u32_e32 v12, v6
	v_min_u32_e32 v12, 32, v12
	v_lshrrev_b16_e32 v7, 3, v3
	v_subrev_u32_e32 v13, 28, v12
	v_and_b32_e32 v7, 15, v7
	v_lshlrev_b32_e32 v3, v13, v3
	v_sub_u32_e32 v12, 29, v12
	v_and_b32_e32 v3, 7, v3
	v_cmp_eq_u16_e32 vcc, 0, v7
	v_cndmask_b32_e32 v3, v6, v3, vcc
	v_cndmask_b32_e32 v6, v7, v12, vcc
	v_lshlrev_b32_e32 v7, 16, v4
	v_mov_b32_e32 v12, 0x3b800000
	v_lshlrev_b32_e32 v3, 20, v3
	v_and_b32_e32 v7, 0x80000000, v7
	v_lshl_add_u32 v6, v6, 23, v12
	v_or3_b32 v6, v7, v6, v3
.LBB10_1360:
	s_or_b64 exec, exec, s[6:7]
	s_nop 0
	v_mfma_f32_16x16x4f32 a[0:3], v2, v6, a[0:3]
	s_movk_i32 s4, 0xff
	v_and_b32_sdwa v3, v8, s4 dst_sel:DWORD dst_unused:UNUSED_PAD src0_sel:WORD_1 src1_sel:DWORD
	s_movk_i32 s4, 0x7f
	v_cmp_lt_i16_e32 vcc, s4, v3
	s_mov_b64 s[4:5], 0
                                        ; implicit-def: $sgpr10
	s_and_saveexec_b64 s[6:7], vcc
	s_xor_b64 s[6:7], exec, s[6:7]
	s_cbranch_execnz .LBB10_3409
; %bb.1361:
	s_or_saveexec_b64 s[6:7], s[6:7]
	v_mov_b32_e32 v2, s10
	s_xor_b64 exec, exec, s[6:7]
	s_cbranch_execnz .LBB10_3412
.LBB10_1362:
	s_or_b64 exec, exec, s[6:7]
	s_and_saveexec_b64 s[6:7], s[4:5]
	s_cbranch_execz .LBB10_1364
.LBB10_1363:
	v_bfe_u32 v2, v8, 16, 3
	v_ffbh_u32_e32 v7, v2
	v_min_u32_e32 v7, 32, v7
	v_lshrrev_b32_e32 v3, 19, v8
	v_subrev_u32_e32 v12, 28, v7
	v_and_b32_e32 v3, 15, v3
	v_lshlrev_b32_sdwa v12, v12, v8 dst_sel:DWORD dst_unused:UNUSED_PAD src0_sel:DWORD src1_sel:WORD_1
	v_bfe_u32 v6, v8, 19, 4
	v_sub_u32_e32 v7, 29, v7
	v_and_b32_e32 v12, 7, v12
	v_cmp_eq_u16_e32 vcc, 0, v3
	v_cndmask_b32_e32 v2, v2, v12, vcc
	v_cndmask_b32_e32 v3, v6, v7, vcc
	v_lshlrev_b32_e32 v6, 8, v8
	v_mov_b32_e32 v7, 0x3b800000
	v_lshlrev_b32_e32 v2, 20, v2
	v_and_b32_e32 v6, 0x80000000, v6
	v_lshl_add_u32 v3, v3, 23, v7
	v_or3_b32 v2, v6, v3, v2
.LBB10_1364:
	s_or_b64 exec, exec, s[6:7]
	s_movk_i32 s4, 0xff
	v_and_b32_sdwa v3, v4, s4 dst_sel:DWORD dst_unused:UNUSED_PAD src0_sel:WORD_1 src1_sel:DWORD
	s_movk_i32 s4, 0x7f
	v_cmp_lt_i16_e32 vcc, s4, v3
	s_mov_b64 s[4:5], 0
                                        ; implicit-def: $sgpr10
	s_and_saveexec_b64 s[6:7], vcc
	s_xor_b64 s[6:7], exec, s[6:7]
	s_cbranch_execnz .LBB10_3413
; %bb.1365:
	s_or_saveexec_b64 s[6:7], s[6:7]
	v_mov_b32_e32 v6, s10
	s_xor_b64 exec, exec, s[6:7]
	s_cbranch_execnz .LBB10_3416
.LBB10_1366:
	s_or_b64 exec, exec, s[6:7]
	s_and_saveexec_b64 s[6:7], s[4:5]
	s_cbranch_execz .LBB10_1368
.LBB10_1367:
	v_bfe_u32 v3, v4, 16, 3
	v_ffbh_u32_e32 v12, v3
	v_min_u32_e32 v12, 32, v12
	v_lshrrev_b32_e32 v6, 19, v4
	v_subrev_u32_e32 v13, 28, v12
	v_and_b32_e32 v6, 15, v6
	v_lshlrev_b32_sdwa v13, v13, v4 dst_sel:DWORD dst_unused:UNUSED_PAD src0_sel:DWORD src1_sel:WORD_1
	v_bfe_u32 v7, v4, 19, 4
	v_sub_u32_e32 v12, 29, v12
	v_and_b32_e32 v13, 7, v13
	v_cmp_eq_u16_e32 vcc, 0, v6
	v_cndmask_b32_e32 v3, v3, v13, vcc
	v_cndmask_b32_e32 v6, v7, v12, vcc
	v_lshlrev_b32_e32 v7, 8, v4
	v_mov_b32_e32 v12, 0x3b800000
	v_lshlrev_b32_e32 v3, 20, v3
	v_and_b32_e32 v7, 0x80000000, v7
	v_lshl_add_u32 v6, v6, 23, v12
	v_or3_b32 v6, v7, v6, v3
.LBB10_1368:
	s_or_b64 exec, exec, s[6:7]
	s_nop 0
	v_mfma_f32_16x16x4f32 a[0:3], v2, v6, a[0:3]
	s_movk_i32 s4, 0x7f
	v_cmp_gt_i16_sdwa s[6:7], v8, s4 src0_sel:BYTE_3 src1_sel:DWORD
	s_mov_b64 s[4:5], 0
                                        ; implicit-def: $sgpr10
	s_and_saveexec_b64 s[8:9], s[6:7]
	s_xor_b64 s[6:7], exec, s[8:9]
	s_cbranch_execnz .LBB10_3417
; %bb.1369:
	s_or_saveexec_b64 s[6:7], s[6:7]
	v_mov_b32_e32 v2, s10
	s_xor_b64 exec, exec, s[6:7]
	s_cbranch_execnz .LBB10_3420
.LBB10_1370:
	s_or_b64 exec, exec, s[6:7]
	s_and_saveexec_b64 s[6:7], s[4:5]
	s_cbranch_execz .LBB10_1372
.LBB10_1371:
	v_bfe_u32 v2, v8, 24, 3
	v_ffbh_u32_e32 v12, v2
	v_min_u32_e32 v12, 32, v12
	v_lshrrev_b32_e32 v6, 27, v8
	v_subrev_u32_e32 v13, 28, v12
	v_and_b32_e32 v3, 0x80000000, v8
	v_and_b32_e32 v6, 15, v6
	v_bfe_u32 v7, v8, 27, 4
	v_lshlrev_b32_sdwa v8, v13, v8 dst_sel:DWORD dst_unused:UNUSED_PAD src0_sel:DWORD src1_sel:BYTE_3
	v_sub_u32_e32 v12, 29, v12
	v_and_b32_e32 v8, 7, v8
	v_cmp_eq_u16_e32 vcc, 0, v6
	v_cndmask_b32_e32 v2, v2, v8, vcc
	v_cndmask_b32_e32 v6, v7, v12, vcc
	v_mov_b32_e32 v7, 0x3b800000
	v_lshlrev_b32_e32 v2, 20, v2
	v_lshl_add_u32 v6, v6, 23, v7
	v_or3_b32 v2, v3, v6, v2
.LBB10_1372:
	s_or_b64 exec, exec, s[6:7]
	s_movk_i32 s4, 0x7f
	v_cmp_gt_i16_sdwa s[6:7], v4, s4 src0_sel:BYTE_3 src1_sel:DWORD
	s_mov_b64 s[4:5], 0
                                        ; implicit-def: $sgpr10
	s_and_saveexec_b64 s[8:9], s[6:7]
	s_xor_b64 s[6:7], exec, s[8:9]
	s_cbranch_execnz .LBB10_3421
; %bb.1373:
	s_or_saveexec_b64 s[6:7], s[6:7]
	v_mov_b32_e32 v3, s10
	s_xor_b64 exec, exec, s[6:7]
	s_cbranch_execnz .LBB10_3424
.LBB10_1374:
	s_or_b64 exec, exec, s[6:7]
	s_and_saveexec_b64 s[6:7], s[4:5]
	s_cbranch_execz .LBB10_1376
.LBB10_1375:
	v_bfe_u32 v3, v4, 24, 3
	v_ffbh_u32_e32 v12, v3
	v_min_u32_e32 v12, 32, v12
	v_lshrrev_b32_e32 v7, 27, v4
	v_subrev_u32_e32 v13, 28, v12
	v_and_b32_e32 v6, 0x80000000, v4
	v_and_b32_e32 v7, 15, v7
	v_bfe_u32 v8, v4, 27, 4
	v_lshlrev_b32_sdwa v4, v13, v4 dst_sel:DWORD dst_unused:UNUSED_PAD src0_sel:DWORD src1_sel:BYTE_3
	v_sub_u32_e32 v12, 29, v12
	v_and_b32_e32 v4, 7, v4
	v_cmp_eq_u16_e32 vcc, 0, v7
	v_cndmask_b32_e32 v3, v3, v4, vcc
	v_cndmask_b32_e32 v4, v8, v12, vcc
	v_mov_b32_e32 v7, 0x3b800000
	v_lshlrev_b32_e32 v3, 20, v3
	v_lshl_add_u32 v4, v4, 23, v7
	v_or3_b32 v3, v6, v4, v3
.LBB10_1376:
	s_or_b64 exec, exec, s[6:7]
	s_nop 0
	v_mfma_f32_16x16x4f32 a[0:3], v2, v3, a[0:3]
	s_movk_i32 s4, 0x7f
	v_cmp_gt_i16_sdwa s[6:7], v9, s4 src0_sel:BYTE_0 src1_sel:DWORD
	s_mov_b64 s[4:5], 0
                                        ; implicit-def: $sgpr10
	s_and_saveexec_b64 s[8:9], s[6:7]
	s_xor_b64 s[6:7], exec, s[8:9]
	s_cbranch_execnz .LBB10_3425
; %bb.1377:
	s_or_saveexec_b64 s[6:7], s[6:7]
	v_mov_b32_e32 v2, s10
	s_xor_b64 exec, exec, s[6:7]
	s_cbranch_execnz .LBB10_3428
.LBB10_1378:
	s_or_b64 exec, exec, s[6:7]
	s_and_saveexec_b64 s[6:7], s[4:5]
	s_cbranch_execz .LBB10_1380
.LBB10_1379:
	v_mov_b32_e32 v2, 8
	v_and_b32_e32 v3, 7, v9
	v_lshrrev_b32_sdwa v2, v2, v9 dst_sel:BYTE_1 dst_unused:UNUSED_PAD src0_sel:DWORD src1_sel:DWORD
	v_ffbh_u32_e32 v4, v3
	v_or_b32_sdwa v2, v9, v2 dst_sel:DWORD dst_unused:UNUSED_PAD src0_sel:BYTE_0 src1_sel:DWORD
	v_min_u32_e32 v4, 32, v4
	v_lshrrev_b16_e32 v2, 3, v2
	v_subrev_u32_e32 v6, 28, v4
	v_and_b32_e32 v2, 15, v2
	v_lshlrev_b32_e32 v6, v6, v9
	v_sub_u32_e32 v4, 29, v4
	v_and_b32_e32 v6, 7, v6
	v_cmp_eq_u16_e32 vcc, 0, v2
	v_cndmask_b32_e32 v3, v3, v6, vcc
	v_cndmask_b32_e32 v2, v2, v4, vcc
	v_lshlrev_b32_e32 v4, 24, v9
	v_mov_b32_e32 v6, 0x3b800000
	v_lshlrev_b32_e32 v3, 20, v3
	v_and_b32_e32 v4, 0x80000000, v4
	v_lshl_add_u32 v2, v2, 23, v6
	v_or3_b32 v2, v4, v2, v3
.LBB10_1380:
	s_or_b64 exec, exec, s[6:7]
	s_movk_i32 s4, 0x7f
	v_cmp_gt_i16_sdwa s[6:7], v5, s4 src0_sel:BYTE_0 src1_sel:DWORD
	s_mov_b64 s[4:5], 0
                                        ; implicit-def: $sgpr10
	s_and_saveexec_b64 s[8:9], s[6:7]
	s_xor_b64 s[6:7], exec, s[8:9]
	s_cbranch_execnz .LBB10_3429
; %bb.1381:
	s_or_saveexec_b64 s[6:7], s[6:7]
	v_mov_b32_e32 v3, s10
	s_xor_b64 exec, exec, s[6:7]
	s_cbranch_execnz .LBB10_3432
.LBB10_1382:
	s_or_b64 exec, exec, s[6:7]
	s_and_saveexec_b64 s[6:7], s[4:5]
	s_cbranch_execz .LBB10_1384
.LBB10_1383:
	v_mov_b32_e32 v3, 8
	v_and_b32_e32 v4, 7, v5
	v_lshrrev_b32_sdwa v3, v3, v5 dst_sel:BYTE_1 dst_unused:UNUSED_PAD src0_sel:DWORD src1_sel:DWORD
	v_ffbh_u32_e32 v6, v4
	v_or_b32_sdwa v3, v5, v3 dst_sel:DWORD dst_unused:UNUSED_PAD src0_sel:BYTE_0 src1_sel:DWORD
	v_min_u32_e32 v6, 32, v6
	v_lshrrev_b16_e32 v3, 3, v3
	v_subrev_u32_e32 v7, 28, v6
	v_and_b32_e32 v3, 15, v3
	v_lshlrev_b32_e32 v7, v7, v5
	v_sub_u32_e32 v6, 29, v6
	v_and_b32_e32 v7, 7, v7
	v_cmp_eq_u16_e32 vcc, 0, v3
	v_cndmask_b32_e32 v4, v4, v7, vcc
	v_cndmask_b32_e32 v3, v3, v6, vcc
	v_lshlrev_b32_e32 v6, 24, v5
	v_mov_b32_e32 v7, 0x3b800000
	v_lshlrev_b32_e32 v4, 20, v4
	v_and_b32_e32 v6, 0x80000000, v6
	v_lshl_add_u32 v3, v3, 23, v7
	v_or3_b32 v3, v6, v3, v4
.LBB10_1384:
	s_or_b64 exec, exec, s[6:7]
	s_nop 0
	v_mfma_f32_16x16x4f32 a[0:3], v2, v3, a[0:3]
	v_lshrrev_b32_e32 v3, 8, v9
	s_movk_i32 s4, 0x7f
	v_cmp_gt_i16_sdwa s[6:7], v3, s4 src0_sel:BYTE_0 src1_sel:DWORD
	s_mov_b64 s[4:5], 0
                                        ; implicit-def: $sgpr10
	s_and_saveexec_b64 s[8:9], s[6:7]
	s_xor_b64 s[6:7], exec, s[8:9]
	s_cbranch_execnz .LBB10_3433
; %bb.1385:
	s_or_saveexec_b64 s[6:7], s[6:7]
	v_mov_b32_e32 v2, s10
	s_xor_b64 exec, exec, s[6:7]
	s_cbranch_execnz .LBB10_3436
.LBB10_1386:
	s_or_b64 exec, exec, s[6:7]
	s_and_saveexec_b64 s[6:7], s[4:5]
	s_cbranch_execz .LBB10_1388
.LBB10_1387:
	v_bfe_u32 v2, v9, 8, 3
	v_ffbh_u32_e32 v6, v2
	v_min_u32_e32 v6, 32, v6
	v_lshrrev_b16_e32 v4, 3, v3
	v_subrev_u32_e32 v7, 28, v6
	v_and_b32_e32 v4, 15, v4
	v_lshlrev_b32_e32 v3, v7, v3
	v_sub_u32_e32 v6, 29, v6
	v_and_b32_e32 v3, 7, v3
	v_cmp_eq_u16_e32 vcc, 0, v4
	v_cndmask_b32_e32 v2, v2, v3, vcc
	v_cndmask_b32_e32 v3, v4, v6, vcc
	v_lshlrev_b32_e32 v4, 16, v9
	v_mov_b32_e32 v6, 0x3b800000
	v_lshlrev_b32_e32 v2, 20, v2
	v_and_b32_e32 v4, 0x80000000, v4
	v_lshl_add_u32 v3, v3, 23, v6
	v_or3_b32 v2, v4, v3, v2
.LBB10_1388:
	s_or_b64 exec, exec, s[6:7]
	v_lshrrev_b32_e32 v3, 8, v5
	s_movk_i32 s4, 0x7f
	v_cmp_gt_i16_sdwa s[6:7], v3, s4 src0_sel:BYTE_0 src1_sel:DWORD
	s_mov_b64 s[4:5], 0
                                        ; implicit-def: $sgpr10
	s_and_saveexec_b64 s[8:9], s[6:7]
	s_xor_b64 s[6:7], exec, s[8:9]
	s_cbranch_execnz .LBB10_3437
; %bb.1389:
	s_or_saveexec_b64 s[6:7], s[6:7]
	v_mov_b32_e32 v4, s10
	s_xor_b64 exec, exec, s[6:7]
	s_cbranch_execnz .LBB10_3440
.LBB10_1390:
	s_or_b64 exec, exec, s[6:7]
	s_and_saveexec_b64 s[6:7], s[4:5]
	s_cbranch_execz .LBB10_1392
.LBB10_1391:
	v_bfe_u32 v4, v5, 8, 3
	v_ffbh_u32_e32 v7, v4
	v_min_u32_e32 v7, 32, v7
	v_lshrrev_b16_e32 v6, 3, v3
	v_subrev_u32_e32 v8, 28, v7
	v_and_b32_e32 v6, 15, v6
	v_lshlrev_b32_e32 v3, v8, v3
	v_sub_u32_e32 v7, 29, v7
	v_and_b32_e32 v3, 7, v3
	v_cmp_eq_u16_e32 vcc, 0, v6
	v_cndmask_b32_e32 v3, v4, v3, vcc
	v_cndmask_b32_e32 v4, v6, v7, vcc
	v_lshlrev_b32_e32 v6, 16, v5
	v_mov_b32_e32 v7, 0x3b800000
	v_lshlrev_b32_e32 v3, 20, v3
	v_and_b32_e32 v6, 0x80000000, v6
	v_lshl_add_u32 v4, v4, 23, v7
	v_or3_b32 v4, v6, v4, v3
.LBB10_1392:
	s_or_b64 exec, exec, s[6:7]
	s_nop 0
	v_mfma_f32_16x16x4f32 a[0:3], v2, v4, a[0:3]
	s_movk_i32 s4, 0xff
	v_and_b32_sdwa v3, v9, s4 dst_sel:DWORD dst_unused:UNUSED_PAD src0_sel:WORD_1 src1_sel:DWORD
	s_movk_i32 s4, 0x7f
	v_cmp_lt_i16_e32 vcc, s4, v3
	s_mov_b64 s[4:5], 0
                                        ; implicit-def: $sgpr10
	s_and_saveexec_b64 s[6:7], vcc
	s_xor_b64 s[6:7], exec, s[6:7]
	s_cbranch_execnz .LBB10_3441
; %bb.1393:
	s_or_saveexec_b64 s[6:7], s[6:7]
	v_mov_b32_e32 v2, s10
	s_xor_b64 exec, exec, s[6:7]
	s_cbranch_execnz .LBB10_3444
.LBB10_1394:
	s_or_b64 exec, exec, s[6:7]
	s_and_saveexec_b64 s[6:7], s[4:5]
	s_cbranch_execz .LBB10_1396
.LBB10_1395:
	v_bfe_u32 v2, v9, 16, 3
	v_ffbh_u32_e32 v6, v2
	v_min_u32_e32 v6, 32, v6
	v_lshrrev_b32_e32 v3, 19, v9
	v_subrev_u32_e32 v7, 28, v6
	v_and_b32_e32 v3, 15, v3
	v_lshlrev_b32_sdwa v7, v7, v9 dst_sel:DWORD dst_unused:UNUSED_PAD src0_sel:DWORD src1_sel:WORD_1
	v_bfe_u32 v4, v9, 19, 4
	v_sub_u32_e32 v6, 29, v6
	v_and_b32_e32 v7, 7, v7
	v_cmp_eq_u16_e32 vcc, 0, v3
	v_cndmask_b32_e32 v2, v2, v7, vcc
	v_cndmask_b32_e32 v3, v4, v6, vcc
	v_lshlrev_b32_e32 v4, 8, v9
	v_mov_b32_e32 v6, 0x3b800000
	v_lshlrev_b32_e32 v2, 20, v2
	v_and_b32_e32 v4, 0x80000000, v4
	v_lshl_add_u32 v3, v3, 23, v6
	v_or3_b32 v2, v4, v3, v2
.LBB10_1396:
	s_or_b64 exec, exec, s[6:7]
	s_movk_i32 s4, 0xff
	v_and_b32_sdwa v3, v5, s4 dst_sel:DWORD dst_unused:UNUSED_PAD src0_sel:WORD_1 src1_sel:DWORD
	s_movk_i32 s4, 0x7f
	v_cmp_lt_i16_e32 vcc, s4, v3
	s_mov_b64 s[4:5], 0
                                        ; implicit-def: $sgpr10
	s_and_saveexec_b64 s[6:7], vcc
	s_xor_b64 s[6:7], exec, s[6:7]
	s_cbranch_execnz .LBB10_3445
; %bb.1397:
	s_or_saveexec_b64 s[6:7], s[6:7]
	v_mov_b32_e32 v4, s10
	s_xor_b64 exec, exec, s[6:7]
	s_cbranch_execnz .LBB10_3448
.LBB10_1398:
	s_or_b64 exec, exec, s[6:7]
	s_and_saveexec_b64 s[6:7], s[4:5]
	s_cbranch_execz .LBB10_1400
.LBB10_1399:
	v_bfe_u32 v3, v5, 16, 3
	v_ffbh_u32_e32 v7, v3
	v_min_u32_e32 v7, 32, v7
	v_lshrrev_b32_e32 v4, 19, v5
	v_subrev_u32_e32 v8, 28, v7
	v_and_b32_e32 v4, 15, v4
	v_lshlrev_b32_sdwa v8, v8, v5 dst_sel:DWORD dst_unused:UNUSED_PAD src0_sel:DWORD src1_sel:WORD_1
	v_bfe_u32 v6, v5, 19, 4
	v_sub_u32_e32 v7, 29, v7
	v_and_b32_e32 v8, 7, v8
	v_cmp_eq_u16_e32 vcc, 0, v4
	v_cndmask_b32_e32 v3, v3, v8, vcc
	v_cndmask_b32_e32 v4, v6, v7, vcc
	v_lshlrev_b32_e32 v6, 8, v5
	v_mov_b32_e32 v7, 0x3b800000
	v_lshlrev_b32_e32 v3, 20, v3
	v_and_b32_e32 v6, 0x80000000, v6
	v_lshl_add_u32 v4, v4, 23, v7
	v_or3_b32 v4, v6, v4, v3
.LBB10_1400:
	s_or_b64 exec, exec, s[6:7]
	s_nop 0
	v_mfma_f32_16x16x4f32 a[0:3], v2, v4, a[0:3]
	s_movk_i32 s4, 0x7f
	v_cmp_gt_i16_sdwa s[6:7], v9, s4 src0_sel:BYTE_3 src1_sel:DWORD
	s_mov_b64 s[4:5], 0
                                        ; implicit-def: $sgpr10
	s_and_saveexec_b64 s[8:9], s[6:7]
	s_xor_b64 s[6:7], exec, s[8:9]
	s_cbranch_execnz .LBB10_3449
; %bb.1401:
	s_or_saveexec_b64 s[6:7], s[6:7]
	v_mov_b32_e32 v2, s10
	s_xor_b64 exec, exec, s[6:7]
	s_cbranch_execnz .LBB10_3452
.LBB10_1402:
	s_or_b64 exec, exec, s[6:7]
	s_and_saveexec_b64 s[6:7], s[4:5]
	s_cbranch_execz .LBB10_1404
.LBB10_1403:
	v_bfe_u32 v2, v9, 24, 3
	v_ffbh_u32_e32 v7, v2
	v_min_u32_e32 v7, 32, v7
	v_lshrrev_b32_e32 v4, 27, v9
	v_subrev_u32_e32 v8, 28, v7
	v_and_b32_e32 v4, 15, v4
	v_lshlrev_b32_sdwa v8, v8, v9 dst_sel:DWORD dst_unused:UNUSED_PAD src0_sel:DWORD src1_sel:BYTE_3
	v_bfe_u32 v6, v9, 27, 4
	v_sub_u32_e32 v7, 29, v7
	v_and_b32_e32 v8, 7, v8
	v_cmp_eq_u16_e32 vcc, 0, v4
	v_cndmask_b32_e32 v2, v2, v8, vcc
	v_cndmask_b32_e32 v4, v6, v7, vcc
	v_mov_b32_e32 v6, 0x3b800000
	v_and_b32_e32 v3, 0x80000000, v9
	v_lshlrev_b32_e32 v2, 20, v2
	v_lshl_add_u32 v4, v4, 23, v6
	v_or3_b32 v2, v3, v4, v2
.LBB10_1404:
	s_or_b64 exec, exec, s[6:7]
	s_movk_i32 s4, 0x7f
	v_cmp_gt_i16_sdwa s[6:7], v5, s4 src0_sel:BYTE_3 src1_sel:DWORD
	s_mov_b64 s[4:5], 0
                                        ; implicit-def: $sgpr10
	s_and_saveexec_b64 s[8:9], s[6:7]
	s_xor_b64 s[6:7], exec, s[8:9]
	s_cbranch_execnz .LBB10_3453
; %bb.1405:
	s_or_saveexec_b64 s[6:7], s[6:7]
	v_mov_b32_e32 v3, s10
	s_xor_b64 exec, exec, s[6:7]
	s_cbranch_execnz .LBB10_3456
.LBB10_1406:
	s_or_b64 exec, exec, s[6:7]
	s_and_saveexec_b64 s[6:7], s[4:5]
	s_cbranch_execz .LBB10_1408
.LBB10_1407:
	v_bfe_u32 v3, v5, 24, 3
	v_ffbh_u32_e32 v8, v3
	v_min_u32_e32 v8, 32, v8
	v_lshrrev_b32_e32 v6, 27, v5
	v_subrev_u32_e32 v9, 28, v8
	v_and_b32_e32 v4, 0x80000000, v5
	v_and_b32_e32 v6, 15, v6
	v_bfe_u32 v7, v5, 27, 4
	v_lshlrev_b32_sdwa v5, v9, v5 dst_sel:DWORD dst_unused:UNUSED_PAD src0_sel:DWORD src1_sel:BYTE_3
	v_sub_u32_e32 v8, 29, v8
	v_and_b32_e32 v5, 7, v5
	v_cmp_eq_u16_e32 vcc, 0, v6
	v_cndmask_b32_e32 v3, v3, v5, vcc
	v_cndmask_b32_e32 v5, v7, v8, vcc
	v_mov_b32_e32 v6, 0x3b800000
	v_lshlrev_b32_e32 v3, 20, v3
	v_lshl_add_u32 v5, v5, 23, v6
	v_or3_b32 v3, v4, v5, v3
.LBB10_1408:
	s_or_b64 exec, exec, s[6:7]
	s_nop 0
	v_mfma_f32_16x16x4f32 a[0:3], v2, v3, a[0:3]
	s_movk_i32 s4, 0x7f
                                        ; implicit-def: $sgpr10
	s_nop 7
	s_nop 1
	flat_store_dwordx4 v[10:11], a[0:3] offset:160
	flat_load_dwordx4 v[12:15], v[0:1] offset:8
	s_nop 0
	flat_load_dwordx2 v[10:11], v[0:1] offset:32
	s_waitcnt vmcnt(0) lgkmcnt(0)
	flat_load_dwordx4 v[6:9], v[12:13] offset:64
	flat_load_dwordx4 v[2:5], v[14:15] offset:96
	s_waitcnt vmcnt(0) lgkmcnt(0)
	v_cmp_gt_i16_sdwa s[6:7], v6, s4 src0_sel:BYTE_0 src1_sel:DWORD
	s_mov_b64 s[4:5], 0
	s_and_saveexec_b64 s[8:9], s[6:7]
	s_xor_b64 s[6:7], exec, s[8:9]
	s_cbranch_execnz .LBB10_3457
; %bb.1409:
	s_or_saveexec_b64 s[6:7], s[6:7]
	v_mov_b32_e32 v12, s10
	s_xor_b64 exec, exec, s[6:7]
	s_cbranch_execnz .LBB10_3460
.LBB10_1410:
	s_or_b64 exec, exec, s[6:7]
	s_and_saveexec_b64 s[6:7], s[4:5]
	s_cbranch_execz .LBB10_1412
.LBB10_1411:
	v_and_b32_e32 v12, 7, v6
	v_ffbh_u32_e32 v14, v12
	v_min_u32_e32 v14, 32, v14
	v_lshrrev_b16_e32 v13, 3, v6
	v_subrev_u32_e32 v15, 28, v14
	v_and_b32_e32 v13, 15, v13
	v_lshlrev_b32_e32 v15, v15, v6
	v_sub_u32_e32 v14, 29, v14
	v_and_b32_e32 v15, 7, v15
	v_cmp_eq_u16_e32 vcc, 0, v13
	v_cndmask_b32_e32 v12, v12, v15, vcc
	v_cndmask_b32_e32 v13, v13, v14, vcc
	v_lshlrev_b32_e32 v14, 24, v6
	v_mov_b32_e32 v15, 0x3b800000
	v_lshlrev_b32_e32 v12, 20, v12
	v_and_b32_e32 v14, 0x80000000, v14
	v_lshl_add_u32 v13, v13, 23, v15
	v_or3_b32 v12, v14, v13, v12
.LBB10_1412:
	s_or_b64 exec, exec, s[6:7]
	s_movk_i32 s4, 0x7f
	v_cmp_gt_i16_sdwa s[6:7], v2, s4 src0_sel:BYTE_0 src1_sel:DWORD
	s_mov_b64 s[4:5], 0
                                        ; implicit-def: $sgpr10
	s_and_saveexec_b64 s[8:9], s[6:7]
	s_xor_b64 s[6:7], exec, s[8:9]
	s_cbranch_execnz .LBB10_3461
; %bb.1413:
	s_or_saveexec_b64 s[6:7], s[6:7]
	v_mov_b32_e32 v13, s10
	s_xor_b64 exec, exec, s[6:7]
	s_cbranch_execnz .LBB10_3464
.LBB10_1414:
	s_or_b64 exec, exec, s[6:7]
	s_and_saveexec_b64 s[6:7], s[4:5]
	s_cbranch_execz .LBB10_1416
.LBB10_1415:
	v_and_b32_e32 v13, 7, v2
	v_ffbh_u32_e32 v15, v13
	v_min_u32_e32 v15, 32, v15
	v_lshrrev_b16_e32 v14, 3, v2
	v_subrev_u32_e32 v16, 28, v15
	v_and_b32_e32 v14, 15, v14
	v_lshlrev_b32_e32 v16, v16, v2
	v_sub_u32_e32 v15, 29, v15
	v_and_b32_e32 v16, 7, v16
	v_cmp_eq_u16_e32 vcc, 0, v14
	v_cndmask_b32_e32 v13, v13, v16, vcc
	v_cndmask_b32_e32 v14, v14, v15, vcc
	v_lshlrev_b32_e32 v15, 24, v2
	v_mov_b32_e32 v16, 0x3b800000
	v_lshlrev_b32_e32 v13, 20, v13
	v_and_b32_e32 v15, 0x80000000, v15
	v_lshl_add_u32 v14, v14, 23, v16
	v_or3_b32 v13, v15, v14, v13
.LBB10_1416:
	s_or_b64 exec, exec, s[6:7]
	flat_load_dwordx4 a[0:3], v[10:11] offset:176
	s_movk_i32 s4, 0x7f
                                        ; implicit-def: $sgpr10
	s_waitcnt vmcnt(0) lgkmcnt(0)
	v_mfma_f32_16x16x4f32 a[0:3], v12, v13, a[0:3]
	v_lshrrev_b32_e32 v13, 8, v6
	v_cmp_gt_i16_sdwa s[6:7], v13, s4 src0_sel:BYTE_0 src1_sel:DWORD
	s_mov_b64 s[4:5], 0
	s_and_saveexec_b64 s[8:9], s[6:7]
	s_xor_b64 s[6:7], exec, s[8:9]
	s_cbranch_execnz .LBB10_3465
; %bb.1417:
	s_or_saveexec_b64 s[6:7], s[6:7]
	v_mov_b32_e32 v12, s10
	s_xor_b64 exec, exec, s[6:7]
	s_cbranch_execnz .LBB10_3468
.LBB10_1418:
	s_or_b64 exec, exec, s[6:7]
	s_and_saveexec_b64 s[6:7], s[4:5]
	s_cbranch_execz .LBB10_1420
.LBB10_1419:
	v_bfe_u32 v12, v6, 8, 3
	v_ffbh_u32_e32 v15, v12
	v_min_u32_e32 v15, 32, v15
	v_lshrrev_b16_e32 v14, 3, v13
	v_subrev_u32_e32 v16, 28, v15
	v_and_b32_e32 v14, 15, v14
	v_lshlrev_b32_e32 v13, v16, v13
	v_sub_u32_e32 v15, 29, v15
	v_and_b32_e32 v13, 7, v13
	v_cmp_eq_u16_e32 vcc, 0, v14
	v_cndmask_b32_e32 v12, v12, v13, vcc
	v_cndmask_b32_e32 v13, v14, v15, vcc
	v_lshlrev_b32_e32 v14, 16, v6
	v_mov_b32_e32 v15, 0x3b800000
	v_lshlrev_b32_e32 v12, 20, v12
	v_and_b32_e32 v14, 0x80000000, v14
	v_lshl_add_u32 v13, v13, 23, v15
	v_or3_b32 v12, v14, v13, v12
.LBB10_1420:
	s_or_b64 exec, exec, s[6:7]
	v_lshrrev_b32_e32 v13, 8, v2
	s_movk_i32 s4, 0x7f
	v_cmp_gt_i16_sdwa s[6:7], v13, s4 src0_sel:BYTE_0 src1_sel:DWORD
	s_mov_b64 s[4:5], 0
                                        ; implicit-def: $sgpr10
	s_and_saveexec_b64 s[8:9], s[6:7]
	s_xor_b64 s[6:7], exec, s[8:9]
	s_cbranch_execnz .LBB10_3469
; %bb.1421:
	s_or_saveexec_b64 s[6:7], s[6:7]
	v_mov_b32_e32 v14, s10
	s_xor_b64 exec, exec, s[6:7]
	s_cbranch_execnz .LBB10_3472
.LBB10_1422:
	s_or_b64 exec, exec, s[6:7]
	s_and_saveexec_b64 s[6:7], s[4:5]
	s_cbranch_execz .LBB10_1424
.LBB10_1423:
	v_bfe_u32 v14, v2, 8, 3
	v_ffbh_u32_e32 v16, v14
	v_min_u32_e32 v16, 32, v16
	v_lshrrev_b16_e32 v15, 3, v13
	v_subrev_u32_e32 v17, 28, v16
	v_and_b32_e32 v15, 15, v15
	v_lshlrev_b32_e32 v13, v17, v13
	v_sub_u32_e32 v16, 29, v16
	v_and_b32_e32 v13, 7, v13
	v_cmp_eq_u16_e32 vcc, 0, v15
	v_cndmask_b32_e32 v13, v14, v13, vcc
	v_cndmask_b32_e32 v14, v15, v16, vcc
	v_lshlrev_b32_e32 v15, 16, v2
	v_mov_b32_e32 v16, 0x3b800000
	v_lshlrev_b32_e32 v13, 20, v13
	v_and_b32_e32 v15, 0x80000000, v15
	v_lshl_add_u32 v14, v14, 23, v16
	v_or3_b32 v14, v15, v14, v13
.LBB10_1424:
	s_or_b64 exec, exec, s[6:7]
	s_nop 0
	v_mfma_f32_16x16x4f32 a[0:3], v12, v14, a[0:3]
	s_movk_i32 s4, 0xff
	v_and_b32_sdwa v13, v6, s4 dst_sel:DWORD dst_unused:UNUSED_PAD src0_sel:WORD_1 src1_sel:DWORD
	s_movk_i32 s4, 0x7f
	v_cmp_lt_i16_e32 vcc, s4, v13
	s_mov_b64 s[4:5], 0
                                        ; implicit-def: $sgpr10
	s_and_saveexec_b64 s[6:7], vcc
	s_xor_b64 s[6:7], exec, s[6:7]
	s_cbranch_execnz .LBB10_3473
; %bb.1425:
	s_or_saveexec_b64 s[6:7], s[6:7]
	v_mov_b32_e32 v12, s10
	s_xor_b64 exec, exec, s[6:7]
	s_cbranch_execnz .LBB10_3476
.LBB10_1426:
	s_or_b64 exec, exec, s[6:7]
	s_and_saveexec_b64 s[6:7], s[4:5]
	s_cbranch_execz .LBB10_1428
.LBB10_1427:
	v_bfe_u32 v12, v6, 16, 3
	v_ffbh_u32_e32 v15, v12
	v_min_u32_e32 v15, 32, v15
	v_lshrrev_b32_e32 v13, 19, v6
	v_subrev_u32_e32 v16, 28, v15
	v_and_b32_e32 v13, 15, v13
	v_lshlrev_b32_sdwa v16, v16, v6 dst_sel:DWORD dst_unused:UNUSED_PAD src0_sel:DWORD src1_sel:WORD_1
	v_bfe_u32 v14, v6, 19, 4
	v_sub_u32_e32 v15, 29, v15
	v_and_b32_e32 v16, 7, v16
	v_cmp_eq_u16_e32 vcc, 0, v13
	v_cndmask_b32_e32 v12, v12, v16, vcc
	v_cndmask_b32_e32 v13, v14, v15, vcc
	v_lshlrev_b32_e32 v14, 8, v6
	v_mov_b32_e32 v15, 0x3b800000
	v_lshlrev_b32_e32 v12, 20, v12
	v_and_b32_e32 v14, 0x80000000, v14
	v_lshl_add_u32 v13, v13, 23, v15
	v_or3_b32 v12, v14, v13, v12
.LBB10_1428:
	s_or_b64 exec, exec, s[6:7]
	s_movk_i32 s4, 0xff
	v_and_b32_sdwa v13, v2, s4 dst_sel:DWORD dst_unused:UNUSED_PAD src0_sel:WORD_1 src1_sel:DWORD
	s_movk_i32 s4, 0x7f
	v_cmp_lt_i16_e32 vcc, s4, v13
	s_mov_b64 s[4:5], 0
                                        ; implicit-def: $sgpr10
	s_and_saveexec_b64 s[6:7], vcc
	s_xor_b64 s[6:7], exec, s[6:7]
	s_cbranch_execnz .LBB10_3477
; %bb.1429:
	s_or_saveexec_b64 s[6:7], s[6:7]
	v_mov_b32_e32 v14, s10
	s_xor_b64 exec, exec, s[6:7]
	s_cbranch_execnz .LBB10_3480
.LBB10_1430:
	s_or_b64 exec, exec, s[6:7]
	s_and_saveexec_b64 s[6:7], s[4:5]
	s_cbranch_execz .LBB10_1432
.LBB10_1431:
	v_bfe_u32 v13, v2, 16, 3
	v_ffbh_u32_e32 v16, v13
	v_min_u32_e32 v16, 32, v16
	v_lshrrev_b32_e32 v14, 19, v2
	v_subrev_u32_e32 v17, 28, v16
	v_and_b32_e32 v14, 15, v14
	v_lshlrev_b32_sdwa v17, v17, v2 dst_sel:DWORD dst_unused:UNUSED_PAD src0_sel:DWORD src1_sel:WORD_1
	v_bfe_u32 v15, v2, 19, 4
	v_sub_u32_e32 v16, 29, v16
	v_and_b32_e32 v17, 7, v17
	v_cmp_eq_u16_e32 vcc, 0, v14
	v_cndmask_b32_e32 v13, v13, v17, vcc
	v_cndmask_b32_e32 v14, v15, v16, vcc
	v_lshlrev_b32_e32 v15, 8, v2
	v_mov_b32_e32 v16, 0x3b800000
	v_lshlrev_b32_e32 v13, 20, v13
	v_and_b32_e32 v15, 0x80000000, v15
	v_lshl_add_u32 v14, v14, 23, v16
	v_or3_b32 v14, v15, v14, v13
.LBB10_1432:
	s_or_b64 exec, exec, s[6:7]
	s_nop 0
	v_mfma_f32_16x16x4f32 a[0:3], v12, v14, a[0:3]
	s_movk_i32 s4, 0x7f
	v_cmp_gt_i16_sdwa s[6:7], v6, s4 src0_sel:BYTE_3 src1_sel:DWORD
	s_mov_b64 s[4:5], 0
                                        ; implicit-def: $sgpr10
	s_and_saveexec_b64 s[8:9], s[6:7]
	s_xor_b64 s[6:7], exec, s[8:9]
	s_cbranch_execnz .LBB10_3481
; %bb.1433:
	s_or_saveexec_b64 s[6:7], s[6:7]
	v_mov_b32_e32 v12, s10
	s_xor_b64 exec, exec, s[6:7]
	s_cbranch_execnz .LBB10_3484
.LBB10_1434:
	s_or_b64 exec, exec, s[6:7]
	s_and_saveexec_b64 s[6:7], s[4:5]
	s_cbranch_execz .LBB10_1436
.LBB10_1435:
	v_bfe_u32 v12, v6, 24, 3
	v_ffbh_u32_e32 v16, v12
	v_min_u32_e32 v16, 32, v16
	v_lshrrev_b32_e32 v14, 27, v6
	v_subrev_u32_e32 v17, 28, v16
	v_and_b32_e32 v13, 0x80000000, v6
	v_and_b32_e32 v14, 15, v14
	v_bfe_u32 v15, v6, 27, 4
	v_lshlrev_b32_sdwa v6, v17, v6 dst_sel:DWORD dst_unused:UNUSED_PAD src0_sel:DWORD src1_sel:BYTE_3
	v_sub_u32_e32 v16, 29, v16
	v_and_b32_e32 v6, 7, v6
	v_cmp_eq_u16_e32 vcc, 0, v14
	v_cndmask_b32_e32 v6, v12, v6, vcc
	v_cndmask_b32_e32 v12, v15, v16, vcc
	v_mov_b32_e32 v14, 0x3b800000
	v_lshlrev_b32_e32 v6, 20, v6
	v_lshl_add_u32 v12, v12, 23, v14
	v_or3_b32 v12, v13, v12, v6
.LBB10_1436:
	s_or_b64 exec, exec, s[6:7]
	s_movk_i32 s4, 0x7f
	v_cmp_gt_i16_sdwa s[6:7], v2, s4 src0_sel:BYTE_3 src1_sel:DWORD
	s_mov_b64 s[4:5], 0
                                        ; implicit-def: $sgpr10
	s_and_saveexec_b64 s[8:9], s[6:7]
	s_xor_b64 s[6:7], exec, s[8:9]
	s_cbranch_execnz .LBB10_3485
; %bb.1437:
	s_or_saveexec_b64 s[6:7], s[6:7]
	v_mov_b32_e32 v6, s10
	s_xor_b64 exec, exec, s[6:7]
	s_cbranch_execnz .LBB10_3488
.LBB10_1438:
	s_or_b64 exec, exec, s[6:7]
	s_and_saveexec_b64 s[6:7], s[4:5]
	s_cbranch_execz .LBB10_1440
.LBB10_1439:
	v_bfe_u32 v6, v2, 24, 3
	v_ffbh_u32_e32 v16, v6
	v_min_u32_e32 v16, 32, v16
	v_lshrrev_b32_e32 v14, 27, v2
	v_subrev_u32_e32 v17, 28, v16
	v_and_b32_e32 v13, 0x80000000, v2
	v_and_b32_e32 v14, 15, v14
	v_bfe_u32 v15, v2, 27, 4
	v_lshlrev_b32_sdwa v2, v17, v2 dst_sel:DWORD dst_unused:UNUSED_PAD src0_sel:DWORD src1_sel:BYTE_3
	v_sub_u32_e32 v16, 29, v16
	v_and_b32_e32 v2, 7, v2
	v_cmp_eq_u16_e32 vcc, 0, v14
	v_cndmask_b32_e32 v2, v6, v2, vcc
	v_cndmask_b32_e32 v6, v15, v16, vcc
	v_mov_b32_e32 v14, 0x3b800000
	v_lshlrev_b32_e32 v2, 20, v2
	v_lshl_add_u32 v6, v6, 23, v14
	v_or3_b32 v6, v13, v6, v2
.LBB10_1440:
	s_or_b64 exec, exec, s[6:7]
	s_nop 0
	v_mfma_f32_16x16x4f32 a[0:3], v12, v6, a[0:3]
	s_movk_i32 s4, 0x7f
	v_cmp_gt_i16_sdwa s[6:7], v7, s4 src0_sel:BYTE_0 src1_sel:DWORD
	s_mov_b64 s[4:5], 0
                                        ; implicit-def: $sgpr10
	s_and_saveexec_b64 s[8:9], s[6:7]
	s_xor_b64 s[6:7], exec, s[8:9]
	s_cbranch_execnz .LBB10_3489
; %bb.1441:
	s_or_saveexec_b64 s[6:7], s[6:7]
	v_mov_b32_e32 v2, s10
	s_xor_b64 exec, exec, s[6:7]
	s_cbranch_execnz .LBB10_3492
.LBB10_1442:
	s_or_b64 exec, exec, s[6:7]
	s_and_saveexec_b64 s[6:7], s[4:5]
	s_cbranch_execz .LBB10_1444
.LBB10_1443:
	v_and_b32_e32 v2, 7, v7
	v_ffbh_u32_e32 v12, v2
	v_min_u32_e32 v12, 32, v12
	v_lshrrev_b16_e32 v6, 3, v7
	v_subrev_u32_e32 v13, 28, v12
	v_and_b32_e32 v6, 15, v6
	v_lshlrev_b32_e32 v13, v13, v7
	v_sub_u32_e32 v12, 29, v12
	v_and_b32_e32 v13, 7, v13
	v_cmp_eq_u16_e32 vcc, 0, v6
	v_cndmask_b32_e32 v2, v2, v13, vcc
	v_cndmask_b32_e32 v6, v6, v12, vcc
	v_lshlrev_b32_e32 v12, 24, v7
	v_mov_b32_e32 v13, 0x3b800000
	v_lshlrev_b32_e32 v2, 20, v2
	v_and_b32_e32 v12, 0x80000000, v12
	v_lshl_add_u32 v6, v6, 23, v13
	v_or3_b32 v2, v12, v6, v2
.LBB10_1444:
	s_or_b64 exec, exec, s[6:7]
	s_movk_i32 s4, 0x7f
	v_cmp_gt_i16_sdwa s[6:7], v3, s4 src0_sel:BYTE_0 src1_sel:DWORD
	s_mov_b64 s[4:5], 0
                                        ; implicit-def: $sgpr10
	s_and_saveexec_b64 s[8:9], s[6:7]
	s_xor_b64 s[6:7], exec, s[8:9]
	s_cbranch_execnz .LBB10_3493
; %bb.1445:
	s_or_saveexec_b64 s[6:7], s[6:7]
	v_mov_b32_e32 v6, s10
	s_xor_b64 exec, exec, s[6:7]
	s_cbranch_execnz .LBB10_3496
.LBB10_1446:
	s_or_b64 exec, exec, s[6:7]
	s_and_saveexec_b64 s[6:7], s[4:5]
	s_cbranch_execz .LBB10_1448
.LBB10_1447:
	v_and_b32_e32 v6, 7, v3
	v_ffbh_u32_e32 v13, v6
	v_min_u32_e32 v13, 32, v13
	v_lshrrev_b16_e32 v12, 3, v3
	v_subrev_u32_e32 v14, 28, v13
	v_and_b32_e32 v12, 15, v12
	v_lshlrev_b32_e32 v14, v14, v3
	v_sub_u32_e32 v13, 29, v13
	v_and_b32_e32 v14, 7, v14
	v_cmp_eq_u16_e32 vcc, 0, v12
	v_cndmask_b32_e32 v6, v6, v14, vcc
	v_cndmask_b32_e32 v12, v12, v13, vcc
	v_lshlrev_b32_e32 v13, 24, v3
	v_mov_b32_e32 v14, 0x3b800000
	v_lshlrev_b32_e32 v6, 20, v6
	v_and_b32_e32 v13, 0x80000000, v13
	v_lshl_add_u32 v12, v12, 23, v14
	v_or3_b32 v6, v13, v12, v6
.LBB10_1448:
	s_or_b64 exec, exec, s[6:7]
	s_nop 0
	v_mfma_f32_16x16x4f32 a[0:3], v2, v6, a[0:3]
	v_lshrrev_b32_e32 v6, 8, v7
	s_movk_i32 s4, 0x7f
	v_cmp_gt_i16_sdwa s[6:7], v6, s4 src0_sel:BYTE_0 src1_sel:DWORD
	s_mov_b64 s[4:5], 0
                                        ; implicit-def: $sgpr10
	s_and_saveexec_b64 s[8:9], s[6:7]
	s_xor_b64 s[6:7], exec, s[8:9]
	s_cbranch_execnz .LBB10_3497
; %bb.1449:
	s_or_saveexec_b64 s[6:7], s[6:7]
	v_mov_b32_e32 v2, s10
	s_xor_b64 exec, exec, s[6:7]
	s_cbranch_execnz .LBB10_3500
.LBB10_1450:
	s_or_b64 exec, exec, s[6:7]
	s_and_saveexec_b64 s[6:7], s[4:5]
	s_cbranch_execz .LBB10_1452
.LBB10_1451:
	v_bfe_u32 v2, v7, 8, 3
	v_ffbh_u32_e32 v13, v2
	v_min_u32_e32 v13, 32, v13
	v_lshrrev_b16_e32 v12, 3, v6
	v_subrev_u32_e32 v14, 28, v13
	v_and_b32_e32 v12, 15, v12
	v_lshlrev_b32_e32 v6, v14, v6
	v_sub_u32_e32 v13, 29, v13
	v_and_b32_e32 v6, 7, v6
	v_cmp_eq_u16_e32 vcc, 0, v12
	v_cndmask_b32_e32 v2, v2, v6, vcc
	v_cndmask_b32_e32 v6, v12, v13, vcc
	v_lshlrev_b32_e32 v12, 16, v7
	v_mov_b32_e32 v13, 0x3b800000
	v_lshlrev_b32_e32 v2, 20, v2
	v_and_b32_e32 v12, 0x80000000, v12
	v_lshl_add_u32 v6, v6, 23, v13
	v_or3_b32 v2, v12, v6, v2
.LBB10_1452:
	s_or_b64 exec, exec, s[6:7]
	v_lshrrev_b32_e32 v6, 8, v3
	s_movk_i32 s4, 0x7f
	v_cmp_gt_i16_sdwa s[6:7], v6, s4 src0_sel:BYTE_0 src1_sel:DWORD
	s_mov_b64 s[4:5], 0
                                        ; implicit-def: $sgpr10
	s_and_saveexec_b64 s[8:9], s[6:7]
	s_xor_b64 s[6:7], exec, s[8:9]
	s_cbranch_execnz .LBB10_3501
; %bb.1453:
	s_or_saveexec_b64 s[6:7], s[6:7]
	v_mov_b32_e32 v12, s10
	s_xor_b64 exec, exec, s[6:7]
	s_cbranch_execnz .LBB10_3504
.LBB10_1454:
	s_or_b64 exec, exec, s[6:7]
	s_and_saveexec_b64 s[6:7], s[4:5]
	s_cbranch_execz .LBB10_1456
.LBB10_1455:
	v_bfe_u32 v12, v3, 8, 3
	v_ffbh_u32_e32 v14, v12
	v_min_u32_e32 v14, 32, v14
	v_lshrrev_b16_e32 v13, 3, v6
	v_subrev_u32_e32 v15, 28, v14
	v_and_b32_e32 v13, 15, v13
	v_lshlrev_b32_e32 v6, v15, v6
	v_sub_u32_e32 v14, 29, v14
	v_and_b32_e32 v6, 7, v6
	v_cmp_eq_u16_e32 vcc, 0, v13
	v_cndmask_b32_e32 v6, v12, v6, vcc
	v_cndmask_b32_e32 v12, v13, v14, vcc
	v_lshlrev_b32_e32 v13, 16, v3
	v_mov_b32_e32 v14, 0x3b800000
	v_lshlrev_b32_e32 v6, 20, v6
	v_and_b32_e32 v13, 0x80000000, v13
	v_lshl_add_u32 v12, v12, 23, v14
	v_or3_b32 v12, v13, v12, v6
.LBB10_1456:
	s_or_b64 exec, exec, s[6:7]
	s_nop 0
	v_mfma_f32_16x16x4f32 a[0:3], v2, v12, a[0:3]
	s_movk_i32 s4, 0xff
	v_and_b32_sdwa v6, v7, s4 dst_sel:DWORD dst_unused:UNUSED_PAD src0_sel:WORD_1 src1_sel:DWORD
	s_movk_i32 s4, 0x7f
	v_cmp_lt_i16_e32 vcc, s4, v6
	s_mov_b64 s[4:5], 0
                                        ; implicit-def: $sgpr10
	s_and_saveexec_b64 s[6:7], vcc
	s_xor_b64 s[6:7], exec, s[6:7]
	s_cbranch_execnz .LBB10_3505
; %bb.1457:
	s_or_saveexec_b64 s[6:7], s[6:7]
	v_mov_b32_e32 v2, s10
	s_xor_b64 exec, exec, s[6:7]
	s_cbranch_execnz .LBB10_3508
.LBB10_1458:
	s_or_b64 exec, exec, s[6:7]
	s_and_saveexec_b64 s[6:7], s[4:5]
	s_cbranch_execz .LBB10_1460
.LBB10_1459:
	v_bfe_u32 v2, v7, 16, 3
	v_ffbh_u32_e32 v13, v2
	v_min_u32_e32 v13, 32, v13
	v_lshrrev_b32_e32 v6, 19, v7
	v_subrev_u32_e32 v14, 28, v13
	v_and_b32_e32 v6, 15, v6
	v_lshlrev_b32_sdwa v14, v14, v7 dst_sel:DWORD dst_unused:UNUSED_PAD src0_sel:DWORD src1_sel:WORD_1
	v_bfe_u32 v12, v7, 19, 4
	v_sub_u32_e32 v13, 29, v13
	v_and_b32_e32 v14, 7, v14
	v_cmp_eq_u16_e32 vcc, 0, v6
	v_cndmask_b32_e32 v2, v2, v14, vcc
	v_cndmask_b32_e32 v6, v12, v13, vcc
	v_lshlrev_b32_e32 v12, 8, v7
	v_mov_b32_e32 v13, 0x3b800000
	v_lshlrev_b32_e32 v2, 20, v2
	v_and_b32_e32 v12, 0x80000000, v12
	v_lshl_add_u32 v6, v6, 23, v13
	v_or3_b32 v2, v12, v6, v2
.LBB10_1460:
	s_or_b64 exec, exec, s[6:7]
	s_movk_i32 s4, 0xff
	v_and_b32_sdwa v6, v3, s4 dst_sel:DWORD dst_unused:UNUSED_PAD src0_sel:WORD_1 src1_sel:DWORD
	s_movk_i32 s4, 0x7f
	v_cmp_lt_i16_e32 vcc, s4, v6
	s_mov_b64 s[4:5], 0
                                        ; implicit-def: $sgpr10
	s_and_saveexec_b64 s[6:7], vcc
	s_xor_b64 s[6:7], exec, s[6:7]
	s_cbranch_execnz .LBB10_3509
; %bb.1461:
	s_or_saveexec_b64 s[6:7], s[6:7]
	v_mov_b32_e32 v12, s10
	s_xor_b64 exec, exec, s[6:7]
	s_cbranch_execnz .LBB10_3512
.LBB10_1462:
	s_or_b64 exec, exec, s[6:7]
	s_and_saveexec_b64 s[6:7], s[4:5]
	s_cbranch_execz .LBB10_1464
.LBB10_1463:
	v_bfe_u32 v6, v3, 16, 3
	v_ffbh_u32_e32 v14, v6
	v_min_u32_e32 v14, 32, v14
	v_lshrrev_b32_e32 v12, 19, v3
	v_subrev_u32_e32 v15, 28, v14
	v_and_b32_e32 v12, 15, v12
	v_lshlrev_b32_sdwa v15, v15, v3 dst_sel:DWORD dst_unused:UNUSED_PAD src0_sel:DWORD src1_sel:WORD_1
	v_bfe_u32 v13, v3, 19, 4
	v_sub_u32_e32 v14, 29, v14
	v_and_b32_e32 v15, 7, v15
	v_cmp_eq_u16_e32 vcc, 0, v12
	v_cndmask_b32_e32 v6, v6, v15, vcc
	v_cndmask_b32_e32 v12, v13, v14, vcc
	v_lshlrev_b32_e32 v13, 8, v3
	v_mov_b32_e32 v14, 0x3b800000
	v_lshlrev_b32_e32 v6, 20, v6
	v_and_b32_e32 v13, 0x80000000, v13
	v_lshl_add_u32 v12, v12, 23, v14
	v_or3_b32 v12, v13, v12, v6
.LBB10_1464:
	s_or_b64 exec, exec, s[6:7]
	s_nop 0
	v_mfma_f32_16x16x4f32 a[0:3], v2, v12, a[0:3]
	s_movk_i32 s4, 0x7f
	v_cmp_gt_i16_sdwa s[6:7], v7, s4 src0_sel:BYTE_3 src1_sel:DWORD
	s_mov_b64 s[4:5], 0
                                        ; implicit-def: $sgpr10
	s_and_saveexec_b64 s[8:9], s[6:7]
	s_xor_b64 s[6:7], exec, s[8:9]
	s_cbranch_execnz .LBB10_3513
; %bb.1465:
	s_or_saveexec_b64 s[6:7], s[6:7]
	v_mov_b32_e32 v2, s10
	s_xor_b64 exec, exec, s[6:7]
	s_cbranch_execnz .LBB10_3516
.LBB10_1466:
	s_or_b64 exec, exec, s[6:7]
	s_and_saveexec_b64 s[6:7], s[4:5]
	s_cbranch_execz .LBB10_1468
.LBB10_1467:
	v_bfe_u32 v2, v7, 24, 3
	v_ffbh_u32_e32 v14, v2
	v_min_u32_e32 v14, 32, v14
	v_lshrrev_b32_e32 v12, 27, v7
	v_subrev_u32_e32 v15, 28, v14
	v_and_b32_e32 v6, 0x80000000, v7
	v_and_b32_e32 v12, 15, v12
	v_bfe_u32 v13, v7, 27, 4
	v_lshlrev_b32_sdwa v7, v15, v7 dst_sel:DWORD dst_unused:UNUSED_PAD src0_sel:DWORD src1_sel:BYTE_3
	v_sub_u32_e32 v14, 29, v14
	v_and_b32_e32 v7, 7, v7
	v_cmp_eq_u16_e32 vcc, 0, v12
	v_cndmask_b32_e32 v2, v2, v7, vcc
	v_cndmask_b32_e32 v7, v13, v14, vcc
	v_mov_b32_e32 v12, 0x3b800000
	v_lshlrev_b32_e32 v2, 20, v2
	v_lshl_add_u32 v7, v7, 23, v12
	v_or3_b32 v2, v6, v7, v2
.LBB10_1468:
	s_or_b64 exec, exec, s[6:7]
	s_movk_i32 s4, 0x7f
	v_cmp_gt_i16_sdwa s[6:7], v3, s4 src0_sel:BYTE_3 src1_sel:DWORD
	s_mov_b64 s[4:5], 0
                                        ; implicit-def: $sgpr10
	s_and_saveexec_b64 s[8:9], s[6:7]
	s_xor_b64 s[6:7], exec, s[8:9]
	s_cbranch_execnz .LBB10_3517
; %bb.1469:
	s_or_saveexec_b64 s[6:7], s[6:7]
	v_mov_b32_e32 v6, s10
	s_xor_b64 exec, exec, s[6:7]
	s_cbranch_execnz .LBB10_3520
.LBB10_1470:
	s_or_b64 exec, exec, s[6:7]
	s_and_saveexec_b64 s[6:7], s[4:5]
	s_cbranch_execz .LBB10_1472
.LBB10_1471:
	v_bfe_u32 v6, v3, 24, 3
	v_ffbh_u32_e32 v14, v6
	v_min_u32_e32 v14, 32, v14
	v_lshrrev_b32_e32 v12, 27, v3
	v_subrev_u32_e32 v15, 28, v14
	v_and_b32_e32 v7, 0x80000000, v3
	v_and_b32_e32 v12, 15, v12
	v_bfe_u32 v13, v3, 27, 4
	v_lshlrev_b32_sdwa v3, v15, v3 dst_sel:DWORD dst_unused:UNUSED_PAD src0_sel:DWORD src1_sel:BYTE_3
	v_sub_u32_e32 v14, 29, v14
	v_and_b32_e32 v3, 7, v3
	v_cmp_eq_u16_e32 vcc, 0, v12
	v_cndmask_b32_e32 v3, v6, v3, vcc
	v_cndmask_b32_e32 v6, v13, v14, vcc
	v_mov_b32_e32 v12, 0x3b800000
	v_lshlrev_b32_e32 v3, 20, v3
	v_lshl_add_u32 v6, v6, 23, v12
	v_or3_b32 v6, v7, v6, v3
.LBB10_1472:
	s_or_b64 exec, exec, s[6:7]
	s_nop 0
	v_mfma_f32_16x16x4f32 a[0:3], v2, v6, a[0:3]
	s_movk_i32 s4, 0x7f
	v_cmp_gt_i16_sdwa s[6:7], v8, s4 src0_sel:BYTE_0 src1_sel:DWORD
	s_mov_b64 s[4:5], 0
                                        ; implicit-def: $sgpr10
	s_and_saveexec_b64 s[8:9], s[6:7]
	s_xor_b64 s[6:7], exec, s[8:9]
	s_cbranch_execnz .LBB10_3521
; %bb.1473:
	s_or_saveexec_b64 s[6:7], s[6:7]
	v_mov_b32_e32 v2, s10
	s_xor_b64 exec, exec, s[6:7]
	s_cbranch_execnz .LBB10_3524
.LBB10_1474:
	s_or_b64 exec, exec, s[6:7]
	s_and_saveexec_b64 s[6:7], s[4:5]
	s_cbranch_execz .LBB10_1476
.LBB10_1475:
	v_and_b32_e32 v2, 7, v8
	v_ffbh_u32_e32 v6, v2
	v_min_u32_e32 v6, 32, v6
	v_lshrrev_b16_e32 v3, 3, v8
	v_subrev_u32_e32 v7, 28, v6
	v_and_b32_e32 v3, 15, v3
	v_lshlrev_b32_e32 v7, v7, v8
	v_sub_u32_e32 v6, 29, v6
	v_and_b32_e32 v7, 7, v7
	v_cmp_eq_u16_e32 vcc, 0, v3
	v_cndmask_b32_e32 v2, v2, v7, vcc
	v_cndmask_b32_e32 v3, v3, v6, vcc
	v_lshlrev_b32_e32 v6, 24, v8
	v_mov_b32_e32 v7, 0x3b800000
	v_lshlrev_b32_e32 v2, 20, v2
	v_and_b32_e32 v6, 0x80000000, v6
	v_lshl_add_u32 v3, v3, 23, v7
	v_or3_b32 v2, v6, v3, v2
.LBB10_1476:
	s_or_b64 exec, exec, s[6:7]
	s_movk_i32 s4, 0x7f
	v_cmp_gt_i16_sdwa s[6:7], v4, s4 src0_sel:BYTE_0 src1_sel:DWORD
	s_mov_b64 s[4:5], 0
                                        ; implicit-def: $sgpr10
	s_and_saveexec_b64 s[8:9], s[6:7]
	s_xor_b64 s[6:7], exec, s[8:9]
	s_cbranch_execnz .LBB10_3525
; %bb.1477:
	s_or_saveexec_b64 s[6:7], s[6:7]
	v_mov_b32_e32 v3, s10
	s_xor_b64 exec, exec, s[6:7]
	s_cbranch_execnz .LBB10_3528
.LBB10_1478:
	s_or_b64 exec, exec, s[6:7]
	s_and_saveexec_b64 s[6:7], s[4:5]
	s_cbranch_execz .LBB10_1480
.LBB10_1479:
	v_and_b32_e32 v3, 7, v4
	v_ffbh_u32_e32 v7, v3
	v_min_u32_e32 v7, 32, v7
	v_lshrrev_b16_e32 v6, 3, v4
	v_subrev_u32_e32 v12, 28, v7
	v_and_b32_e32 v6, 15, v6
	v_lshlrev_b32_e32 v12, v12, v4
	v_sub_u32_e32 v7, 29, v7
	v_and_b32_e32 v12, 7, v12
	v_cmp_eq_u16_e32 vcc, 0, v6
	v_cndmask_b32_e32 v3, v3, v12, vcc
	v_cndmask_b32_e32 v6, v6, v7, vcc
	v_lshlrev_b32_e32 v7, 24, v4
	v_mov_b32_e32 v12, 0x3b800000
	v_lshlrev_b32_e32 v3, 20, v3
	v_and_b32_e32 v7, 0x80000000, v7
	v_lshl_add_u32 v6, v6, 23, v12
	v_or3_b32 v3, v7, v6, v3
.LBB10_1480:
	s_or_b64 exec, exec, s[6:7]
	s_nop 0
	v_mfma_f32_16x16x4f32 a[0:3], v2, v3, a[0:3]
	v_lshrrev_b32_e32 v3, 8, v8
	s_movk_i32 s4, 0x7f
	v_cmp_gt_i16_sdwa s[6:7], v3, s4 src0_sel:BYTE_0 src1_sel:DWORD
	s_mov_b64 s[4:5], 0
                                        ; implicit-def: $sgpr10
	s_and_saveexec_b64 s[8:9], s[6:7]
	s_xor_b64 s[6:7], exec, s[8:9]
	s_cbranch_execnz .LBB10_3529
; %bb.1481:
	s_or_saveexec_b64 s[6:7], s[6:7]
	v_mov_b32_e32 v2, s10
	s_xor_b64 exec, exec, s[6:7]
	s_cbranch_execnz .LBB10_3532
.LBB10_1482:
	s_or_b64 exec, exec, s[6:7]
	s_and_saveexec_b64 s[6:7], s[4:5]
	s_cbranch_execz .LBB10_1484
.LBB10_1483:
	v_bfe_u32 v2, v8, 8, 3
	v_ffbh_u32_e32 v7, v2
	v_min_u32_e32 v7, 32, v7
	v_lshrrev_b16_e32 v6, 3, v3
	v_subrev_u32_e32 v12, 28, v7
	v_and_b32_e32 v6, 15, v6
	v_lshlrev_b32_e32 v3, v12, v3
	v_sub_u32_e32 v7, 29, v7
	v_and_b32_e32 v3, 7, v3
	v_cmp_eq_u16_e32 vcc, 0, v6
	v_cndmask_b32_e32 v2, v2, v3, vcc
	v_cndmask_b32_e32 v3, v6, v7, vcc
	v_lshlrev_b32_e32 v6, 16, v8
	v_mov_b32_e32 v7, 0x3b800000
	v_lshlrev_b32_e32 v2, 20, v2
	v_and_b32_e32 v6, 0x80000000, v6
	v_lshl_add_u32 v3, v3, 23, v7
	v_or3_b32 v2, v6, v3, v2
.LBB10_1484:
	s_or_b64 exec, exec, s[6:7]
	v_lshrrev_b32_e32 v3, 8, v4
	s_movk_i32 s4, 0x7f
	v_cmp_gt_i16_sdwa s[6:7], v3, s4 src0_sel:BYTE_0 src1_sel:DWORD
	s_mov_b64 s[4:5], 0
                                        ; implicit-def: $sgpr10
	s_and_saveexec_b64 s[8:9], s[6:7]
	s_xor_b64 s[6:7], exec, s[8:9]
	s_cbranch_execnz .LBB10_3533
; %bb.1485:
	s_or_saveexec_b64 s[6:7], s[6:7]
	v_mov_b32_e32 v6, s10
	s_xor_b64 exec, exec, s[6:7]
	s_cbranch_execnz .LBB10_3536
.LBB10_1486:
	s_or_b64 exec, exec, s[6:7]
	s_and_saveexec_b64 s[6:7], s[4:5]
	s_cbranch_execz .LBB10_1488
.LBB10_1487:
	v_bfe_u32 v6, v4, 8, 3
	v_ffbh_u32_e32 v12, v6
	v_min_u32_e32 v12, 32, v12
	v_lshrrev_b16_e32 v7, 3, v3
	v_subrev_u32_e32 v13, 28, v12
	v_and_b32_e32 v7, 15, v7
	v_lshlrev_b32_e32 v3, v13, v3
	v_sub_u32_e32 v12, 29, v12
	v_and_b32_e32 v3, 7, v3
	v_cmp_eq_u16_e32 vcc, 0, v7
	v_cndmask_b32_e32 v3, v6, v3, vcc
	v_cndmask_b32_e32 v6, v7, v12, vcc
	v_lshlrev_b32_e32 v7, 16, v4
	v_mov_b32_e32 v12, 0x3b800000
	v_lshlrev_b32_e32 v3, 20, v3
	v_and_b32_e32 v7, 0x80000000, v7
	v_lshl_add_u32 v6, v6, 23, v12
	v_or3_b32 v6, v7, v6, v3
.LBB10_1488:
	s_or_b64 exec, exec, s[6:7]
	s_nop 0
	v_mfma_f32_16x16x4f32 a[0:3], v2, v6, a[0:3]
	s_movk_i32 s4, 0xff
	v_and_b32_sdwa v3, v8, s4 dst_sel:DWORD dst_unused:UNUSED_PAD src0_sel:WORD_1 src1_sel:DWORD
	s_movk_i32 s4, 0x7f
	v_cmp_lt_i16_e32 vcc, s4, v3
	s_mov_b64 s[4:5], 0
                                        ; implicit-def: $sgpr10
	s_and_saveexec_b64 s[6:7], vcc
	s_xor_b64 s[6:7], exec, s[6:7]
	s_cbranch_execnz .LBB10_3537
; %bb.1489:
	s_or_saveexec_b64 s[6:7], s[6:7]
	v_mov_b32_e32 v2, s10
	s_xor_b64 exec, exec, s[6:7]
	s_cbranch_execnz .LBB10_3540
.LBB10_1490:
	s_or_b64 exec, exec, s[6:7]
	s_and_saveexec_b64 s[6:7], s[4:5]
	s_cbranch_execz .LBB10_1492
.LBB10_1491:
	v_bfe_u32 v2, v8, 16, 3
	v_ffbh_u32_e32 v7, v2
	v_min_u32_e32 v7, 32, v7
	v_lshrrev_b32_e32 v3, 19, v8
	v_subrev_u32_e32 v12, 28, v7
	v_and_b32_e32 v3, 15, v3
	v_lshlrev_b32_sdwa v12, v12, v8 dst_sel:DWORD dst_unused:UNUSED_PAD src0_sel:DWORD src1_sel:WORD_1
	v_bfe_u32 v6, v8, 19, 4
	v_sub_u32_e32 v7, 29, v7
	v_and_b32_e32 v12, 7, v12
	v_cmp_eq_u16_e32 vcc, 0, v3
	v_cndmask_b32_e32 v2, v2, v12, vcc
	v_cndmask_b32_e32 v3, v6, v7, vcc
	v_lshlrev_b32_e32 v6, 8, v8
	v_mov_b32_e32 v7, 0x3b800000
	v_lshlrev_b32_e32 v2, 20, v2
	v_and_b32_e32 v6, 0x80000000, v6
	v_lshl_add_u32 v3, v3, 23, v7
	v_or3_b32 v2, v6, v3, v2
.LBB10_1492:
	s_or_b64 exec, exec, s[6:7]
	s_movk_i32 s4, 0xff
	v_and_b32_sdwa v3, v4, s4 dst_sel:DWORD dst_unused:UNUSED_PAD src0_sel:WORD_1 src1_sel:DWORD
	s_movk_i32 s4, 0x7f
	v_cmp_lt_i16_e32 vcc, s4, v3
	s_mov_b64 s[4:5], 0
                                        ; implicit-def: $sgpr10
	s_and_saveexec_b64 s[6:7], vcc
	s_xor_b64 s[6:7], exec, s[6:7]
	s_cbranch_execnz .LBB10_3541
; %bb.1493:
	s_or_saveexec_b64 s[6:7], s[6:7]
	v_mov_b32_e32 v6, s10
	s_xor_b64 exec, exec, s[6:7]
	s_cbranch_execnz .LBB10_3544
.LBB10_1494:
	s_or_b64 exec, exec, s[6:7]
	s_and_saveexec_b64 s[6:7], s[4:5]
	s_cbranch_execz .LBB10_1496
.LBB10_1495:
	v_bfe_u32 v3, v4, 16, 3
	v_ffbh_u32_e32 v12, v3
	v_min_u32_e32 v12, 32, v12
	v_lshrrev_b32_e32 v6, 19, v4
	v_subrev_u32_e32 v13, 28, v12
	v_and_b32_e32 v6, 15, v6
	v_lshlrev_b32_sdwa v13, v13, v4 dst_sel:DWORD dst_unused:UNUSED_PAD src0_sel:DWORD src1_sel:WORD_1
	v_bfe_u32 v7, v4, 19, 4
	v_sub_u32_e32 v12, 29, v12
	v_and_b32_e32 v13, 7, v13
	v_cmp_eq_u16_e32 vcc, 0, v6
	v_cndmask_b32_e32 v3, v3, v13, vcc
	v_cndmask_b32_e32 v6, v7, v12, vcc
	v_lshlrev_b32_e32 v7, 8, v4
	v_mov_b32_e32 v12, 0x3b800000
	v_lshlrev_b32_e32 v3, 20, v3
	v_and_b32_e32 v7, 0x80000000, v7
	v_lshl_add_u32 v6, v6, 23, v12
	v_or3_b32 v6, v7, v6, v3
.LBB10_1496:
	s_or_b64 exec, exec, s[6:7]
	s_nop 0
	v_mfma_f32_16x16x4f32 a[0:3], v2, v6, a[0:3]
	s_movk_i32 s4, 0x7f
	v_cmp_gt_i16_sdwa s[6:7], v8, s4 src0_sel:BYTE_3 src1_sel:DWORD
	s_mov_b64 s[4:5], 0
                                        ; implicit-def: $sgpr10
	s_and_saveexec_b64 s[8:9], s[6:7]
	s_xor_b64 s[6:7], exec, s[8:9]
	s_cbranch_execnz .LBB10_3545
; %bb.1497:
	s_or_saveexec_b64 s[6:7], s[6:7]
	v_mov_b32_e32 v2, s10
	s_xor_b64 exec, exec, s[6:7]
	s_cbranch_execnz .LBB10_3548
.LBB10_1498:
	s_or_b64 exec, exec, s[6:7]
	s_and_saveexec_b64 s[6:7], s[4:5]
	s_cbranch_execz .LBB10_1500
.LBB10_1499:
	v_bfe_u32 v2, v8, 24, 3
	v_ffbh_u32_e32 v12, v2
	v_min_u32_e32 v12, 32, v12
	v_lshrrev_b32_e32 v6, 27, v8
	v_subrev_u32_e32 v13, 28, v12
	v_and_b32_e32 v3, 0x80000000, v8
	v_and_b32_e32 v6, 15, v6
	v_bfe_u32 v7, v8, 27, 4
	v_lshlrev_b32_sdwa v8, v13, v8 dst_sel:DWORD dst_unused:UNUSED_PAD src0_sel:DWORD src1_sel:BYTE_3
	v_sub_u32_e32 v12, 29, v12
	v_and_b32_e32 v8, 7, v8
	v_cmp_eq_u16_e32 vcc, 0, v6
	v_cndmask_b32_e32 v2, v2, v8, vcc
	v_cndmask_b32_e32 v6, v7, v12, vcc
	v_mov_b32_e32 v7, 0x3b800000
	v_lshlrev_b32_e32 v2, 20, v2
	v_lshl_add_u32 v6, v6, 23, v7
	v_or3_b32 v2, v3, v6, v2
.LBB10_1500:
	s_or_b64 exec, exec, s[6:7]
	s_movk_i32 s4, 0x7f
	v_cmp_gt_i16_sdwa s[6:7], v4, s4 src0_sel:BYTE_3 src1_sel:DWORD
	s_mov_b64 s[4:5], 0
                                        ; implicit-def: $sgpr10
	s_and_saveexec_b64 s[8:9], s[6:7]
	s_xor_b64 s[6:7], exec, s[8:9]
	s_cbranch_execnz .LBB10_3549
; %bb.1501:
	s_or_saveexec_b64 s[6:7], s[6:7]
	v_mov_b32_e32 v3, s10
	s_xor_b64 exec, exec, s[6:7]
	s_cbranch_execnz .LBB10_3552
.LBB10_1502:
	s_or_b64 exec, exec, s[6:7]
	s_and_saveexec_b64 s[6:7], s[4:5]
	s_cbranch_execz .LBB10_1504
.LBB10_1503:
	v_bfe_u32 v3, v4, 24, 3
	v_ffbh_u32_e32 v12, v3
	v_min_u32_e32 v12, 32, v12
	v_lshrrev_b32_e32 v7, 27, v4
	v_subrev_u32_e32 v13, 28, v12
	v_and_b32_e32 v6, 0x80000000, v4
	v_and_b32_e32 v7, 15, v7
	v_bfe_u32 v8, v4, 27, 4
	v_lshlrev_b32_sdwa v4, v13, v4 dst_sel:DWORD dst_unused:UNUSED_PAD src0_sel:DWORD src1_sel:BYTE_3
	v_sub_u32_e32 v12, 29, v12
	v_and_b32_e32 v4, 7, v4
	v_cmp_eq_u16_e32 vcc, 0, v7
	v_cndmask_b32_e32 v3, v3, v4, vcc
	v_cndmask_b32_e32 v4, v8, v12, vcc
	v_mov_b32_e32 v7, 0x3b800000
	v_lshlrev_b32_e32 v3, 20, v3
	v_lshl_add_u32 v4, v4, 23, v7
	v_or3_b32 v3, v6, v4, v3
.LBB10_1504:
	s_or_b64 exec, exec, s[6:7]
	s_nop 0
	v_mfma_f32_16x16x4f32 a[0:3], v2, v3, a[0:3]
	s_movk_i32 s4, 0x7f
	v_cmp_gt_i16_sdwa s[6:7], v9, s4 src0_sel:BYTE_0 src1_sel:DWORD
	s_mov_b64 s[4:5], 0
                                        ; implicit-def: $sgpr10
	s_and_saveexec_b64 s[8:9], s[6:7]
	s_xor_b64 s[6:7], exec, s[8:9]
	s_cbranch_execnz .LBB10_3553
; %bb.1505:
	s_or_saveexec_b64 s[6:7], s[6:7]
	v_mov_b32_e32 v2, s10
	s_xor_b64 exec, exec, s[6:7]
	s_cbranch_execnz .LBB10_3556
.LBB10_1506:
	s_or_b64 exec, exec, s[6:7]
	s_and_saveexec_b64 s[6:7], s[4:5]
	s_cbranch_execz .LBB10_1508
.LBB10_1507:
	v_mov_b32_e32 v2, 8
	v_and_b32_e32 v3, 7, v9
	v_lshrrev_b32_sdwa v2, v2, v9 dst_sel:BYTE_1 dst_unused:UNUSED_PAD src0_sel:DWORD src1_sel:DWORD
	v_ffbh_u32_e32 v4, v3
	v_or_b32_sdwa v2, v9, v2 dst_sel:DWORD dst_unused:UNUSED_PAD src0_sel:BYTE_0 src1_sel:DWORD
	v_min_u32_e32 v4, 32, v4
	v_lshrrev_b16_e32 v2, 3, v2
	v_subrev_u32_e32 v6, 28, v4
	v_and_b32_e32 v2, 15, v2
	v_lshlrev_b32_e32 v6, v6, v9
	v_sub_u32_e32 v4, 29, v4
	v_and_b32_e32 v6, 7, v6
	v_cmp_eq_u16_e32 vcc, 0, v2
	v_cndmask_b32_e32 v3, v3, v6, vcc
	v_cndmask_b32_e32 v2, v2, v4, vcc
	v_lshlrev_b32_e32 v4, 24, v9
	v_mov_b32_e32 v6, 0x3b800000
	v_lshlrev_b32_e32 v3, 20, v3
	v_and_b32_e32 v4, 0x80000000, v4
	v_lshl_add_u32 v2, v2, 23, v6
	v_or3_b32 v2, v4, v2, v3
.LBB10_1508:
	s_or_b64 exec, exec, s[6:7]
	s_movk_i32 s4, 0x7f
	v_cmp_gt_i16_sdwa s[6:7], v5, s4 src0_sel:BYTE_0 src1_sel:DWORD
	s_mov_b64 s[4:5], 0
                                        ; implicit-def: $sgpr10
	s_and_saveexec_b64 s[8:9], s[6:7]
	s_xor_b64 s[6:7], exec, s[8:9]
	s_cbranch_execnz .LBB10_3557
; %bb.1509:
	s_or_saveexec_b64 s[6:7], s[6:7]
	v_mov_b32_e32 v3, s10
	s_xor_b64 exec, exec, s[6:7]
	s_cbranch_execnz .LBB10_3560
.LBB10_1510:
	s_or_b64 exec, exec, s[6:7]
	s_and_saveexec_b64 s[6:7], s[4:5]
	s_cbranch_execz .LBB10_1512
.LBB10_1511:
	v_mov_b32_e32 v3, 8
	v_and_b32_e32 v4, 7, v5
	v_lshrrev_b32_sdwa v3, v3, v5 dst_sel:BYTE_1 dst_unused:UNUSED_PAD src0_sel:DWORD src1_sel:DWORD
	v_ffbh_u32_e32 v6, v4
	v_or_b32_sdwa v3, v5, v3 dst_sel:DWORD dst_unused:UNUSED_PAD src0_sel:BYTE_0 src1_sel:DWORD
	v_min_u32_e32 v6, 32, v6
	v_lshrrev_b16_e32 v3, 3, v3
	v_subrev_u32_e32 v7, 28, v6
	v_and_b32_e32 v3, 15, v3
	v_lshlrev_b32_e32 v7, v7, v5
	v_sub_u32_e32 v6, 29, v6
	v_and_b32_e32 v7, 7, v7
	v_cmp_eq_u16_e32 vcc, 0, v3
	v_cndmask_b32_e32 v4, v4, v7, vcc
	v_cndmask_b32_e32 v3, v3, v6, vcc
	v_lshlrev_b32_e32 v6, 24, v5
	v_mov_b32_e32 v7, 0x3b800000
	v_lshlrev_b32_e32 v4, 20, v4
	v_and_b32_e32 v6, 0x80000000, v6
	v_lshl_add_u32 v3, v3, 23, v7
	v_or3_b32 v3, v6, v3, v4
.LBB10_1512:
	s_or_b64 exec, exec, s[6:7]
	s_nop 0
	v_mfma_f32_16x16x4f32 a[0:3], v2, v3, a[0:3]
	v_lshrrev_b32_e32 v3, 8, v9
	s_movk_i32 s4, 0x7f
	v_cmp_gt_i16_sdwa s[6:7], v3, s4 src0_sel:BYTE_0 src1_sel:DWORD
	s_mov_b64 s[4:5], 0
                                        ; implicit-def: $sgpr10
	s_and_saveexec_b64 s[8:9], s[6:7]
	s_xor_b64 s[6:7], exec, s[8:9]
	s_cbranch_execnz .LBB10_3561
; %bb.1513:
	s_or_saveexec_b64 s[6:7], s[6:7]
	v_mov_b32_e32 v2, s10
	s_xor_b64 exec, exec, s[6:7]
	s_cbranch_execnz .LBB10_3564
.LBB10_1514:
	s_or_b64 exec, exec, s[6:7]
	s_and_saveexec_b64 s[6:7], s[4:5]
	s_cbranch_execz .LBB10_1516
.LBB10_1515:
	v_bfe_u32 v2, v9, 8, 3
	v_ffbh_u32_e32 v6, v2
	v_min_u32_e32 v6, 32, v6
	v_lshrrev_b16_e32 v4, 3, v3
	v_subrev_u32_e32 v7, 28, v6
	v_and_b32_e32 v4, 15, v4
	v_lshlrev_b32_e32 v3, v7, v3
	v_sub_u32_e32 v6, 29, v6
	v_and_b32_e32 v3, 7, v3
	v_cmp_eq_u16_e32 vcc, 0, v4
	v_cndmask_b32_e32 v2, v2, v3, vcc
	v_cndmask_b32_e32 v3, v4, v6, vcc
	v_lshlrev_b32_e32 v4, 16, v9
	v_mov_b32_e32 v6, 0x3b800000
	v_lshlrev_b32_e32 v2, 20, v2
	v_and_b32_e32 v4, 0x80000000, v4
	v_lshl_add_u32 v3, v3, 23, v6
	v_or3_b32 v2, v4, v3, v2
.LBB10_1516:
	s_or_b64 exec, exec, s[6:7]
	v_lshrrev_b32_e32 v3, 8, v5
	s_movk_i32 s4, 0x7f
	v_cmp_gt_i16_sdwa s[6:7], v3, s4 src0_sel:BYTE_0 src1_sel:DWORD
	s_mov_b64 s[4:5], 0
                                        ; implicit-def: $sgpr10
	s_and_saveexec_b64 s[8:9], s[6:7]
	s_xor_b64 s[6:7], exec, s[8:9]
	s_cbranch_execnz .LBB10_3565
; %bb.1517:
	s_or_saveexec_b64 s[6:7], s[6:7]
	v_mov_b32_e32 v4, s10
	s_xor_b64 exec, exec, s[6:7]
	s_cbranch_execnz .LBB10_3568
.LBB10_1518:
	s_or_b64 exec, exec, s[6:7]
	s_and_saveexec_b64 s[6:7], s[4:5]
	s_cbranch_execz .LBB10_1520
.LBB10_1519:
	v_bfe_u32 v4, v5, 8, 3
	v_ffbh_u32_e32 v7, v4
	v_min_u32_e32 v7, 32, v7
	v_lshrrev_b16_e32 v6, 3, v3
	v_subrev_u32_e32 v8, 28, v7
	v_and_b32_e32 v6, 15, v6
	v_lshlrev_b32_e32 v3, v8, v3
	v_sub_u32_e32 v7, 29, v7
	v_and_b32_e32 v3, 7, v3
	v_cmp_eq_u16_e32 vcc, 0, v6
	v_cndmask_b32_e32 v3, v4, v3, vcc
	v_cndmask_b32_e32 v4, v6, v7, vcc
	v_lshlrev_b32_e32 v6, 16, v5
	v_mov_b32_e32 v7, 0x3b800000
	v_lshlrev_b32_e32 v3, 20, v3
	v_and_b32_e32 v6, 0x80000000, v6
	v_lshl_add_u32 v4, v4, 23, v7
	v_or3_b32 v4, v6, v4, v3
.LBB10_1520:
	s_or_b64 exec, exec, s[6:7]
	s_nop 0
	v_mfma_f32_16x16x4f32 a[0:3], v2, v4, a[0:3]
	s_movk_i32 s4, 0xff
	v_and_b32_sdwa v3, v9, s4 dst_sel:DWORD dst_unused:UNUSED_PAD src0_sel:WORD_1 src1_sel:DWORD
	s_movk_i32 s4, 0x7f
	v_cmp_lt_i16_e32 vcc, s4, v3
	s_mov_b64 s[4:5], 0
                                        ; implicit-def: $sgpr10
	s_and_saveexec_b64 s[6:7], vcc
	s_xor_b64 s[6:7], exec, s[6:7]
	s_cbranch_execnz .LBB10_3569
; %bb.1521:
	s_or_saveexec_b64 s[6:7], s[6:7]
	v_mov_b32_e32 v2, s10
	s_xor_b64 exec, exec, s[6:7]
	s_cbranch_execnz .LBB10_3572
.LBB10_1522:
	s_or_b64 exec, exec, s[6:7]
	s_and_saveexec_b64 s[6:7], s[4:5]
	s_cbranch_execz .LBB10_1524
.LBB10_1523:
	v_bfe_u32 v2, v9, 16, 3
	v_ffbh_u32_e32 v6, v2
	v_min_u32_e32 v6, 32, v6
	v_lshrrev_b32_e32 v3, 19, v9
	v_subrev_u32_e32 v7, 28, v6
	v_and_b32_e32 v3, 15, v3
	v_lshlrev_b32_sdwa v7, v7, v9 dst_sel:DWORD dst_unused:UNUSED_PAD src0_sel:DWORD src1_sel:WORD_1
	v_bfe_u32 v4, v9, 19, 4
	v_sub_u32_e32 v6, 29, v6
	v_and_b32_e32 v7, 7, v7
	v_cmp_eq_u16_e32 vcc, 0, v3
	v_cndmask_b32_e32 v2, v2, v7, vcc
	v_cndmask_b32_e32 v3, v4, v6, vcc
	v_lshlrev_b32_e32 v4, 8, v9
	v_mov_b32_e32 v6, 0x3b800000
	v_lshlrev_b32_e32 v2, 20, v2
	v_and_b32_e32 v4, 0x80000000, v4
	v_lshl_add_u32 v3, v3, 23, v6
	v_or3_b32 v2, v4, v3, v2
.LBB10_1524:
	s_or_b64 exec, exec, s[6:7]
	s_movk_i32 s4, 0xff
	v_and_b32_sdwa v3, v5, s4 dst_sel:DWORD dst_unused:UNUSED_PAD src0_sel:WORD_1 src1_sel:DWORD
	s_movk_i32 s4, 0x7f
	v_cmp_lt_i16_e32 vcc, s4, v3
	s_mov_b64 s[4:5], 0
                                        ; implicit-def: $sgpr10
	s_and_saveexec_b64 s[6:7], vcc
	s_xor_b64 s[6:7], exec, s[6:7]
	s_cbranch_execnz .LBB10_3573
; %bb.1525:
	s_or_saveexec_b64 s[6:7], s[6:7]
	v_mov_b32_e32 v4, s10
	s_xor_b64 exec, exec, s[6:7]
	s_cbranch_execnz .LBB10_3576
.LBB10_1526:
	s_or_b64 exec, exec, s[6:7]
	s_and_saveexec_b64 s[6:7], s[4:5]
	s_cbranch_execz .LBB10_1528
.LBB10_1527:
	v_bfe_u32 v3, v5, 16, 3
	v_ffbh_u32_e32 v7, v3
	v_min_u32_e32 v7, 32, v7
	v_lshrrev_b32_e32 v4, 19, v5
	v_subrev_u32_e32 v8, 28, v7
	v_and_b32_e32 v4, 15, v4
	v_lshlrev_b32_sdwa v8, v8, v5 dst_sel:DWORD dst_unused:UNUSED_PAD src0_sel:DWORD src1_sel:WORD_1
	v_bfe_u32 v6, v5, 19, 4
	v_sub_u32_e32 v7, 29, v7
	v_and_b32_e32 v8, 7, v8
	v_cmp_eq_u16_e32 vcc, 0, v4
	v_cndmask_b32_e32 v3, v3, v8, vcc
	v_cndmask_b32_e32 v4, v6, v7, vcc
	v_lshlrev_b32_e32 v6, 8, v5
	v_mov_b32_e32 v7, 0x3b800000
	v_lshlrev_b32_e32 v3, 20, v3
	v_and_b32_e32 v6, 0x80000000, v6
	v_lshl_add_u32 v4, v4, 23, v7
	v_or3_b32 v4, v6, v4, v3
.LBB10_1528:
	s_or_b64 exec, exec, s[6:7]
	s_nop 0
	v_mfma_f32_16x16x4f32 a[0:3], v2, v4, a[0:3]
	s_movk_i32 s4, 0x7f
	v_cmp_gt_i16_sdwa s[6:7], v9, s4 src0_sel:BYTE_3 src1_sel:DWORD
	s_mov_b64 s[4:5], 0
                                        ; implicit-def: $sgpr10
	s_and_saveexec_b64 s[8:9], s[6:7]
	s_xor_b64 s[6:7], exec, s[8:9]
	s_cbranch_execnz .LBB10_3577
; %bb.1529:
	s_or_saveexec_b64 s[6:7], s[6:7]
	v_mov_b32_e32 v2, s10
	s_xor_b64 exec, exec, s[6:7]
	s_cbranch_execnz .LBB10_3580
.LBB10_1530:
	s_or_b64 exec, exec, s[6:7]
	s_and_saveexec_b64 s[6:7], s[4:5]
	s_cbranch_execz .LBB10_1532
.LBB10_1531:
	v_bfe_u32 v2, v9, 24, 3
	v_ffbh_u32_e32 v7, v2
	v_min_u32_e32 v7, 32, v7
	v_lshrrev_b32_e32 v4, 27, v9
	v_subrev_u32_e32 v8, 28, v7
	v_and_b32_e32 v4, 15, v4
	v_lshlrev_b32_sdwa v8, v8, v9 dst_sel:DWORD dst_unused:UNUSED_PAD src0_sel:DWORD src1_sel:BYTE_3
	v_bfe_u32 v6, v9, 27, 4
	v_sub_u32_e32 v7, 29, v7
	v_and_b32_e32 v8, 7, v8
	v_cmp_eq_u16_e32 vcc, 0, v4
	v_cndmask_b32_e32 v2, v2, v8, vcc
	v_cndmask_b32_e32 v4, v6, v7, vcc
	v_mov_b32_e32 v6, 0x3b800000
	v_and_b32_e32 v3, 0x80000000, v9
	v_lshlrev_b32_e32 v2, 20, v2
	v_lshl_add_u32 v4, v4, 23, v6
	v_or3_b32 v2, v3, v4, v2
.LBB10_1532:
	s_or_b64 exec, exec, s[6:7]
	s_movk_i32 s4, 0x7f
	v_cmp_gt_i16_sdwa s[6:7], v5, s4 src0_sel:BYTE_3 src1_sel:DWORD
	s_mov_b64 s[4:5], 0
                                        ; implicit-def: $sgpr10
	s_and_saveexec_b64 s[8:9], s[6:7]
	s_xor_b64 s[6:7], exec, s[8:9]
	s_cbranch_execnz .LBB10_3581
; %bb.1533:
	s_or_saveexec_b64 s[6:7], s[6:7]
	v_mov_b32_e32 v3, s10
	s_xor_b64 exec, exec, s[6:7]
	s_cbranch_execnz .LBB10_3584
.LBB10_1534:
	s_or_b64 exec, exec, s[6:7]
	s_and_saveexec_b64 s[6:7], s[4:5]
	s_cbranch_execz .LBB10_1536
.LBB10_1535:
	v_bfe_u32 v3, v5, 24, 3
	v_ffbh_u32_e32 v8, v3
	v_min_u32_e32 v8, 32, v8
	v_lshrrev_b32_e32 v6, 27, v5
	v_subrev_u32_e32 v9, 28, v8
	v_and_b32_e32 v4, 0x80000000, v5
	v_and_b32_e32 v6, 15, v6
	v_bfe_u32 v7, v5, 27, 4
	v_lshlrev_b32_sdwa v5, v9, v5 dst_sel:DWORD dst_unused:UNUSED_PAD src0_sel:DWORD src1_sel:BYTE_3
	v_sub_u32_e32 v8, 29, v8
	v_and_b32_e32 v5, 7, v5
	v_cmp_eq_u16_e32 vcc, 0, v6
	v_cndmask_b32_e32 v3, v3, v5, vcc
	v_cndmask_b32_e32 v5, v7, v8, vcc
	v_mov_b32_e32 v6, 0x3b800000
	v_lshlrev_b32_e32 v3, 20, v3
	v_lshl_add_u32 v5, v5, 23, v6
	v_or3_b32 v3, v4, v5, v3
.LBB10_1536:
	s_or_b64 exec, exec, s[6:7]
	s_nop 0
	v_mfma_f32_16x16x4f32 a[0:3], v2, v3, a[0:3]
	s_movk_i32 s4, 0x7f
                                        ; implicit-def: $sgpr10
	s_nop 7
	s_nop 1
	flat_store_dwordx4 v[10:11], a[0:3] offset:176
	flat_load_dwordx4 v[12:15], v[0:1] offset:8
	s_nop 0
	flat_load_dwordx2 v[10:11], v[0:1] offset:32
	s_waitcnt vmcnt(0) lgkmcnt(0)
	flat_load_dwordx4 v[6:9], v[12:13] offset:96
	flat_load_dwordx4 v[2:5], v[14:15]
	s_waitcnt vmcnt(0) lgkmcnt(0)
	v_cmp_gt_i16_sdwa s[6:7], v6, s4 src0_sel:BYTE_0 src1_sel:DWORD
	s_mov_b64 s[4:5], 0
	s_and_saveexec_b64 s[8:9], s[6:7]
	s_xor_b64 s[6:7], exec, s[8:9]
	s_cbranch_execnz .LBB10_3585
; %bb.1537:
	s_or_saveexec_b64 s[6:7], s[6:7]
	v_mov_b32_e32 v12, s10
	s_xor_b64 exec, exec, s[6:7]
	s_cbranch_execnz .LBB10_3588
.LBB10_1538:
	s_or_b64 exec, exec, s[6:7]
	s_and_saveexec_b64 s[6:7], s[4:5]
	s_cbranch_execz .LBB10_1540
.LBB10_1539:
	v_and_b32_e32 v12, 7, v6
	v_ffbh_u32_e32 v14, v12
	v_min_u32_e32 v14, 32, v14
	v_lshrrev_b16_e32 v13, 3, v6
	v_subrev_u32_e32 v15, 28, v14
	v_and_b32_e32 v13, 15, v13
	v_lshlrev_b32_e32 v15, v15, v6
	v_sub_u32_e32 v14, 29, v14
	v_and_b32_e32 v15, 7, v15
	v_cmp_eq_u16_e32 vcc, 0, v13
	v_cndmask_b32_e32 v12, v12, v15, vcc
	v_cndmask_b32_e32 v13, v13, v14, vcc
	v_lshlrev_b32_e32 v14, 24, v6
	v_mov_b32_e32 v15, 0x3b800000
	v_lshlrev_b32_e32 v12, 20, v12
	v_and_b32_e32 v14, 0x80000000, v14
	v_lshl_add_u32 v13, v13, 23, v15
	v_or3_b32 v12, v14, v13, v12
.LBB10_1540:
	s_or_b64 exec, exec, s[6:7]
	s_movk_i32 s4, 0x7f
	v_cmp_gt_i16_sdwa s[6:7], v2, s4 src0_sel:BYTE_0 src1_sel:DWORD
	s_mov_b64 s[4:5], 0
                                        ; implicit-def: $sgpr10
	s_and_saveexec_b64 s[8:9], s[6:7]
	s_xor_b64 s[6:7], exec, s[8:9]
	s_cbranch_execnz .LBB10_3589
; %bb.1541:
	s_or_saveexec_b64 s[6:7], s[6:7]
	v_mov_b32_e32 v13, s10
	s_xor_b64 exec, exec, s[6:7]
	s_cbranch_execnz .LBB10_3592
.LBB10_1542:
	s_or_b64 exec, exec, s[6:7]
	s_and_saveexec_b64 s[6:7], s[4:5]
	s_cbranch_execz .LBB10_1544
.LBB10_1543:
	v_and_b32_e32 v13, 7, v2
	v_ffbh_u32_e32 v15, v13
	v_min_u32_e32 v15, 32, v15
	v_lshrrev_b16_e32 v14, 3, v2
	v_subrev_u32_e32 v16, 28, v15
	v_and_b32_e32 v14, 15, v14
	v_lshlrev_b32_e32 v16, v16, v2
	v_sub_u32_e32 v15, 29, v15
	v_and_b32_e32 v16, 7, v16
	v_cmp_eq_u16_e32 vcc, 0, v14
	v_cndmask_b32_e32 v13, v13, v16, vcc
	v_cndmask_b32_e32 v14, v14, v15, vcc
	v_lshlrev_b32_e32 v15, 24, v2
	v_mov_b32_e32 v16, 0x3b800000
	v_lshlrev_b32_e32 v13, 20, v13
	v_and_b32_e32 v15, 0x80000000, v15
	v_lshl_add_u32 v14, v14, 23, v16
	v_or3_b32 v13, v15, v14, v13
.LBB10_1544:
	s_or_b64 exec, exec, s[6:7]
	flat_load_dwordx4 a[0:3], v[10:11] offset:192
	s_movk_i32 s4, 0x7f
                                        ; implicit-def: $sgpr10
	s_waitcnt vmcnt(0) lgkmcnt(0)
	v_mfma_f32_16x16x4f32 a[0:3], v12, v13, a[0:3]
	v_lshrrev_b32_e32 v13, 8, v6
	v_cmp_gt_i16_sdwa s[6:7], v13, s4 src0_sel:BYTE_0 src1_sel:DWORD
	s_mov_b64 s[4:5], 0
	s_and_saveexec_b64 s[8:9], s[6:7]
	s_xor_b64 s[6:7], exec, s[8:9]
	s_cbranch_execnz .LBB10_3593
; %bb.1545:
	s_or_saveexec_b64 s[6:7], s[6:7]
	v_mov_b32_e32 v12, s10
	s_xor_b64 exec, exec, s[6:7]
	s_cbranch_execnz .LBB10_3596
.LBB10_1546:
	s_or_b64 exec, exec, s[6:7]
	s_and_saveexec_b64 s[6:7], s[4:5]
	s_cbranch_execz .LBB10_1548
.LBB10_1547:
	v_bfe_u32 v12, v6, 8, 3
	v_ffbh_u32_e32 v15, v12
	v_min_u32_e32 v15, 32, v15
	v_lshrrev_b16_e32 v14, 3, v13
	v_subrev_u32_e32 v16, 28, v15
	v_and_b32_e32 v14, 15, v14
	v_lshlrev_b32_e32 v13, v16, v13
	v_sub_u32_e32 v15, 29, v15
	v_and_b32_e32 v13, 7, v13
	v_cmp_eq_u16_e32 vcc, 0, v14
	v_cndmask_b32_e32 v12, v12, v13, vcc
	v_cndmask_b32_e32 v13, v14, v15, vcc
	v_lshlrev_b32_e32 v14, 16, v6
	v_mov_b32_e32 v15, 0x3b800000
	v_lshlrev_b32_e32 v12, 20, v12
	v_and_b32_e32 v14, 0x80000000, v14
	v_lshl_add_u32 v13, v13, 23, v15
	v_or3_b32 v12, v14, v13, v12
.LBB10_1548:
	s_or_b64 exec, exec, s[6:7]
	v_lshrrev_b32_e32 v13, 8, v2
	s_movk_i32 s4, 0x7f
	v_cmp_gt_i16_sdwa s[6:7], v13, s4 src0_sel:BYTE_0 src1_sel:DWORD
	s_mov_b64 s[4:5], 0
                                        ; implicit-def: $sgpr10
	s_and_saveexec_b64 s[8:9], s[6:7]
	s_xor_b64 s[6:7], exec, s[8:9]
	s_cbranch_execnz .LBB10_3597
; %bb.1549:
	s_or_saveexec_b64 s[6:7], s[6:7]
	v_mov_b32_e32 v14, s10
	s_xor_b64 exec, exec, s[6:7]
	s_cbranch_execnz .LBB10_3600
.LBB10_1550:
	s_or_b64 exec, exec, s[6:7]
	s_and_saveexec_b64 s[6:7], s[4:5]
	s_cbranch_execz .LBB10_1552
.LBB10_1551:
	v_bfe_u32 v14, v2, 8, 3
	v_ffbh_u32_e32 v16, v14
	v_min_u32_e32 v16, 32, v16
	v_lshrrev_b16_e32 v15, 3, v13
	v_subrev_u32_e32 v17, 28, v16
	v_and_b32_e32 v15, 15, v15
	v_lshlrev_b32_e32 v13, v17, v13
	v_sub_u32_e32 v16, 29, v16
	v_and_b32_e32 v13, 7, v13
	v_cmp_eq_u16_e32 vcc, 0, v15
	v_cndmask_b32_e32 v13, v14, v13, vcc
	v_cndmask_b32_e32 v14, v15, v16, vcc
	v_lshlrev_b32_e32 v15, 16, v2
	v_mov_b32_e32 v16, 0x3b800000
	v_lshlrev_b32_e32 v13, 20, v13
	v_and_b32_e32 v15, 0x80000000, v15
	v_lshl_add_u32 v14, v14, 23, v16
	v_or3_b32 v14, v15, v14, v13
.LBB10_1552:
	s_or_b64 exec, exec, s[6:7]
	s_nop 0
	v_mfma_f32_16x16x4f32 a[0:3], v12, v14, a[0:3]
	s_movk_i32 s4, 0xff
	v_and_b32_sdwa v13, v6, s4 dst_sel:DWORD dst_unused:UNUSED_PAD src0_sel:WORD_1 src1_sel:DWORD
	s_movk_i32 s4, 0x7f
	v_cmp_lt_i16_e32 vcc, s4, v13
	s_mov_b64 s[4:5], 0
                                        ; implicit-def: $sgpr10
	s_and_saveexec_b64 s[6:7], vcc
	s_xor_b64 s[6:7], exec, s[6:7]
	s_cbranch_execnz .LBB10_3601
; %bb.1553:
	s_or_saveexec_b64 s[6:7], s[6:7]
	v_mov_b32_e32 v12, s10
	s_xor_b64 exec, exec, s[6:7]
	s_cbranch_execnz .LBB10_3604
.LBB10_1554:
	s_or_b64 exec, exec, s[6:7]
	s_and_saveexec_b64 s[6:7], s[4:5]
	s_cbranch_execz .LBB10_1556
.LBB10_1555:
	v_bfe_u32 v12, v6, 16, 3
	v_ffbh_u32_e32 v15, v12
	v_min_u32_e32 v15, 32, v15
	v_lshrrev_b32_e32 v13, 19, v6
	v_subrev_u32_e32 v16, 28, v15
	v_and_b32_e32 v13, 15, v13
	v_lshlrev_b32_sdwa v16, v16, v6 dst_sel:DWORD dst_unused:UNUSED_PAD src0_sel:DWORD src1_sel:WORD_1
	v_bfe_u32 v14, v6, 19, 4
	v_sub_u32_e32 v15, 29, v15
	v_and_b32_e32 v16, 7, v16
	v_cmp_eq_u16_e32 vcc, 0, v13
	v_cndmask_b32_e32 v12, v12, v16, vcc
	v_cndmask_b32_e32 v13, v14, v15, vcc
	v_lshlrev_b32_e32 v14, 8, v6
	v_mov_b32_e32 v15, 0x3b800000
	v_lshlrev_b32_e32 v12, 20, v12
	v_and_b32_e32 v14, 0x80000000, v14
	v_lshl_add_u32 v13, v13, 23, v15
	v_or3_b32 v12, v14, v13, v12
.LBB10_1556:
	s_or_b64 exec, exec, s[6:7]
	s_movk_i32 s4, 0xff
	v_and_b32_sdwa v13, v2, s4 dst_sel:DWORD dst_unused:UNUSED_PAD src0_sel:WORD_1 src1_sel:DWORD
	s_movk_i32 s4, 0x7f
	v_cmp_lt_i16_e32 vcc, s4, v13
	s_mov_b64 s[4:5], 0
                                        ; implicit-def: $sgpr10
	s_and_saveexec_b64 s[6:7], vcc
	s_xor_b64 s[6:7], exec, s[6:7]
	s_cbranch_execnz .LBB10_3605
; %bb.1557:
	s_or_saveexec_b64 s[6:7], s[6:7]
	v_mov_b32_e32 v14, s10
	s_xor_b64 exec, exec, s[6:7]
	s_cbranch_execnz .LBB10_3608
.LBB10_1558:
	s_or_b64 exec, exec, s[6:7]
	s_and_saveexec_b64 s[6:7], s[4:5]
	s_cbranch_execz .LBB10_1560
.LBB10_1559:
	v_bfe_u32 v13, v2, 16, 3
	v_ffbh_u32_e32 v16, v13
	v_min_u32_e32 v16, 32, v16
	v_lshrrev_b32_e32 v14, 19, v2
	v_subrev_u32_e32 v17, 28, v16
	v_and_b32_e32 v14, 15, v14
	v_lshlrev_b32_sdwa v17, v17, v2 dst_sel:DWORD dst_unused:UNUSED_PAD src0_sel:DWORD src1_sel:WORD_1
	v_bfe_u32 v15, v2, 19, 4
	v_sub_u32_e32 v16, 29, v16
	v_and_b32_e32 v17, 7, v17
	v_cmp_eq_u16_e32 vcc, 0, v14
	v_cndmask_b32_e32 v13, v13, v17, vcc
	v_cndmask_b32_e32 v14, v15, v16, vcc
	v_lshlrev_b32_e32 v15, 8, v2
	v_mov_b32_e32 v16, 0x3b800000
	v_lshlrev_b32_e32 v13, 20, v13
	v_and_b32_e32 v15, 0x80000000, v15
	v_lshl_add_u32 v14, v14, 23, v16
	v_or3_b32 v14, v15, v14, v13
.LBB10_1560:
	s_or_b64 exec, exec, s[6:7]
	s_nop 0
	v_mfma_f32_16x16x4f32 a[0:3], v12, v14, a[0:3]
	s_movk_i32 s4, 0x7f
	v_cmp_gt_i16_sdwa s[6:7], v6, s4 src0_sel:BYTE_3 src1_sel:DWORD
	s_mov_b64 s[4:5], 0
                                        ; implicit-def: $sgpr10
	s_and_saveexec_b64 s[8:9], s[6:7]
	s_xor_b64 s[6:7], exec, s[8:9]
	s_cbranch_execnz .LBB10_3609
; %bb.1561:
	s_or_saveexec_b64 s[6:7], s[6:7]
	v_mov_b32_e32 v12, s10
	s_xor_b64 exec, exec, s[6:7]
	s_cbranch_execnz .LBB10_3612
.LBB10_1562:
	s_or_b64 exec, exec, s[6:7]
	s_and_saveexec_b64 s[6:7], s[4:5]
	s_cbranch_execz .LBB10_1564
.LBB10_1563:
	v_bfe_u32 v12, v6, 24, 3
	v_ffbh_u32_e32 v16, v12
	v_min_u32_e32 v16, 32, v16
	v_lshrrev_b32_e32 v14, 27, v6
	v_subrev_u32_e32 v17, 28, v16
	v_and_b32_e32 v13, 0x80000000, v6
	v_and_b32_e32 v14, 15, v14
	v_bfe_u32 v15, v6, 27, 4
	v_lshlrev_b32_sdwa v6, v17, v6 dst_sel:DWORD dst_unused:UNUSED_PAD src0_sel:DWORD src1_sel:BYTE_3
	v_sub_u32_e32 v16, 29, v16
	v_and_b32_e32 v6, 7, v6
	v_cmp_eq_u16_e32 vcc, 0, v14
	v_cndmask_b32_e32 v6, v12, v6, vcc
	v_cndmask_b32_e32 v12, v15, v16, vcc
	v_mov_b32_e32 v14, 0x3b800000
	v_lshlrev_b32_e32 v6, 20, v6
	v_lshl_add_u32 v12, v12, 23, v14
	v_or3_b32 v12, v13, v12, v6
.LBB10_1564:
	s_or_b64 exec, exec, s[6:7]
	s_movk_i32 s4, 0x7f
	v_cmp_gt_i16_sdwa s[6:7], v2, s4 src0_sel:BYTE_3 src1_sel:DWORD
	s_mov_b64 s[4:5], 0
                                        ; implicit-def: $sgpr10
	s_and_saveexec_b64 s[8:9], s[6:7]
	s_xor_b64 s[6:7], exec, s[8:9]
	s_cbranch_execnz .LBB10_3613
; %bb.1565:
	s_or_saveexec_b64 s[6:7], s[6:7]
	v_mov_b32_e32 v6, s10
	s_xor_b64 exec, exec, s[6:7]
	s_cbranch_execnz .LBB10_3616
.LBB10_1566:
	s_or_b64 exec, exec, s[6:7]
	s_and_saveexec_b64 s[6:7], s[4:5]
	s_cbranch_execz .LBB10_1568
.LBB10_1567:
	v_bfe_u32 v6, v2, 24, 3
	v_ffbh_u32_e32 v16, v6
	v_min_u32_e32 v16, 32, v16
	v_lshrrev_b32_e32 v14, 27, v2
	v_subrev_u32_e32 v17, 28, v16
	v_and_b32_e32 v13, 0x80000000, v2
	v_and_b32_e32 v14, 15, v14
	v_bfe_u32 v15, v2, 27, 4
	v_lshlrev_b32_sdwa v2, v17, v2 dst_sel:DWORD dst_unused:UNUSED_PAD src0_sel:DWORD src1_sel:BYTE_3
	v_sub_u32_e32 v16, 29, v16
	v_and_b32_e32 v2, 7, v2
	v_cmp_eq_u16_e32 vcc, 0, v14
	v_cndmask_b32_e32 v2, v6, v2, vcc
	v_cndmask_b32_e32 v6, v15, v16, vcc
	v_mov_b32_e32 v14, 0x3b800000
	v_lshlrev_b32_e32 v2, 20, v2
	v_lshl_add_u32 v6, v6, 23, v14
	v_or3_b32 v6, v13, v6, v2
.LBB10_1568:
	s_or_b64 exec, exec, s[6:7]
	s_nop 0
	v_mfma_f32_16x16x4f32 a[0:3], v12, v6, a[0:3]
	s_movk_i32 s4, 0x7f
	v_cmp_gt_i16_sdwa s[6:7], v7, s4 src0_sel:BYTE_0 src1_sel:DWORD
	s_mov_b64 s[4:5], 0
                                        ; implicit-def: $sgpr10
	s_and_saveexec_b64 s[8:9], s[6:7]
	s_xor_b64 s[6:7], exec, s[8:9]
	s_cbranch_execnz .LBB10_3617
; %bb.1569:
	s_or_saveexec_b64 s[6:7], s[6:7]
	v_mov_b32_e32 v2, s10
	s_xor_b64 exec, exec, s[6:7]
	s_cbranch_execnz .LBB10_3620
.LBB10_1570:
	s_or_b64 exec, exec, s[6:7]
	s_and_saveexec_b64 s[6:7], s[4:5]
	s_cbranch_execz .LBB10_1572
.LBB10_1571:
	v_and_b32_e32 v2, 7, v7
	v_ffbh_u32_e32 v12, v2
	v_min_u32_e32 v12, 32, v12
	v_lshrrev_b16_e32 v6, 3, v7
	v_subrev_u32_e32 v13, 28, v12
	v_and_b32_e32 v6, 15, v6
	v_lshlrev_b32_e32 v13, v13, v7
	v_sub_u32_e32 v12, 29, v12
	v_and_b32_e32 v13, 7, v13
	v_cmp_eq_u16_e32 vcc, 0, v6
	v_cndmask_b32_e32 v2, v2, v13, vcc
	v_cndmask_b32_e32 v6, v6, v12, vcc
	v_lshlrev_b32_e32 v12, 24, v7
	v_mov_b32_e32 v13, 0x3b800000
	v_lshlrev_b32_e32 v2, 20, v2
	v_and_b32_e32 v12, 0x80000000, v12
	v_lshl_add_u32 v6, v6, 23, v13
	v_or3_b32 v2, v12, v6, v2
.LBB10_1572:
	s_or_b64 exec, exec, s[6:7]
	s_movk_i32 s4, 0x7f
	v_cmp_gt_i16_sdwa s[6:7], v3, s4 src0_sel:BYTE_0 src1_sel:DWORD
	s_mov_b64 s[4:5], 0
                                        ; implicit-def: $sgpr10
	s_and_saveexec_b64 s[8:9], s[6:7]
	s_xor_b64 s[6:7], exec, s[8:9]
	s_cbranch_execnz .LBB10_3621
; %bb.1573:
	s_or_saveexec_b64 s[6:7], s[6:7]
	v_mov_b32_e32 v6, s10
	s_xor_b64 exec, exec, s[6:7]
	s_cbranch_execnz .LBB10_3624
.LBB10_1574:
	s_or_b64 exec, exec, s[6:7]
	s_and_saveexec_b64 s[6:7], s[4:5]
	s_cbranch_execz .LBB10_1576
.LBB10_1575:
	v_and_b32_e32 v6, 7, v3
	v_ffbh_u32_e32 v13, v6
	v_min_u32_e32 v13, 32, v13
	v_lshrrev_b16_e32 v12, 3, v3
	v_subrev_u32_e32 v14, 28, v13
	v_and_b32_e32 v12, 15, v12
	v_lshlrev_b32_e32 v14, v14, v3
	v_sub_u32_e32 v13, 29, v13
	v_and_b32_e32 v14, 7, v14
	v_cmp_eq_u16_e32 vcc, 0, v12
	v_cndmask_b32_e32 v6, v6, v14, vcc
	v_cndmask_b32_e32 v12, v12, v13, vcc
	v_lshlrev_b32_e32 v13, 24, v3
	v_mov_b32_e32 v14, 0x3b800000
	v_lshlrev_b32_e32 v6, 20, v6
	v_and_b32_e32 v13, 0x80000000, v13
	v_lshl_add_u32 v12, v12, 23, v14
	v_or3_b32 v6, v13, v12, v6
.LBB10_1576:
	s_or_b64 exec, exec, s[6:7]
	s_nop 0
	v_mfma_f32_16x16x4f32 a[0:3], v2, v6, a[0:3]
	v_lshrrev_b32_e32 v6, 8, v7
	s_movk_i32 s4, 0x7f
	v_cmp_gt_i16_sdwa s[6:7], v6, s4 src0_sel:BYTE_0 src1_sel:DWORD
	s_mov_b64 s[4:5], 0
                                        ; implicit-def: $sgpr10
	s_and_saveexec_b64 s[8:9], s[6:7]
	s_xor_b64 s[6:7], exec, s[8:9]
	s_cbranch_execnz .LBB10_3625
; %bb.1577:
	s_or_saveexec_b64 s[6:7], s[6:7]
	v_mov_b32_e32 v2, s10
	s_xor_b64 exec, exec, s[6:7]
	s_cbranch_execnz .LBB10_3628
.LBB10_1578:
	s_or_b64 exec, exec, s[6:7]
	s_and_saveexec_b64 s[6:7], s[4:5]
	s_cbranch_execz .LBB10_1580
.LBB10_1579:
	v_bfe_u32 v2, v7, 8, 3
	v_ffbh_u32_e32 v13, v2
	v_min_u32_e32 v13, 32, v13
	v_lshrrev_b16_e32 v12, 3, v6
	v_subrev_u32_e32 v14, 28, v13
	v_and_b32_e32 v12, 15, v12
	v_lshlrev_b32_e32 v6, v14, v6
	v_sub_u32_e32 v13, 29, v13
	v_and_b32_e32 v6, 7, v6
	v_cmp_eq_u16_e32 vcc, 0, v12
	v_cndmask_b32_e32 v2, v2, v6, vcc
	v_cndmask_b32_e32 v6, v12, v13, vcc
	v_lshlrev_b32_e32 v12, 16, v7
	v_mov_b32_e32 v13, 0x3b800000
	v_lshlrev_b32_e32 v2, 20, v2
	v_and_b32_e32 v12, 0x80000000, v12
	v_lshl_add_u32 v6, v6, 23, v13
	v_or3_b32 v2, v12, v6, v2
.LBB10_1580:
	s_or_b64 exec, exec, s[6:7]
	v_lshrrev_b32_e32 v6, 8, v3
	s_movk_i32 s4, 0x7f
	v_cmp_gt_i16_sdwa s[6:7], v6, s4 src0_sel:BYTE_0 src1_sel:DWORD
	s_mov_b64 s[4:5], 0
                                        ; implicit-def: $sgpr10
	s_and_saveexec_b64 s[8:9], s[6:7]
	s_xor_b64 s[6:7], exec, s[8:9]
	s_cbranch_execnz .LBB10_3629
; %bb.1581:
	s_or_saveexec_b64 s[6:7], s[6:7]
	v_mov_b32_e32 v12, s10
	s_xor_b64 exec, exec, s[6:7]
	s_cbranch_execnz .LBB10_3632
.LBB10_1582:
	s_or_b64 exec, exec, s[6:7]
	s_and_saveexec_b64 s[6:7], s[4:5]
	s_cbranch_execz .LBB10_1584
.LBB10_1583:
	v_bfe_u32 v12, v3, 8, 3
	v_ffbh_u32_e32 v14, v12
	v_min_u32_e32 v14, 32, v14
	v_lshrrev_b16_e32 v13, 3, v6
	v_subrev_u32_e32 v15, 28, v14
	v_and_b32_e32 v13, 15, v13
	v_lshlrev_b32_e32 v6, v15, v6
	v_sub_u32_e32 v14, 29, v14
	v_and_b32_e32 v6, 7, v6
	v_cmp_eq_u16_e32 vcc, 0, v13
	v_cndmask_b32_e32 v6, v12, v6, vcc
	v_cndmask_b32_e32 v12, v13, v14, vcc
	v_lshlrev_b32_e32 v13, 16, v3
	v_mov_b32_e32 v14, 0x3b800000
	v_lshlrev_b32_e32 v6, 20, v6
	v_and_b32_e32 v13, 0x80000000, v13
	v_lshl_add_u32 v12, v12, 23, v14
	v_or3_b32 v12, v13, v12, v6
.LBB10_1584:
	s_or_b64 exec, exec, s[6:7]
	s_nop 0
	v_mfma_f32_16x16x4f32 a[0:3], v2, v12, a[0:3]
	s_movk_i32 s4, 0xff
	v_and_b32_sdwa v6, v7, s4 dst_sel:DWORD dst_unused:UNUSED_PAD src0_sel:WORD_1 src1_sel:DWORD
	s_movk_i32 s4, 0x7f
	v_cmp_lt_i16_e32 vcc, s4, v6
	s_mov_b64 s[4:5], 0
                                        ; implicit-def: $sgpr10
	s_and_saveexec_b64 s[6:7], vcc
	s_xor_b64 s[6:7], exec, s[6:7]
	s_cbranch_execnz .LBB10_3633
; %bb.1585:
	s_or_saveexec_b64 s[6:7], s[6:7]
	v_mov_b32_e32 v2, s10
	s_xor_b64 exec, exec, s[6:7]
	s_cbranch_execnz .LBB10_3636
.LBB10_1586:
	s_or_b64 exec, exec, s[6:7]
	s_and_saveexec_b64 s[6:7], s[4:5]
	s_cbranch_execz .LBB10_1588
.LBB10_1587:
	v_bfe_u32 v2, v7, 16, 3
	v_ffbh_u32_e32 v13, v2
	v_min_u32_e32 v13, 32, v13
	v_lshrrev_b32_e32 v6, 19, v7
	v_subrev_u32_e32 v14, 28, v13
	v_and_b32_e32 v6, 15, v6
	v_lshlrev_b32_sdwa v14, v14, v7 dst_sel:DWORD dst_unused:UNUSED_PAD src0_sel:DWORD src1_sel:WORD_1
	v_bfe_u32 v12, v7, 19, 4
	v_sub_u32_e32 v13, 29, v13
	v_and_b32_e32 v14, 7, v14
	v_cmp_eq_u16_e32 vcc, 0, v6
	v_cndmask_b32_e32 v2, v2, v14, vcc
	v_cndmask_b32_e32 v6, v12, v13, vcc
	v_lshlrev_b32_e32 v12, 8, v7
	v_mov_b32_e32 v13, 0x3b800000
	v_lshlrev_b32_e32 v2, 20, v2
	v_and_b32_e32 v12, 0x80000000, v12
	v_lshl_add_u32 v6, v6, 23, v13
	v_or3_b32 v2, v12, v6, v2
.LBB10_1588:
	s_or_b64 exec, exec, s[6:7]
	s_movk_i32 s4, 0xff
	v_and_b32_sdwa v6, v3, s4 dst_sel:DWORD dst_unused:UNUSED_PAD src0_sel:WORD_1 src1_sel:DWORD
	s_movk_i32 s4, 0x7f
	v_cmp_lt_i16_e32 vcc, s4, v6
	s_mov_b64 s[4:5], 0
                                        ; implicit-def: $sgpr10
	s_and_saveexec_b64 s[6:7], vcc
	s_xor_b64 s[6:7], exec, s[6:7]
	s_cbranch_execnz .LBB10_3637
; %bb.1589:
	s_or_saveexec_b64 s[6:7], s[6:7]
	v_mov_b32_e32 v12, s10
	s_xor_b64 exec, exec, s[6:7]
	s_cbranch_execnz .LBB10_3640
.LBB10_1590:
	s_or_b64 exec, exec, s[6:7]
	s_and_saveexec_b64 s[6:7], s[4:5]
	s_cbranch_execz .LBB10_1592
.LBB10_1591:
	v_bfe_u32 v6, v3, 16, 3
	v_ffbh_u32_e32 v14, v6
	v_min_u32_e32 v14, 32, v14
	v_lshrrev_b32_e32 v12, 19, v3
	v_subrev_u32_e32 v15, 28, v14
	v_and_b32_e32 v12, 15, v12
	v_lshlrev_b32_sdwa v15, v15, v3 dst_sel:DWORD dst_unused:UNUSED_PAD src0_sel:DWORD src1_sel:WORD_1
	v_bfe_u32 v13, v3, 19, 4
	v_sub_u32_e32 v14, 29, v14
	v_and_b32_e32 v15, 7, v15
	v_cmp_eq_u16_e32 vcc, 0, v12
	v_cndmask_b32_e32 v6, v6, v15, vcc
	v_cndmask_b32_e32 v12, v13, v14, vcc
	v_lshlrev_b32_e32 v13, 8, v3
	v_mov_b32_e32 v14, 0x3b800000
	v_lshlrev_b32_e32 v6, 20, v6
	v_and_b32_e32 v13, 0x80000000, v13
	v_lshl_add_u32 v12, v12, 23, v14
	v_or3_b32 v12, v13, v12, v6
.LBB10_1592:
	s_or_b64 exec, exec, s[6:7]
	s_nop 0
	v_mfma_f32_16x16x4f32 a[0:3], v2, v12, a[0:3]
	s_movk_i32 s4, 0x7f
	v_cmp_gt_i16_sdwa s[6:7], v7, s4 src0_sel:BYTE_3 src1_sel:DWORD
	s_mov_b64 s[4:5], 0
                                        ; implicit-def: $sgpr10
	s_and_saveexec_b64 s[8:9], s[6:7]
	s_xor_b64 s[6:7], exec, s[8:9]
	s_cbranch_execnz .LBB10_3641
; %bb.1593:
	s_or_saveexec_b64 s[6:7], s[6:7]
	v_mov_b32_e32 v2, s10
	s_xor_b64 exec, exec, s[6:7]
	s_cbranch_execnz .LBB10_3644
.LBB10_1594:
	s_or_b64 exec, exec, s[6:7]
	s_and_saveexec_b64 s[6:7], s[4:5]
	s_cbranch_execz .LBB10_1596
.LBB10_1595:
	v_bfe_u32 v2, v7, 24, 3
	v_ffbh_u32_e32 v14, v2
	v_min_u32_e32 v14, 32, v14
	v_lshrrev_b32_e32 v12, 27, v7
	v_subrev_u32_e32 v15, 28, v14
	v_and_b32_e32 v6, 0x80000000, v7
	v_and_b32_e32 v12, 15, v12
	v_bfe_u32 v13, v7, 27, 4
	v_lshlrev_b32_sdwa v7, v15, v7 dst_sel:DWORD dst_unused:UNUSED_PAD src0_sel:DWORD src1_sel:BYTE_3
	v_sub_u32_e32 v14, 29, v14
	v_and_b32_e32 v7, 7, v7
	v_cmp_eq_u16_e32 vcc, 0, v12
	v_cndmask_b32_e32 v2, v2, v7, vcc
	v_cndmask_b32_e32 v7, v13, v14, vcc
	v_mov_b32_e32 v12, 0x3b800000
	v_lshlrev_b32_e32 v2, 20, v2
	v_lshl_add_u32 v7, v7, 23, v12
	v_or3_b32 v2, v6, v7, v2
.LBB10_1596:
	s_or_b64 exec, exec, s[6:7]
	s_movk_i32 s4, 0x7f
	v_cmp_gt_i16_sdwa s[6:7], v3, s4 src0_sel:BYTE_3 src1_sel:DWORD
	s_mov_b64 s[4:5], 0
                                        ; implicit-def: $sgpr10
	s_and_saveexec_b64 s[8:9], s[6:7]
	s_xor_b64 s[6:7], exec, s[8:9]
	s_cbranch_execnz .LBB10_3645
; %bb.1597:
	s_or_saveexec_b64 s[6:7], s[6:7]
	v_mov_b32_e32 v6, s10
	s_xor_b64 exec, exec, s[6:7]
	s_cbranch_execnz .LBB10_3648
.LBB10_1598:
	s_or_b64 exec, exec, s[6:7]
	s_and_saveexec_b64 s[6:7], s[4:5]
	s_cbranch_execz .LBB10_1600
.LBB10_1599:
	v_bfe_u32 v6, v3, 24, 3
	v_ffbh_u32_e32 v14, v6
	v_min_u32_e32 v14, 32, v14
	v_lshrrev_b32_e32 v12, 27, v3
	v_subrev_u32_e32 v15, 28, v14
	v_and_b32_e32 v7, 0x80000000, v3
	v_and_b32_e32 v12, 15, v12
	v_bfe_u32 v13, v3, 27, 4
	v_lshlrev_b32_sdwa v3, v15, v3 dst_sel:DWORD dst_unused:UNUSED_PAD src0_sel:DWORD src1_sel:BYTE_3
	v_sub_u32_e32 v14, 29, v14
	v_and_b32_e32 v3, 7, v3
	v_cmp_eq_u16_e32 vcc, 0, v12
	v_cndmask_b32_e32 v3, v6, v3, vcc
	v_cndmask_b32_e32 v6, v13, v14, vcc
	v_mov_b32_e32 v12, 0x3b800000
	v_lshlrev_b32_e32 v3, 20, v3
	v_lshl_add_u32 v6, v6, 23, v12
	v_or3_b32 v6, v7, v6, v3
.LBB10_1600:
	s_or_b64 exec, exec, s[6:7]
	s_nop 0
	v_mfma_f32_16x16x4f32 a[0:3], v2, v6, a[0:3]
	s_movk_i32 s4, 0x7f
	v_cmp_gt_i16_sdwa s[6:7], v8, s4 src0_sel:BYTE_0 src1_sel:DWORD
	s_mov_b64 s[4:5], 0
                                        ; implicit-def: $sgpr10
	s_and_saveexec_b64 s[8:9], s[6:7]
	s_xor_b64 s[6:7], exec, s[8:9]
	s_cbranch_execnz .LBB10_3649
; %bb.1601:
	s_or_saveexec_b64 s[6:7], s[6:7]
	v_mov_b32_e32 v2, s10
	s_xor_b64 exec, exec, s[6:7]
	s_cbranch_execnz .LBB10_3652
.LBB10_1602:
	s_or_b64 exec, exec, s[6:7]
	s_and_saveexec_b64 s[6:7], s[4:5]
	s_cbranch_execz .LBB10_1604
.LBB10_1603:
	v_and_b32_e32 v2, 7, v8
	v_ffbh_u32_e32 v6, v2
	v_min_u32_e32 v6, 32, v6
	v_lshrrev_b16_e32 v3, 3, v8
	v_subrev_u32_e32 v7, 28, v6
	v_and_b32_e32 v3, 15, v3
	v_lshlrev_b32_e32 v7, v7, v8
	v_sub_u32_e32 v6, 29, v6
	v_and_b32_e32 v7, 7, v7
	v_cmp_eq_u16_e32 vcc, 0, v3
	v_cndmask_b32_e32 v2, v2, v7, vcc
	v_cndmask_b32_e32 v3, v3, v6, vcc
	v_lshlrev_b32_e32 v6, 24, v8
	v_mov_b32_e32 v7, 0x3b800000
	v_lshlrev_b32_e32 v2, 20, v2
	v_and_b32_e32 v6, 0x80000000, v6
	v_lshl_add_u32 v3, v3, 23, v7
	v_or3_b32 v2, v6, v3, v2
.LBB10_1604:
	s_or_b64 exec, exec, s[6:7]
	s_movk_i32 s4, 0x7f
	v_cmp_gt_i16_sdwa s[6:7], v4, s4 src0_sel:BYTE_0 src1_sel:DWORD
	s_mov_b64 s[4:5], 0
                                        ; implicit-def: $sgpr10
	s_and_saveexec_b64 s[8:9], s[6:7]
	s_xor_b64 s[6:7], exec, s[8:9]
	s_cbranch_execnz .LBB10_3653
; %bb.1605:
	s_or_saveexec_b64 s[6:7], s[6:7]
	v_mov_b32_e32 v3, s10
	s_xor_b64 exec, exec, s[6:7]
	s_cbranch_execnz .LBB10_3656
.LBB10_1606:
	s_or_b64 exec, exec, s[6:7]
	s_and_saveexec_b64 s[6:7], s[4:5]
	s_cbranch_execz .LBB10_1608
.LBB10_1607:
	v_and_b32_e32 v3, 7, v4
	v_ffbh_u32_e32 v7, v3
	v_min_u32_e32 v7, 32, v7
	v_lshrrev_b16_e32 v6, 3, v4
	v_subrev_u32_e32 v12, 28, v7
	v_and_b32_e32 v6, 15, v6
	v_lshlrev_b32_e32 v12, v12, v4
	v_sub_u32_e32 v7, 29, v7
	v_and_b32_e32 v12, 7, v12
	v_cmp_eq_u16_e32 vcc, 0, v6
	v_cndmask_b32_e32 v3, v3, v12, vcc
	v_cndmask_b32_e32 v6, v6, v7, vcc
	v_lshlrev_b32_e32 v7, 24, v4
	v_mov_b32_e32 v12, 0x3b800000
	v_lshlrev_b32_e32 v3, 20, v3
	v_and_b32_e32 v7, 0x80000000, v7
	v_lshl_add_u32 v6, v6, 23, v12
	v_or3_b32 v3, v7, v6, v3
.LBB10_1608:
	s_or_b64 exec, exec, s[6:7]
	s_nop 0
	v_mfma_f32_16x16x4f32 a[0:3], v2, v3, a[0:3]
	v_lshrrev_b32_e32 v3, 8, v8
	s_movk_i32 s4, 0x7f
	v_cmp_gt_i16_sdwa s[6:7], v3, s4 src0_sel:BYTE_0 src1_sel:DWORD
	s_mov_b64 s[4:5], 0
                                        ; implicit-def: $sgpr10
	s_and_saveexec_b64 s[8:9], s[6:7]
	s_xor_b64 s[6:7], exec, s[8:9]
	s_cbranch_execnz .LBB10_3657
; %bb.1609:
	s_or_saveexec_b64 s[6:7], s[6:7]
	v_mov_b32_e32 v2, s10
	s_xor_b64 exec, exec, s[6:7]
	s_cbranch_execnz .LBB10_3660
.LBB10_1610:
	s_or_b64 exec, exec, s[6:7]
	s_and_saveexec_b64 s[6:7], s[4:5]
	s_cbranch_execz .LBB10_1612
.LBB10_1611:
	v_bfe_u32 v2, v8, 8, 3
	v_ffbh_u32_e32 v7, v2
	v_min_u32_e32 v7, 32, v7
	v_lshrrev_b16_e32 v6, 3, v3
	v_subrev_u32_e32 v12, 28, v7
	v_and_b32_e32 v6, 15, v6
	v_lshlrev_b32_e32 v3, v12, v3
	v_sub_u32_e32 v7, 29, v7
	v_and_b32_e32 v3, 7, v3
	v_cmp_eq_u16_e32 vcc, 0, v6
	v_cndmask_b32_e32 v2, v2, v3, vcc
	v_cndmask_b32_e32 v3, v6, v7, vcc
	v_lshlrev_b32_e32 v6, 16, v8
	v_mov_b32_e32 v7, 0x3b800000
	v_lshlrev_b32_e32 v2, 20, v2
	v_and_b32_e32 v6, 0x80000000, v6
	v_lshl_add_u32 v3, v3, 23, v7
	v_or3_b32 v2, v6, v3, v2
.LBB10_1612:
	s_or_b64 exec, exec, s[6:7]
	v_lshrrev_b32_e32 v3, 8, v4
	s_movk_i32 s4, 0x7f
	v_cmp_gt_i16_sdwa s[6:7], v3, s4 src0_sel:BYTE_0 src1_sel:DWORD
	s_mov_b64 s[4:5], 0
                                        ; implicit-def: $sgpr10
	s_and_saveexec_b64 s[8:9], s[6:7]
	s_xor_b64 s[6:7], exec, s[8:9]
	s_cbranch_execnz .LBB10_3661
; %bb.1613:
	s_or_saveexec_b64 s[6:7], s[6:7]
	v_mov_b32_e32 v6, s10
	s_xor_b64 exec, exec, s[6:7]
	s_cbranch_execnz .LBB10_3664
.LBB10_1614:
	s_or_b64 exec, exec, s[6:7]
	s_and_saveexec_b64 s[6:7], s[4:5]
	s_cbranch_execz .LBB10_1616
.LBB10_1615:
	v_bfe_u32 v6, v4, 8, 3
	v_ffbh_u32_e32 v12, v6
	v_min_u32_e32 v12, 32, v12
	v_lshrrev_b16_e32 v7, 3, v3
	v_subrev_u32_e32 v13, 28, v12
	v_and_b32_e32 v7, 15, v7
	v_lshlrev_b32_e32 v3, v13, v3
	v_sub_u32_e32 v12, 29, v12
	v_and_b32_e32 v3, 7, v3
	v_cmp_eq_u16_e32 vcc, 0, v7
	v_cndmask_b32_e32 v3, v6, v3, vcc
	v_cndmask_b32_e32 v6, v7, v12, vcc
	v_lshlrev_b32_e32 v7, 16, v4
	v_mov_b32_e32 v12, 0x3b800000
	v_lshlrev_b32_e32 v3, 20, v3
	v_and_b32_e32 v7, 0x80000000, v7
	v_lshl_add_u32 v6, v6, 23, v12
	v_or3_b32 v6, v7, v6, v3
.LBB10_1616:
	s_or_b64 exec, exec, s[6:7]
	s_nop 0
	v_mfma_f32_16x16x4f32 a[0:3], v2, v6, a[0:3]
	s_movk_i32 s4, 0xff
	v_and_b32_sdwa v3, v8, s4 dst_sel:DWORD dst_unused:UNUSED_PAD src0_sel:WORD_1 src1_sel:DWORD
	s_movk_i32 s4, 0x7f
	v_cmp_lt_i16_e32 vcc, s4, v3
	s_mov_b64 s[4:5], 0
                                        ; implicit-def: $sgpr10
	s_and_saveexec_b64 s[6:7], vcc
	s_xor_b64 s[6:7], exec, s[6:7]
	s_cbranch_execnz .LBB10_3665
; %bb.1617:
	s_or_saveexec_b64 s[6:7], s[6:7]
	v_mov_b32_e32 v2, s10
	s_xor_b64 exec, exec, s[6:7]
	s_cbranch_execnz .LBB10_3668
.LBB10_1618:
	s_or_b64 exec, exec, s[6:7]
	s_and_saveexec_b64 s[6:7], s[4:5]
	s_cbranch_execz .LBB10_1620
.LBB10_1619:
	v_bfe_u32 v2, v8, 16, 3
	v_ffbh_u32_e32 v7, v2
	v_min_u32_e32 v7, 32, v7
	v_lshrrev_b32_e32 v3, 19, v8
	v_subrev_u32_e32 v12, 28, v7
	v_and_b32_e32 v3, 15, v3
	v_lshlrev_b32_sdwa v12, v12, v8 dst_sel:DWORD dst_unused:UNUSED_PAD src0_sel:DWORD src1_sel:WORD_1
	v_bfe_u32 v6, v8, 19, 4
	v_sub_u32_e32 v7, 29, v7
	v_and_b32_e32 v12, 7, v12
	v_cmp_eq_u16_e32 vcc, 0, v3
	v_cndmask_b32_e32 v2, v2, v12, vcc
	v_cndmask_b32_e32 v3, v6, v7, vcc
	v_lshlrev_b32_e32 v6, 8, v8
	v_mov_b32_e32 v7, 0x3b800000
	v_lshlrev_b32_e32 v2, 20, v2
	v_and_b32_e32 v6, 0x80000000, v6
	v_lshl_add_u32 v3, v3, 23, v7
	v_or3_b32 v2, v6, v3, v2
.LBB10_1620:
	s_or_b64 exec, exec, s[6:7]
	s_movk_i32 s4, 0xff
	v_and_b32_sdwa v3, v4, s4 dst_sel:DWORD dst_unused:UNUSED_PAD src0_sel:WORD_1 src1_sel:DWORD
	s_movk_i32 s4, 0x7f
	v_cmp_lt_i16_e32 vcc, s4, v3
	s_mov_b64 s[4:5], 0
                                        ; implicit-def: $sgpr10
	s_and_saveexec_b64 s[6:7], vcc
	s_xor_b64 s[6:7], exec, s[6:7]
	s_cbranch_execnz .LBB10_3669
; %bb.1621:
	s_or_saveexec_b64 s[6:7], s[6:7]
	v_mov_b32_e32 v6, s10
	s_xor_b64 exec, exec, s[6:7]
	s_cbranch_execnz .LBB10_3672
.LBB10_1622:
	s_or_b64 exec, exec, s[6:7]
	s_and_saveexec_b64 s[6:7], s[4:5]
	s_cbranch_execz .LBB10_1624
.LBB10_1623:
	v_bfe_u32 v3, v4, 16, 3
	v_ffbh_u32_e32 v12, v3
	v_min_u32_e32 v12, 32, v12
	v_lshrrev_b32_e32 v6, 19, v4
	v_subrev_u32_e32 v13, 28, v12
	v_and_b32_e32 v6, 15, v6
	v_lshlrev_b32_sdwa v13, v13, v4 dst_sel:DWORD dst_unused:UNUSED_PAD src0_sel:DWORD src1_sel:WORD_1
	v_bfe_u32 v7, v4, 19, 4
	v_sub_u32_e32 v12, 29, v12
	v_and_b32_e32 v13, 7, v13
	v_cmp_eq_u16_e32 vcc, 0, v6
	v_cndmask_b32_e32 v3, v3, v13, vcc
	v_cndmask_b32_e32 v6, v7, v12, vcc
	v_lshlrev_b32_e32 v7, 8, v4
	v_mov_b32_e32 v12, 0x3b800000
	v_lshlrev_b32_e32 v3, 20, v3
	v_and_b32_e32 v7, 0x80000000, v7
	v_lshl_add_u32 v6, v6, 23, v12
	v_or3_b32 v6, v7, v6, v3
.LBB10_1624:
	s_or_b64 exec, exec, s[6:7]
	s_nop 0
	v_mfma_f32_16x16x4f32 a[0:3], v2, v6, a[0:3]
	s_movk_i32 s4, 0x7f
	v_cmp_gt_i16_sdwa s[6:7], v8, s4 src0_sel:BYTE_3 src1_sel:DWORD
	s_mov_b64 s[4:5], 0
                                        ; implicit-def: $sgpr10
	s_and_saveexec_b64 s[8:9], s[6:7]
	s_xor_b64 s[6:7], exec, s[8:9]
	s_cbranch_execnz .LBB10_3673
; %bb.1625:
	s_or_saveexec_b64 s[6:7], s[6:7]
	v_mov_b32_e32 v2, s10
	s_xor_b64 exec, exec, s[6:7]
	s_cbranch_execnz .LBB10_3676
.LBB10_1626:
	s_or_b64 exec, exec, s[6:7]
	s_and_saveexec_b64 s[6:7], s[4:5]
	s_cbranch_execz .LBB10_1628
.LBB10_1627:
	v_bfe_u32 v2, v8, 24, 3
	v_ffbh_u32_e32 v12, v2
	v_min_u32_e32 v12, 32, v12
	v_lshrrev_b32_e32 v6, 27, v8
	v_subrev_u32_e32 v13, 28, v12
	v_and_b32_e32 v3, 0x80000000, v8
	v_and_b32_e32 v6, 15, v6
	v_bfe_u32 v7, v8, 27, 4
	v_lshlrev_b32_sdwa v8, v13, v8 dst_sel:DWORD dst_unused:UNUSED_PAD src0_sel:DWORD src1_sel:BYTE_3
	v_sub_u32_e32 v12, 29, v12
	v_and_b32_e32 v8, 7, v8
	v_cmp_eq_u16_e32 vcc, 0, v6
	v_cndmask_b32_e32 v2, v2, v8, vcc
	v_cndmask_b32_e32 v6, v7, v12, vcc
	v_mov_b32_e32 v7, 0x3b800000
	v_lshlrev_b32_e32 v2, 20, v2
	v_lshl_add_u32 v6, v6, 23, v7
	v_or3_b32 v2, v3, v6, v2
.LBB10_1628:
	s_or_b64 exec, exec, s[6:7]
	s_movk_i32 s4, 0x7f
	v_cmp_gt_i16_sdwa s[6:7], v4, s4 src0_sel:BYTE_3 src1_sel:DWORD
	s_mov_b64 s[4:5], 0
                                        ; implicit-def: $sgpr10
	s_and_saveexec_b64 s[8:9], s[6:7]
	s_xor_b64 s[6:7], exec, s[8:9]
	s_cbranch_execnz .LBB10_3677
; %bb.1629:
	s_or_saveexec_b64 s[6:7], s[6:7]
	v_mov_b32_e32 v3, s10
	s_xor_b64 exec, exec, s[6:7]
	s_cbranch_execnz .LBB10_3680
.LBB10_1630:
	s_or_b64 exec, exec, s[6:7]
	s_and_saveexec_b64 s[6:7], s[4:5]
	s_cbranch_execz .LBB10_1632
.LBB10_1631:
	v_bfe_u32 v3, v4, 24, 3
	v_ffbh_u32_e32 v12, v3
	v_min_u32_e32 v12, 32, v12
	v_lshrrev_b32_e32 v7, 27, v4
	v_subrev_u32_e32 v13, 28, v12
	v_and_b32_e32 v6, 0x80000000, v4
	v_and_b32_e32 v7, 15, v7
	v_bfe_u32 v8, v4, 27, 4
	v_lshlrev_b32_sdwa v4, v13, v4 dst_sel:DWORD dst_unused:UNUSED_PAD src0_sel:DWORD src1_sel:BYTE_3
	v_sub_u32_e32 v12, 29, v12
	v_and_b32_e32 v4, 7, v4
	v_cmp_eq_u16_e32 vcc, 0, v7
	v_cndmask_b32_e32 v3, v3, v4, vcc
	v_cndmask_b32_e32 v4, v8, v12, vcc
	v_mov_b32_e32 v7, 0x3b800000
	v_lshlrev_b32_e32 v3, 20, v3
	v_lshl_add_u32 v4, v4, 23, v7
	v_or3_b32 v3, v6, v4, v3
.LBB10_1632:
	s_or_b64 exec, exec, s[6:7]
	s_nop 0
	v_mfma_f32_16x16x4f32 a[0:3], v2, v3, a[0:3]
	s_movk_i32 s4, 0x7f
	v_cmp_gt_i16_sdwa s[6:7], v9, s4 src0_sel:BYTE_0 src1_sel:DWORD
	s_mov_b64 s[4:5], 0
                                        ; implicit-def: $sgpr10
	s_and_saveexec_b64 s[8:9], s[6:7]
	s_xor_b64 s[6:7], exec, s[8:9]
	s_cbranch_execnz .LBB10_3681
; %bb.1633:
	s_or_saveexec_b64 s[6:7], s[6:7]
	v_mov_b32_e32 v2, s10
	s_xor_b64 exec, exec, s[6:7]
	s_cbranch_execnz .LBB10_3684
.LBB10_1634:
	s_or_b64 exec, exec, s[6:7]
	s_and_saveexec_b64 s[6:7], s[4:5]
	s_cbranch_execz .LBB10_1636
.LBB10_1635:
	v_mov_b32_e32 v2, 8
	v_and_b32_e32 v3, 7, v9
	v_lshrrev_b32_sdwa v2, v2, v9 dst_sel:BYTE_1 dst_unused:UNUSED_PAD src0_sel:DWORD src1_sel:DWORD
	v_ffbh_u32_e32 v4, v3
	v_or_b32_sdwa v2, v9, v2 dst_sel:DWORD dst_unused:UNUSED_PAD src0_sel:BYTE_0 src1_sel:DWORD
	v_min_u32_e32 v4, 32, v4
	v_lshrrev_b16_e32 v2, 3, v2
	v_subrev_u32_e32 v6, 28, v4
	v_and_b32_e32 v2, 15, v2
	v_lshlrev_b32_e32 v6, v6, v9
	v_sub_u32_e32 v4, 29, v4
	v_and_b32_e32 v6, 7, v6
	v_cmp_eq_u16_e32 vcc, 0, v2
	v_cndmask_b32_e32 v3, v3, v6, vcc
	v_cndmask_b32_e32 v2, v2, v4, vcc
	v_lshlrev_b32_e32 v4, 24, v9
	v_mov_b32_e32 v6, 0x3b800000
	v_lshlrev_b32_e32 v3, 20, v3
	v_and_b32_e32 v4, 0x80000000, v4
	v_lshl_add_u32 v2, v2, 23, v6
	v_or3_b32 v2, v4, v2, v3
.LBB10_1636:
	s_or_b64 exec, exec, s[6:7]
	s_movk_i32 s4, 0x7f
	v_cmp_gt_i16_sdwa s[6:7], v5, s4 src0_sel:BYTE_0 src1_sel:DWORD
	s_mov_b64 s[4:5], 0
                                        ; implicit-def: $sgpr10
	s_and_saveexec_b64 s[8:9], s[6:7]
	s_xor_b64 s[6:7], exec, s[8:9]
	s_cbranch_execnz .LBB10_3685
; %bb.1637:
	s_or_saveexec_b64 s[6:7], s[6:7]
	v_mov_b32_e32 v3, s10
	s_xor_b64 exec, exec, s[6:7]
	s_cbranch_execnz .LBB10_3688
.LBB10_1638:
	s_or_b64 exec, exec, s[6:7]
	s_and_saveexec_b64 s[6:7], s[4:5]
	s_cbranch_execz .LBB10_1640
.LBB10_1639:
	v_mov_b32_e32 v3, 8
	v_and_b32_e32 v4, 7, v5
	v_lshrrev_b32_sdwa v3, v3, v5 dst_sel:BYTE_1 dst_unused:UNUSED_PAD src0_sel:DWORD src1_sel:DWORD
	v_ffbh_u32_e32 v6, v4
	v_or_b32_sdwa v3, v5, v3 dst_sel:DWORD dst_unused:UNUSED_PAD src0_sel:BYTE_0 src1_sel:DWORD
	v_min_u32_e32 v6, 32, v6
	v_lshrrev_b16_e32 v3, 3, v3
	v_subrev_u32_e32 v7, 28, v6
	v_and_b32_e32 v3, 15, v3
	v_lshlrev_b32_e32 v7, v7, v5
	v_sub_u32_e32 v6, 29, v6
	v_and_b32_e32 v7, 7, v7
	v_cmp_eq_u16_e32 vcc, 0, v3
	v_cndmask_b32_e32 v4, v4, v7, vcc
	v_cndmask_b32_e32 v3, v3, v6, vcc
	v_lshlrev_b32_e32 v6, 24, v5
	v_mov_b32_e32 v7, 0x3b800000
	v_lshlrev_b32_e32 v4, 20, v4
	v_and_b32_e32 v6, 0x80000000, v6
	v_lshl_add_u32 v3, v3, 23, v7
	v_or3_b32 v3, v6, v3, v4
.LBB10_1640:
	s_or_b64 exec, exec, s[6:7]
	s_nop 0
	v_mfma_f32_16x16x4f32 a[0:3], v2, v3, a[0:3]
	v_lshrrev_b32_e32 v3, 8, v9
	s_movk_i32 s4, 0x7f
	v_cmp_gt_i16_sdwa s[6:7], v3, s4 src0_sel:BYTE_0 src1_sel:DWORD
	s_mov_b64 s[4:5], 0
                                        ; implicit-def: $sgpr10
	s_and_saveexec_b64 s[8:9], s[6:7]
	s_xor_b64 s[6:7], exec, s[8:9]
	s_cbranch_execnz .LBB10_3689
; %bb.1641:
	s_or_saveexec_b64 s[6:7], s[6:7]
	v_mov_b32_e32 v2, s10
	s_xor_b64 exec, exec, s[6:7]
	s_cbranch_execnz .LBB10_3692
.LBB10_1642:
	s_or_b64 exec, exec, s[6:7]
	s_and_saveexec_b64 s[6:7], s[4:5]
	s_cbranch_execz .LBB10_1644
.LBB10_1643:
	v_bfe_u32 v2, v9, 8, 3
	v_ffbh_u32_e32 v6, v2
	v_min_u32_e32 v6, 32, v6
	v_lshrrev_b16_e32 v4, 3, v3
	v_subrev_u32_e32 v7, 28, v6
	v_and_b32_e32 v4, 15, v4
	v_lshlrev_b32_e32 v3, v7, v3
	v_sub_u32_e32 v6, 29, v6
	v_and_b32_e32 v3, 7, v3
	v_cmp_eq_u16_e32 vcc, 0, v4
	v_cndmask_b32_e32 v2, v2, v3, vcc
	v_cndmask_b32_e32 v3, v4, v6, vcc
	v_lshlrev_b32_e32 v4, 16, v9
	v_mov_b32_e32 v6, 0x3b800000
	v_lshlrev_b32_e32 v2, 20, v2
	v_and_b32_e32 v4, 0x80000000, v4
	v_lshl_add_u32 v3, v3, 23, v6
	v_or3_b32 v2, v4, v3, v2
.LBB10_1644:
	s_or_b64 exec, exec, s[6:7]
	v_lshrrev_b32_e32 v3, 8, v5
	s_movk_i32 s4, 0x7f
	v_cmp_gt_i16_sdwa s[6:7], v3, s4 src0_sel:BYTE_0 src1_sel:DWORD
	s_mov_b64 s[4:5], 0
                                        ; implicit-def: $sgpr10
	s_and_saveexec_b64 s[8:9], s[6:7]
	s_xor_b64 s[6:7], exec, s[8:9]
	s_cbranch_execnz .LBB10_3693
; %bb.1645:
	s_or_saveexec_b64 s[6:7], s[6:7]
	v_mov_b32_e32 v4, s10
	s_xor_b64 exec, exec, s[6:7]
	s_cbranch_execnz .LBB10_3696
.LBB10_1646:
	s_or_b64 exec, exec, s[6:7]
	s_and_saveexec_b64 s[6:7], s[4:5]
	s_cbranch_execz .LBB10_1648
.LBB10_1647:
	v_bfe_u32 v4, v5, 8, 3
	v_ffbh_u32_e32 v7, v4
	v_min_u32_e32 v7, 32, v7
	v_lshrrev_b16_e32 v6, 3, v3
	v_subrev_u32_e32 v8, 28, v7
	v_and_b32_e32 v6, 15, v6
	v_lshlrev_b32_e32 v3, v8, v3
	v_sub_u32_e32 v7, 29, v7
	v_and_b32_e32 v3, 7, v3
	v_cmp_eq_u16_e32 vcc, 0, v6
	v_cndmask_b32_e32 v3, v4, v3, vcc
	v_cndmask_b32_e32 v4, v6, v7, vcc
	v_lshlrev_b32_e32 v6, 16, v5
	v_mov_b32_e32 v7, 0x3b800000
	v_lshlrev_b32_e32 v3, 20, v3
	v_and_b32_e32 v6, 0x80000000, v6
	v_lshl_add_u32 v4, v4, 23, v7
	v_or3_b32 v4, v6, v4, v3
.LBB10_1648:
	s_or_b64 exec, exec, s[6:7]
	s_nop 0
	v_mfma_f32_16x16x4f32 a[0:3], v2, v4, a[0:3]
	s_movk_i32 s4, 0xff
	v_and_b32_sdwa v3, v9, s4 dst_sel:DWORD dst_unused:UNUSED_PAD src0_sel:WORD_1 src1_sel:DWORD
	s_movk_i32 s4, 0x7f
	v_cmp_lt_i16_e32 vcc, s4, v3
	s_mov_b64 s[4:5], 0
                                        ; implicit-def: $sgpr10
	s_and_saveexec_b64 s[6:7], vcc
	s_xor_b64 s[6:7], exec, s[6:7]
	s_cbranch_execnz .LBB10_3697
; %bb.1649:
	s_or_saveexec_b64 s[6:7], s[6:7]
	v_mov_b32_e32 v2, s10
	s_xor_b64 exec, exec, s[6:7]
	s_cbranch_execnz .LBB10_3700
.LBB10_1650:
	s_or_b64 exec, exec, s[6:7]
	s_and_saveexec_b64 s[6:7], s[4:5]
	s_cbranch_execz .LBB10_1652
.LBB10_1651:
	v_bfe_u32 v2, v9, 16, 3
	v_ffbh_u32_e32 v6, v2
	v_min_u32_e32 v6, 32, v6
	v_lshrrev_b32_e32 v3, 19, v9
	v_subrev_u32_e32 v7, 28, v6
	v_and_b32_e32 v3, 15, v3
	v_lshlrev_b32_sdwa v7, v7, v9 dst_sel:DWORD dst_unused:UNUSED_PAD src0_sel:DWORD src1_sel:WORD_1
	v_bfe_u32 v4, v9, 19, 4
	v_sub_u32_e32 v6, 29, v6
	v_and_b32_e32 v7, 7, v7
	v_cmp_eq_u16_e32 vcc, 0, v3
	v_cndmask_b32_e32 v2, v2, v7, vcc
	v_cndmask_b32_e32 v3, v4, v6, vcc
	v_lshlrev_b32_e32 v4, 8, v9
	v_mov_b32_e32 v6, 0x3b800000
	v_lshlrev_b32_e32 v2, 20, v2
	v_and_b32_e32 v4, 0x80000000, v4
	v_lshl_add_u32 v3, v3, 23, v6
	v_or3_b32 v2, v4, v3, v2
.LBB10_1652:
	s_or_b64 exec, exec, s[6:7]
	s_movk_i32 s4, 0xff
	v_and_b32_sdwa v3, v5, s4 dst_sel:DWORD dst_unused:UNUSED_PAD src0_sel:WORD_1 src1_sel:DWORD
	s_movk_i32 s4, 0x7f
	v_cmp_lt_i16_e32 vcc, s4, v3
	s_mov_b64 s[4:5], 0
                                        ; implicit-def: $sgpr10
	s_and_saveexec_b64 s[6:7], vcc
	s_xor_b64 s[6:7], exec, s[6:7]
	s_cbranch_execnz .LBB10_3701
; %bb.1653:
	s_or_saveexec_b64 s[6:7], s[6:7]
	v_mov_b32_e32 v4, s10
	s_xor_b64 exec, exec, s[6:7]
	s_cbranch_execnz .LBB10_3704
.LBB10_1654:
	s_or_b64 exec, exec, s[6:7]
	s_and_saveexec_b64 s[6:7], s[4:5]
	s_cbranch_execz .LBB10_1656
.LBB10_1655:
	v_bfe_u32 v3, v5, 16, 3
	v_ffbh_u32_e32 v7, v3
	v_min_u32_e32 v7, 32, v7
	v_lshrrev_b32_e32 v4, 19, v5
	v_subrev_u32_e32 v8, 28, v7
	v_and_b32_e32 v4, 15, v4
	v_lshlrev_b32_sdwa v8, v8, v5 dst_sel:DWORD dst_unused:UNUSED_PAD src0_sel:DWORD src1_sel:WORD_1
	v_bfe_u32 v6, v5, 19, 4
	v_sub_u32_e32 v7, 29, v7
	v_and_b32_e32 v8, 7, v8
	v_cmp_eq_u16_e32 vcc, 0, v4
	v_cndmask_b32_e32 v3, v3, v8, vcc
	v_cndmask_b32_e32 v4, v6, v7, vcc
	v_lshlrev_b32_e32 v6, 8, v5
	v_mov_b32_e32 v7, 0x3b800000
	v_lshlrev_b32_e32 v3, 20, v3
	v_and_b32_e32 v6, 0x80000000, v6
	v_lshl_add_u32 v4, v4, 23, v7
	v_or3_b32 v4, v6, v4, v3
.LBB10_1656:
	s_or_b64 exec, exec, s[6:7]
	s_nop 0
	v_mfma_f32_16x16x4f32 a[0:3], v2, v4, a[0:3]
	s_movk_i32 s4, 0x7f
	v_cmp_gt_i16_sdwa s[6:7], v9, s4 src0_sel:BYTE_3 src1_sel:DWORD
	s_mov_b64 s[4:5], 0
                                        ; implicit-def: $sgpr10
	s_and_saveexec_b64 s[8:9], s[6:7]
	s_xor_b64 s[6:7], exec, s[8:9]
	s_cbranch_execnz .LBB10_3705
; %bb.1657:
	s_or_saveexec_b64 s[6:7], s[6:7]
	v_mov_b32_e32 v2, s10
	s_xor_b64 exec, exec, s[6:7]
	s_cbranch_execnz .LBB10_3708
.LBB10_1658:
	s_or_b64 exec, exec, s[6:7]
	s_and_saveexec_b64 s[6:7], s[4:5]
	s_cbranch_execz .LBB10_1660
.LBB10_1659:
	v_bfe_u32 v2, v9, 24, 3
	v_ffbh_u32_e32 v7, v2
	v_min_u32_e32 v7, 32, v7
	v_lshrrev_b32_e32 v4, 27, v9
	v_subrev_u32_e32 v8, 28, v7
	v_and_b32_e32 v4, 15, v4
	v_lshlrev_b32_sdwa v8, v8, v9 dst_sel:DWORD dst_unused:UNUSED_PAD src0_sel:DWORD src1_sel:BYTE_3
	v_bfe_u32 v6, v9, 27, 4
	v_sub_u32_e32 v7, 29, v7
	v_and_b32_e32 v8, 7, v8
	v_cmp_eq_u16_e32 vcc, 0, v4
	v_cndmask_b32_e32 v2, v2, v8, vcc
	v_cndmask_b32_e32 v4, v6, v7, vcc
	v_mov_b32_e32 v6, 0x3b800000
	v_and_b32_e32 v3, 0x80000000, v9
	v_lshlrev_b32_e32 v2, 20, v2
	v_lshl_add_u32 v4, v4, 23, v6
	v_or3_b32 v2, v3, v4, v2
.LBB10_1660:
	s_or_b64 exec, exec, s[6:7]
	s_movk_i32 s4, 0x7f
	v_cmp_gt_i16_sdwa s[6:7], v5, s4 src0_sel:BYTE_3 src1_sel:DWORD
	s_mov_b64 s[4:5], 0
                                        ; implicit-def: $sgpr10
	s_and_saveexec_b64 s[8:9], s[6:7]
	s_xor_b64 s[6:7], exec, s[8:9]
	s_cbranch_execnz .LBB10_3709
; %bb.1661:
	s_or_saveexec_b64 s[6:7], s[6:7]
	v_mov_b32_e32 v3, s10
	s_xor_b64 exec, exec, s[6:7]
	s_cbranch_execnz .LBB10_3712
.LBB10_1662:
	s_or_b64 exec, exec, s[6:7]
	s_and_saveexec_b64 s[6:7], s[4:5]
	s_cbranch_execz .LBB10_1664
.LBB10_1663:
	v_bfe_u32 v3, v5, 24, 3
	v_ffbh_u32_e32 v8, v3
	v_min_u32_e32 v8, 32, v8
	v_lshrrev_b32_e32 v6, 27, v5
	v_subrev_u32_e32 v9, 28, v8
	v_and_b32_e32 v4, 0x80000000, v5
	v_and_b32_e32 v6, 15, v6
	v_bfe_u32 v7, v5, 27, 4
	v_lshlrev_b32_sdwa v5, v9, v5 dst_sel:DWORD dst_unused:UNUSED_PAD src0_sel:DWORD src1_sel:BYTE_3
	v_sub_u32_e32 v8, 29, v8
	v_and_b32_e32 v5, 7, v5
	v_cmp_eq_u16_e32 vcc, 0, v6
	v_cndmask_b32_e32 v3, v3, v5, vcc
	v_cndmask_b32_e32 v5, v7, v8, vcc
	v_mov_b32_e32 v6, 0x3b800000
	v_lshlrev_b32_e32 v3, 20, v3
	v_lshl_add_u32 v5, v5, 23, v6
	v_or3_b32 v3, v4, v5, v3
.LBB10_1664:
	s_or_b64 exec, exec, s[6:7]
	s_nop 0
	v_mfma_f32_16x16x4f32 a[0:3], v2, v3, a[0:3]
	s_movk_i32 s4, 0x7f
                                        ; implicit-def: $sgpr10
	s_nop 7
	s_nop 1
	flat_store_dwordx4 v[10:11], a[0:3] offset:192
	flat_load_dwordx4 v[12:15], v[0:1] offset:8
	s_nop 0
	flat_load_dwordx2 v[10:11], v[0:1] offset:32
	s_waitcnt vmcnt(0) lgkmcnt(0)
	flat_load_dwordx4 v[6:9], v[12:13] offset:96
	flat_load_dwordx4 v[2:5], v[14:15] offset:32
	s_waitcnt vmcnt(0) lgkmcnt(0)
	v_cmp_gt_i16_sdwa s[6:7], v6, s4 src0_sel:BYTE_0 src1_sel:DWORD
	s_mov_b64 s[4:5], 0
	s_and_saveexec_b64 s[8:9], s[6:7]
	s_xor_b64 s[6:7], exec, s[8:9]
	s_cbranch_execnz .LBB10_3713
; %bb.1665:
	s_or_saveexec_b64 s[6:7], s[6:7]
	v_mov_b32_e32 v12, s10
	s_xor_b64 exec, exec, s[6:7]
	s_cbranch_execnz .LBB10_3716
.LBB10_1666:
	s_or_b64 exec, exec, s[6:7]
	s_and_saveexec_b64 s[6:7], s[4:5]
	s_cbranch_execz .LBB10_1668
.LBB10_1667:
	v_and_b32_e32 v12, 7, v6
	v_ffbh_u32_e32 v14, v12
	v_min_u32_e32 v14, 32, v14
	v_lshrrev_b16_e32 v13, 3, v6
	v_subrev_u32_e32 v15, 28, v14
	v_and_b32_e32 v13, 15, v13
	v_lshlrev_b32_e32 v15, v15, v6
	v_sub_u32_e32 v14, 29, v14
	v_and_b32_e32 v15, 7, v15
	v_cmp_eq_u16_e32 vcc, 0, v13
	v_cndmask_b32_e32 v12, v12, v15, vcc
	v_cndmask_b32_e32 v13, v13, v14, vcc
	v_lshlrev_b32_e32 v14, 24, v6
	v_mov_b32_e32 v15, 0x3b800000
	v_lshlrev_b32_e32 v12, 20, v12
	v_and_b32_e32 v14, 0x80000000, v14
	v_lshl_add_u32 v13, v13, 23, v15
	v_or3_b32 v12, v14, v13, v12
.LBB10_1668:
	s_or_b64 exec, exec, s[6:7]
	s_movk_i32 s4, 0x7f
	v_cmp_gt_i16_sdwa s[6:7], v2, s4 src0_sel:BYTE_0 src1_sel:DWORD
	s_mov_b64 s[4:5], 0
                                        ; implicit-def: $sgpr10
	s_and_saveexec_b64 s[8:9], s[6:7]
	s_xor_b64 s[6:7], exec, s[8:9]
	s_cbranch_execnz .LBB10_3717
; %bb.1669:
	s_or_saveexec_b64 s[6:7], s[6:7]
	v_mov_b32_e32 v13, s10
	s_xor_b64 exec, exec, s[6:7]
	s_cbranch_execnz .LBB10_3720
.LBB10_1670:
	s_or_b64 exec, exec, s[6:7]
	s_and_saveexec_b64 s[6:7], s[4:5]
	s_cbranch_execz .LBB10_1672
.LBB10_1671:
	v_and_b32_e32 v13, 7, v2
	v_ffbh_u32_e32 v15, v13
	v_min_u32_e32 v15, 32, v15
	v_lshrrev_b16_e32 v14, 3, v2
	v_subrev_u32_e32 v16, 28, v15
	v_and_b32_e32 v14, 15, v14
	v_lshlrev_b32_e32 v16, v16, v2
	v_sub_u32_e32 v15, 29, v15
	v_and_b32_e32 v16, 7, v16
	v_cmp_eq_u16_e32 vcc, 0, v14
	v_cndmask_b32_e32 v13, v13, v16, vcc
	v_cndmask_b32_e32 v14, v14, v15, vcc
	v_lshlrev_b32_e32 v15, 24, v2
	v_mov_b32_e32 v16, 0x3b800000
	v_lshlrev_b32_e32 v13, 20, v13
	v_and_b32_e32 v15, 0x80000000, v15
	v_lshl_add_u32 v14, v14, 23, v16
	v_or3_b32 v13, v15, v14, v13
.LBB10_1672:
	s_or_b64 exec, exec, s[6:7]
	flat_load_dwordx4 a[0:3], v[10:11] offset:208
	s_movk_i32 s4, 0x7f
                                        ; implicit-def: $sgpr10
	s_waitcnt vmcnt(0) lgkmcnt(0)
	v_mfma_f32_16x16x4f32 a[0:3], v12, v13, a[0:3]
	v_lshrrev_b32_e32 v13, 8, v6
	v_cmp_gt_i16_sdwa s[6:7], v13, s4 src0_sel:BYTE_0 src1_sel:DWORD
	s_mov_b64 s[4:5], 0
	s_and_saveexec_b64 s[8:9], s[6:7]
	s_xor_b64 s[6:7], exec, s[8:9]
	s_cbranch_execnz .LBB10_3721
; %bb.1673:
	s_or_saveexec_b64 s[6:7], s[6:7]
	v_mov_b32_e32 v12, s10
	s_xor_b64 exec, exec, s[6:7]
	s_cbranch_execnz .LBB10_3724
.LBB10_1674:
	s_or_b64 exec, exec, s[6:7]
	s_and_saveexec_b64 s[6:7], s[4:5]
	s_cbranch_execz .LBB10_1676
.LBB10_1675:
	v_bfe_u32 v12, v6, 8, 3
	v_ffbh_u32_e32 v15, v12
	v_min_u32_e32 v15, 32, v15
	v_lshrrev_b16_e32 v14, 3, v13
	v_subrev_u32_e32 v16, 28, v15
	v_and_b32_e32 v14, 15, v14
	v_lshlrev_b32_e32 v13, v16, v13
	v_sub_u32_e32 v15, 29, v15
	v_and_b32_e32 v13, 7, v13
	v_cmp_eq_u16_e32 vcc, 0, v14
	v_cndmask_b32_e32 v12, v12, v13, vcc
	v_cndmask_b32_e32 v13, v14, v15, vcc
	v_lshlrev_b32_e32 v14, 16, v6
	v_mov_b32_e32 v15, 0x3b800000
	v_lshlrev_b32_e32 v12, 20, v12
	v_and_b32_e32 v14, 0x80000000, v14
	v_lshl_add_u32 v13, v13, 23, v15
	v_or3_b32 v12, v14, v13, v12
.LBB10_1676:
	s_or_b64 exec, exec, s[6:7]
	v_lshrrev_b32_e32 v13, 8, v2
	s_movk_i32 s4, 0x7f
	v_cmp_gt_i16_sdwa s[6:7], v13, s4 src0_sel:BYTE_0 src1_sel:DWORD
	s_mov_b64 s[4:5], 0
                                        ; implicit-def: $sgpr10
	s_and_saveexec_b64 s[8:9], s[6:7]
	s_xor_b64 s[6:7], exec, s[8:9]
	s_cbranch_execnz .LBB10_3725
; %bb.1677:
	s_or_saveexec_b64 s[6:7], s[6:7]
	v_mov_b32_e32 v14, s10
	s_xor_b64 exec, exec, s[6:7]
	s_cbranch_execnz .LBB10_3728
.LBB10_1678:
	s_or_b64 exec, exec, s[6:7]
	s_and_saveexec_b64 s[6:7], s[4:5]
	s_cbranch_execz .LBB10_1680
.LBB10_1679:
	v_bfe_u32 v14, v2, 8, 3
	v_ffbh_u32_e32 v16, v14
	v_min_u32_e32 v16, 32, v16
	v_lshrrev_b16_e32 v15, 3, v13
	v_subrev_u32_e32 v17, 28, v16
	v_and_b32_e32 v15, 15, v15
	v_lshlrev_b32_e32 v13, v17, v13
	v_sub_u32_e32 v16, 29, v16
	v_and_b32_e32 v13, 7, v13
	v_cmp_eq_u16_e32 vcc, 0, v15
	v_cndmask_b32_e32 v13, v14, v13, vcc
	v_cndmask_b32_e32 v14, v15, v16, vcc
	v_lshlrev_b32_e32 v15, 16, v2
	v_mov_b32_e32 v16, 0x3b800000
	v_lshlrev_b32_e32 v13, 20, v13
	v_and_b32_e32 v15, 0x80000000, v15
	v_lshl_add_u32 v14, v14, 23, v16
	v_or3_b32 v14, v15, v14, v13
.LBB10_1680:
	s_or_b64 exec, exec, s[6:7]
	s_nop 0
	v_mfma_f32_16x16x4f32 a[0:3], v12, v14, a[0:3]
	s_movk_i32 s4, 0xff
	v_and_b32_sdwa v13, v6, s4 dst_sel:DWORD dst_unused:UNUSED_PAD src0_sel:WORD_1 src1_sel:DWORD
	s_movk_i32 s4, 0x7f
	v_cmp_lt_i16_e32 vcc, s4, v13
	s_mov_b64 s[4:5], 0
                                        ; implicit-def: $sgpr10
	s_and_saveexec_b64 s[6:7], vcc
	s_xor_b64 s[6:7], exec, s[6:7]
	s_cbranch_execnz .LBB10_3729
; %bb.1681:
	s_or_saveexec_b64 s[6:7], s[6:7]
	v_mov_b32_e32 v12, s10
	s_xor_b64 exec, exec, s[6:7]
	s_cbranch_execnz .LBB10_3732
.LBB10_1682:
	s_or_b64 exec, exec, s[6:7]
	s_and_saveexec_b64 s[6:7], s[4:5]
	s_cbranch_execz .LBB10_1684
.LBB10_1683:
	v_bfe_u32 v12, v6, 16, 3
	v_ffbh_u32_e32 v15, v12
	v_min_u32_e32 v15, 32, v15
	v_lshrrev_b32_e32 v13, 19, v6
	v_subrev_u32_e32 v16, 28, v15
	v_and_b32_e32 v13, 15, v13
	v_lshlrev_b32_sdwa v16, v16, v6 dst_sel:DWORD dst_unused:UNUSED_PAD src0_sel:DWORD src1_sel:WORD_1
	v_bfe_u32 v14, v6, 19, 4
	v_sub_u32_e32 v15, 29, v15
	v_and_b32_e32 v16, 7, v16
	v_cmp_eq_u16_e32 vcc, 0, v13
	v_cndmask_b32_e32 v12, v12, v16, vcc
	v_cndmask_b32_e32 v13, v14, v15, vcc
	v_lshlrev_b32_e32 v14, 8, v6
	v_mov_b32_e32 v15, 0x3b800000
	v_lshlrev_b32_e32 v12, 20, v12
	v_and_b32_e32 v14, 0x80000000, v14
	v_lshl_add_u32 v13, v13, 23, v15
	v_or3_b32 v12, v14, v13, v12
.LBB10_1684:
	s_or_b64 exec, exec, s[6:7]
	s_movk_i32 s4, 0xff
	v_and_b32_sdwa v13, v2, s4 dst_sel:DWORD dst_unused:UNUSED_PAD src0_sel:WORD_1 src1_sel:DWORD
	s_movk_i32 s4, 0x7f
	v_cmp_lt_i16_e32 vcc, s4, v13
	s_mov_b64 s[4:5], 0
                                        ; implicit-def: $sgpr10
	s_and_saveexec_b64 s[6:7], vcc
	s_xor_b64 s[6:7], exec, s[6:7]
	s_cbranch_execnz .LBB10_3733
; %bb.1685:
	s_or_saveexec_b64 s[6:7], s[6:7]
	v_mov_b32_e32 v14, s10
	s_xor_b64 exec, exec, s[6:7]
	s_cbranch_execnz .LBB10_3736
.LBB10_1686:
	s_or_b64 exec, exec, s[6:7]
	s_and_saveexec_b64 s[6:7], s[4:5]
	s_cbranch_execz .LBB10_1688
.LBB10_1687:
	v_bfe_u32 v13, v2, 16, 3
	v_ffbh_u32_e32 v16, v13
	v_min_u32_e32 v16, 32, v16
	v_lshrrev_b32_e32 v14, 19, v2
	v_subrev_u32_e32 v17, 28, v16
	v_and_b32_e32 v14, 15, v14
	v_lshlrev_b32_sdwa v17, v17, v2 dst_sel:DWORD dst_unused:UNUSED_PAD src0_sel:DWORD src1_sel:WORD_1
	v_bfe_u32 v15, v2, 19, 4
	v_sub_u32_e32 v16, 29, v16
	v_and_b32_e32 v17, 7, v17
	v_cmp_eq_u16_e32 vcc, 0, v14
	v_cndmask_b32_e32 v13, v13, v17, vcc
	v_cndmask_b32_e32 v14, v15, v16, vcc
	v_lshlrev_b32_e32 v15, 8, v2
	v_mov_b32_e32 v16, 0x3b800000
	v_lshlrev_b32_e32 v13, 20, v13
	v_and_b32_e32 v15, 0x80000000, v15
	v_lshl_add_u32 v14, v14, 23, v16
	v_or3_b32 v14, v15, v14, v13
.LBB10_1688:
	s_or_b64 exec, exec, s[6:7]
	s_nop 0
	v_mfma_f32_16x16x4f32 a[0:3], v12, v14, a[0:3]
	s_movk_i32 s4, 0x7f
	v_cmp_gt_i16_sdwa s[6:7], v6, s4 src0_sel:BYTE_3 src1_sel:DWORD
	s_mov_b64 s[4:5], 0
                                        ; implicit-def: $sgpr10
	s_and_saveexec_b64 s[8:9], s[6:7]
	s_xor_b64 s[6:7], exec, s[8:9]
	s_cbranch_execnz .LBB10_3737
; %bb.1689:
	s_or_saveexec_b64 s[6:7], s[6:7]
	v_mov_b32_e32 v12, s10
	s_xor_b64 exec, exec, s[6:7]
	s_cbranch_execnz .LBB10_3740
.LBB10_1690:
	s_or_b64 exec, exec, s[6:7]
	s_and_saveexec_b64 s[6:7], s[4:5]
	s_cbranch_execz .LBB10_1692
.LBB10_1691:
	v_bfe_u32 v12, v6, 24, 3
	v_ffbh_u32_e32 v16, v12
	v_min_u32_e32 v16, 32, v16
	v_lshrrev_b32_e32 v14, 27, v6
	v_subrev_u32_e32 v17, 28, v16
	v_and_b32_e32 v13, 0x80000000, v6
	v_and_b32_e32 v14, 15, v14
	v_bfe_u32 v15, v6, 27, 4
	v_lshlrev_b32_sdwa v6, v17, v6 dst_sel:DWORD dst_unused:UNUSED_PAD src0_sel:DWORD src1_sel:BYTE_3
	v_sub_u32_e32 v16, 29, v16
	v_and_b32_e32 v6, 7, v6
	v_cmp_eq_u16_e32 vcc, 0, v14
	v_cndmask_b32_e32 v6, v12, v6, vcc
	v_cndmask_b32_e32 v12, v15, v16, vcc
	v_mov_b32_e32 v14, 0x3b800000
	v_lshlrev_b32_e32 v6, 20, v6
	v_lshl_add_u32 v12, v12, 23, v14
	v_or3_b32 v12, v13, v12, v6
.LBB10_1692:
	s_or_b64 exec, exec, s[6:7]
	s_movk_i32 s4, 0x7f
	v_cmp_gt_i16_sdwa s[6:7], v2, s4 src0_sel:BYTE_3 src1_sel:DWORD
	s_mov_b64 s[4:5], 0
                                        ; implicit-def: $sgpr10
	s_and_saveexec_b64 s[8:9], s[6:7]
	s_xor_b64 s[6:7], exec, s[8:9]
	s_cbranch_execnz .LBB10_3741
; %bb.1693:
	s_or_saveexec_b64 s[6:7], s[6:7]
	v_mov_b32_e32 v6, s10
	s_xor_b64 exec, exec, s[6:7]
	s_cbranch_execnz .LBB10_3744
.LBB10_1694:
	s_or_b64 exec, exec, s[6:7]
	s_and_saveexec_b64 s[6:7], s[4:5]
	s_cbranch_execz .LBB10_1696
.LBB10_1695:
	v_bfe_u32 v6, v2, 24, 3
	v_ffbh_u32_e32 v16, v6
	v_min_u32_e32 v16, 32, v16
	v_lshrrev_b32_e32 v14, 27, v2
	v_subrev_u32_e32 v17, 28, v16
	v_and_b32_e32 v13, 0x80000000, v2
	v_and_b32_e32 v14, 15, v14
	v_bfe_u32 v15, v2, 27, 4
	v_lshlrev_b32_sdwa v2, v17, v2 dst_sel:DWORD dst_unused:UNUSED_PAD src0_sel:DWORD src1_sel:BYTE_3
	v_sub_u32_e32 v16, 29, v16
	v_and_b32_e32 v2, 7, v2
	v_cmp_eq_u16_e32 vcc, 0, v14
	v_cndmask_b32_e32 v2, v6, v2, vcc
	v_cndmask_b32_e32 v6, v15, v16, vcc
	v_mov_b32_e32 v14, 0x3b800000
	v_lshlrev_b32_e32 v2, 20, v2
	v_lshl_add_u32 v6, v6, 23, v14
	v_or3_b32 v6, v13, v6, v2
.LBB10_1696:
	s_or_b64 exec, exec, s[6:7]
	s_nop 0
	v_mfma_f32_16x16x4f32 a[0:3], v12, v6, a[0:3]
	s_movk_i32 s4, 0x7f
	v_cmp_gt_i16_sdwa s[6:7], v7, s4 src0_sel:BYTE_0 src1_sel:DWORD
	s_mov_b64 s[4:5], 0
                                        ; implicit-def: $sgpr10
	s_and_saveexec_b64 s[8:9], s[6:7]
	s_xor_b64 s[6:7], exec, s[8:9]
	s_cbranch_execnz .LBB10_3745
; %bb.1697:
	s_or_saveexec_b64 s[6:7], s[6:7]
	v_mov_b32_e32 v2, s10
	s_xor_b64 exec, exec, s[6:7]
	s_cbranch_execnz .LBB10_3748
.LBB10_1698:
	s_or_b64 exec, exec, s[6:7]
	s_and_saveexec_b64 s[6:7], s[4:5]
	s_cbranch_execz .LBB10_1700
.LBB10_1699:
	v_and_b32_e32 v2, 7, v7
	v_ffbh_u32_e32 v12, v2
	v_min_u32_e32 v12, 32, v12
	v_lshrrev_b16_e32 v6, 3, v7
	v_subrev_u32_e32 v13, 28, v12
	v_and_b32_e32 v6, 15, v6
	v_lshlrev_b32_e32 v13, v13, v7
	v_sub_u32_e32 v12, 29, v12
	v_and_b32_e32 v13, 7, v13
	v_cmp_eq_u16_e32 vcc, 0, v6
	v_cndmask_b32_e32 v2, v2, v13, vcc
	v_cndmask_b32_e32 v6, v6, v12, vcc
	v_lshlrev_b32_e32 v12, 24, v7
	v_mov_b32_e32 v13, 0x3b800000
	v_lshlrev_b32_e32 v2, 20, v2
	v_and_b32_e32 v12, 0x80000000, v12
	v_lshl_add_u32 v6, v6, 23, v13
	v_or3_b32 v2, v12, v6, v2
.LBB10_1700:
	s_or_b64 exec, exec, s[6:7]
	s_movk_i32 s4, 0x7f
	v_cmp_gt_i16_sdwa s[6:7], v3, s4 src0_sel:BYTE_0 src1_sel:DWORD
	s_mov_b64 s[4:5], 0
                                        ; implicit-def: $sgpr10
	s_and_saveexec_b64 s[8:9], s[6:7]
	s_xor_b64 s[6:7], exec, s[8:9]
	s_cbranch_execnz .LBB10_3749
; %bb.1701:
	s_or_saveexec_b64 s[6:7], s[6:7]
	v_mov_b32_e32 v6, s10
	s_xor_b64 exec, exec, s[6:7]
	s_cbranch_execnz .LBB10_3752
.LBB10_1702:
	s_or_b64 exec, exec, s[6:7]
	s_and_saveexec_b64 s[6:7], s[4:5]
	s_cbranch_execz .LBB10_1704
.LBB10_1703:
	v_and_b32_e32 v6, 7, v3
	v_ffbh_u32_e32 v13, v6
	v_min_u32_e32 v13, 32, v13
	v_lshrrev_b16_e32 v12, 3, v3
	v_subrev_u32_e32 v14, 28, v13
	v_and_b32_e32 v12, 15, v12
	v_lshlrev_b32_e32 v14, v14, v3
	v_sub_u32_e32 v13, 29, v13
	v_and_b32_e32 v14, 7, v14
	v_cmp_eq_u16_e32 vcc, 0, v12
	v_cndmask_b32_e32 v6, v6, v14, vcc
	v_cndmask_b32_e32 v12, v12, v13, vcc
	v_lshlrev_b32_e32 v13, 24, v3
	v_mov_b32_e32 v14, 0x3b800000
	v_lshlrev_b32_e32 v6, 20, v6
	v_and_b32_e32 v13, 0x80000000, v13
	v_lshl_add_u32 v12, v12, 23, v14
	v_or3_b32 v6, v13, v12, v6
.LBB10_1704:
	s_or_b64 exec, exec, s[6:7]
	s_nop 0
	v_mfma_f32_16x16x4f32 a[0:3], v2, v6, a[0:3]
	v_lshrrev_b32_e32 v6, 8, v7
	s_movk_i32 s4, 0x7f
	v_cmp_gt_i16_sdwa s[6:7], v6, s4 src0_sel:BYTE_0 src1_sel:DWORD
	s_mov_b64 s[4:5], 0
                                        ; implicit-def: $sgpr10
	s_and_saveexec_b64 s[8:9], s[6:7]
	s_xor_b64 s[6:7], exec, s[8:9]
	s_cbranch_execnz .LBB10_3753
; %bb.1705:
	s_or_saveexec_b64 s[6:7], s[6:7]
	v_mov_b32_e32 v2, s10
	s_xor_b64 exec, exec, s[6:7]
	s_cbranch_execnz .LBB10_3756
.LBB10_1706:
	s_or_b64 exec, exec, s[6:7]
	s_and_saveexec_b64 s[6:7], s[4:5]
	s_cbranch_execz .LBB10_1708
.LBB10_1707:
	v_bfe_u32 v2, v7, 8, 3
	v_ffbh_u32_e32 v13, v2
	v_min_u32_e32 v13, 32, v13
	v_lshrrev_b16_e32 v12, 3, v6
	v_subrev_u32_e32 v14, 28, v13
	v_and_b32_e32 v12, 15, v12
	v_lshlrev_b32_e32 v6, v14, v6
	v_sub_u32_e32 v13, 29, v13
	v_and_b32_e32 v6, 7, v6
	v_cmp_eq_u16_e32 vcc, 0, v12
	v_cndmask_b32_e32 v2, v2, v6, vcc
	v_cndmask_b32_e32 v6, v12, v13, vcc
	v_lshlrev_b32_e32 v12, 16, v7
	v_mov_b32_e32 v13, 0x3b800000
	v_lshlrev_b32_e32 v2, 20, v2
	v_and_b32_e32 v12, 0x80000000, v12
	v_lshl_add_u32 v6, v6, 23, v13
	v_or3_b32 v2, v12, v6, v2
.LBB10_1708:
	s_or_b64 exec, exec, s[6:7]
	v_lshrrev_b32_e32 v6, 8, v3
	s_movk_i32 s4, 0x7f
	v_cmp_gt_i16_sdwa s[6:7], v6, s4 src0_sel:BYTE_0 src1_sel:DWORD
	s_mov_b64 s[4:5], 0
                                        ; implicit-def: $sgpr10
	s_and_saveexec_b64 s[8:9], s[6:7]
	s_xor_b64 s[6:7], exec, s[8:9]
	s_cbranch_execnz .LBB10_3757
; %bb.1709:
	s_or_saveexec_b64 s[6:7], s[6:7]
	v_mov_b32_e32 v12, s10
	s_xor_b64 exec, exec, s[6:7]
	s_cbranch_execnz .LBB10_3760
.LBB10_1710:
	s_or_b64 exec, exec, s[6:7]
	s_and_saveexec_b64 s[6:7], s[4:5]
	s_cbranch_execz .LBB10_1712
.LBB10_1711:
	v_bfe_u32 v12, v3, 8, 3
	v_ffbh_u32_e32 v14, v12
	v_min_u32_e32 v14, 32, v14
	v_lshrrev_b16_e32 v13, 3, v6
	v_subrev_u32_e32 v15, 28, v14
	v_and_b32_e32 v13, 15, v13
	v_lshlrev_b32_e32 v6, v15, v6
	v_sub_u32_e32 v14, 29, v14
	v_and_b32_e32 v6, 7, v6
	v_cmp_eq_u16_e32 vcc, 0, v13
	v_cndmask_b32_e32 v6, v12, v6, vcc
	v_cndmask_b32_e32 v12, v13, v14, vcc
	v_lshlrev_b32_e32 v13, 16, v3
	v_mov_b32_e32 v14, 0x3b800000
	v_lshlrev_b32_e32 v6, 20, v6
	v_and_b32_e32 v13, 0x80000000, v13
	v_lshl_add_u32 v12, v12, 23, v14
	v_or3_b32 v12, v13, v12, v6
.LBB10_1712:
	s_or_b64 exec, exec, s[6:7]
	s_nop 0
	v_mfma_f32_16x16x4f32 a[0:3], v2, v12, a[0:3]
	s_movk_i32 s4, 0xff
	v_and_b32_sdwa v6, v7, s4 dst_sel:DWORD dst_unused:UNUSED_PAD src0_sel:WORD_1 src1_sel:DWORD
	s_movk_i32 s4, 0x7f
	v_cmp_lt_i16_e32 vcc, s4, v6
	s_mov_b64 s[4:5], 0
                                        ; implicit-def: $sgpr10
	s_and_saveexec_b64 s[6:7], vcc
	s_xor_b64 s[6:7], exec, s[6:7]
	s_cbranch_execnz .LBB10_3761
; %bb.1713:
	s_or_saveexec_b64 s[6:7], s[6:7]
	v_mov_b32_e32 v2, s10
	s_xor_b64 exec, exec, s[6:7]
	s_cbranch_execnz .LBB10_3764
.LBB10_1714:
	s_or_b64 exec, exec, s[6:7]
	s_and_saveexec_b64 s[6:7], s[4:5]
	s_cbranch_execz .LBB10_1716
.LBB10_1715:
	v_bfe_u32 v2, v7, 16, 3
	v_ffbh_u32_e32 v13, v2
	v_min_u32_e32 v13, 32, v13
	v_lshrrev_b32_e32 v6, 19, v7
	v_subrev_u32_e32 v14, 28, v13
	v_and_b32_e32 v6, 15, v6
	v_lshlrev_b32_sdwa v14, v14, v7 dst_sel:DWORD dst_unused:UNUSED_PAD src0_sel:DWORD src1_sel:WORD_1
	v_bfe_u32 v12, v7, 19, 4
	v_sub_u32_e32 v13, 29, v13
	v_and_b32_e32 v14, 7, v14
	v_cmp_eq_u16_e32 vcc, 0, v6
	v_cndmask_b32_e32 v2, v2, v14, vcc
	v_cndmask_b32_e32 v6, v12, v13, vcc
	v_lshlrev_b32_e32 v12, 8, v7
	v_mov_b32_e32 v13, 0x3b800000
	v_lshlrev_b32_e32 v2, 20, v2
	v_and_b32_e32 v12, 0x80000000, v12
	v_lshl_add_u32 v6, v6, 23, v13
	v_or3_b32 v2, v12, v6, v2
.LBB10_1716:
	s_or_b64 exec, exec, s[6:7]
	s_movk_i32 s4, 0xff
	v_and_b32_sdwa v6, v3, s4 dst_sel:DWORD dst_unused:UNUSED_PAD src0_sel:WORD_1 src1_sel:DWORD
	s_movk_i32 s4, 0x7f
	v_cmp_lt_i16_e32 vcc, s4, v6
	s_mov_b64 s[4:5], 0
                                        ; implicit-def: $sgpr10
	s_and_saveexec_b64 s[6:7], vcc
	s_xor_b64 s[6:7], exec, s[6:7]
	s_cbranch_execnz .LBB10_3765
; %bb.1717:
	s_or_saveexec_b64 s[6:7], s[6:7]
	v_mov_b32_e32 v12, s10
	s_xor_b64 exec, exec, s[6:7]
	s_cbranch_execnz .LBB10_3768
.LBB10_1718:
	s_or_b64 exec, exec, s[6:7]
	s_and_saveexec_b64 s[6:7], s[4:5]
	s_cbranch_execz .LBB10_1720
.LBB10_1719:
	v_bfe_u32 v6, v3, 16, 3
	v_ffbh_u32_e32 v14, v6
	v_min_u32_e32 v14, 32, v14
	v_lshrrev_b32_e32 v12, 19, v3
	v_subrev_u32_e32 v15, 28, v14
	v_and_b32_e32 v12, 15, v12
	v_lshlrev_b32_sdwa v15, v15, v3 dst_sel:DWORD dst_unused:UNUSED_PAD src0_sel:DWORD src1_sel:WORD_1
	v_bfe_u32 v13, v3, 19, 4
	v_sub_u32_e32 v14, 29, v14
	v_and_b32_e32 v15, 7, v15
	v_cmp_eq_u16_e32 vcc, 0, v12
	v_cndmask_b32_e32 v6, v6, v15, vcc
	v_cndmask_b32_e32 v12, v13, v14, vcc
	v_lshlrev_b32_e32 v13, 8, v3
	v_mov_b32_e32 v14, 0x3b800000
	v_lshlrev_b32_e32 v6, 20, v6
	v_and_b32_e32 v13, 0x80000000, v13
	v_lshl_add_u32 v12, v12, 23, v14
	v_or3_b32 v12, v13, v12, v6
.LBB10_1720:
	s_or_b64 exec, exec, s[6:7]
	s_nop 0
	v_mfma_f32_16x16x4f32 a[0:3], v2, v12, a[0:3]
	s_movk_i32 s4, 0x7f
	v_cmp_gt_i16_sdwa s[6:7], v7, s4 src0_sel:BYTE_3 src1_sel:DWORD
	s_mov_b64 s[4:5], 0
                                        ; implicit-def: $sgpr10
	s_and_saveexec_b64 s[8:9], s[6:7]
	s_xor_b64 s[6:7], exec, s[8:9]
	s_cbranch_execnz .LBB10_3769
; %bb.1721:
	s_or_saveexec_b64 s[6:7], s[6:7]
	v_mov_b32_e32 v2, s10
	s_xor_b64 exec, exec, s[6:7]
	s_cbranch_execnz .LBB10_3772
.LBB10_1722:
	s_or_b64 exec, exec, s[6:7]
	s_and_saveexec_b64 s[6:7], s[4:5]
	s_cbranch_execz .LBB10_1724
.LBB10_1723:
	v_bfe_u32 v2, v7, 24, 3
	v_ffbh_u32_e32 v14, v2
	v_min_u32_e32 v14, 32, v14
	v_lshrrev_b32_e32 v12, 27, v7
	v_subrev_u32_e32 v15, 28, v14
	v_and_b32_e32 v6, 0x80000000, v7
	v_and_b32_e32 v12, 15, v12
	v_bfe_u32 v13, v7, 27, 4
	v_lshlrev_b32_sdwa v7, v15, v7 dst_sel:DWORD dst_unused:UNUSED_PAD src0_sel:DWORD src1_sel:BYTE_3
	v_sub_u32_e32 v14, 29, v14
	v_and_b32_e32 v7, 7, v7
	v_cmp_eq_u16_e32 vcc, 0, v12
	v_cndmask_b32_e32 v2, v2, v7, vcc
	v_cndmask_b32_e32 v7, v13, v14, vcc
	v_mov_b32_e32 v12, 0x3b800000
	v_lshlrev_b32_e32 v2, 20, v2
	v_lshl_add_u32 v7, v7, 23, v12
	v_or3_b32 v2, v6, v7, v2
.LBB10_1724:
	s_or_b64 exec, exec, s[6:7]
	s_movk_i32 s4, 0x7f
	v_cmp_gt_i16_sdwa s[6:7], v3, s4 src0_sel:BYTE_3 src1_sel:DWORD
	s_mov_b64 s[4:5], 0
                                        ; implicit-def: $sgpr10
	s_and_saveexec_b64 s[8:9], s[6:7]
	s_xor_b64 s[6:7], exec, s[8:9]
	s_cbranch_execnz .LBB10_3773
; %bb.1725:
	s_or_saveexec_b64 s[6:7], s[6:7]
	v_mov_b32_e32 v6, s10
	s_xor_b64 exec, exec, s[6:7]
	s_cbranch_execnz .LBB10_3776
.LBB10_1726:
	s_or_b64 exec, exec, s[6:7]
	s_and_saveexec_b64 s[6:7], s[4:5]
	s_cbranch_execz .LBB10_1728
.LBB10_1727:
	v_bfe_u32 v6, v3, 24, 3
	v_ffbh_u32_e32 v14, v6
	v_min_u32_e32 v14, 32, v14
	v_lshrrev_b32_e32 v12, 27, v3
	v_subrev_u32_e32 v15, 28, v14
	v_and_b32_e32 v7, 0x80000000, v3
	v_and_b32_e32 v12, 15, v12
	v_bfe_u32 v13, v3, 27, 4
	v_lshlrev_b32_sdwa v3, v15, v3 dst_sel:DWORD dst_unused:UNUSED_PAD src0_sel:DWORD src1_sel:BYTE_3
	v_sub_u32_e32 v14, 29, v14
	v_and_b32_e32 v3, 7, v3
	v_cmp_eq_u16_e32 vcc, 0, v12
	v_cndmask_b32_e32 v3, v6, v3, vcc
	v_cndmask_b32_e32 v6, v13, v14, vcc
	v_mov_b32_e32 v12, 0x3b800000
	v_lshlrev_b32_e32 v3, 20, v3
	v_lshl_add_u32 v6, v6, 23, v12
	v_or3_b32 v6, v7, v6, v3
.LBB10_1728:
	s_or_b64 exec, exec, s[6:7]
	s_nop 0
	v_mfma_f32_16x16x4f32 a[0:3], v2, v6, a[0:3]
	s_movk_i32 s4, 0x7f
	v_cmp_gt_i16_sdwa s[6:7], v8, s4 src0_sel:BYTE_0 src1_sel:DWORD
	s_mov_b64 s[4:5], 0
                                        ; implicit-def: $sgpr10
	s_and_saveexec_b64 s[8:9], s[6:7]
	s_xor_b64 s[6:7], exec, s[8:9]
	s_cbranch_execnz .LBB10_3777
; %bb.1729:
	s_or_saveexec_b64 s[6:7], s[6:7]
	v_mov_b32_e32 v2, s10
	s_xor_b64 exec, exec, s[6:7]
	s_cbranch_execnz .LBB10_3780
.LBB10_1730:
	s_or_b64 exec, exec, s[6:7]
	s_and_saveexec_b64 s[6:7], s[4:5]
	s_cbranch_execz .LBB10_1732
.LBB10_1731:
	v_and_b32_e32 v2, 7, v8
	v_ffbh_u32_e32 v6, v2
	v_min_u32_e32 v6, 32, v6
	v_lshrrev_b16_e32 v3, 3, v8
	v_subrev_u32_e32 v7, 28, v6
	v_and_b32_e32 v3, 15, v3
	v_lshlrev_b32_e32 v7, v7, v8
	v_sub_u32_e32 v6, 29, v6
	v_and_b32_e32 v7, 7, v7
	v_cmp_eq_u16_e32 vcc, 0, v3
	v_cndmask_b32_e32 v2, v2, v7, vcc
	v_cndmask_b32_e32 v3, v3, v6, vcc
	v_lshlrev_b32_e32 v6, 24, v8
	v_mov_b32_e32 v7, 0x3b800000
	v_lshlrev_b32_e32 v2, 20, v2
	v_and_b32_e32 v6, 0x80000000, v6
	v_lshl_add_u32 v3, v3, 23, v7
	v_or3_b32 v2, v6, v3, v2
.LBB10_1732:
	s_or_b64 exec, exec, s[6:7]
	s_movk_i32 s4, 0x7f
	v_cmp_gt_i16_sdwa s[6:7], v4, s4 src0_sel:BYTE_0 src1_sel:DWORD
	s_mov_b64 s[4:5], 0
                                        ; implicit-def: $sgpr10
	s_and_saveexec_b64 s[8:9], s[6:7]
	s_xor_b64 s[6:7], exec, s[8:9]
	s_cbranch_execnz .LBB10_3781
; %bb.1733:
	s_or_saveexec_b64 s[6:7], s[6:7]
	v_mov_b32_e32 v3, s10
	s_xor_b64 exec, exec, s[6:7]
	s_cbranch_execnz .LBB10_3784
.LBB10_1734:
	s_or_b64 exec, exec, s[6:7]
	s_and_saveexec_b64 s[6:7], s[4:5]
	s_cbranch_execz .LBB10_1736
.LBB10_1735:
	v_and_b32_e32 v3, 7, v4
	v_ffbh_u32_e32 v7, v3
	v_min_u32_e32 v7, 32, v7
	v_lshrrev_b16_e32 v6, 3, v4
	v_subrev_u32_e32 v12, 28, v7
	v_and_b32_e32 v6, 15, v6
	v_lshlrev_b32_e32 v12, v12, v4
	v_sub_u32_e32 v7, 29, v7
	v_and_b32_e32 v12, 7, v12
	v_cmp_eq_u16_e32 vcc, 0, v6
	v_cndmask_b32_e32 v3, v3, v12, vcc
	v_cndmask_b32_e32 v6, v6, v7, vcc
	v_lshlrev_b32_e32 v7, 24, v4
	v_mov_b32_e32 v12, 0x3b800000
	v_lshlrev_b32_e32 v3, 20, v3
	v_and_b32_e32 v7, 0x80000000, v7
	v_lshl_add_u32 v6, v6, 23, v12
	v_or3_b32 v3, v7, v6, v3
.LBB10_1736:
	s_or_b64 exec, exec, s[6:7]
	s_nop 0
	v_mfma_f32_16x16x4f32 a[0:3], v2, v3, a[0:3]
	v_lshrrev_b32_e32 v3, 8, v8
	s_movk_i32 s4, 0x7f
	v_cmp_gt_i16_sdwa s[6:7], v3, s4 src0_sel:BYTE_0 src1_sel:DWORD
	s_mov_b64 s[4:5], 0
                                        ; implicit-def: $sgpr10
	s_and_saveexec_b64 s[8:9], s[6:7]
	s_xor_b64 s[6:7], exec, s[8:9]
	s_cbranch_execnz .LBB10_3785
; %bb.1737:
	s_or_saveexec_b64 s[6:7], s[6:7]
	v_mov_b32_e32 v2, s10
	s_xor_b64 exec, exec, s[6:7]
	s_cbranch_execnz .LBB10_3788
.LBB10_1738:
	s_or_b64 exec, exec, s[6:7]
	s_and_saveexec_b64 s[6:7], s[4:5]
	s_cbranch_execz .LBB10_1740
.LBB10_1739:
	v_bfe_u32 v2, v8, 8, 3
	v_ffbh_u32_e32 v7, v2
	v_min_u32_e32 v7, 32, v7
	v_lshrrev_b16_e32 v6, 3, v3
	v_subrev_u32_e32 v12, 28, v7
	v_and_b32_e32 v6, 15, v6
	v_lshlrev_b32_e32 v3, v12, v3
	v_sub_u32_e32 v7, 29, v7
	v_and_b32_e32 v3, 7, v3
	v_cmp_eq_u16_e32 vcc, 0, v6
	v_cndmask_b32_e32 v2, v2, v3, vcc
	v_cndmask_b32_e32 v3, v6, v7, vcc
	v_lshlrev_b32_e32 v6, 16, v8
	v_mov_b32_e32 v7, 0x3b800000
	v_lshlrev_b32_e32 v2, 20, v2
	v_and_b32_e32 v6, 0x80000000, v6
	v_lshl_add_u32 v3, v3, 23, v7
	v_or3_b32 v2, v6, v3, v2
.LBB10_1740:
	s_or_b64 exec, exec, s[6:7]
	v_lshrrev_b32_e32 v3, 8, v4
	s_movk_i32 s4, 0x7f
	v_cmp_gt_i16_sdwa s[6:7], v3, s4 src0_sel:BYTE_0 src1_sel:DWORD
	s_mov_b64 s[4:5], 0
                                        ; implicit-def: $sgpr10
	s_and_saveexec_b64 s[8:9], s[6:7]
	s_xor_b64 s[6:7], exec, s[8:9]
	s_cbranch_execnz .LBB10_3789
; %bb.1741:
	s_or_saveexec_b64 s[6:7], s[6:7]
	v_mov_b32_e32 v6, s10
	s_xor_b64 exec, exec, s[6:7]
	s_cbranch_execnz .LBB10_3792
.LBB10_1742:
	s_or_b64 exec, exec, s[6:7]
	s_and_saveexec_b64 s[6:7], s[4:5]
	s_cbranch_execz .LBB10_1744
.LBB10_1743:
	v_bfe_u32 v6, v4, 8, 3
	v_ffbh_u32_e32 v12, v6
	v_min_u32_e32 v12, 32, v12
	v_lshrrev_b16_e32 v7, 3, v3
	v_subrev_u32_e32 v13, 28, v12
	v_and_b32_e32 v7, 15, v7
	v_lshlrev_b32_e32 v3, v13, v3
	v_sub_u32_e32 v12, 29, v12
	v_and_b32_e32 v3, 7, v3
	v_cmp_eq_u16_e32 vcc, 0, v7
	v_cndmask_b32_e32 v3, v6, v3, vcc
	v_cndmask_b32_e32 v6, v7, v12, vcc
	v_lshlrev_b32_e32 v7, 16, v4
	v_mov_b32_e32 v12, 0x3b800000
	v_lshlrev_b32_e32 v3, 20, v3
	v_and_b32_e32 v7, 0x80000000, v7
	v_lshl_add_u32 v6, v6, 23, v12
	v_or3_b32 v6, v7, v6, v3
.LBB10_1744:
	s_or_b64 exec, exec, s[6:7]
	s_nop 0
	v_mfma_f32_16x16x4f32 a[0:3], v2, v6, a[0:3]
	s_movk_i32 s4, 0xff
	v_and_b32_sdwa v3, v8, s4 dst_sel:DWORD dst_unused:UNUSED_PAD src0_sel:WORD_1 src1_sel:DWORD
	s_movk_i32 s4, 0x7f
	v_cmp_lt_i16_e32 vcc, s4, v3
	s_mov_b64 s[4:5], 0
                                        ; implicit-def: $sgpr10
	s_and_saveexec_b64 s[6:7], vcc
	s_xor_b64 s[6:7], exec, s[6:7]
	s_cbranch_execnz .LBB10_3793
; %bb.1745:
	s_or_saveexec_b64 s[6:7], s[6:7]
	v_mov_b32_e32 v2, s10
	s_xor_b64 exec, exec, s[6:7]
	s_cbranch_execnz .LBB10_3796
.LBB10_1746:
	s_or_b64 exec, exec, s[6:7]
	s_and_saveexec_b64 s[6:7], s[4:5]
	s_cbranch_execz .LBB10_1748
.LBB10_1747:
	v_bfe_u32 v2, v8, 16, 3
	v_ffbh_u32_e32 v7, v2
	v_min_u32_e32 v7, 32, v7
	v_lshrrev_b32_e32 v3, 19, v8
	v_subrev_u32_e32 v12, 28, v7
	v_and_b32_e32 v3, 15, v3
	v_lshlrev_b32_sdwa v12, v12, v8 dst_sel:DWORD dst_unused:UNUSED_PAD src0_sel:DWORD src1_sel:WORD_1
	v_bfe_u32 v6, v8, 19, 4
	v_sub_u32_e32 v7, 29, v7
	v_and_b32_e32 v12, 7, v12
	v_cmp_eq_u16_e32 vcc, 0, v3
	v_cndmask_b32_e32 v2, v2, v12, vcc
	v_cndmask_b32_e32 v3, v6, v7, vcc
	v_lshlrev_b32_e32 v6, 8, v8
	v_mov_b32_e32 v7, 0x3b800000
	v_lshlrev_b32_e32 v2, 20, v2
	v_and_b32_e32 v6, 0x80000000, v6
	v_lshl_add_u32 v3, v3, 23, v7
	v_or3_b32 v2, v6, v3, v2
.LBB10_1748:
	s_or_b64 exec, exec, s[6:7]
	s_movk_i32 s4, 0xff
	v_and_b32_sdwa v3, v4, s4 dst_sel:DWORD dst_unused:UNUSED_PAD src0_sel:WORD_1 src1_sel:DWORD
	s_movk_i32 s4, 0x7f
	v_cmp_lt_i16_e32 vcc, s4, v3
	s_mov_b64 s[4:5], 0
                                        ; implicit-def: $sgpr10
	s_and_saveexec_b64 s[6:7], vcc
	s_xor_b64 s[6:7], exec, s[6:7]
	s_cbranch_execnz .LBB10_3797
; %bb.1749:
	s_or_saveexec_b64 s[6:7], s[6:7]
	v_mov_b32_e32 v6, s10
	s_xor_b64 exec, exec, s[6:7]
	s_cbranch_execnz .LBB10_3800
.LBB10_1750:
	s_or_b64 exec, exec, s[6:7]
	s_and_saveexec_b64 s[6:7], s[4:5]
	s_cbranch_execz .LBB10_1752
.LBB10_1751:
	v_bfe_u32 v3, v4, 16, 3
	v_ffbh_u32_e32 v12, v3
	v_min_u32_e32 v12, 32, v12
	v_lshrrev_b32_e32 v6, 19, v4
	v_subrev_u32_e32 v13, 28, v12
	v_and_b32_e32 v6, 15, v6
	v_lshlrev_b32_sdwa v13, v13, v4 dst_sel:DWORD dst_unused:UNUSED_PAD src0_sel:DWORD src1_sel:WORD_1
	v_bfe_u32 v7, v4, 19, 4
	v_sub_u32_e32 v12, 29, v12
	v_and_b32_e32 v13, 7, v13
	v_cmp_eq_u16_e32 vcc, 0, v6
	v_cndmask_b32_e32 v3, v3, v13, vcc
	v_cndmask_b32_e32 v6, v7, v12, vcc
	v_lshlrev_b32_e32 v7, 8, v4
	v_mov_b32_e32 v12, 0x3b800000
	v_lshlrev_b32_e32 v3, 20, v3
	v_and_b32_e32 v7, 0x80000000, v7
	v_lshl_add_u32 v6, v6, 23, v12
	v_or3_b32 v6, v7, v6, v3
.LBB10_1752:
	s_or_b64 exec, exec, s[6:7]
	s_nop 0
	v_mfma_f32_16x16x4f32 a[0:3], v2, v6, a[0:3]
	s_movk_i32 s4, 0x7f
	v_cmp_gt_i16_sdwa s[6:7], v8, s4 src0_sel:BYTE_3 src1_sel:DWORD
	s_mov_b64 s[4:5], 0
                                        ; implicit-def: $sgpr10
	s_and_saveexec_b64 s[8:9], s[6:7]
	s_xor_b64 s[6:7], exec, s[8:9]
	s_cbranch_execnz .LBB10_3801
; %bb.1753:
	s_or_saveexec_b64 s[6:7], s[6:7]
	v_mov_b32_e32 v2, s10
	s_xor_b64 exec, exec, s[6:7]
	s_cbranch_execnz .LBB10_3804
.LBB10_1754:
	s_or_b64 exec, exec, s[6:7]
	s_and_saveexec_b64 s[6:7], s[4:5]
	s_cbranch_execz .LBB10_1756
.LBB10_1755:
	v_bfe_u32 v2, v8, 24, 3
	v_ffbh_u32_e32 v12, v2
	v_min_u32_e32 v12, 32, v12
	v_lshrrev_b32_e32 v6, 27, v8
	v_subrev_u32_e32 v13, 28, v12
	v_and_b32_e32 v3, 0x80000000, v8
	v_and_b32_e32 v6, 15, v6
	v_bfe_u32 v7, v8, 27, 4
	v_lshlrev_b32_sdwa v8, v13, v8 dst_sel:DWORD dst_unused:UNUSED_PAD src0_sel:DWORD src1_sel:BYTE_3
	v_sub_u32_e32 v12, 29, v12
	v_and_b32_e32 v8, 7, v8
	v_cmp_eq_u16_e32 vcc, 0, v6
	v_cndmask_b32_e32 v2, v2, v8, vcc
	v_cndmask_b32_e32 v6, v7, v12, vcc
	v_mov_b32_e32 v7, 0x3b800000
	v_lshlrev_b32_e32 v2, 20, v2
	v_lshl_add_u32 v6, v6, 23, v7
	v_or3_b32 v2, v3, v6, v2
.LBB10_1756:
	s_or_b64 exec, exec, s[6:7]
	s_movk_i32 s4, 0x7f
	v_cmp_gt_i16_sdwa s[6:7], v4, s4 src0_sel:BYTE_3 src1_sel:DWORD
	s_mov_b64 s[4:5], 0
                                        ; implicit-def: $sgpr10
	s_and_saveexec_b64 s[8:9], s[6:7]
	s_xor_b64 s[6:7], exec, s[8:9]
	s_cbranch_execnz .LBB10_3805
; %bb.1757:
	s_or_saveexec_b64 s[6:7], s[6:7]
	v_mov_b32_e32 v3, s10
	s_xor_b64 exec, exec, s[6:7]
	s_cbranch_execnz .LBB10_3808
.LBB10_1758:
	s_or_b64 exec, exec, s[6:7]
	s_and_saveexec_b64 s[6:7], s[4:5]
	s_cbranch_execz .LBB10_1760
.LBB10_1759:
	v_bfe_u32 v3, v4, 24, 3
	v_ffbh_u32_e32 v12, v3
	v_min_u32_e32 v12, 32, v12
	v_lshrrev_b32_e32 v7, 27, v4
	v_subrev_u32_e32 v13, 28, v12
	v_and_b32_e32 v6, 0x80000000, v4
	v_and_b32_e32 v7, 15, v7
	v_bfe_u32 v8, v4, 27, 4
	v_lshlrev_b32_sdwa v4, v13, v4 dst_sel:DWORD dst_unused:UNUSED_PAD src0_sel:DWORD src1_sel:BYTE_3
	v_sub_u32_e32 v12, 29, v12
	v_and_b32_e32 v4, 7, v4
	v_cmp_eq_u16_e32 vcc, 0, v7
	v_cndmask_b32_e32 v3, v3, v4, vcc
	v_cndmask_b32_e32 v4, v8, v12, vcc
	v_mov_b32_e32 v7, 0x3b800000
	v_lshlrev_b32_e32 v3, 20, v3
	v_lshl_add_u32 v4, v4, 23, v7
	v_or3_b32 v3, v6, v4, v3
.LBB10_1760:
	s_or_b64 exec, exec, s[6:7]
	s_nop 0
	v_mfma_f32_16x16x4f32 a[0:3], v2, v3, a[0:3]
	s_movk_i32 s4, 0x7f
	v_cmp_gt_i16_sdwa s[6:7], v9, s4 src0_sel:BYTE_0 src1_sel:DWORD
	s_mov_b64 s[4:5], 0
                                        ; implicit-def: $sgpr10
	s_and_saveexec_b64 s[8:9], s[6:7]
	s_xor_b64 s[6:7], exec, s[8:9]
	s_cbranch_execnz .LBB10_3809
; %bb.1761:
	s_or_saveexec_b64 s[6:7], s[6:7]
	v_mov_b32_e32 v2, s10
	s_xor_b64 exec, exec, s[6:7]
	s_cbranch_execnz .LBB10_3812
.LBB10_1762:
	s_or_b64 exec, exec, s[6:7]
	s_and_saveexec_b64 s[6:7], s[4:5]
	s_cbranch_execz .LBB10_1764
.LBB10_1763:
	v_mov_b32_e32 v2, 8
	v_and_b32_e32 v3, 7, v9
	v_lshrrev_b32_sdwa v2, v2, v9 dst_sel:BYTE_1 dst_unused:UNUSED_PAD src0_sel:DWORD src1_sel:DWORD
	v_ffbh_u32_e32 v4, v3
	v_or_b32_sdwa v2, v9, v2 dst_sel:DWORD dst_unused:UNUSED_PAD src0_sel:BYTE_0 src1_sel:DWORD
	v_min_u32_e32 v4, 32, v4
	v_lshrrev_b16_e32 v2, 3, v2
	v_subrev_u32_e32 v6, 28, v4
	v_and_b32_e32 v2, 15, v2
	v_lshlrev_b32_e32 v6, v6, v9
	v_sub_u32_e32 v4, 29, v4
	v_and_b32_e32 v6, 7, v6
	v_cmp_eq_u16_e32 vcc, 0, v2
	v_cndmask_b32_e32 v3, v3, v6, vcc
	v_cndmask_b32_e32 v2, v2, v4, vcc
	v_lshlrev_b32_e32 v4, 24, v9
	v_mov_b32_e32 v6, 0x3b800000
	v_lshlrev_b32_e32 v3, 20, v3
	v_and_b32_e32 v4, 0x80000000, v4
	v_lshl_add_u32 v2, v2, 23, v6
	v_or3_b32 v2, v4, v2, v3
.LBB10_1764:
	s_or_b64 exec, exec, s[6:7]
	s_movk_i32 s4, 0x7f
	v_cmp_gt_i16_sdwa s[6:7], v5, s4 src0_sel:BYTE_0 src1_sel:DWORD
	s_mov_b64 s[4:5], 0
                                        ; implicit-def: $sgpr10
	s_and_saveexec_b64 s[8:9], s[6:7]
	s_xor_b64 s[6:7], exec, s[8:9]
	s_cbranch_execnz .LBB10_3813
; %bb.1765:
	s_or_saveexec_b64 s[6:7], s[6:7]
	v_mov_b32_e32 v3, s10
	s_xor_b64 exec, exec, s[6:7]
	s_cbranch_execnz .LBB10_3816
.LBB10_1766:
	s_or_b64 exec, exec, s[6:7]
	s_and_saveexec_b64 s[6:7], s[4:5]
	s_cbranch_execz .LBB10_1768
.LBB10_1767:
	v_mov_b32_e32 v3, 8
	v_and_b32_e32 v4, 7, v5
	v_lshrrev_b32_sdwa v3, v3, v5 dst_sel:BYTE_1 dst_unused:UNUSED_PAD src0_sel:DWORD src1_sel:DWORD
	v_ffbh_u32_e32 v6, v4
	v_or_b32_sdwa v3, v5, v3 dst_sel:DWORD dst_unused:UNUSED_PAD src0_sel:BYTE_0 src1_sel:DWORD
	v_min_u32_e32 v6, 32, v6
	v_lshrrev_b16_e32 v3, 3, v3
	v_subrev_u32_e32 v7, 28, v6
	v_and_b32_e32 v3, 15, v3
	v_lshlrev_b32_e32 v7, v7, v5
	v_sub_u32_e32 v6, 29, v6
	v_and_b32_e32 v7, 7, v7
	v_cmp_eq_u16_e32 vcc, 0, v3
	v_cndmask_b32_e32 v4, v4, v7, vcc
	v_cndmask_b32_e32 v3, v3, v6, vcc
	v_lshlrev_b32_e32 v6, 24, v5
	v_mov_b32_e32 v7, 0x3b800000
	v_lshlrev_b32_e32 v4, 20, v4
	v_and_b32_e32 v6, 0x80000000, v6
	v_lshl_add_u32 v3, v3, 23, v7
	v_or3_b32 v3, v6, v3, v4
.LBB10_1768:
	s_or_b64 exec, exec, s[6:7]
	s_nop 0
	v_mfma_f32_16x16x4f32 a[0:3], v2, v3, a[0:3]
	v_lshrrev_b32_e32 v3, 8, v9
	s_movk_i32 s4, 0x7f
	v_cmp_gt_i16_sdwa s[6:7], v3, s4 src0_sel:BYTE_0 src1_sel:DWORD
	s_mov_b64 s[4:5], 0
                                        ; implicit-def: $sgpr10
	s_and_saveexec_b64 s[8:9], s[6:7]
	s_xor_b64 s[6:7], exec, s[8:9]
	s_cbranch_execnz .LBB10_3817
; %bb.1769:
	s_or_saveexec_b64 s[6:7], s[6:7]
	v_mov_b32_e32 v2, s10
	s_xor_b64 exec, exec, s[6:7]
	s_cbranch_execnz .LBB10_3820
.LBB10_1770:
	s_or_b64 exec, exec, s[6:7]
	s_and_saveexec_b64 s[6:7], s[4:5]
	s_cbranch_execz .LBB10_1772
.LBB10_1771:
	v_bfe_u32 v2, v9, 8, 3
	v_ffbh_u32_e32 v6, v2
	v_min_u32_e32 v6, 32, v6
	v_lshrrev_b16_e32 v4, 3, v3
	v_subrev_u32_e32 v7, 28, v6
	v_and_b32_e32 v4, 15, v4
	v_lshlrev_b32_e32 v3, v7, v3
	v_sub_u32_e32 v6, 29, v6
	v_and_b32_e32 v3, 7, v3
	v_cmp_eq_u16_e32 vcc, 0, v4
	v_cndmask_b32_e32 v2, v2, v3, vcc
	v_cndmask_b32_e32 v3, v4, v6, vcc
	v_lshlrev_b32_e32 v4, 16, v9
	v_mov_b32_e32 v6, 0x3b800000
	v_lshlrev_b32_e32 v2, 20, v2
	v_and_b32_e32 v4, 0x80000000, v4
	v_lshl_add_u32 v3, v3, 23, v6
	v_or3_b32 v2, v4, v3, v2
.LBB10_1772:
	s_or_b64 exec, exec, s[6:7]
	v_lshrrev_b32_e32 v3, 8, v5
	s_movk_i32 s4, 0x7f
	v_cmp_gt_i16_sdwa s[6:7], v3, s4 src0_sel:BYTE_0 src1_sel:DWORD
	s_mov_b64 s[4:5], 0
                                        ; implicit-def: $sgpr10
	s_and_saveexec_b64 s[8:9], s[6:7]
	s_xor_b64 s[6:7], exec, s[8:9]
	s_cbranch_execnz .LBB10_3821
; %bb.1773:
	s_or_saveexec_b64 s[6:7], s[6:7]
	v_mov_b32_e32 v4, s10
	s_xor_b64 exec, exec, s[6:7]
	s_cbranch_execnz .LBB10_3824
.LBB10_1774:
	s_or_b64 exec, exec, s[6:7]
	s_and_saveexec_b64 s[6:7], s[4:5]
	s_cbranch_execz .LBB10_1776
.LBB10_1775:
	v_bfe_u32 v4, v5, 8, 3
	v_ffbh_u32_e32 v7, v4
	v_min_u32_e32 v7, 32, v7
	v_lshrrev_b16_e32 v6, 3, v3
	v_subrev_u32_e32 v8, 28, v7
	v_and_b32_e32 v6, 15, v6
	v_lshlrev_b32_e32 v3, v8, v3
	v_sub_u32_e32 v7, 29, v7
	v_and_b32_e32 v3, 7, v3
	v_cmp_eq_u16_e32 vcc, 0, v6
	v_cndmask_b32_e32 v3, v4, v3, vcc
	v_cndmask_b32_e32 v4, v6, v7, vcc
	v_lshlrev_b32_e32 v6, 16, v5
	v_mov_b32_e32 v7, 0x3b800000
	v_lshlrev_b32_e32 v3, 20, v3
	v_and_b32_e32 v6, 0x80000000, v6
	v_lshl_add_u32 v4, v4, 23, v7
	v_or3_b32 v4, v6, v4, v3
.LBB10_1776:
	s_or_b64 exec, exec, s[6:7]
	s_nop 0
	v_mfma_f32_16x16x4f32 a[0:3], v2, v4, a[0:3]
	s_movk_i32 s4, 0xff
	v_and_b32_sdwa v3, v9, s4 dst_sel:DWORD dst_unused:UNUSED_PAD src0_sel:WORD_1 src1_sel:DWORD
	s_movk_i32 s4, 0x7f
	v_cmp_lt_i16_e32 vcc, s4, v3
	s_mov_b64 s[4:5], 0
                                        ; implicit-def: $sgpr10
	s_and_saveexec_b64 s[6:7], vcc
	s_xor_b64 s[6:7], exec, s[6:7]
	s_cbranch_execnz .LBB10_3825
; %bb.1777:
	s_or_saveexec_b64 s[6:7], s[6:7]
	v_mov_b32_e32 v2, s10
	s_xor_b64 exec, exec, s[6:7]
	s_cbranch_execnz .LBB10_3828
.LBB10_1778:
	s_or_b64 exec, exec, s[6:7]
	s_and_saveexec_b64 s[6:7], s[4:5]
	s_cbranch_execz .LBB10_1780
.LBB10_1779:
	v_bfe_u32 v2, v9, 16, 3
	v_ffbh_u32_e32 v6, v2
	v_min_u32_e32 v6, 32, v6
	v_lshrrev_b32_e32 v3, 19, v9
	v_subrev_u32_e32 v7, 28, v6
	v_and_b32_e32 v3, 15, v3
	v_lshlrev_b32_sdwa v7, v7, v9 dst_sel:DWORD dst_unused:UNUSED_PAD src0_sel:DWORD src1_sel:WORD_1
	v_bfe_u32 v4, v9, 19, 4
	v_sub_u32_e32 v6, 29, v6
	v_and_b32_e32 v7, 7, v7
	v_cmp_eq_u16_e32 vcc, 0, v3
	v_cndmask_b32_e32 v2, v2, v7, vcc
	v_cndmask_b32_e32 v3, v4, v6, vcc
	v_lshlrev_b32_e32 v4, 8, v9
	v_mov_b32_e32 v6, 0x3b800000
	v_lshlrev_b32_e32 v2, 20, v2
	v_and_b32_e32 v4, 0x80000000, v4
	v_lshl_add_u32 v3, v3, 23, v6
	v_or3_b32 v2, v4, v3, v2
.LBB10_1780:
	s_or_b64 exec, exec, s[6:7]
	s_movk_i32 s4, 0xff
	v_and_b32_sdwa v3, v5, s4 dst_sel:DWORD dst_unused:UNUSED_PAD src0_sel:WORD_1 src1_sel:DWORD
	s_movk_i32 s4, 0x7f
	v_cmp_lt_i16_e32 vcc, s4, v3
	s_mov_b64 s[4:5], 0
                                        ; implicit-def: $sgpr10
	s_and_saveexec_b64 s[6:7], vcc
	s_xor_b64 s[6:7], exec, s[6:7]
	s_cbranch_execnz .LBB10_3829
; %bb.1781:
	s_or_saveexec_b64 s[6:7], s[6:7]
	v_mov_b32_e32 v4, s10
	s_xor_b64 exec, exec, s[6:7]
	s_cbranch_execnz .LBB10_3832
.LBB10_1782:
	s_or_b64 exec, exec, s[6:7]
	s_and_saveexec_b64 s[6:7], s[4:5]
	s_cbranch_execz .LBB10_1784
.LBB10_1783:
	v_bfe_u32 v3, v5, 16, 3
	v_ffbh_u32_e32 v7, v3
	v_min_u32_e32 v7, 32, v7
	v_lshrrev_b32_e32 v4, 19, v5
	v_subrev_u32_e32 v8, 28, v7
	v_and_b32_e32 v4, 15, v4
	v_lshlrev_b32_sdwa v8, v8, v5 dst_sel:DWORD dst_unused:UNUSED_PAD src0_sel:DWORD src1_sel:WORD_1
	v_bfe_u32 v6, v5, 19, 4
	v_sub_u32_e32 v7, 29, v7
	v_and_b32_e32 v8, 7, v8
	v_cmp_eq_u16_e32 vcc, 0, v4
	v_cndmask_b32_e32 v3, v3, v8, vcc
	v_cndmask_b32_e32 v4, v6, v7, vcc
	v_lshlrev_b32_e32 v6, 8, v5
	v_mov_b32_e32 v7, 0x3b800000
	v_lshlrev_b32_e32 v3, 20, v3
	v_and_b32_e32 v6, 0x80000000, v6
	v_lshl_add_u32 v4, v4, 23, v7
	v_or3_b32 v4, v6, v4, v3
.LBB10_1784:
	s_or_b64 exec, exec, s[6:7]
	s_nop 0
	v_mfma_f32_16x16x4f32 a[0:3], v2, v4, a[0:3]
	s_movk_i32 s4, 0x7f
	v_cmp_gt_i16_sdwa s[6:7], v9, s4 src0_sel:BYTE_3 src1_sel:DWORD
	s_mov_b64 s[4:5], 0
                                        ; implicit-def: $sgpr10
	s_and_saveexec_b64 s[8:9], s[6:7]
	s_xor_b64 s[6:7], exec, s[8:9]
	s_cbranch_execnz .LBB10_3833
; %bb.1785:
	s_or_saveexec_b64 s[6:7], s[6:7]
	v_mov_b32_e32 v2, s10
	s_xor_b64 exec, exec, s[6:7]
	s_cbranch_execnz .LBB10_3836
.LBB10_1786:
	s_or_b64 exec, exec, s[6:7]
	s_and_saveexec_b64 s[6:7], s[4:5]
	s_cbranch_execz .LBB10_1788
.LBB10_1787:
	v_bfe_u32 v2, v9, 24, 3
	v_ffbh_u32_e32 v7, v2
	v_min_u32_e32 v7, 32, v7
	v_lshrrev_b32_e32 v4, 27, v9
	v_subrev_u32_e32 v8, 28, v7
	v_and_b32_e32 v4, 15, v4
	v_lshlrev_b32_sdwa v8, v8, v9 dst_sel:DWORD dst_unused:UNUSED_PAD src0_sel:DWORD src1_sel:BYTE_3
	v_bfe_u32 v6, v9, 27, 4
	v_sub_u32_e32 v7, 29, v7
	v_and_b32_e32 v8, 7, v8
	v_cmp_eq_u16_e32 vcc, 0, v4
	v_cndmask_b32_e32 v2, v2, v8, vcc
	v_cndmask_b32_e32 v4, v6, v7, vcc
	v_mov_b32_e32 v6, 0x3b800000
	v_and_b32_e32 v3, 0x80000000, v9
	v_lshlrev_b32_e32 v2, 20, v2
	v_lshl_add_u32 v4, v4, 23, v6
	v_or3_b32 v2, v3, v4, v2
.LBB10_1788:
	s_or_b64 exec, exec, s[6:7]
	s_movk_i32 s4, 0x7f
	v_cmp_gt_i16_sdwa s[6:7], v5, s4 src0_sel:BYTE_3 src1_sel:DWORD
	s_mov_b64 s[4:5], 0
                                        ; implicit-def: $sgpr10
	s_and_saveexec_b64 s[8:9], s[6:7]
	s_xor_b64 s[6:7], exec, s[8:9]
	s_cbranch_execnz .LBB10_3837
; %bb.1789:
	s_or_saveexec_b64 s[6:7], s[6:7]
	v_mov_b32_e32 v3, s10
	s_xor_b64 exec, exec, s[6:7]
	s_cbranch_execnz .LBB10_3840
.LBB10_1790:
	s_or_b64 exec, exec, s[6:7]
	s_and_saveexec_b64 s[6:7], s[4:5]
	s_cbranch_execz .LBB10_1792
.LBB10_1791:
	v_bfe_u32 v3, v5, 24, 3
	v_ffbh_u32_e32 v8, v3
	v_min_u32_e32 v8, 32, v8
	v_lshrrev_b32_e32 v6, 27, v5
	v_subrev_u32_e32 v9, 28, v8
	v_and_b32_e32 v4, 0x80000000, v5
	v_and_b32_e32 v6, 15, v6
	v_bfe_u32 v7, v5, 27, 4
	v_lshlrev_b32_sdwa v5, v9, v5 dst_sel:DWORD dst_unused:UNUSED_PAD src0_sel:DWORD src1_sel:BYTE_3
	v_sub_u32_e32 v8, 29, v8
	v_and_b32_e32 v5, 7, v5
	v_cmp_eq_u16_e32 vcc, 0, v6
	v_cndmask_b32_e32 v3, v3, v5, vcc
	v_cndmask_b32_e32 v5, v7, v8, vcc
	v_mov_b32_e32 v6, 0x3b800000
	v_lshlrev_b32_e32 v3, 20, v3
	v_lshl_add_u32 v5, v5, 23, v6
	v_or3_b32 v3, v4, v5, v3
.LBB10_1792:
	s_or_b64 exec, exec, s[6:7]
	s_nop 0
	v_mfma_f32_16x16x4f32 a[0:3], v2, v3, a[0:3]
	s_movk_i32 s4, 0x7f
                                        ; implicit-def: $sgpr10
	s_nop 7
	s_nop 1
	flat_store_dwordx4 v[10:11], a[0:3] offset:208
	flat_load_dwordx4 v[12:15], v[0:1] offset:8
	s_nop 0
	flat_load_dwordx2 v[10:11], v[0:1] offset:32
	s_waitcnt vmcnt(0) lgkmcnt(0)
	flat_load_dwordx4 v[6:9], v[12:13] offset:96
	flat_load_dwordx4 v[2:5], v[14:15] offset:64
	s_waitcnt vmcnt(0) lgkmcnt(0)
	v_cmp_gt_i16_sdwa s[6:7], v6, s4 src0_sel:BYTE_0 src1_sel:DWORD
	s_mov_b64 s[4:5], 0
	s_and_saveexec_b64 s[8:9], s[6:7]
	s_xor_b64 s[6:7], exec, s[8:9]
	s_cbranch_execnz .LBB10_3841
; %bb.1793:
	s_or_saveexec_b64 s[6:7], s[6:7]
	v_mov_b32_e32 v12, s10
	s_xor_b64 exec, exec, s[6:7]
	s_cbranch_execnz .LBB10_3844
.LBB10_1794:
	s_or_b64 exec, exec, s[6:7]
	s_and_saveexec_b64 s[6:7], s[4:5]
	s_cbranch_execz .LBB10_1796
.LBB10_1795:
	v_and_b32_e32 v12, 7, v6
	v_ffbh_u32_e32 v14, v12
	v_min_u32_e32 v14, 32, v14
	v_lshrrev_b16_e32 v13, 3, v6
	v_subrev_u32_e32 v15, 28, v14
	v_and_b32_e32 v13, 15, v13
	v_lshlrev_b32_e32 v15, v15, v6
	v_sub_u32_e32 v14, 29, v14
	v_and_b32_e32 v15, 7, v15
	v_cmp_eq_u16_e32 vcc, 0, v13
	v_cndmask_b32_e32 v12, v12, v15, vcc
	v_cndmask_b32_e32 v13, v13, v14, vcc
	v_lshlrev_b32_e32 v14, 24, v6
	v_mov_b32_e32 v15, 0x3b800000
	v_lshlrev_b32_e32 v12, 20, v12
	v_and_b32_e32 v14, 0x80000000, v14
	v_lshl_add_u32 v13, v13, 23, v15
	v_or3_b32 v12, v14, v13, v12
.LBB10_1796:
	s_or_b64 exec, exec, s[6:7]
	s_movk_i32 s4, 0x7f
	v_cmp_gt_i16_sdwa s[6:7], v2, s4 src0_sel:BYTE_0 src1_sel:DWORD
	s_mov_b64 s[4:5], 0
                                        ; implicit-def: $sgpr10
	s_and_saveexec_b64 s[8:9], s[6:7]
	s_xor_b64 s[6:7], exec, s[8:9]
	s_cbranch_execnz .LBB10_3845
; %bb.1797:
	s_or_saveexec_b64 s[6:7], s[6:7]
	v_mov_b32_e32 v13, s10
	s_xor_b64 exec, exec, s[6:7]
	s_cbranch_execnz .LBB10_3848
.LBB10_1798:
	s_or_b64 exec, exec, s[6:7]
	s_and_saveexec_b64 s[6:7], s[4:5]
	s_cbranch_execz .LBB10_1800
.LBB10_1799:
	v_and_b32_e32 v13, 7, v2
	v_ffbh_u32_e32 v15, v13
	v_min_u32_e32 v15, 32, v15
	v_lshrrev_b16_e32 v14, 3, v2
	v_subrev_u32_e32 v16, 28, v15
	v_and_b32_e32 v14, 15, v14
	v_lshlrev_b32_e32 v16, v16, v2
	v_sub_u32_e32 v15, 29, v15
	v_and_b32_e32 v16, 7, v16
	v_cmp_eq_u16_e32 vcc, 0, v14
	v_cndmask_b32_e32 v13, v13, v16, vcc
	v_cndmask_b32_e32 v14, v14, v15, vcc
	v_lshlrev_b32_e32 v15, 24, v2
	v_mov_b32_e32 v16, 0x3b800000
	v_lshlrev_b32_e32 v13, 20, v13
	v_and_b32_e32 v15, 0x80000000, v15
	v_lshl_add_u32 v14, v14, 23, v16
	v_or3_b32 v13, v15, v14, v13
.LBB10_1800:
	s_or_b64 exec, exec, s[6:7]
	flat_load_dwordx4 a[0:3], v[10:11] offset:224
	s_movk_i32 s4, 0x7f
                                        ; implicit-def: $sgpr10
	s_waitcnt vmcnt(0) lgkmcnt(0)
	v_mfma_f32_16x16x4f32 a[0:3], v12, v13, a[0:3]
	v_lshrrev_b32_e32 v13, 8, v6
	v_cmp_gt_i16_sdwa s[6:7], v13, s4 src0_sel:BYTE_0 src1_sel:DWORD
	s_mov_b64 s[4:5], 0
	s_and_saveexec_b64 s[8:9], s[6:7]
	s_xor_b64 s[6:7], exec, s[8:9]
	s_cbranch_execnz .LBB10_3849
; %bb.1801:
	s_or_saveexec_b64 s[6:7], s[6:7]
	v_mov_b32_e32 v12, s10
	s_xor_b64 exec, exec, s[6:7]
	s_cbranch_execnz .LBB10_3852
.LBB10_1802:
	s_or_b64 exec, exec, s[6:7]
	s_and_saveexec_b64 s[6:7], s[4:5]
	s_cbranch_execz .LBB10_1804
.LBB10_1803:
	v_bfe_u32 v12, v6, 8, 3
	v_ffbh_u32_e32 v15, v12
	v_min_u32_e32 v15, 32, v15
	v_lshrrev_b16_e32 v14, 3, v13
	v_subrev_u32_e32 v16, 28, v15
	v_and_b32_e32 v14, 15, v14
	v_lshlrev_b32_e32 v13, v16, v13
	v_sub_u32_e32 v15, 29, v15
	v_and_b32_e32 v13, 7, v13
	v_cmp_eq_u16_e32 vcc, 0, v14
	v_cndmask_b32_e32 v12, v12, v13, vcc
	v_cndmask_b32_e32 v13, v14, v15, vcc
	v_lshlrev_b32_e32 v14, 16, v6
	v_mov_b32_e32 v15, 0x3b800000
	v_lshlrev_b32_e32 v12, 20, v12
	v_and_b32_e32 v14, 0x80000000, v14
	v_lshl_add_u32 v13, v13, 23, v15
	v_or3_b32 v12, v14, v13, v12
.LBB10_1804:
	s_or_b64 exec, exec, s[6:7]
	v_lshrrev_b32_e32 v13, 8, v2
	s_movk_i32 s4, 0x7f
	v_cmp_gt_i16_sdwa s[6:7], v13, s4 src0_sel:BYTE_0 src1_sel:DWORD
	s_mov_b64 s[4:5], 0
                                        ; implicit-def: $sgpr10
	s_and_saveexec_b64 s[8:9], s[6:7]
	s_xor_b64 s[6:7], exec, s[8:9]
	s_cbranch_execnz .LBB10_3853
; %bb.1805:
	s_or_saveexec_b64 s[6:7], s[6:7]
	v_mov_b32_e32 v14, s10
	s_xor_b64 exec, exec, s[6:7]
	s_cbranch_execnz .LBB10_3856
.LBB10_1806:
	s_or_b64 exec, exec, s[6:7]
	s_and_saveexec_b64 s[6:7], s[4:5]
	s_cbranch_execz .LBB10_1808
.LBB10_1807:
	v_bfe_u32 v14, v2, 8, 3
	v_ffbh_u32_e32 v16, v14
	v_min_u32_e32 v16, 32, v16
	v_lshrrev_b16_e32 v15, 3, v13
	v_subrev_u32_e32 v17, 28, v16
	v_and_b32_e32 v15, 15, v15
	v_lshlrev_b32_e32 v13, v17, v13
	v_sub_u32_e32 v16, 29, v16
	v_and_b32_e32 v13, 7, v13
	v_cmp_eq_u16_e32 vcc, 0, v15
	v_cndmask_b32_e32 v13, v14, v13, vcc
	v_cndmask_b32_e32 v14, v15, v16, vcc
	v_lshlrev_b32_e32 v15, 16, v2
	v_mov_b32_e32 v16, 0x3b800000
	v_lshlrev_b32_e32 v13, 20, v13
	v_and_b32_e32 v15, 0x80000000, v15
	v_lshl_add_u32 v14, v14, 23, v16
	v_or3_b32 v14, v15, v14, v13
.LBB10_1808:
	s_or_b64 exec, exec, s[6:7]
	s_nop 0
	v_mfma_f32_16x16x4f32 a[0:3], v12, v14, a[0:3]
	s_movk_i32 s4, 0xff
	v_and_b32_sdwa v13, v6, s4 dst_sel:DWORD dst_unused:UNUSED_PAD src0_sel:WORD_1 src1_sel:DWORD
	s_movk_i32 s4, 0x7f
	v_cmp_lt_i16_e32 vcc, s4, v13
	s_mov_b64 s[4:5], 0
                                        ; implicit-def: $sgpr10
	s_and_saveexec_b64 s[6:7], vcc
	s_xor_b64 s[6:7], exec, s[6:7]
	s_cbranch_execnz .LBB10_3857
; %bb.1809:
	s_or_saveexec_b64 s[6:7], s[6:7]
	v_mov_b32_e32 v12, s10
	s_xor_b64 exec, exec, s[6:7]
	s_cbranch_execnz .LBB10_3860
.LBB10_1810:
	s_or_b64 exec, exec, s[6:7]
	s_and_saveexec_b64 s[6:7], s[4:5]
	s_cbranch_execz .LBB10_1812
.LBB10_1811:
	v_bfe_u32 v12, v6, 16, 3
	v_ffbh_u32_e32 v15, v12
	v_min_u32_e32 v15, 32, v15
	v_lshrrev_b32_e32 v13, 19, v6
	v_subrev_u32_e32 v16, 28, v15
	v_and_b32_e32 v13, 15, v13
	v_lshlrev_b32_sdwa v16, v16, v6 dst_sel:DWORD dst_unused:UNUSED_PAD src0_sel:DWORD src1_sel:WORD_1
	v_bfe_u32 v14, v6, 19, 4
	v_sub_u32_e32 v15, 29, v15
	v_and_b32_e32 v16, 7, v16
	v_cmp_eq_u16_e32 vcc, 0, v13
	v_cndmask_b32_e32 v12, v12, v16, vcc
	v_cndmask_b32_e32 v13, v14, v15, vcc
	v_lshlrev_b32_e32 v14, 8, v6
	v_mov_b32_e32 v15, 0x3b800000
	v_lshlrev_b32_e32 v12, 20, v12
	v_and_b32_e32 v14, 0x80000000, v14
	v_lshl_add_u32 v13, v13, 23, v15
	v_or3_b32 v12, v14, v13, v12
.LBB10_1812:
	s_or_b64 exec, exec, s[6:7]
	s_movk_i32 s4, 0xff
	v_and_b32_sdwa v13, v2, s4 dst_sel:DWORD dst_unused:UNUSED_PAD src0_sel:WORD_1 src1_sel:DWORD
	s_movk_i32 s4, 0x7f
	v_cmp_lt_i16_e32 vcc, s4, v13
	s_mov_b64 s[4:5], 0
                                        ; implicit-def: $sgpr10
	s_and_saveexec_b64 s[6:7], vcc
	s_xor_b64 s[6:7], exec, s[6:7]
	s_cbranch_execnz .LBB10_3861
; %bb.1813:
	s_or_saveexec_b64 s[6:7], s[6:7]
	v_mov_b32_e32 v14, s10
	s_xor_b64 exec, exec, s[6:7]
	s_cbranch_execnz .LBB10_3864
.LBB10_1814:
	s_or_b64 exec, exec, s[6:7]
	s_and_saveexec_b64 s[6:7], s[4:5]
	s_cbranch_execz .LBB10_1816
.LBB10_1815:
	v_bfe_u32 v13, v2, 16, 3
	v_ffbh_u32_e32 v16, v13
	v_min_u32_e32 v16, 32, v16
	v_lshrrev_b32_e32 v14, 19, v2
	v_subrev_u32_e32 v17, 28, v16
	v_and_b32_e32 v14, 15, v14
	v_lshlrev_b32_sdwa v17, v17, v2 dst_sel:DWORD dst_unused:UNUSED_PAD src0_sel:DWORD src1_sel:WORD_1
	v_bfe_u32 v15, v2, 19, 4
	v_sub_u32_e32 v16, 29, v16
	v_and_b32_e32 v17, 7, v17
	v_cmp_eq_u16_e32 vcc, 0, v14
	v_cndmask_b32_e32 v13, v13, v17, vcc
	v_cndmask_b32_e32 v14, v15, v16, vcc
	v_lshlrev_b32_e32 v15, 8, v2
	v_mov_b32_e32 v16, 0x3b800000
	v_lshlrev_b32_e32 v13, 20, v13
	v_and_b32_e32 v15, 0x80000000, v15
	v_lshl_add_u32 v14, v14, 23, v16
	v_or3_b32 v14, v15, v14, v13
.LBB10_1816:
	s_or_b64 exec, exec, s[6:7]
	s_nop 0
	v_mfma_f32_16x16x4f32 a[0:3], v12, v14, a[0:3]
	s_movk_i32 s4, 0x7f
	v_cmp_gt_i16_sdwa s[6:7], v6, s4 src0_sel:BYTE_3 src1_sel:DWORD
	s_mov_b64 s[4:5], 0
                                        ; implicit-def: $sgpr10
	s_and_saveexec_b64 s[8:9], s[6:7]
	s_xor_b64 s[6:7], exec, s[8:9]
	s_cbranch_execnz .LBB10_3865
; %bb.1817:
	s_or_saveexec_b64 s[6:7], s[6:7]
	v_mov_b32_e32 v12, s10
	s_xor_b64 exec, exec, s[6:7]
	s_cbranch_execnz .LBB10_3868
.LBB10_1818:
	s_or_b64 exec, exec, s[6:7]
	s_and_saveexec_b64 s[6:7], s[4:5]
	s_cbranch_execz .LBB10_1820
.LBB10_1819:
	v_bfe_u32 v12, v6, 24, 3
	v_ffbh_u32_e32 v16, v12
	v_min_u32_e32 v16, 32, v16
	v_lshrrev_b32_e32 v14, 27, v6
	v_subrev_u32_e32 v17, 28, v16
	v_and_b32_e32 v13, 0x80000000, v6
	v_and_b32_e32 v14, 15, v14
	v_bfe_u32 v15, v6, 27, 4
	v_lshlrev_b32_sdwa v6, v17, v6 dst_sel:DWORD dst_unused:UNUSED_PAD src0_sel:DWORD src1_sel:BYTE_3
	v_sub_u32_e32 v16, 29, v16
	v_and_b32_e32 v6, 7, v6
	v_cmp_eq_u16_e32 vcc, 0, v14
	v_cndmask_b32_e32 v6, v12, v6, vcc
	v_cndmask_b32_e32 v12, v15, v16, vcc
	v_mov_b32_e32 v14, 0x3b800000
	v_lshlrev_b32_e32 v6, 20, v6
	v_lshl_add_u32 v12, v12, 23, v14
	v_or3_b32 v12, v13, v12, v6
.LBB10_1820:
	s_or_b64 exec, exec, s[6:7]
	s_movk_i32 s4, 0x7f
	v_cmp_gt_i16_sdwa s[6:7], v2, s4 src0_sel:BYTE_3 src1_sel:DWORD
	s_mov_b64 s[4:5], 0
                                        ; implicit-def: $sgpr10
	s_and_saveexec_b64 s[8:9], s[6:7]
	s_xor_b64 s[6:7], exec, s[8:9]
	s_cbranch_execnz .LBB10_3869
; %bb.1821:
	s_or_saveexec_b64 s[6:7], s[6:7]
	v_mov_b32_e32 v6, s10
	s_xor_b64 exec, exec, s[6:7]
	s_cbranch_execnz .LBB10_3872
.LBB10_1822:
	s_or_b64 exec, exec, s[6:7]
	s_and_saveexec_b64 s[6:7], s[4:5]
	s_cbranch_execz .LBB10_1824
.LBB10_1823:
	v_bfe_u32 v6, v2, 24, 3
	v_ffbh_u32_e32 v16, v6
	v_min_u32_e32 v16, 32, v16
	v_lshrrev_b32_e32 v14, 27, v2
	v_subrev_u32_e32 v17, 28, v16
	v_and_b32_e32 v13, 0x80000000, v2
	v_and_b32_e32 v14, 15, v14
	v_bfe_u32 v15, v2, 27, 4
	v_lshlrev_b32_sdwa v2, v17, v2 dst_sel:DWORD dst_unused:UNUSED_PAD src0_sel:DWORD src1_sel:BYTE_3
	v_sub_u32_e32 v16, 29, v16
	v_and_b32_e32 v2, 7, v2
	v_cmp_eq_u16_e32 vcc, 0, v14
	v_cndmask_b32_e32 v2, v6, v2, vcc
	v_cndmask_b32_e32 v6, v15, v16, vcc
	v_mov_b32_e32 v14, 0x3b800000
	v_lshlrev_b32_e32 v2, 20, v2
	v_lshl_add_u32 v6, v6, 23, v14
	v_or3_b32 v6, v13, v6, v2
.LBB10_1824:
	s_or_b64 exec, exec, s[6:7]
	s_nop 0
	v_mfma_f32_16x16x4f32 a[0:3], v12, v6, a[0:3]
	s_movk_i32 s4, 0x7f
	v_cmp_gt_i16_sdwa s[6:7], v7, s4 src0_sel:BYTE_0 src1_sel:DWORD
	s_mov_b64 s[4:5], 0
                                        ; implicit-def: $sgpr10
	s_and_saveexec_b64 s[8:9], s[6:7]
	s_xor_b64 s[6:7], exec, s[8:9]
	s_cbranch_execnz .LBB10_3873
; %bb.1825:
	s_or_saveexec_b64 s[6:7], s[6:7]
	v_mov_b32_e32 v2, s10
	s_xor_b64 exec, exec, s[6:7]
	s_cbranch_execnz .LBB10_3876
.LBB10_1826:
	s_or_b64 exec, exec, s[6:7]
	s_and_saveexec_b64 s[6:7], s[4:5]
	s_cbranch_execz .LBB10_1828
.LBB10_1827:
	v_and_b32_e32 v2, 7, v7
	v_ffbh_u32_e32 v12, v2
	v_min_u32_e32 v12, 32, v12
	v_lshrrev_b16_e32 v6, 3, v7
	v_subrev_u32_e32 v13, 28, v12
	v_and_b32_e32 v6, 15, v6
	v_lshlrev_b32_e32 v13, v13, v7
	v_sub_u32_e32 v12, 29, v12
	v_and_b32_e32 v13, 7, v13
	v_cmp_eq_u16_e32 vcc, 0, v6
	v_cndmask_b32_e32 v2, v2, v13, vcc
	v_cndmask_b32_e32 v6, v6, v12, vcc
	v_lshlrev_b32_e32 v12, 24, v7
	v_mov_b32_e32 v13, 0x3b800000
	v_lshlrev_b32_e32 v2, 20, v2
	v_and_b32_e32 v12, 0x80000000, v12
	v_lshl_add_u32 v6, v6, 23, v13
	v_or3_b32 v2, v12, v6, v2
.LBB10_1828:
	s_or_b64 exec, exec, s[6:7]
	s_movk_i32 s4, 0x7f
	v_cmp_gt_i16_sdwa s[6:7], v3, s4 src0_sel:BYTE_0 src1_sel:DWORD
	s_mov_b64 s[4:5], 0
                                        ; implicit-def: $sgpr10
	s_and_saveexec_b64 s[8:9], s[6:7]
	s_xor_b64 s[6:7], exec, s[8:9]
	s_cbranch_execnz .LBB10_3877
; %bb.1829:
	s_or_saveexec_b64 s[6:7], s[6:7]
	v_mov_b32_e32 v6, s10
	s_xor_b64 exec, exec, s[6:7]
	s_cbranch_execnz .LBB10_3880
.LBB10_1830:
	s_or_b64 exec, exec, s[6:7]
	s_and_saveexec_b64 s[6:7], s[4:5]
	s_cbranch_execz .LBB10_1832
.LBB10_1831:
	v_and_b32_e32 v6, 7, v3
	v_ffbh_u32_e32 v13, v6
	v_min_u32_e32 v13, 32, v13
	v_lshrrev_b16_e32 v12, 3, v3
	v_subrev_u32_e32 v14, 28, v13
	v_and_b32_e32 v12, 15, v12
	v_lshlrev_b32_e32 v14, v14, v3
	v_sub_u32_e32 v13, 29, v13
	v_and_b32_e32 v14, 7, v14
	v_cmp_eq_u16_e32 vcc, 0, v12
	v_cndmask_b32_e32 v6, v6, v14, vcc
	v_cndmask_b32_e32 v12, v12, v13, vcc
	v_lshlrev_b32_e32 v13, 24, v3
	v_mov_b32_e32 v14, 0x3b800000
	v_lshlrev_b32_e32 v6, 20, v6
	v_and_b32_e32 v13, 0x80000000, v13
	v_lshl_add_u32 v12, v12, 23, v14
	v_or3_b32 v6, v13, v12, v6
.LBB10_1832:
	s_or_b64 exec, exec, s[6:7]
	s_nop 0
	v_mfma_f32_16x16x4f32 a[0:3], v2, v6, a[0:3]
	v_lshrrev_b32_e32 v6, 8, v7
	s_movk_i32 s4, 0x7f
	v_cmp_gt_i16_sdwa s[6:7], v6, s4 src0_sel:BYTE_0 src1_sel:DWORD
	s_mov_b64 s[4:5], 0
                                        ; implicit-def: $sgpr10
	s_and_saveexec_b64 s[8:9], s[6:7]
	s_xor_b64 s[6:7], exec, s[8:9]
	s_cbranch_execnz .LBB10_3881
; %bb.1833:
	s_or_saveexec_b64 s[6:7], s[6:7]
	v_mov_b32_e32 v2, s10
	s_xor_b64 exec, exec, s[6:7]
	s_cbranch_execnz .LBB10_3884
.LBB10_1834:
	s_or_b64 exec, exec, s[6:7]
	s_and_saveexec_b64 s[6:7], s[4:5]
	s_cbranch_execz .LBB10_1836
.LBB10_1835:
	v_bfe_u32 v2, v7, 8, 3
	v_ffbh_u32_e32 v13, v2
	v_min_u32_e32 v13, 32, v13
	v_lshrrev_b16_e32 v12, 3, v6
	v_subrev_u32_e32 v14, 28, v13
	v_and_b32_e32 v12, 15, v12
	v_lshlrev_b32_e32 v6, v14, v6
	v_sub_u32_e32 v13, 29, v13
	v_and_b32_e32 v6, 7, v6
	v_cmp_eq_u16_e32 vcc, 0, v12
	v_cndmask_b32_e32 v2, v2, v6, vcc
	v_cndmask_b32_e32 v6, v12, v13, vcc
	v_lshlrev_b32_e32 v12, 16, v7
	v_mov_b32_e32 v13, 0x3b800000
	v_lshlrev_b32_e32 v2, 20, v2
	v_and_b32_e32 v12, 0x80000000, v12
	v_lshl_add_u32 v6, v6, 23, v13
	v_or3_b32 v2, v12, v6, v2
.LBB10_1836:
	s_or_b64 exec, exec, s[6:7]
	v_lshrrev_b32_e32 v6, 8, v3
	s_movk_i32 s4, 0x7f
	v_cmp_gt_i16_sdwa s[6:7], v6, s4 src0_sel:BYTE_0 src1_sel:DWORD
	s_mov_b64 s[4:5], 0
                                        ; implicit-def: $sgpr10
	s_and_saveexec_b64 s[8:9], s[6:7]
	s_xor_b64 s[6:7], exec, s[8:9]
	s_cbranch_execnz .LBB10_3885
; %bb.1837:
	s_or_saveexec_b64 s[6:7], s[6:7]
	v_mov_b32_e32 v12, s10
	s_xor_b64 exec, exec, s[6:7]
	s_cbranch_execnz .LBB10_3888
.LBB10_1838:
	s_or_b64 exec, exec, s[6:7]
	s_and_saveexec_b64 s[6:7], s[4:5]
	s_cbranch_execz .LBB10_1840
.LBB10_1839:
	v_bfe_u32 v12, v3, 8, 3
	v_ffbh_u32_e32 v14, v12
	v_min_u32_e32 v14, 32, v14
	v_lshrrev_b16_e32 v13, 3, v6
	v_subrev_u32_e32 v15, 28, v14
	v_and_b32_e32 v13, 15, v13
	v_lshlrev_b32_e32 v6, v15, v6
	v_sub_u32_e32 v14, 29, v14
	v_and_b32_e32 v6, 7, v6
	v_cmp_eq_u16_e32 vcc, 0, v13
	v_cndmask_b32_e32 v6, v12, v6, vcc
	v_cndmask_b32_e32 v12, v13, v14, vcc
	v_lshlrev_b32_e32 v13, 16, v3
	v_mov_b32_e32 v14, 0x3b800000
	v_lshlrev_b32_e32 v6, 20, v6
	v_and_b32_e32 v13, 0x80000000, v13
	v_lshl_add_u32 v12, v12, 23, v14
	v_or3_b32 v12, v13, v12, v6
.LBB10_1840:
	s_or_b64 exec, exec, s[6:7]
	s_nop 0
	v_mfma_f32_16x16x4f32 a[0:3], v2, v12, a[0:3]
	s_movk_i32 s4, 0xff
	v_and_b32_sdwa v6, v7, s4 dst_sel:DWORD dst_unused:UNUSED_PAD src0_sel:WORD_1 src1_sel:DWORD
	s_movk_i32 s4, 0x7f
	v_cmp_lt_i16_e32 vcc, s4, v6
	s_mov_b64 s[4:5], 0
                                        ; implicit-def: $sgpr10
	s_and_saveexec_b64 s[6:7], vcc
	s_xor_b64 s[6:7], exec, s[6:7]
	s_cbranch_execnz .LBB10_3889
; %bb.1841:
	s_or_saveexec_b64 s[6:7], s[6:7]
	v_mov_b32_e32 v2, s10
	s_xor_b64 exec, exec, s[6:7]
	s_cbranch_execnz .LBB10_3892
.LBB10_1842:
	s_or_b64 exec, exec, s[6:7]
	s_and_saveexec_b64 s[6:7], s[4:5]
	s_cbranch_execz .LBB10_1844
.LBB10_1843:
	v_bfe_u32 v2, v7, 16, 3
	v_ffbh_u32_e32 v13, v2
	v_min_u32_e32 v13, 32, v13
	v_lshrrev_b32_e32 v6, 19, v7
	v_subrev_u32_e32 v14, 28, v13
	v_and_b32_e32 v6, 15, v6
	v_lshlrev_b32_sdwa v14, v14, v7 dst_sel:DWORD dst_unused:UNUSED_PAD src0_sel:DWORD src1_sel:WORD_1
	v_bfe_u32 v12, v7, 19, 4
	v_sub_u32_e32 v13, 29, v13
	v_and_b32_e32 v14, 7, v14
	v_cmp_eq_u16_e32 vcc, 0, v6
	v_cndmask_b32_e32 v2, v2, v14, vcc
	v_cndmask_b32_e32 v6, v12, v13, vcc
	v_lshlrev_b32_e32 v12, 8, v7
	v_mov_b32_e32 v13, 0x3b800000
	v_lshlrev_b32_e32 v2, 20, v2
	v_and_b32_e32 v12, 0x80000000, v12
	v_lshl_add_u32 v6, v6, 23, v13
	v_or3_b32 v2, v12, v6, v2
.LBB10_1844:
	s_or_b64 exec, exec, s[6:7]
	s_movk_i32 s4, 0xff
	v_and_b32_sdwa v6, v3, s4 dst_sel:DWORD dst_unused:UNUSED_PAD src0_sel:WORD_1 src1_sel:DWORD
	s_movk_i32 s4, 0x7f
	v_cmp_lt_i16_e32 vcc, s4, v6
	s_mov_b64 s[4:5], 0
                                        ; implicit-def: $sgpr10
	s_and_saveexec_b64 s[6:7], vcc
	s_xor_b64 s[6:7], exec, s[6:7]
	s_cbranch_execnz .LBB10_3893
; %bb.1845:
	s_or_saveexec_b64 s[6:7], s[6:7]
	v_mov_b32_e32 v12, s10
	s_xor_b64 exec, exec, s[6:7]
	s_cbranch_execnz .LBB10_3896
.LBB10_1846:
	s_or_b64 exec, exec, s[6:7]
	s_and_saveexec_b64 s[6:7], s[4:5]
	s_cbranch_execz .LBB10_1848
.LBB10_1847:
	v_bfe_u32 v6, v3, 16, 3
	v_ffbh_u32_e32 v14, v6
	v_min_u32_e32 v14, 32, v14
	v_lshrrev_b32_e32 v12, 19, v3
	v_subrev_u32_e32 v15, 28, v14
	v_and_b32_e32 v12, 15, v12
	v_lshlrev_b32_sdwa v15, v15, v3 dst_sel:DWORD dst_unused:UNUSED_PAD src0_sel:DWORD src1_sel:WORD_1
	v_bfe_u32 v13, v3, 19, 4
	v_sub_u32_e32 v14, 29, v14
	v_and_b32_e32 v15, 7, v15
	v_cmp_eq_u16_e32 vcc, 0, v12
	v_cndmask_b32_e32 v6, v6, v15, vcc
	v_cndmask_b32_e32 v12, v13, v14, vcc
	v_lshlrev_b32_e32 v13, 8, v3
	v_mov_b32_e32 v14, 0x3b800000
	v_lshlrev_b32_e32 v6, 20, v6
	v_and_b32_e32 v13, 0x80000000, v13
	v_lshl_add_u32 v12, v12, 23, v14
	v_or3_b32 v12, v13, v12, v6
.LBB10_1848:
	s_or_b64 exec, exec, s[6:7]
	s_nop 0
	v_mfma_f32_16x16x4f32 a[0:3], v2, v12, a[0:3]
	s_movk_i32 s4, 0x7f
	v_cmp_gt_i16_sdwa s[6:7], v7, s4 src0_sel:BYTE_3 src1_sel:DWORD
	s_mov_b64 s[4:5], 0
                                        ; implicit-def: $sgpr10
	s_and_saveexec_b64 s[8:9], s[6:7]
	s_xor_b64 s[6:7], exec, s[8:9]
	s_cbranch_execnz .LBB10_3897
; %bb.1849:
	s_or_saveexec_b64 s[6:7], s[6:7]
	v_mov_b32_e32 v2, s10
	s_xor_b64 exec, exec, s[6:7]
	s_cbranch_execnz .LBB10_3900
.LBB10_1850:
	s_or_b64 exec, exec, s[6:7]
	s_and_saveexec_b64 s[6:7], s[4:5]
	s_cbranch_execz .LBB10_1852
.LBB10_1851:
	v_bfe_u32 v2, v7, 24, 3
	v_ffbh_u32_e32 v14, v2
	v_min_u32_e32 v14, 32, v14
	v_lshrrev_b32_e32 v12, 27, v7
	v_subrev_u32_e32 v15, 28, v14
	v_and_b32_e32 v6, 0x80000000, v7
	v_and_b32_e32 v12, 15, v12
	v_bfe_u32 v13, v7, 27, 4
	v_lshlrev_b32_sdwa v7, v15, v7 dst_sel:DWORD dst_unused:UNUSED_PAD src0_sel:DWORD src1_sel:BYTE_3
	v_sub_u32_e32 v14, 29, v14
	v_and_b32_e32 v7, 7, v7
	v_cmp_eq_u16_e32 vcc, 0, v12
	v_cndmask_b32_e32 v2, v2, v7, vcc
	v_cndmask_b32_e32 v7, v13, v14, vcc
	v_mov_b32_e32 v12, 0x3b800000
	v_lshlrev_b32_e32 v2, 20, v2
	v_lshl_add_u32 v7, v7, 23, v12
	v_or3_b32 v2, v6, v7, v2
.LBB10_1852:
	s_or_b64 exec, exec, s[6:7]
	s_movk_i32 s4, 0x7f
	v_cmp_gt_i16_sdwa s[6:7], v3, s4 src0_sel:BYTE_3 src1_sel:DWORD
	s_mov_b64 s[4:5], 0
                                        ; implicit-def: $sgpr10
	s_and_saveexec_b64 s[8:9], s[6:7]
	s_xor_b64 s[6:7], exec, s[8:9]
	s_cbranch_execnz .LBB10_3901
; %bb.1853:
	s_or_saveexec_b64 s[6:7], s[6:7]
	v_mov_b32_e32 v6, s10
	s_xor_b64 exec, exec, s[6:7]
	s_cbranch_execnz .LBB10_3904
.LBB10_1854:
	s_or_b64 exec, exec, s[6:7]
	s_and_saveexec_b64 s[6:7], s[4:5]
	s_cbranch_execz .LBB10_1856
.LBB10_1855:
	v_bfe_u32 v6, v3, 24, 3
	v_ffbh_u32_e32 v14, v6
	v_min_u32_e32 v14, 32, v14
	v_lshrrev_b32_e32 v12, 27, v3
	v_subrev_u32_e32 v15, 28, v14
	v_and_b32_e32 v7, 0x80000000, v3
	v_and_b32_e32 v12, 15, v12
	v_bfe_u32 v13, v3, 27, 4
	v_lshlrev_b32_sdwa v3, v15, v3 dst_sel:DWORD dst_unused:UNUSED_PAD src0_sel:DWORD src1_sel:BYTE_3
	v_sub_u32_e32 v14, 29, v14
	v_and_b32_e32 v3, 7, v3
	v_cmp_eq_u16_e32 vcc, 0, v12
	v_cndmask_b32_e32 v3, v6, v3, vcc
	v_cndmask_b32_e32 v6, v13, v14, vcc
	v_mov_b32_e32 v12, 0x3b800000
	v_lshlrev_b32_e32 v3, 20, v3
	v_lshl_add_u32 v6, v6, 23, v12
	v_or3_b32 v6, v7, v6, v3
.LBB10_1856:
	s_or_b64 exec, exec, s[6:7]
	s_nop 0
	v_mfma_f32_16x16x4f32 a[0:3], v2, v6, a[0:3]
	s_movk_i32 s4, 0x7f
	v_cmp_gt_i16_sdwa s[6:7], v8, s4 src0_sel:BYTE_0 src1_sel:DWORD
	s_mov_b64 s[4:5], 0
                                        ; implicit-def: $sgpr10
	s_and_saveexec_b64 s[8:9], s[6:7]
	s_xor_b64 s[6:7], exec, s[8:9]
	s_cbranch_execnz .LBB10_3905
; %bb.1857:
	s_or_saveexec_b64 s[6:7], s[6:7]
	v_mov_b32_e32 v2, s10
	s_xor_b64 exec, exec, s[6:7]
	s_cbranch_execnz .LBB10_3908
.LBB10_1858:
	s_or_b64 exec, exec, s[6:7]
	s_and_saveexec_b64 s[6:7], s[4:5]
	s_cbranch_execz .LBB10_1860
.LBB10_1859:
	v_and_b32_e32 v2, 7, v8
	v_ffbh_u32_e32 v6, v2
	v_min_u32_e32 v6, 32, v6
	v_lshrrev_b16_e32 v3, 3, v8
	v_subrev_u32_e32 v7, 28, v6
	v_and_b32_e32 v3, 15, v3
	v_lshlrev_b32_e32 v7, v7, v8
	v_sub_u32_e32 v6, 29, v6
	v_and_b32_e32 v7, 7, v7
	v_cmp_eq_u16_e32 vcc, 0, v3
	v_cndmask_b32_e32 v2, v2, v7, vcc
	v_cndmask_b32_e32 v3, v3, v6, vcc
	v_lshlrev_b32_e32 v6, 24, v8
	v_mov_b32_e32 v7, 0x3b800000
	v_lshlrev_b32_e32 v2, 20, v2
	v_and_b32_e32 v6, 0x80000000, v6
	v_lshl_add_u32 v3, v3, 23, v7
	v_or3_b32 v2, v6, v3, v2
.LBB10_1860:
	s_or_b64 exec, exec, s[6:7]
	s_movk_i32 s4, 0x7f
	v_cmp_gt_i16_sdwa s[6:7], v4, s4 src0_sel:BYTE_0 src1_sel:DWORD
	s_mov_b64 s[4:5], 0
                                        ; implicit-def: $sgpr10
	s_and_saveexec_b64 s[8:9], s[6:7]
	s_xor_b64 s[6:7], exec, s[8:9]
	s_cbranch_execnz .LBB10_3909
; %bb.1861:
	s_or_saveexec_b64 s[6:7], s[6:7]
	v_mov_b32_e32 v3, s10
	s_xor_b64 exec, exec, s[6:7]
	s_cbranch_execnz .LBB10_3912
.LBB10_1862:
	s_or_b64 exec, exec, s[6:7]
	s_and_saveexec_b64 s[6:7], s[4:5]
	s_cbranch_execz .LBB10_1864
.LBB10_1863:
	v_and_b32_e32 v3, 7, v4
	v_ffbh_u32_e32 v7, v3
	v_min_u32_e32 v7, 32, v7
	v_lshrrev_b16_e32 v6, 3, v4
	v_subrev_u32_e32 v12, 28, v7
	v_and_b32_e32 v6, 15, v6
	v_lshlrev_b32_e32 v12, v12, v4
	v_sub_u32_e32 v7, 29, v7
	v_and_b32_e32 v12, 7, v12
	v_cmp_eq_u16_e32 vcc, 0, v6
	v_cndmask_b32_e32 v3, v3, v12, vcc
	v_cndmask_b32_e32 v6, v6, v7, vcc
	v_lshlrev_b32_e32 v7, 24, v4
	v_mov_b32_e32 v12, 0x3b800000
	v_lshlrev_b32_e32 v3, 20, v3
	v_and_b32_e32 v7, 0x80000000, v7
	v_lshl_add_u32 v6, v6, 23, v12
	v_or3_b32 v3, v7, v6, v3
.LBB10_1864:
	s_or_b64 exec, exec, s[6:7]
	s_nop 0
	v_mfma_f32_16x16x4f32 a[0:3], v2, v3, a[0:3]
	v_lshrrev_b32_e32 v3, 8, v8
	s_movk_i32 s4, 0x7f
	v_cmp_gt_i16_sdwa s[6:7], v3, s4 src0_sel:BYTE_0 src1_sel:DWORD
	s_mov_b64 s[4:5], 0
                                        ; implicit-def: $sgpr10
	s_and_saveexec_b64 s[8:9], s[6:7]
	s_xor_b64 s[6:7], exec, s[8:9]
	s_cbranch_execnz .LBB10_3913
; %bb.1865:
	s_or_saveexec_b64 s[6:7], s[6:7]
	v_mov_b32_e32 v2, s10
	s_xor_b64 exec, exec, s[6:7]
	s_cbranch_execnz .LBB10_3916
.LBB10_1866:
	s_or_b64 exec, exec, s[6:7]
	s_and_saveexec_b64 s[6:7], s[4:5]
	s_cbranch_execz .LBB10_1868
.LBB10_1867:
	v_bfe_u32 v2, v8, 8, 3
	v_ffbh_u32_e32 v7, v2
	v_min_u32_e32 v7, 32, v7
	v_lshrrev_b16_e32 v6, 3, v3
	v_subrev_u32_e32 v12, 28, v7
	v_and_b32_e32 v6, 15, v6
	v_lshlrev_b32_e32 v3, v12, v3
	v_sub_u32_e32 v7, 29, v7
	v_and_b32_e32 v3, 7, v3
	v_cmp_eq_u16_e32 vcc, 0, v6
	v_cndmask_b32_e32 v2, v2, v3, vcc
	v_cndmask_b32_e32 v3, v6, v7, vcc
	v_lshlrev_b32_e32 v6, 16, v8
	v_mov_b32_e32 v7, 0x3b800000
	v_lshlrev_b32_e32 v2, 20, v2
	v_and_b32_e32 v6, 0x80000000, v6
	v_lshl_add_u32 v3, v3, 23, v7
	v_or3_b32 v2, v6, v3, v2
.LBB10_1868:
	s_or_b64 exec, exec, s[6:7]
	v_lshrrev_b32_e32 v3, 8, v4
	s_movk_i32 s4, 0x7f
	v_cmp_gt_i16_sdwa s[6:7], v3, s4 src0_sel:BYTE_0 src1_sel:DWORD
	s_mov_b64 s[4:5], 0
                                        ; implicit-def: $sgpr10
	s_and_saveexec_b64 s[8:9], s[6:7]
	s_xor_b64 s[6:7], exec, s[8:9]
	s_cbranch_execnz .LBB10_3917
; %bb.1869:
	s_or_saveexec_b64 s[6:7], s[6:7]
	v_mov_b32_e32 v6, s10
	s_xor_b64 exec, exec, s[6:7]
	s_cbranch_execnz .LBB10_3920
.LBB10_1870:
	s_or_b64 exec, exec, s[6:7]
	s_and_saveexec_b64 s[6:7], s[4:5]
	s_cbranch_execz .LBB10_1872
.LBB10_1871:
	v_bfe_u32 v6, v4, 8, 3
	v_ffbh_u32_e32 v12, v6
	v_min_u32_e32 v12, 32, v12
	v_lshrrev_b16_e32 v7, 3, v3
	v_subrev_u32_e32 v13, 28, v12
	v_and_b32_e32 v7, 15, v7
	v_lshlrev_b32_e32 v3, v13, v3
	v_sub_u32_e32 v12, 29, v12
	v_and_b32_e32 v3, 7, v3
	v_cmp_eq_u16_e32 vcc, 0, v7
	v_cndmask_b32_e32 v3, v6, v3, vcc
	v_cndmask_b32_e32 v6, v7, v12, vcc
	v_lshlrev_b32_e32 v7, 16, v4
	v_mov_b32_e32 v12, 0x3b800000
	v_lshlrev_b32_e32 v3, 20, v3
	v_and_b32_e32 v7, 0x80000000, v7
	v_lshl_add_u32 v6, v6, 23, v12
	v_or3_b32 v6, v7, v6, v3
.LBB10_1872:
	s_or_b64 exec, exec, s[6:7]
	s_nop 0
	v_mfma_f32_16x16x4f32 a[0:3], v2, v6, a[0:3]
	s_movk_i32 s4, 0xff
	v_and_b32_sdwa v3, v8, s4 dst_sel:DWORD dst_unused:UNUSED_PAD src0_sel:WORD_1 src1_sel:DWORD
	s_movk_i32 s4, 0x7f
	v_cmp_lt_i16_e32 vcc, s4, v3
	s_mov_b64 s[4:5], 0
                                        ; implicit-def: $sgpr10
	s_and_saveexec_b64 s[6:7], vcc
	s_xor_b64 s[6:7], exec, s[6:7]
	s_cbranch_execnz .LBB10_3921
; %bb.1873:
	s_or_saveexec_b64 s[6:7], s[6:7]
	v_mov_b32_e32 v2, s10
	s_xor_b64 exec, exec, s[6:7]
	s_cbranch_execnz .LBB10_3924
.LBB10_1874:
	s_or_b64 exec, exec, s[6:7]
	s_and_saveexec_b64 s[6:7], s[4:5]
	s_cbranch_execz .LBB10_1876
.LBB10_1875:
	v_bfe_u32 v2, v8, 16, 3
	v_ffbh_u32_e32 v7, v2
	v_min_u32_e32 v7, 32, v7
	v_lshrrev_b32_e32 v3, 19, v8
	v_subrev_u32_e32 v12, 28, v7
	v_and_b32_e32 v3, 15, v3
	v_lshlrev_b32_sdwa v12, v12, v8 dst_sel:DWORD dst_unused:UNUSED_PAD src0_sel:DWORD src1_sel:WORD_1
	v_bfe_u32 v6, v8, 19, 4
	v_sub_u32_e32 v7, 29, v7
	v_and_b32_e32 v12, 7, v12
	v_cmp_eq_u16_e32 vcc, 0, v3
	v_cndmask_b32_e32 v2, v2, v12, vcc
	v_cndmask_b32_e32 v3, v6, v7, vcc
	v_lshlrev_b32_e32 v6, 8, v8
	v_mov_b32_e32 v7, 0x3b800000
	v_lshlrev_b32_e32 v2, 20, v2
	v_and_b32_e32 v6, 0x80000000, v6
	v_lshl_add_u32 v3, v3, 23, v7
	v_or3_b32 v2, v6, v3, v2
.LBB10_1876:
	s_or_b64 exec, exec, s[6:7]
	s_movk_i32 s4, 0xff
	v_and_b32_sdwa v3, v4, s4 dst_sel:DWORD dst_unused:UNUSED_PAD src0_sel:WORD_1 src1_sel:DWORD
	s_movk_i32 s4, 0x7f
	v_cmp_lt_i16_e32 vcc, s4, v3
	s_mov_b64 s[4:5], 0
                                        ; implicit-def: $sgpr10
	s_and_saveexec_b64 s[6:7], vcc
	s_xor_b64 s[6:7], exec, s[6:7]
	s_cbranch_execnz .LBB10_3925
; %bb.1877:
	s_or_saveexec_b64 s[6:7], s[6:7]
	v_mov_b32_e32 v6, s10
	s_xor_b64 exec, exec, s[6:7]
	s_cbranch_execnz .LBB10_3928
.LBB10_1878:
	s_or_b64 exec, exec, s[6:7]
	s_and_saveexec_b64 s[6:7], s[4:5]
	s_cbranch_execz .LBB10_1880
.LBB10_1879:
	v_bfe_u32 v3, v4, 16, 3
	v_ffbh_u32_e32 v12, v3
	v_min_u32_e32 v12, 32, v12
	v_lshrrev_b32_e32 v6, 19, v4
	v_subrev_u32_e32 v13, 28, v12
	v_and_b32_e32 v6, 15, v6
	v_lshlrev_b32_sdwa v13, v13, v4 dst_sel:DWORD dst_unused:UNUSED_PAD src0_sel:DWORD src1_sel:WORD_1
	v_bfe_u32 v7, v4, 19, 4
	v_sub_u32_e32 v12, 29, v12
	v_and_b32_e32 v13, 7, v13
	v_cmp_eq_u16_e32 vcc, 0, v6
	v_cndmask_b32_e32 v3, v3, v13, vcc
	v_cndmask_b32_e32 v6, v7, v12, vcc
	v_lshlrev_b32_e32 v7, 8, v4
	v_mov_b32_e32 v12, 0x3b800000
	v_lshlrev_b32_e32 v3, 20, v3
	v_and_b32_e32 v7, 0x80000000, v7
	v_lshl_add_u32 v6, v6, 23, v12
	v_or3_b32 v6, v7, v6, v3
.LBB10_1880:
	s_or_b64 exec, exec, s[6:7]
	s_nop 0
	v_mfma_f32_16x16x4f32 a[0:3], v2, v6, a[0:3]
	s_movk_i32 s4, 0x7f
	v_cmp_gt_i16_sdwa s[6:7], v8, s4 src0_sel:BYTE_3 src1_sel:DWORD
	s_mov_b64 s[4:5], 0
                                        ; implicit-def: $sgpr10
	s_and_saveexec_b64 s[8:9], s[6:7]
	s_xor_b64 s[6:7], exec, s[8:9]
	s_cbranch_execnz .LBB10_3929
; %bb.1881:
	s_or_saveexec_b64 s[6:7], s[6:7]
	v_mov_b32_e32 v2, s10
	s_xor_b64 exec, exec, s[6:7]
	s_cbranch_execnz .LBB10_3932
.LBB10_1882:
	s_or_b64 exec, exec, s[6:7]
	s_and_saveexec_b64 s[6:7], s[4:5]
	s_cbranch_execz .LBB10_1884
.LBB10_1883:
	v_bfe_u32 v2, v8, 24, 3
	v_ffbh_u32_e32 v12, v2
	v_min_u32_e32 v12, 32, v12
	v_lshrrev_b32_e32 v6, 27, v8
	v_subrev_u32_e32 v13, 28, v12
	v_and_b32_e32 v3, 0x80000000, v8
	v_and_b32_e32 v6, 15, v6
	v_bfe_u32 v7, v8, 27, 4
	v_lshlrev_b32_sdwa v8, v13, v8 dst_sel:DWORD dst_unused:UNUSED_PAD src0_sel:DWORD src1_sel:BYTE_3
	v_sub_u32_e32 v12, 29, v12
	v_and_b32_e32 v8, 7, v8
	v_cmp_eq_u16_e32 vcc, 0, v6
	v_cndmask_b32_e32 v2, v2, v8, vcc
	v_cndmask_b32_e32 v6, v7, v12, vcc
	v_mov_b32_e32 v7, 0x3b800000
	v_lshlrev_b32_e32 v2, 20, v2
	v_lshl_add_u32 v6, v6, 23, v7
	v_or3_b32 v2, v3, v6, v2
.LBB10_1884:
	s_or_b64 exec, exec, s[6:7]
	s_movk_i32 s4, 0x7f
	v_cmp_gt_i16_sdwa s[6:7], v4, s4 src0_sel:BYTE_3 src1_sel:DWORD
	s_mov_b64 s[4:5], 0
                                        ; implicit-def: $sgpr10
	s_and_saveexec_b64 s[8:9], s[6:7]
	s_xor_b64 s[6:7], exec, s[8:9]
	s_cbranch_execnz .LBB10_3933
; %bb.1885:
	s_or_saveexec_b64 s[6:7], s[6:7]
	v_mov_b32_e32 v3, s10
	s_xor_b64 exec, exec, s[6:7]
	s_cbranch_execnz .LBB10_3936
.LBB10_1886:
	s_or_b64 exec, exec, s[6:7]
	s_and_saveexec_b64 s[6:7], s[4:5]
	s_cbranch_execz .LBB10_1888
.LBB10_1887:
	v_bfe_u32 v3, v4, 24, 3
	v_ffbh_u32_e32 v12, v3
	v_min_u32_e32 v12, 32, v12
	v_lshrrev_b32_e32 v7, 27, v4
	v_subrev_u32_e32 v13, 28, v12
	v_and_b32_e32 v6, 0x80000000, v4
	v_and_b32_e32 v7, 15, v7
	v_bfe_u32 v8, v4, 27, 4
	v_lshlrev_b32_sdwa v4, v13, v4 dst_sel:DWORD dst_unused:UNUSED_PAD src0_sel:DWORD src1_sel:BYTE_3
	v_sub_u32_e32 v12, 29, v12
	v_and_b32_e32 v4, 7, v4
	v_cmp_eq_u16_e32 vcc, 0, v7
	v_cndmask_b32_e32 v3, v3, v4, vcc
	v_cndmask_b32_e32 v4, v8, v12, vcc
	v_mov_b32_e32 v7, 0x3b800000
	v_lshlrev_b32_e32 v3, 20, v3
	v_lshl_add_u32 v4, v4, 23, v7
	v_or3_b32 v3, v6, v4, v3
.LBB10_1888:
	s_or_b64 exec, exec, s[6:7]
	s_nop 0
	v_mfma_f32_16x16x4f32 a[0:3], v2, v3, a[0:3]
	s_movk_i32 s4, 0x7f
	v_cmp_gt_i16_sdwa s[6:7], v9, s4 src0_sel:BYTE_0 src1_sel:DWORD
	s_mov_b64 s[4:5], 0
                                        ; implicit-def: $sgpr10
	s_and_saveexec_b64 s[8:9], s[6:7]
	s_xor_b64 s[6:7], exec, s[8:9]
	s_cbranch_execnz .LBB10_3937
; %bb.1889:
	s_or_saveexec_b64 s[6:7], s[6:7]
	v_mov_b32_e32 v2, s10
	s_xor_b64 exec, exec, s[6:7]
	s_cbranch_execnz .LBB10_3940
.LBB10_1890:
	s_or_b64 exec, exec, s[6:7]
	s_and_saveexec_b64 s[6:7], s[4:5]
	s_cbranch_execz .LBB10_1892
.LBB10_1891:
	v_mov_b32_e32 v2, 8
	v_and_b32_e32 v3, 7, v9
	v_lshrrev_b32_sdwa v2, v2, v9 dst_sel:BYTE_1 dst_unused:UNUSED_PAD src0_sel:DWORD src1_sel:DWORD
	v_ffbh_u32_e32 v4, v3
	v_or_b32_sdwa v2, v9, v2 dst_sel:DWORD dst_unused:UNUSED_PAD src0_sel:BYTE_0 src1_sel:DWORD
	v_min_u32_e32 v4, 32, v4
	v_lshrrev_b16_e32 v2, 3, v2
	v_subrev_u32_e32 v6, 28, v4
	v_and_b32_e32 v2, 15, v2
	v_lshlrev_b32_e32 v6, v6, v9
	v_sub_u32_e32 v4, 29, v4
	v_and_b32_e32 v6, 7, v6
	v_cmp_eq_u16_e32 vcc, 0, v2
	v_cndmask_b32_e32 v3, v3, v6, vcc
	v_cndmask_b32_e32 v2, v2, v4, vcc
	v_lshlrev_b32_e32 v4, 24, v9
	v_mov_b32_e32 v6, 0x3b800000
	v_lshlrev_b32_e32 v3, 20, v3
	v_and_b32_e32 v4, 0x80000000, v4
	v_lshl_add_u32 v2, v2, 23, v6
	v_or3_b32 v2, v4, v2, v3
.LBB10_1892:
	s_or_b64 exec, exec, s[6:7]
	s_movk_i32 s4, 0x7f
	v_cmp_gt_i16_sdwa s[6:7], v5, s4 src0_sel:BYTE_0 src1_sel:DWORD
	s_mov_b64 s[4:5], 0
                                        ; implicit-def: $sgpr10
	s_and_saveexec_b64 s[8:9], s[6:7]
	s_xor_b64 s[6:7], exec, s[8:9]
	s_cbranch_execnz .LBB10_3941
; %bb.1893:
	s_or_saveexec_b64 s[6:7], s[6:7]
	v_mov_b32_e32 v3, s10
	s_xor_b64 exec, exec, s[6:7]
	s_cbranch_execnz .LBB10_3944
.LBB10_1894:
	s_or_b64 exec, exec, s[6:7]
	s_and_saveexec_b64 s[6:7], s[4:5]
	s_cbranch_execz .LBB10_1896
.LBB10_1895:
	v_mov_b32_e32 v3, 8
	v_and_b32_e32 v4, 7, v5
	v_lshrrev_b32_sdwa v3, v3, v5 dst_sel:BYTE_1 dst_unused:UNUSED_PAD src0_sel:DWORD src1_sel:DWORD
	v_ffbh_u32_e32 v6, v4
	v_or_b32_sdwa v3, v5, v3 dst_sel:DWORD dst_unused:UNUSED_PAD src0_sel:BYTE_0 src1_sel:DWORD
	v_min_u32_e32 v6, 32, v6
	v_lshrrev_b16_e32 v3, 3, v3
	v_subrev_u32_e32 v7, 28, v6
	v_and_b32_e32 v3, 15, v3
	v_lshlrev_b32_e32 v7, v7, v5
	v_sub_u32_e32 v6, 29, v6
	v_and_b32_e32 v7, 7, v7
	v_cmp_eq_u16_e32 vcc, 0, v3
	v_cndmask_b32_e32 v4, v4, v7, vcc
	v_cndmask_b32_e32 v3, v3, v6, vcc
	v_lshlrev_b32_e32 v6, 24, v5
	v_mov_b32_e32 v7, 0x3b800000
	v_lshlrev_b32_e32 v4, 20, v4
	v_and_b32_e32 v6, 0x80000000, v6
	v_lshl_add_u32 v3, v3, 23, v7
	v_or3_b32 v3, v6, v3, v4
.LBB10_1896:
	s_or_b64 exec, exec, s[6:7]
	s_nop 0
	v_mfma_f32_16x16x4f32 a[0:3], v2, v3, a[0:3]
	v_lshrrev_b32_e32 v3, 8, v9
	s_movk_i32 s4, 0x7f
	v_cmp_gt_i16_sdwa s[6:7], v3, s4 src0_sel:BYTE_0 src1_sel:DWORD
	s_mov_b64 s[4:5], 0
                                        ; implicit-def: $sgpr10
	s_and_saveexec_b64 s[8:9], s[6:7]
	s_xor_b64 s[6:7], exec, s[8:9]
	s_cbranch_execnz .LBB10_3945
; %bb.1897:
	s_or_saveexec_b64 s[6:7], s[6:7]
	v_mov_b32_e32 v2, s10
	s_xor_b64 exec, exec, s[6:7]
	s_cbranch_execnz .LBB10_3948
.LBB10_1898:
	s_or_b64 exec, exec, s[6:7]
	s_and_saveexec_b64 s[6:7], s[4:5]
	s_cbranch_execz .LBB10_1900
.LBB10_1899:
	v_bfe_u32 v2, v9, 8, 3
	v_ffbh_u32_e32 v6, v2
	v_min_u32_e32 v6, 32, v6
	v_lshrrev_b16_e32 v4, 3, v3
	v_subrev_u32_e32 v7, 28, v6
	v_and_b32_e32 v4, 15, v4
	v_lshlrev_b32_e32 v3, v7, v3
	v_sub_u32_e32 v6, 29, v6
	v_and_b32_e32 v3, 7, v3
	v_cmp_eq_u16_e32 vcc, 0, v4
	v_cndmask_b32_e32 v2, v2, v3, vcc
	v_cndmask_b32_e32 v3, v4, v6, vcc
	v_lshlrev_b32_e32 v4, 16, v9
	v_mov_b32_e32 v6, 0x3b800000
	v_lshlrev_b32_e32 v2, 20, v2
	v_and_b32_e32 v4, 0x80000000, v4
	v_lshl_add_u32 v3, v3, 23, v6
	v_or3_b32 v2, v4, v3, v2
.LBB10_1900:
	s_or_b64 exec, exec, s[6:7]
	v_lshrrev_b32_e32 v3, 8, v5
	s_movk_i32 s4, 0x7f
	v_cmp_gt_i16_sdwa s[6:7], v3, s4 src0_sel:BYTE_0 src1_sel:DWORD
	s_mov_b64 s[4:5], 0
                                        ; implicit-def: $sgpr10
	s_and_saveexec_b64 s[8:9], s[6:7]
	s_xor_b64 s[6:7], exec, s[8:9]
	s_cbranch_execnz .LBB10_3949
; %bb.1901:
	s_or_saveexec_b64 s[6:7], s[6:7]
	v_mov_b32_e32 v4, s10
	s_xor_b64 exec, exec, s[6:7]
	s_cbranch_execnz .LBB10_3952
.LBB10_1902:
	s_or_b64 exec, exec, s[6:7]
	s_and_saveexec_b64 s[6:7], s[4:5]
	s_cbranch_execz .LBB10_1904
.LBB10_1903:
	v_bfe_u32 v4, v5, 8, 3
	v_ffbh_u32_e32 v7, v4
	v_min_u32_e32 v7, 32, v7
	v_lshrrev_b16_e32 v6, 3, v3
	v_subrev_u32_e32 v8, 28, v7
	v_and_b32_e32 v6, 15, v6
	v_lshlrev_b32_e32 v3, v8, v3
	v_sub_u32_e32 v7, 29, v7
	v_and_b32_e32 v3, 7, v3
	v_cmp_eq_u16_e32 vcc, 0, v6
	v_cndmask_b32_e32 v3, v4, v3, vcc
	v_cndmask_b32_e32 v4, v6, v7, vcc
	v_lshlrev_b32_e32 v6, 16, v5
	v_mov_b32_e32 v7, 0x3b800000
	v_lshlrev_b32_e32 v3, 20, v3
	v_and_b32_e32 v6, 0x80000000, v6
	v_lshl_add_u32 v4, v4, 23, v7
	v_or3_b32 v4, v6, v4, v3
.LBB10_1904:
	s_or_b64 exec, exec, s[6:7]
	s_nop 0
	v_mfma_f32_16x16x4f32 a[0:3], v2, v4, a[0:3]
	s_movk_i32 s4, 0xff
	v_and_b32_sdwa v3, v9, s4 dst_sel:DWORD dst_unused:UNUSED_PAD src0_sel:WORD_1 src1_sel:DWORD
	s_movk_i32 s4, 0x7f
	v_cmp_lt_i16_e32 vcc, s4, v3
	s_mov_b64 s[4:5], 0
                                        ; implicit-def: $sgpr10
	s_and_saveexec_b64 s[6:7], vcc
	s_xor_b64 s[6:7], exec, s[6:7]
	s_cbranch_execnz .LBB10_3953
; %bb.1905:
	s_or_saveexec_b64 s[6:7], s[6:7]
	v_mov_b32_e32 v2, s10
	s_xor_b64 exec, exec, s[6:7]
	s_cbranch_execnz .LBB10_3956
.LBB10_1906:
	s_or_b64 exec, exec, s[6:7]
	s_and_saveexec_b64 s[6:7], s[4:5]
	s_cbranch_execz .LBB10_1908
.LBB10_1907:
	v_bfe_u32 v2, v9, 16, 3
	v_ffbh_u32_e32 v6, v2
	v_min_u32_e32 v6, 32, v6
	v_lshrrev_b32_e32 v3, 19, v9
	v_subrev_u32_e32 v7, 28, v6
	v_and_b32_e32 v3, 15, v3
	v_lshlrev_b32_sdwa v7, v7, v9 dst_sel:DWORD dst_unused:UNUSED_PAD src0_sel:DWORD src1_sel:WORD_1
	v_bfe_u32 v4, v9, 19, 4
	v_sub_u32_e32 v6, 29, v6
	v_and_b32_e32 v7, 7, v7
	v_cmp_eq_u16_e32 vcc, 0, v3
	v_cndmask_b32_e32 v2, v2, v7, vcc
	v_cndmask_b32_e32 v3, v4, v6, vcc
	v_lshlrev_b32_e32 v4, 8, v9
	v_mov_b32_e32 v6, 0x3b800000
	v_lshlrev_b32_e32 v2, 20, v2
	v_and_b32_e32 v4, 0x80000000, v4
	v_lshl_add_u32 v3, v3, 23, v6
	v_or3_b32 v2, v4, v3, v2
.LBB10_1908:
	s_or_b64 exec, exec, s[6:7]
	s_movk_i32 s4, 0xff
	v_and_b32_sdwa v3, v5, s4 dst_sel:DWORD dst_unused:UNUSED_PAD src0_sel:WORD_1 src1_sel:DWORD
	s_movk_i32 s4, 0x7f
	v_cmp_lt_i16_e32 vcc, s4, v3
	s_mov_b64 s[4:5], 0
                                        ; implicit-def: $sgpr10
	s_and_saveexec_b64 s[6:7], vcc
	s_xor_b64 s[6:7], exec, s[6:7]
	s_cbranch_execnz .LBB10_3957
; %bb.1909:
	s_or_saveexec_b64 s[6:7], s[6:7]
	v_mov_b32_e32 v4, s10
	s_xor_b64 exec, exec, s[6:7]
	s_cbranch_execnz .LBB10_3960
.LBB10_1910:
	s_or_b64 exec, exec, s[6:7]
	s_and_saveexec_b64 s[6:7], s[4:5]
	s_cbranch_execz .LBB10_1912
.LBB10_1911:
	v_bfe_u32 v3, v5, 16, 3
	v_ffbh_u32_e32 v7, v3
	v_min_u32_e32 v7, 32, v7
	v_lshrrev_b32_e32 v4, 19, v5
	v_subrev_u32_e32 v8, 28, v7
	v_and_b32_e32 v4, 15, v4
	v_lshlrev_b32_sdwa v8, v8, v5 dst_sel:DWORD dst_unused:UNUSED_PAD src0_sel:DWORD src1_sel:WORD_1
	v_bfe_u32 v6, v5, 19, 4
	v_sub_u32_e32 v7, 29, v7
	v_and_b32_e32 v8, 7, v8
	v_cmp_eq_u16_e32 vcc, 0, v4
	v_cndmask_b32_e32 v3, v3, v8, vcc
	v_cndmask_b32_e32 v4, v6, v7, vcc
	v_lshlrev_b32_e32 v6, 8, v5
	v_mov_b32_e32 v7, 0x3b800000
	v_lshlrev_b32_e32 v3, 20, v3
	v_and_b32_e32 v6, 0x80000000, v6
	v_lshl_add_u32 v4, v4, 23, v7
	v_or3_b32 v4, v6, v4, v3
.LBB10_1912:
	s_or_b64 exec, exec, s[6:7]
	s_nop 0
	v_mfma_f32_16x16x4f32 a[0:3], v2, v4, a[0:3]
	s_movk_i32 s4, 0x7f
	v_cmp_gt_i16_sdwa s[6:7], v9, s4 src0_sel:BYTE_3 src1_sel:DWORD
	s_mov_b64 s[4:5], 0
                                        ; implicit-def: $sgpr10
	s_and_saveexec_b64 s[8:9], s[6:7]
	s_xor_b64 s[6:7], exec, s[8:9]
	s_cbranch_execnz .LBB10_3961
; %bb.1913:
	s_or_saveexec_b64 s[6:7], s[6:7]
	v_mov_b32_e32 v2, s10
	s_xor_b64 exec, exec, s[6:7]
	s_cbranch_execnz .LBB10_3964
.LBB10_1914:
	s_or_b64 exec, exec, s[6:7]
	s_and_saveexec_b64 s[6:7], s[4:5]
	s_cbranch_execz .LBB10_1916
.LBB10_1915:
	v_bfe_u32 v2, v9, 24, 3
	v_ffbh_u32_e32 v7, v2
	v_min_u32_e32 v7, 32, v7
	v_lshrrev_b32_e32 v4, 27, v9
	v_subrev_u32_e32 v8, 28, v7
	v_and_b32_e32 v4, 15, v4
	v_lshlrev_b32_sdwa v8, v8, v9 dst_sel:DWORD dst_unused:UNUSED_PAD src0_sel:DWORD src1_sel:BYTE_3
	v_bfe_u32 v6, v9, 27, 4
	v_sub_u32_e32 v7, 29, v7
	v_and_b32_e32 v8, 7, v8
	v_cmp_eq_u16_e32 vcc, 0, v4
	v_cndmask_b32_e32 v2, v2, v8, vcc
	v_cndmask_b32_e32 v4, v6, v7, vcc
	v_mov_b32_e32 v6, 0x3b800000
	v_and_b32_e32 v3, 0x80000000, v9
	v_lshlrev_b32_e32 v2, 20, v2
	v_lshl_add_u32 v4, v4, 23, v6
	v_or3_b32 v2, v3, v4, v2
.LBB10_1916:
	s_or_b64 exec, exec, s[6:7]
	s_movk_i32 s4, 0x7f
	v_cmp_gt_i16_sdwa s[6:7], v5, s4 src0_sel:BYTE_3 src1_sel:DWORD
	s_mov_b64 s[4:5], 0
                                        ; implicit-def: $sgpr10
	s_and_saveexec_b64 s[8:9], s[6:7]
	s_xor_b64 s[6:7], exec, s[8:9]
	s_cbranch_execnz .LBB10_3965
; %bb.1917:
	s_or_saveexec_b64 s[6:7], s[6:7]
	v_mov_b32_e32 v3, s10
	s_xor_b64 exec, exec, s[6:7]
	s_cbranch_execnz .LBB10_3968
.LBB10_1918:
	s_or_b64 exec, exec, s[6:7]
	s_and_saveexec_b64 s[6:7], s[4:5]
	s_cbranch_execz .LBB10_1920
.LBB10_1919:
	v_bfe_u32 v3, v5, 24, 3
	v_ffbh_u32_e32 v8, v3
	v_min_u32_e32 v8, 32, v8
	v_lshrrev_b32_e32 v6, 27, v5
	v_subrev_u32_e32 v9, 28, v8
	v_and_b32_e32 v4, 0x80000000, v5
	v_and_b32_e32 v6, 15, v6
	v_bfe_u32 v7, v5, 27, 4
	v_lshlrev_b32_sdwa v5, v9, v5 dst_sel:DWORD dst_unused:UNUSED_PAD src0_sel:DWORD src1_sel:BYTE_3
	v_sub_u32_e32 v8, 29, v8
	v_and_b32_e32 v5, 7, v5
	v_cmp_eq_u16_e32 vcc, 0, v6
	v_cndmask_b32_e32 v3, v3, v5, vcc
	v_cndmask_b32_e32 v5, v7, v8, vcc
	v_mov_b32_e32 v6, 0x3b800000
	v_lshlrev_b32_e32 v3, 20, v3
	v_lshl_add_u32 v5, v5, 23, v6
	v_or3_b32 v3, v4, v5, v3
.LBB10_1920:
	s_or_b64 exec, exec, s[6:7]
	s_nop 0
	v_mfma_f32_16x16x4f32 a[0:3], v2, v3, a[0:3]
	s_movk_i32 s4, 0x7f
                                        ; implicit-def: $sgpr10
	s_nop 7
	s_nop 1
	flat_store_dwordx4 v[10:11], a[0:3] offset:224
	flat_load_dwordx4 v[10:13], v[0:1] offset:8
	s_nop 0
	flat_load_dwordx2 v[8:9], v[0:1] offset:32
	s_waitcnt vmcnt(0) lgkmcnt(0)
	flat_load_dwordx4 v[4:7], v[10:11] offset:96
	flat_load_dwordx4 v[0:3], v[12:13] offset:96
	s_waitcnt vmcnt(0) lgkmcnt(0)
	v_cmp_gt_i16_sdwa s[6:7], v4, s4 src0_sel:BYTE_0 src1_sel:DWORD
	s_mov_b64 s[4:5], 0
	s_and_saveexec_b64 s[8:9], s[6:7]
	s_xor_b64 s[6:7], exec, s[8:9]
	s_cbranch_execnz .LBB10_3969
; %bb.1921:
	s_or_saveexec_b64 s[6:7], s[6:7]
	v_mov_b32_e32 v10, s10
	s_xor_b64 exec, exec, s[6:7]
	s_cbranch_execnz .LBB10_3972
.LBB10_1922:
	s_or_b64 exec, exec, s[6:7]
	s_and_saveexec_b64 s[6:7], s[4:5]
	s_cbranch_execz .LBB10_1924
.LBB10_1923:
	v_and_b32_e32 v10, 7, v4
	v_ffbh_u32_e32 v12, v10
	v_min_u32_e32 v12, 32, v12
	v_lshrrev_b16_e32 v11, 3, v4
	v_subrev_u32_e32 v13, 28, v12
	v_and_b32_e32 v11, 15, v11
	v_lshlrev_b32_e32 v13, v13, v4
	v_sub_u32_e32 v12, 29, v12
	v_and_b32_e32 v13, 7, v13
	v_cmp_eq_u16_e32 vcc, 0, v11
	v_cndmask_b32_e32 v10, v10, v13, vcc
	v_cndmask_b32_e32 v11, v11, v12, vcc
	v_lshlrev_b32_e32 v12, 24, v4
	v_mov_b32_e32 v13, 0x3b800000
	v_lshlrev_b32_e32 v10, 20, v10
	v_and_b32_e32 v12, 0x80000000, v12
	v_lshl_add_u32 v11, v11, 23, v13
	v_or3_b32 v10, v12, v11, v10
.LBB10_1924:
	s_or_b64 exec, exec, s[6:7]
	s_movk_i32 s4, 0x7f
	v_cmp_gt_i16_sdwa s[6:7], v0, s4 src0_sel:BYTE_0 src1_sel:DWORD
	s_mov_b64 s[4:5], 0
                                        ; implicit-def: $sgpr10
	s_and_saveexec_b64 s[8:9], s[6:7]
	s_xor_b64 s[6:7], exec, s[8:9]
	s_cbranch_execnz .LBB10_3973
; %bb.1925:
	s_or_saveexec_b64 s[6:7], s[6:7]
	v_mov_b32_e32 v11, s10
	s_xor_b64 exec, exec, s[6:7]
	s_cbranch_execnz .LBB10_3976
.LBB10_1926:
	s_or_b64 exec, exec, s[6:7]
	s_and_saveexec_b64 s[6:7], s[4:5]
	s_cbranch_execz .LBB10_1928
.LBB10_1927:
	v_and_b32_e32 v11, 7, v0
	v_ffbh_u32_e32 v13, v11
	v_min_u32_e32 v13, 32, v13
	v_lshrrev_b16_e32 v12, 3, v0
	v_subrev_u32_e32 v14, 28, v13
	v_and_b32_e32 v12, 15, v12
	v_lshlrev_b32_e32 v14, v14, v0
	v_sub_u32_e32 v13, 29, v13
	v_and_b32_e32 v14, 7, v14
	v_cmp_eq_u16_e32 vcc, 0, v12
	v_cndmask_b32_e32 v11, v11, v14, vcc
	v_cndmask_b32_e32 v12, v12, v13, vcc
	v_lshlrev_b32_e32 v13, 24, v0
	v_mov_b32_e32 v14, 0x3b800000
	v_lshlrev_b32_e32 v11, 20, v11
	v_and_b32_e32 v13, 0x80000000, v13
	v_lshl_add_u32 v12, v12, 23, v14
	v_or3_b32 v11, v13, v12, v11
.LBB10_1928:
	s_or_b64 exec, exec, s[6:7]
	flat_load_dwordx4 a[0:3], v[8:9] offset:240
	s_movk_i32 s4, 0x7f
                                        ; implicit-def: $sgpr10
	s_waitcnt vmcnt(0) lgkmcnt(0)
	v_mfma_f32_16x16x4f32 a[0:3], v10, v11, a[0:3]
	v_lshrrev_b32_e32 v11, 8, v4
	v_cmp_gt_i16_sdwa s[6:7], v11, s4 src0_sel:BYTE_0 src1_sel:DWORD
	s_mov_b64 s[4:5], 0
	s_and_saveexec_b64 s[8:9], s[6:7]
	s_xor_b64 s[6:7], exec, s[8:9]
	s_cbranch_execnz .LBB10_3977
; %bb.1929:
	s_or_saveexec_b64 s[6:7], s[6:7]
	v_mov_b32_e32 v10, s10
	s_xor_b64 exec, exec, s[6:7]
	s_cbranch_execnz .LBB10_3980
.LBB10_1930:
	s_or_b64 exec, exec, s[6:7]
	s_and_saveexec_b64 s[6:7], s[4:5]
	s_cbranch_execz .LBB10_1932
.LBB10_1931:
	v_bfe_u32 v10, v4, 8, 3
	v_ffbh_u32_e32 v13, v10
	v_min_u32_e32 v13, 32, v13
	v_lshrrev_b16_e32 v12, 3, v11
	v_subrev_u32_e32 v14, 28, v13
	v_and_b32_e32 v12, 15, v12
	v_lshlrev_b32_e32 v11, v14, v11
	v_sub_u32_e32 v13, 29, v13
	v_and_b32_e32 v11, 7, v11
	v_cmp_eq_u16_e32 vcc, 0, v12
	v_cndmask_b32_e32 v10, v10, v11, vcc
	v_cndmask_b32_e32 v11, v12, v13, vcc
	v_lshlrev_b32_e32 v12, 16, v4
	v_mov_b32_e32 v13, 0x3b800000
	v_lshlrev_b32_e32 v10, 20, v10
	v_and_b32_e32 v12, 0x80000000, v12
	v_lshl_add_u32 v11, v11, 23, v13
	v_or3_b32 v10, v12, v11, v10
.LBB10_1932:
	s_or_b64 exec, exec, s[6:7]
	v_lshrrev_b32_e32 v11, 8, v0
	s_movk_i32 s4, 0x7f
	v_cmp_gt_i16_sdwa s[6:7], v11, s4 src0_sel:BYTE_0 src1_sel:DWORD
	s_mov_b64 s[4:5], 0
                                        ; implicit-def: $sgpr10
	s_and_saveexec_b64 s[8:9], s[6:7]
	s_xor_b64 s[6:7], exec, s[8:9]
	s_cbranch_execnz .LBB10_3981
; %bb.1933:
	s_or_saveexec_b64 s[6:7], s[6:7]
	v_mov_b32_e32 v12, s10
	s_xor_b64 exec, exec, s[6:7]
	s_cbranch_execnz .LBB10_3984
.LBB10_1934:
	s_or_b64 exec, exec, s[6:7]
	s_and_saveexec_b64 s[6:7], s[4:5]
	s_cbranch_execz .LBB10_1936
.LBB10_1935:
	v_bfe_u32 v12, v0, 8, 3
	v_ffbh_u32_e32 v14, v12
	v_min_u32_e32 v14, 32, v14
	v_lshrrev_b16_e32 v13, 3, v11
	v_subrev_u32_e32 v15, 28, v14
	v_and_b32_e32 v13, 15, v13
	v_lshlrev_b32_e32 v11, v15, v11
	v_sub_u32_e32 v14, 29, v14
	v_and_b32_e32 v11, 7, v11
	v_cmp_eq_u16_e32 vcc, 0, v13
	v_cndmask_b32_e32 v11, v12, v11, vcc
	v_cndmask_b32_e32 v12, v13, v14, vcc
	v_lshlrev_b32_e32 v13, 16, v0
	v_mov_b32_e32 v14, 0x3b800000
	v_lshlrev_b32_e32 v11, 20, v11
	v_and_b32_e32 v13, 0x80000000, v13
	v_lshl_add_u32 v12, v12, 23, v14
	v_or3_b32 v12, v13, v12, v11
.LBB10_1936:
	s_or_b64 exec, exec, s[6:7]
	s_nop 0
	v_mfma_f32_16x16x4f32 a[0:3], v10, v12, a[0:3]
	s_movk_i32 s4, 0xff
	v_and_b32_sdwa v11, v4, s4 dst_sel:DWORD dst_unused:UNUSED_PAD src0_sel:WORD_1 src1_sel:DWORD
	s_movk_i32 s4, 0x7f
	v_cmp_lt_i16_e32 vcc, s4, v11
	s_mov_b64 s[4:5], 0
                                        ; implicit-def: $sgpr10
	s_and_saveexec_b64 s[6:7], vcc
	s_xor_b64 s[6:7], exec, s[6:7]
	s_cbranch_execnz .LBB10_3985
; %bb.1937:
	s_or_saveexec_b64 s[6:7], s[6:7]
	v_mov_b32_e32 v10, s10
	s_xor_b64 exec, exec, s[6:7]
	s_cbranch_execnz .LBB10_3988
.LBB10_1938:
	s_or_b64 exec, exec, s[6:7]
	s_and_saveexec_b64 s[6:7], s[4:5]
	s_cbranch_execz .LBB10_1940
.LBB10_1939:
	v_bfe_u32 v10, v4, 16, 3
	v_ffbh_u32_e32 v13, v10
	v_min_u32_e32 v13, 32, v13
	v_lshrrev_b32_e32 v11, 19, v4
	v_subrev_u32_e32 v14, 28, v13
	v_and_b32_e32 v11, 15, v11
	v_lshlrev_b32_sdwa v14, v14, v4 dst_sel:DWORD dst_unused:UNUSED_PAD src0_sel:DWORD src1_sel:WORD_1
	v_bfe_u32 v12, v4, 19, 4
	v_sub_u32_e32 v13, 29, v13
	v_and_b32_e32 v14, 7, v14
	v_cmp_eq_u16_e32 vcc, 0, v11
	v_cndmask_b32_e32 v10, v10, v14, vcc
	v_cndmask_b32_e32 v11, v12, v13, vcc
	v_lshlrev_b32_e32 v12, 8, v4
	v_mov_b32_e32 v13, 0x3b800000
	v_lshlrev_b32_e32 v10, 20, v10
	v_and_b32_e32 v12, 0x80000000, v12
	v_lshl_add_u32 v11, v11, 23, v13
	v_or3_b32 v10, v12, v11, v10
.LBB10_1940:
	s_or_b64 exec, exec, s[6:7]
	s_movk_i32 s4, 0xff
	v_and_b32_sdwa v11, v0, s4 dst_sel:DWORD dst_unused:UNUSED_PAD src0_sel:WORD_1 src1_sel:DWORD
	s_movk_i32 s4, 0x7f
	v_cmp_lt_i16_e32 vcc, s4, v11
	s_mov_b64 s[4:5], 0
                                        ; implicit-def: $sgpr10
	s_and_saveexec_b64 s[6:7], vcc
	s_xor_b64 s[6:7], exec, s[6:7]
	s_cbranch_execnz .LBB10_3989
; %bb.1941:
	s_or_saveexec_b64 s[6:7], s[6:7]
	v_mov_b32_e32 v12, s10
	s_xor_b64 exec, exec, s[6:7]
	s_cbranch_execnz .LBB10_3992
.LBB10_1942:
	s_or_b64 exec, exec, s[6:7]
	s_and_saveexec_b64 s[6:7], s[4:5]
	s_cbranch_execz .LBB10_1944
.LBB10_1943:
	v_bfe_u32 v11, v0, 16, 3
	v_ffbh_u32_e32 v14, v11
	v_min_u32_e32 v14, 32, v14
	v_lshrrev_b32_e32 v12, 19, v0
	v_subrev_u32_e32 v15, 28, v14
	v_and_b32_e32 v12, 15, v12
	v_lshlrev_b32_sdwa v15, v15, v0 dst_sel:DWORD dst_unused:UNUSED_PAD src0_sel:DWORD src1_sel:WORD_1
	v_bfe_u32 v13, v0, 19, 4
	v_sub_u32_e32 v14, 29, v14
	v_and_b32_e32 v15, 7, v15
	v_cmp_eq_u16_e32 vcc, 0, v12
	v_cndmask_b32_e32 v11, v11, v15, vcc
	v_cndmask_b32_e32 v12, v13, v14, vcc
	v_lshlrev_b32_e32 v13, 8, v0
	v_mov_b32_e32 v14, 0x3b800000
	v_lshlrev_b32_e32 v11, 20, v11
	v_and_b32_e32 v13, 0x80000000, v13
	v_lshl_add_u32 v12, v12, 23, v14
	v_or3_b32 v12, v13, v12, v11
.LBB10_1944:
	s_or_b64 exec, exec, s[6:7]
	s_nop 0
	v_mfma_f32_16x16x4f32 a[0:3], v10, v12, a[0:3]
	s_movk_i32 s4, 0x7f
	v_cmp_gt_i16_sdwa s[6:7], v4, s4 src0_sel:BYTE_3 src1_sel:DWORD
	s_mov_b64 s[4:5], 0
                                        ; implicit-def: $sgpr10
	s_and_saveexec_b64 s[8:9], s[6:7]
	s_xor_b64 s[6:7], exec, s[8:9]
	s_cbranch_execnz .LBB10_3993
; %bb.1945:
	s_or_saveexec_b64 s[6:7], s[6:7]
	v_mov_b32_e32 v10, s10
	s_xor_b64 exec, exec, s[6:7]
	s_cbranch_execnz .LBB10_3996
.LBB10_1946:
	s_or_b64 exec, exec, s[6:7]
	s_and_saveexec_b64 s[6:7], s[4:5]
	s_cbranch_execz .LBB10_1948
.LBB10_1947:
	v_bfe_u32 v10, v4, 24, 3
	v_ffbh_u32_e32 v14, v10
	v_min_u32_e32 v14, 32, v14
	v_lshrrev_b32_e32 v12, 27, v4
	v_subrev_u32_e32 v15, 28, v14
	v_and_b32_e32 v11, 0x80000000, v4
	v_and_b32_e32 v12, 15, v12
	v_bfe_u32 v13, v4, 27, 4
	v_lshlrev_b32_sdwa v4, v15, v4 dst_sel:DWORD dst_unused:UNUSED_PAD src0_sel:DWORD src1_sel:BYTE_3
	v_sub_u32_e32 v14, 29, v14
	v_and_b32_e32 v4, 7, v4
	v_cmp_eq_u16_e32 vcc, 0, v12
	v_cndmask_b32_e32 v4, v10, v4, vcc
	v_cndmask_b32_e32 v10, v13, v14, vcc
	v_mov_b32_e32 v12, 0x3b800000
	v_lshlrev_b32_e32 v4, 20, v4
	v_lshl_add_u32 v10, v10, 23, v12
	v_or3_b32 v10, v11, v10, v4
.LBB10_1948:
	s_or_b64 exec, exec, s[6:7]
	s_movk_i32 s4, 0x7f
	v_cmp_gt_i16_sdwa s[6:7], v0, s4 src0_sel:BYTE_3 src1_sel:DWORD
	s_mov_b64 s[4:5], 0
                                        ; implicit-def: $sgpr10
	s_and_saveexec_b64 s[8:9], s[6:7]
	s_xor_b64 s[6:7], exec, s[8:9]
	s_cbranch_execnz .LBB10_3997
; %bb.1949:
	s_or_saveexec_b64 s[6:7], s[6:7]
	v_mov_b32_e32 v4, s10
	s_xor_b64 exec, exec, s[6:7]
	s_cbranch_execnz .LBB10_4000
.LBB10_1950:
	s_or_b64 exec, exec, s[6:7]
	s_and_saveexec_b64 s[6:7], s[4:5]
	s_cbranch_execz .LBB10_1952
.LBB10_1951:
	v_bfe_u32 v4, v0, 24, 3
	v_ffbh_u32_e32 v14, v4
	v_min_u32_e32 v14, 32, v14
	v_lshrrev_b32_e32 v12, 27, v0
	v_subrev_u32_e32 v15, 28, v14
	v_and_b32_e32 v11, 0x80000000, v0
	v_and_b32_e32 v12, 15, v12
	v_bfe_u32 v13, v0, 27, 4
	v_lshlrev_b32_sdwa v0, v15, v0 dst_sel:DWORD dst_unused:UNUSED_PAD src0_sel:DWORD src1_sel:BYTE_3
	v_sub_u32_e32 v14, 29, v14
	v_and_b32_e32 v0, 7, v0
	v_cmp_eq_u16_e32 vcc, 0, v12
	v_cndmask_b32_e32 v0, v4, v0, vcc
	v_cndmask_b32_e32 v4, v13, v14, vcc
	v_mov_b32_e32 v12, 0x3b800000
	v_lshlrev_b32_e32 v0, 20, v0
	v_lshl_add_u32 v4, v4, 23, v12
	v_or3_b32 v4, v11, v4, v0
.LBB10_1952:
	s_or_b64 exec, exec, s[6:7]
	s_nop 0
	v_mfma_f32_16x16x4f32 a[0:3], v10, v4, a[0:3]
	s_movk_i32 s4, 0x7f
	v_cmp_gt_i16_sdwa s[6:7], v5, s4 src0_sel:BYTE_0 src1_sel:DWORD
	s_mov_b64 s[4:5], 0
                                        ; implicit-def: $sgpr10
	s_and_saveexec_b64 s[8:9], s[6:7]
	s_xor_b64 s[6:7], exec, s[8:9]
	s_cbranch_execnz .LBB10_4001
; %bb.1953:
	s_or_saveexec_b64 s[6:7], s[6:7]
	v_mov_b32_e32 v0, s10
	s_xor_b64 exec, exec, s[6:7]
	s_cbranch_execnz .LBB10_4004
.LBB10_1954:
	s_or_b64 exec, exec, s[6:7]
	s_and_saveexec_b64 s[6:7], s[4:5]
	s_cbranch_execz .LBB10_1956
.LBB10_1955:
	v_and_b32_e32 v0, 7, v5
	v_ffbh_u32_e32 v10, v0
	v_min_u32_e32 v10, 32, v10
	v_lshrrev_b16_e32 v4, 3, v5
	v_subrev_u32_e32 v11, 28, v10
	v_and_b32_e32 v4, 15, v4
	v_lshlrev_b32_e32 v11, v11, v5
	v_sub_u32_e32 v10, 29, v10
	v_and_b32_e32 v11, 7, v11
	v_cmp_eq_u16_e32 vcc, 0, v4
	v_cndmask_b32_e32 v0, v0, v11, vcc
	v_cndmask_b32_e32 v4, v4, v10, vcc
	v_lshlrev_b32_e32 v10, 24, v5
	v_mov_b32_e32 v11, 0x3b800000
	v_lshlrev_b32_e32 v0, 20, v0
	v_and_b32_e32 v10, 0x80000000, v10
	v_lshl_add_u32 v4, v4, 23, v11
	v_or3_b32 v0, v10, v4, v0
.LBB10_1956:
	s_or_b64 exec, exec, s[6:7]
	s_movk_i32 s4, 0x7f
	v_cmp_gt_i16_sdwa s[6:7], v1, s4 src0_sel:BYTE_0 src1_sel:DWORD
	s_mov_b64 s[4:5], 0
                                        ; implicit-def: $sgpr10
	s_and_saveexec_b64 s[8:9], s[6:7]
	s_xor_b64 s[6:7], exec, s[8:9]
	s_cbranch_execnz .LBB10_4005
; %bb.1957:
	s_or_saveexec_b64 s[6:7], s[6:7]
	v_mov_b32_e32 v4, s10
	s_xor_b64 exec, exec, s[6:7]
	s_cbranch_execnz .LBB10_4008
.LBB10_1958:
	s_or_b64 exec, exec, s[6:7]
	s_and_saveexec_b64 s[6:7], s[4:5]
	s_cbranch_execz .LBB10_1960
.LBB10_1959:
	v_and_b32_e32 v4, 7, v1
	v_ffbh_u32_e32 v11, v4
	v_min_u32_e32 v11, 32, v11
	v_lshrrev_b16_e32 v10, 3, v1
	v_subrev_u32_e32 v12, 28, v11
	v_and_b32_e32 v10, 15, v10
	v_lshlrev_b32_e32 v12, v12, v1
	v_sub_u32_e32 v11, 29, v11
	v_and_b32_e32 v12, 7, v12
	v_cmp_eq_u16_e32 vcc, 0, v10
	v_cndmask_b32_e32 v4, v4, v12, vcc
	v_cndmask_b32_e32 v10, v10, v11, vcc
	v_lshlrev_b32_e32 v11, 24, v1
	v_mov_b32_e32 v12, 0x3b800000
	v_lshlrev_b32_e32 v4, 20, v4
	v_and_b32_e32 v11, 0x80000000, v11
	v_lshl_add_u32 v10, v10, 23, v12
	v_or3_b32 v4, v11, v10, v4
.LBB10_1960:
	s_or_b64 exec, exec, s[6:7]
	s_nop 0
	v_mfma_f32_16x16x4f32 a[0:3], v0, v4, a[0:3]
	v_lshrrev_b32_e32 v4, 8, v5
	s_movk_i32 s4, 0x7f
	v_cmp_gt_i16_sdwa s[6:7], v4, s4 src0_sel:BYTE_0 src1_sel:DWORD
	s_mov_b64 s[4:5], 0
                                        ; implicit-def: $sgpr10
	s_and_saveexec_b64 s[8:9], s[6:7]
	s_xor_b64 s[6:7], exec, s[8:9]
	s_cbranch_execnz .LBB10_4009
; %bb.1961:
	s_or_saveexec_b64 s[6:7], s[6:7]
	v_mov_b32_e32 v0, s10
	s_xor_b64 exec, exec, s[6:7]
	s_cbranch_execnz .LBB10_4012
.LBB10_1962:
	s_or_b64 exec, exec, s[6:7]
	s_and_saveexec_b64 s[6:7], s[4:5]
	s_cbranch_execz .LBB10_1964
.LBB10_1963:
	v_bfe_u32 v0, v5, 8, 3
	v_ffbh_u32_e32 v11, v0
	v_min_u32_e32 v11, 32, v11
	v_lshrrev_b16_e32 v10, 3, v4
	v_subrev_u32_e32 v12, 28, v11
	v_and_b32_e32 v10, 15, v10
	v_lshlrev_b32_e32 v4, v12, v4
	v_sub_u32_e32 v11, 29, v11
	v_and_b32_e32 v4, 7, v4
	v_cmp_eq_u16_e32 vcc, 0, v10
	v_cndmask_b32_e32 v0, v0, v4, vcc
	v_cndmask_b32_e32 v4, v10, v11, vcc
	v_lshlrev_b32_e32 v10, 16, v5
	v_mov_b32_e32 v11, 0x3b800000
	v_lshlrev_b32_e32 v0, 20, v0
	v_and_b32_e32 v10, 0x80000000, v10
	v_lshl_add_u32 v4, v4, 23, v11
	v_or3_b32 v0, v10, v4, v0
.LBB10_1964:
	s_or_b64 exec, exec, s[6:7]
	v_lshrrev_b32_e32 v4, 8, v1
	s_movk_i32 s4, 0x7f
	v_cmp_gt_i16_sdwa s[6:7], v4, s4 src0_sel:BYTE_0 src1_sel:DWORD
	s_mov_b64 s[4:5], 0
                                        ; implicit-def: $sgpr10
	s_and_saveexec_b64 s[8:9], s[6:7]
	s_xor_b64 s[6:7], exec, s[8:9]
	s_cbranch_execnz .LBB10_4013
; %bb.1965:
	s_or_saveexec_b64 s[6:7], s[6:7]
	v_mov_b32_e32 v10, s10
	s_xor_b64 exec, exec, s[6:7]
	s_cbranch_execnz .LBB10_4016
.LBB10_1966:
	s_or_b64 exec, exec, s[6:7]
	s_and_saveexec_b64 s[6:7], s[4:5]
	s_cbranch_execz .LBB10_1968
.LBB10_1967:
	v_bfe_u32 v10, v1, 8, 3
	v_ffbh_u32_e32 v12, v10
	v_min_u32_e32 v12, 32, v12
	v_lshrrev_b16_e32 v11, 3, v4
	v_subrev_u32_e32 v13, 28, v12
	v_and_b32_e32 v11, 15, v11
	v_lshlrev_b32_e32 v4, v13, v4
	v_sub_u32_e32 v12, 29, v12
	v_and_b32_e32 v4, 7, v4
	v_cmp_eq_u16_e32 vcc, 0, v11
	v_cndmask_b32_e32 v4, v10, v4, vcc
	v_cndmask_b32_e32 v10, v11, v12, vcc
	v_lshlrev_b32_e32 v11, 16, v1
	v_mov_b32_e32 v12, 0x3b800000
	v_lshlrev_b32_e32 v4, 20, v4
	v_and_b32_e32 v11, 0x80000000, v11
	v_lshl_add_u32 v10, v10, 23, v12
	v_or3_b32 v10, v11, v10, v4
.LBB10_1968:
	s_or_b64 exec, exec, s[6:7]
	s_nop 0
	v_mfma_f32_16x16x4f32 a[0:3], v0, v10, a[0:3]
	s_movk_i32 s4, 0xff
	v_and_b32_sdwa v4, v5, s4 dst_sel:DWORD dst_unused:UNUSED_PAD src0_sel:WORD_1 src1_sel:DWORD
	s_movk_i32 s4, 0x7f
	v_cmp_lt_i16_e32 vcc, s4, v4
	s_mov_b64 s[4:5], 0
                                        ; implicit-def: $sgpr10
	s_and_saveexec_b64 s[6:7], vcc
	s_xor_b64 s[6:7], exec, s[6:7]
	s_cbranch_execnz .LBB10_4017
; %bb.1969:
	s_or_saveexec_b64 s[6:7], s[6:7]
	v_mov_b32_e32 v0, s10
	s_xor_b64 exec, exec, s[6:7]
	s_cbranch_execnz .LBB10_4020
.LBB10_1970:
	s_or_b64 exec, exec, s[6:7]
	s_and_saveexec_b64 s[6:7], s[4:5]
	s_cbranch_execz .LBB10_1972
.LBB10_1971:
	v_bfe_u32 v0, v5, 16, 3
	v_ffbh_u32_e32 v11, v0
	v_min_u32_e32 v11, 32, v11
	v_lshrrev_b32_e32 v4, 19, v5
	v_subrev_u32_e32 v12, 28, v11
	v_and_b32_e32 v4, 15, v4
	v_lshlrev_b32_sdwa v12, v12, v5 dst_sel:DWORD dst_unused:UNUSED_PAD src0_sel:DWORD src1_sel:WORD_1
	v_bfe_u32 v10, v5, 19, 4
	v_sub_u32_e32 v11, 29, v11
	v_and_b32_e32 v12, 7, v12
	v_cmp_eq_u16_e32 vcc, 0, v4
	v_cndmask_b32_e32 v0, v0, v12, vcc
	v_cndmask_b32_e32 v4, v10, v11, vcc
	v_lshlrev_b32_e32 v10, 8, v5
	v_mov_b32_e32 v11, 0x3b800000
	v_lshlrev_b32_e32 v0, 20, v0
	v_and_b32_e32 v10, 0x80000000, v10
	v_lshl_add_u32 v4, v4, 23, v11
	v_or3_b32 v0, v10, v4, v0
.LBB10_1972:
	s_or_b64 exec, exec, s[6:7]
	s_movk_i32 s4, 0xff
	v_and_b32_sdwa v4, v1, s4 dst_sel:DWORD dst_unused:UNUSED_PAD src0_sel:WORD_1 src1_sel:DWORD
	s_movk_i32 s4, 0x7f
	v_cmp_lt_i16_e32 vcc, s4, v4
	s_mov_b64 s[4:5], 0
                                        ; implicit-def: $sgpr10
	s_and_saveexec_b64 s[6:7], vcc
	s_xor_b64 s[6:7], exec, s[6:7]
	s_cbranch_execnz .LBB10_4021
; %bb.1973:
	s_or_saveexec_b64 s[6:7], s[6:7]
	v_mov_b32_e32 v10, s10
	s_xor_b64 exec, exec, s[6:7]
	s_cbranch_execnz .LBB10_4024
.LBB10_1974:
	s_or_b64 exec, exec, s[6:7]
	s_and_saveexec_b64 s[6:7], s[4:5]
	s_cbranch_execz .LBB10_1976
.LBB10_1975:
	v_bfe_u32 v4, v1, 16, 3
	v_ffbh_u32_e32 v12, v4
	v_min_u32_e32 v12, 32, v12
	v_lshrrev_b32_e32 v10, 19, v1
	v_subrev_u32_e32 v13, 28, v12
	v_and_b32_e32 v10, 15, v10
	v_lshlrev_b32_sdwa v13, v13, v1 dst_sel:DWORD dst_unused:UNUSED_PAD src0_sel:DWORD src1_sel:WORD_1
	v_bfe_u32 v11, v1, 19, 4
	v_sub_u32_e32 v12, 29, v12
	v_and_b32_e32 v13, 7, v13
	v_cmp_eq_u16_e32 vcc, 0, v10
	v_cndmask_b32_e32 v4, v4, v13, vcc
	v_cndmask_b32_e32 v10, v11, v12, vcc
	v_lshlrev_b32_e32 v11, 8, v1
	v_mov_b32_e32 v12, 0x3b800000
	v_lshlrev_b32_e32 v4, 20, v4
	v_and_b32_e32 v11, 0x80000000, v11
	v_lshl_add_u32 v10, v10, 23, v12
	v_or3_b32 v10, v11, v10, v4
.LBB10_1976:
	s_or_b64 exec, exec, s[6:7]
	s_nop 0
	v_mfma_f32_16x16x4f32 a[0:3], v0, v10, a[0:3]
	s_movk_i32 s4, 0x7f
	v_cmp_gt_i16_sdwa s[6:7], v5, s4 src0_sel:BYTE_3 src1_sel:DWORD
	s_mov_b64 s[4:5], 0
                                        ; implicit-def: $sgpr10
	s_and_saveexec_b64 s[8:9], s[6:7]
	s_xor_b64 s[6:7], exec, s[8:9]
	s_cbranch_execnz .LBB10_4025
; %bb.1977:
	s_or_saveexec_b64 s[6:7], s[6:7]
	v_mov_b32_e32 v0, s10
	s_xor_b64 exec, exec, s[6:7]
	s_cbranch_execnz .LBB10_4028
.LBB10_1978:
	s_or_b64 exec, exec, s[6:7]
	s_and_saveexec_b64 s[6:7], s[4:5]
	s_cbranch_execz .LBB10_1980
.LBB10_1979:
	v_bfe_u32 v0, v5, 24, 3
	v_ffbh_u32_e32 v12, v0
	v_min_u32_e32 v12, 32, v12
	v_lshrrev_b32_e32 v10, 27, v5
	v_subrev_u32_e32 v13, 28, v12
	v_and_b32_e32 v4, 0x80000000, v5
	v_and_b32_e32 v10, 15, v10
	v_bfe_u32 v11, v5, 27, 4
	v_lshlrev_b32_sdwa v5, v13, v5 dst_sel:DWORD dst_unused:UNUSED_PAD src0_sel:DWORD src1_sel:BYTE_3
	v_sub_u32_e32 v12, 29, v12
	v_and_b32_e32 v5, 7, v5
	v_cmp_eq_u16_e32 vcc, 0, v10
	v_cndmask_b32_e32 v0, v0, v5, vcc
	v_cndmask_b32_e32 v5, v11, v12, vcc
	v_mov_b32_e32 v10, 0x3b800000
	v_lshlrev_b32_e32 v0, 20, v0
	v_lshl_add_u32 v5, v5, 23, v10
	v_or3_b32 v0, v4, v5, v0
.LBB10_1980:
	s_or_b64 exec, exec, s[6:7]
	s_movk_i32 s4, 0x7f
	v_cmp_gt_i16_sdwa s[6:7], v1, s4 src0_sel:BYTE_3 src1_sel:DWORD
	s_mov_b64 s[4:5], 0
                                        ; implicit-def: $sgpr10
	s_and_saveexec_b64 s[8:9], s[6:7]
	s_xor_b64 s[6:7], exec, s[8:9]
	s_cbranch_execnz .LBB10_4029
; %bb.1981:
	s_or_saveexec_b64 s[6:7], s[6:7]
	v_mov_b32_e32 v4, s10
	s_xor_b64 exec, exec, s[6:7]
	s_cbranch_execnz .LBB10_4032
.LBB10_1982:
	s_or_b64 exec, exec, s[6:7]
	s_and_saveexec_b64 s[6:7], s[4:5]
	s_cbranch_execz .LBB10_1984
.LBB10_1983:
	v_bfe_u32 v4, v1, 24, 3
	v_ffbh_u32_e32 v12, v4
	v_min_u32_e32 v12, 32, v12
	v_lshrrev_b32_e32 v10, 27, v1
	v_subrev_u32_e32 v13, 28, v12
	v_and_b32_e32 v5, 0x80000000, v1
	v_and_b32_e32 v10, 15, v10
	v_bfe_u32 v11, v1, 27, 4
	v_lshlrev_b32_sdwa v1, v13, v1 dst_sel:DWORD dst_unused:UNUSED_PAD src0_sel:DWORD src1_sel:BYTE_3
	v_sub_u32_e32 v12, 29, v12
	v_and_b32_e32 v1, 7, v1
	v_cmp_eq_u16_e32 vcc, 0, v10
	v_cndmask_b32_e32 v1, v4, v1, vcc
	v_cndmask_b32_e32 v4, v11, v12, vcc
	v_mov_b32_e32 v10, 0x3b800000
	v_lshlrev_b32_e32 v1, 20, v1
	v_lshl_add_u32 v4, v4, 23, v10
	v_or3_b32 v4, v5, v4, v1
.LBB10_1984:
	s_or_b64 exec, exec, s[6:7]
	s_nop 0
	v_mfma_f32_16x16x4f32 a[0:3], v0, v4, a[0:3]
	s_movk_i32 s4, 0x7f
	v_cmp_gt_i16_sdwa s[6:7], v6, s4 src0_sel:BYTE_0 src1_sel:DWORD
	s_mov_b64 s[4:5], 0
                                        ; implicit-def: $sgpr10
	s_and_saveexec_b64 s[8:9], s[6:7]
	s_xor_b64 s[6:7], exec, s[8:9]
	s_cbranch_execnz .LBB10_4033
; %bb.1985:
	s_or_saveexec_b64 s[6:7], s[6:7]
	v_mov_b32_e32 v0, s10
	s_xor_b64 exec, exec, s[6:7]
	s_cbranch_execnz .LBB10_4036
.LBB10_1986:
	s_or_b64 exec, exec, s[6:7]
	s_and_saveexec_b64 s[6:7], s[4:5]
	s_cbranch_execz .LBB10_1988
.LBB10_1987:
	v_and_b32_e32 v0, 7, v6
	v_ffbh_u32_e32 v4, v0
	v_min_u32_e32 v4, 32, v4
	v_lshrrev_b16_e32 v1, 3, v6
	v_subrev_u32_e32 v5, 28, v4
	v_and_b32_e32 v1, 15, v1
	v_lshlrev_b32_e32 v5, v5, v6
	v_sub_u32_e32 v4, 29, v4
	v_and_b32_e32 v5, 7, v5
	v_cmp_eq_u16_e32 vcc, 0, v1
	v_cndmask_b32_e32 v0, v0, v5, vcc
	v_cndmask_b32_e32 v1, v1, v4, vcc
	v_lshlrev_b32_e32 v4, 24, v6
	v_mov_b32_e32 v5, 0x3b800000
	v_lshlrev_b32_e32 v0, 20, v0
	v_and_b32_e32 v4, 0x80000000, v4
	v_lshl_add_u32 v1, v1, 23, v5
	v_or3_b32 v0, v4, v1, v0
.LBB10_1988:
	s_or_b64 exec, exec, s[6:7]
	s_movk_i32 s4, 0x7f
	v_cmp_gt_i16_sdwa s[6:7], v2, s4 src0_sel:BYTE_0 src1_sel:DWORD
	s_mov_b64 s[4:5], 0
                                        ; implicit-def: $sgpr10
	s_and_saveexec_b64 s[8:9], s[6:7]
	s_xor_b64 s[6:7], exec, s[8:9]
	s_cbranch_execnz .LBB10_4037
; %bb.1989:
	s_or_saveexec_b64 s[6:7], s[6:7]
	v_mov_b32_e32 v1, s10
	s_xor_b64 exec, exec, s[6:7]
	s_cbranch_execnz .LBB10_4040
.LBB10_1990:
	s_or_b64 exec, exec, s[6:7]
	s_and_saveexec_b64 s[6:7], s[4:5]
	s_cbranch_execz .LBB10_1992
.LBB10_1991:
	v_and_b32_e32 v1, 7, v2
	v_ffbh_u32_e32 v5, v1
	v_min_u32_e32 v5, 32, v5
	v_lshrrev_b16_e32 v4, 3, v2
	v_subrev_u32_e32 v10, 28, v5
	v_and_b32_e32 v4, 15, v4
	v_lshlrev_b32_e32 v10, v10, v2
	v_sub_u32_e32 v5, 29, v5
	v_and_b32_e32 v10, 7, v10
	v_cmp_eq_u16_e32 vcc, 0, v4
	v_cndmask_b32_e32 v1, v1, v10, vcc
	v_cndmask_b32_e32 v4, v4, v5, vcc
	v_lshlrev_b32_e32 v5, 24, v2
	v_mov_b32_e32 v10, 0x3b800000
	v_lshlrev_b32_e32 v1, 20, v1
	v_and_b32_e32 v5, 0x80000000, v5
	v_lshl_add_u32 v4, v4, 23, v10
	v_or3_b32 v1, v5, v4, v1
.LBB10_1992:
	s_or_b64 exec, exec, s[6:7]
	s_nop 0
	v_mfma_f32_16x16x4f32 a[0:3], v0, v1, a[0:3]
	v_lshrrev_b32_e32 v1, 8, v6
	s_movk_i32 s4, 0x7f
	v_cmp_gt_i16_sdwa s[6:7], v1, s4 src0_sel:BYTE_0 src1_sel:DWORD
	s_mov_b64 s[4:5], 0
                                        ; implicit-def: $sgpr10
	s_and_saveexec_b64 s[8:9], s[6:7]
	s_xor_b64 s[6:7], exec, s[8:9]
	s_cbranch_execnz .LBB10_4041
; %bb.1993:
	s_or_saveexec_b64 s[6:7], s[6:7]
	v_mov_b32_e32 v0, s10
	s_xor_b64 exec, exec, s[6:7]
	s_cbranch_execnz .LBB10_4044
.LBB10_1994:
	s_or_b64 exec, exec, s[6:7]
	s_and_saveexec_b64 s[6:7], s[4:5]
	s_cbranch_execz .LBB10_1996
.LBB10_1995:
	v_bfe_u32 v0, v6, 8, 3
	v_ffbh_u32_e32 v5, v0
	v_min_u32_e32 v5, 32, v5
	v_lshrrev_b16_e32 v4, 3, v1
	v_subrev_u32_e32 v10, 28, v5
	v_and_b32_e32 v4, 15, v4
	v_lshlrev_b32_e32 v1, v10, v1
	v_sub_u32_e32 v5, 29, v5
	v_and_b32_e32 v1, 7, v1
	v_cmp_eq_u16_e32 vcc, 0, v4
	v_cndmask_b32_e32 v0, v0, v1, vcc
	v_cndmask_b32_e32 v1, v4, v5, vcc
	v_lshlrev_b32_e32 v4, 16, v6
	v_mov_b32_e32 v5, 0x3b800000
	v_lshlrev_b32_e32 v0, 20, v0
	v_and_b32_e32 v4, 0x80000000, v4
	v_lshl_add_u32 v1, v1, 23, v5
	v_or3_b32 v0, v4, v1, v0
.LBB10_1996:
	s_or_b64 exec, exec, s[6:7]
	v_lshrrev_b32_e32 v1, 8, v2
	s_movk_i32 s4, 0x7f
	v_cmp_gt_i16_sdwa s[6:7], v1, s4 src0_sel:BYTE_0 src1_sel:DWORD
	s_mov_b64 s[4:5], 0
                                        ; implicit-def: $sgpr10
	s_and_saveexec_b64 s[8:9], s[6:7]
	s_xor_b64 s[6:7], exec, s[8:9]
	s_cbranch_execnz .LBB10_4045
; %bb.1997:
	s_or_saveexec_b64 s[6:7], s[6:7]
	v_mov_b32_e32 v4, s10
	s_xor_b64 exec, exec, s[6:7]
	s_cbranch_execnz .LBB10_4048
.LBB10_1998:
	s_or_b64 exec, exec, s[6:7]
	s_and_saveexec_b64 s[6:7], s[4:5]
	s_cbranch_execz .LBB10_2000
.LBB10_1999:
	v_bfe_u32 v4, v2, 8, 3
	v_ffbh_u32_e32 v10, v4
	v_min_u32_e32 v10, 32, v10
	v_lshrrev_b16_e32 v5, 3, v1
	v_subrev_u32_e32 v11, 28, v10
	v_and_b32_e32 v5, 15, v5
	v_lshlrev_b32_e32 v1, v11, v1
	v_sub_u32_e32 v10, 29, v10
	v_and_b32_e32 v1, 7, v1
	v_cmp_eq_u16_e32 vcc, 0, v5
	v_cndmask_b32_e32 v1, v4, v1, vcc
	v_cndmask_b32_e32 v4, v5, v10, vcc
	v_lshlrev_b32_e32 v5, 16, v2
	v_mov_b32_e32 v10, 0x3b800000
	v_lshlrev_b32_e32 v1, 20, v1
	v_and_b32_e32 v5, 0x80000000, v5
	v_lshl_add_u32 v4, v4, 23, v10
	v_or3_b32 v4, v5, v4, v1
.LBB10_2000:
	s_or_b64 exec, exec, s[6:7]
	s_nop 0
	v_mfma_f32_16x16x4f32 a[0:3], v0, v4, a[0:3]
	s_movk_i32 s4, 0xff
	v_and_b32_sdwa v1, v6, s4 dst_sel:DWORD dst_unused:UNUSED_PAD src0_sel:WORD_1 src1_sel:DWORD
	s_movk_i32 s4, 0x7f
	v_cmp_lt_i16_e32 vcc, s4, v1
	s_mov_b64 s[4:5], 0
                                        ; implicit-def: $sgpr10
	s_and_saveexec_b64 s[6:7], vcc
	s_xor_b64 s[6:7], exec, s[6:7]
	s_cbranch_execnz .LBB10_4049
; %bb.2001:
	s_or_saveexec_b64 s[6:7], s[6:7]
	v_mov_b32_e32 v0, s10
	s_xor_b64 exec, exec, s[6:7]
	s_cbranch_execnz .LBB10_4052
.LBB10_2002:
	s_or_b64 exec, exec, s[6:7]
	s_and_saveexec_b64 s[6:7], s[4:5]
	s_cbranch_execz .LBB10_2004
.LBB10_2003:
	v_bfe_u32 v0, v6, 16, 3
	v_ffbh_u32_e32 v5, v0
	v_min_u32_e32 v5, 32, v5
	v_lshrrev_b32_e32 v1, 19, v6
	v_subrev_u32_e32 v10, 28, v5
	v_and_b32_e32 v1, 15, v1
	v_lshlrev_b32_sdwa v10, v10, v6 dst_sel:DWORD dst_unused:UNUSED_PAD src0_sel:DWORD src1_sel:WORD_1
	v_bfe_u32 v4, v6, 19, 4
	v_sub_u32_e32 v5, 29, v5
	v_and_b32_e32 v10, 7, v10
	v_cmp_eq_u16_e32 vcc, 0, v1
	v_cndmask_b32_e32 v0, v0, v10, vcc
	v_cndmask_b32_e32 v1, v4, v5, vcc
	v_lshlrev_b32_e32 v4, 8, v6
	v_mov_b32_e32 v5, 0x3b800000
	v_lshlrev_b32_e32 v0, 20, v0
	v_and_b32_e32 v4, 0x80000000, v4
	v_lshl_add_u32 v1, v1, 23, v5
	v_or3_b32 v0, v4, v1, v0
.LBB10_2004:
	s_or_b64 exec, exec, s[6:7]
	s_movk_i32 s4, 0xff
	v_and_b32_sdwa v1, v2, s4 dst_sel:DWORD dst_unused:UNUSED_PAD src0_sel:WORD_1 src1_sel:DWORD
	s_movk_i32 s4, 0x7f
	v_cmp_lt_i16_e32 vcc, s4, v1
	s_mov_b64 s[4:5], 0
                                        ; implicit-def: $sgpr10
	s_and_saveexec_b64 s[6:7], vcc
	s_xor_b64 s[6:7], exec, s[6:7]
	s_cbranch_execnz .LBB10_4053
; %bb.2005:
	s_or_saveexec_b64 s[6:7], s[6:7]
	v_mov_b32_e32 v4, s10
	s_xor_b64 exec, exec, s[6:7]
	s_cbranch_execnz .LBB10_4056
.LBB10_2006:
	s_or_b64 exec, exec, s[6:7]
	s_and_saveexec_b64 s[6:7], s[4:5]
	s_cbranch_execz .LBB10_2008
.LBB10_2007:
	v_bfe_u32 v1, v2, 16, 3
	v_ffbh_u32_e32 v10, v1
	v_min_u32_e32 v10, 32, v10
	v_lshrrev_b32_e32 v4, 19, v2
	v_subrev_u32_e32 v11, 28, v10
	v_and_b32_e32 v4, 15, v4
	v_lshlrev_b32_sdwa v11, v11, v2 dst_sel:DWORD dst_unused:UNUSED_PAD src0_sel:DWORD src1_sel:WORD_1
	v_bfe_u32 v5, v2, 19, 4
	v_sub_u32_e32 v10, 29, v10
	v_and_b32_e32 v11, 7, v11
	v_cmp_eq_u16_e32 vcc, 0, v4
	v_cndmask_b32_e32 v1, v1, v11, vcc
	v_cndmask_b32_e32 v4, v5, v10, vcc
	v_lshlrev_b32_e32 v5, 8, v2
	v_mov_b32_e32 v10, 0x3b800000
	v_lshlrev_b32_e32 v1, 20, v1
	v_and_b32_e32 v5, 0x80000000, v5
	v_lshl_add_u32 v4, v4, 23, v10
	v_or3_b32 v4, v5, v4, v1
.LBB10_2008:
	s_or_b64 exec, exec, s[6:7]
	s_nop 0
	v_mfma_f32_16x16x4f32 a[0:3], v0, v4, a[0:3]
	s_movk_i32 s4, 0x7f
	v_cmp_gt_i16_sdwa s[6:7], v6, s4 src0_sel:BYTE_3 src1_sel:DWORD
	s_mov_b64 s[4:5], 0
                                        ; implicit-def: $sgpr10
	s_and_saveexec_b64 s[8:9], s[6:7]
	s_xor_b64 s[6:7], exec, s[8:9]
	s_cbranch_execnz .LBB10_4057
; %bb.2009:
	s_or_saveexec_b64 s[6:7], s[6:7]
	v_mov_b32_e32 v0, s10
	s_xor_b64 exec, exec, s[6:7]
	s_cbranch_execnz .LBB10_4060
.LBB10_2010:
	s_or_b64 exec, exec, s[6:7]
	s_and_saveexec_b64 s[6:7], s[4:5]
	s_cbranch_execz .LBB10_2012
.LBB10_2011:
	v_bfe_u32 v0, v6, 24, 3
	v_ffbh_u32_e32 v10, v0
	v_min_u32_e32 v10, 32, v10
	v_lshrrev_b32_e32 v4, 27, v6
	v_subrev_u32_e32 v11, 28, v10
	v_and_b32_e32 v1, 0x80000000, v6
	v_and_b32_e32 v4, 15, v4
	v_bfe_u32 v5, v6, 27, 4
	v_lshlrev_b32_sdwa v6, v11, v6 dst_sel:DWORD dst_unused:UNUSED_PAD src0_sel:DWORD src1_sel:BYTE_3
	v_sub_u32_e32 v10, 29, v10
	v_and_b32_e32 v6, 7, v6
	v_cmp_eq_u16_e32 vcc, 0, v4
	v_cndmask_b32_e32 v0, v0, v6, vcc
	v_cndmask_b32_e32 v4, v5, v10, vcc
	v_mov_b32_e32 v5, 0x3b800000
	v_lshlrev_b32_e32 v0, 20, v0
	v_lshl_add_u32 v4, v4, 23, v5
	v_or3_b32 v0, v1, v4, v0
.LBB10_2012:
	s_or_b64 exec, exec, s[6:7]
	s_movk_i32 s4, 0x7f
	v_cmp_gt_i16_sdwa s[6:7], v2, s4 src0_sel:BYTE_3 src1_sel:DWORD
	s_mov_b64 s[4:5], 0
                                        ; implicit-def: $sgpr10
	s_and_saveexec_b64 s[8:9], s[6:7]
	s_xor_b64 s[6:7], exec, s[8:9]
	s_cbranch_execnz .LBB10_4061
; %bb.2013:
	s_or_saveexec_b64 s[6:7], s[6:7]
	v_mov_b32_e32 v1, s10
	s_xor_b64 exec, exec, s[6:7]
	s_cbranch_execnz .LBB10_4064
.LBB10_2014:
	s_or_b64 exec, exec, s[6:7]
	s_and_saveexec_b64 s[6:7], s[4:5]
	s_cbranch_execz .LBB10_2016
.LBB10_2015:
	v_bfe_u32 v1, v2, 24, 3
	v_ffbh_u32_e32 v10, v1
	v_min_u32_e32 v10, 32, v10
	v_lshrrev_b32_e32 v5, 27, v2
	v_subrev_u32_e32 v11, 28, v10
	v_and_b32_e32 v4, 0x80000000, v2
	v_and_b32_e32 v5, 15, v5
	v_bfe_u32 v6, v2, 27, 4
	v_lshlrev_b32_sdwa v2, v11, v2 dst_sel:DWORD dst_unused:UNUSED_PAD src0_sel:DWORD src1_sel:BYTE_3
	v_sub_u32_e32 v10, 29, v10
	v_and_b32_e32 v2, 7, v2
	v_cmp_eq_u16_e32 vcc, 0, v5
	v_cndmask_b32_e32 v1, v1, v2, vcc
	v_cndmask_b32_e32 v2, v6, v10, vcc
	v_mov_b32_e32 v5, 0x3b800000
	v_lshlrev_b32_e32 v1, 20, v1
	v_lshl_add_u32 v2, v2, 23, v5
	v_or3_b32 v1, v4, v2, v1
.LBB10_2016:
	s_or_b64 exec, exec, s[6:7]
	s_nop 0
	v_mfma_f32_16x16x4f32 a[0:3], v0, v1, a[0:3]
	s_movk_i32 s4, 0x7f
	v_cmp_gt_i16_sdwa s[6:7], v7, s4 src0_sel:BYTE_0 src1_sel:DWORD
	s_mov_b64 s[4:5], 0
                                        ; implicit-def: $sgpr10
	s_and_saveexec_b64 s[8:9], s[6:7]
	s_xor_b64 s[6:7], exec, s[8:9]
	s_cbranch_execnz .LBB10_4065
; %bb.2017:
	s_or_saveexec_b64 s[6:7], s[6:7]
	v_mov_b32_e32 v0, s10
	s_xor_b64 exec, exec, s[6:7]
	s_cbranch_execnz .LBB10_4068
.LBB10_2018:
	s_or_b64 exec, exec, s[6:7]
	s_and_saveexec_b64 s[6:7], s[4:5]
	s_cbranch_execz .LBB10_2020
.LBB10_2019:
	v_mov_b32_e32 v0, 8
	v_and_b32_e32 v1, 7, v7
	v_lshrrev_b32_sdwa v0, v0, v7 dst_sel:BYTE_1 dst_unused:UNUSED_PAD src0_sel:DWORD src1_sel:DWORD
	v_ffbh_u32_e32 v2, v1
	v_or_b32_sdwa v0, v7, v0 dst_sel:DWORD dst_unused:UNUSED_PAD src0_sel:BYTE_0 src1_sel:DWORD
	v_min_u32_e32 v2, 32, v2
	v_lshrrev_b16_e32 v0, 3, v0
	v_subrev_u32_e32 v4, 28, v2
	v_and_b32_e32 v0, 15, v0
	v_lshlrev_b32_e32 v4, v4, v7
	v_sub_u32_e32 v2, 29, v2
	v_and_b32_e32 v4, 7, v4
	v_cmp_eq_u16_e32 vcc, 0, v0
	v_cndmask_b32_e32 v1, v1, v4, vcc
	v_cndmask_b32_e32 v0, v0, v2, vcc
	v_lshlrev_b32_e32 v2, 24, v7
	v_mov_b32_e32 v4, 0x3b800000
	v_lshlrev_b32_e32 v1, 20, v1
	v_and_b32_e32 v2, 0x80000000, v2
	v_lshl_add_u32 v0, v0, 23, v4
	v_or3_b32 v0, v2, v0, v1
.LBB10_2020:
	s_or_b64 exec, exec, s[6:7]
	s_movk_i32 s4, 0x7f
	v_cmp_gt_i16_sdwa s[6:7], v3, s4 src0_sel:BYTE_0 src1_sel:DWORD
	s_mov_b64 s[4:5], 0
                                        ; implicit-def: $sgpr10
	s_and_saveexec_b64 s[8:9], s[6:7]
	s_xor_b64 s[6:7], exec, s[8:9]
	s_cbranch_execnz .LBB10_4069
; %bb.2021:
	s_or_saveexec_b64 s[6:7], s[6:7]
	v_mov_b32_e32 v1, s10
	s_xor_b64 exec, exec, s[6:7]
	s_cbranch_execnz .LBB10_4072
.LBB10_2022:
	s_or_b64 exec, exec, s[6:7]
	s_and_saveexec_b64 s[6:7], s[4:5]
	s_cbranch_execz .LBB10_2024
.LBB10_2023:
	v_mov_b32_e32 v1, 8
	v_and_b32_e32 v2, 7, v3
	v_lshrrev_b32_sdwa v1, v1, v3 dst_sel:BYTE_1 dst_unused:UNUSED_PAD src0_sel:DWORD src1_sel:DWORD
	v_ffbh_u32_e32 v4, v2
	v_or_b32_sdwa v1, v3, v1 dst_sel:DWORD dst_unused:UNUSED_PAD src0_sel:BYTE_0 src1_sel:DWORD
	v_min_u32_e32 v4, 32, v4
	v_lshrrev_b16_e32 v1, 3, v1
	v_subrev_u32_e32 v5, 28, v4
	v_and_b32_e32 v1, 15, v1
	v_lshlrev_b32_e32 v5, v5, v3
	v_sub_u32_e32 v4, 29, v4
	v_and_b32_e32 v5, 7, v5
	v_cmp_eq_u16_e32 vcc, 0, v1
	v_cndmask_b32_e32 v2, v2, v5, vcc
	v_cndmask_b32_e32 v1, v1, v4, vcc
	v_lshlrev_b32_e32 v4, 24, v3
	v_mov_b32_e32 v5, 0x3b800000
	v_lshlrev_b32_e32 v2, 20, v2
	v_and_b32_e32 v4, 0x80000000, v4
	v_lshl_add_u32 v1, v1, 23, v5
	v_or3_b32 v1, v4, v1, v2
.LBB10_2024:
	s_or_b64 exec, exec, s[6:7]
	s_nop 0
	v_mfma_f32_16x16x4f32 a[0:3], v0, v1, a[0:3]
	v_lshrrev_b32_e32 v1, 8, v7
	s_movk_i32 s4, 0x7f
	v_cmp_gt_i16_sdwa s[6:7], v1, s4 src0_sel:BYTE_0 src1_sel:DWORD
	s_mov_b64 s[4:5], 0
                                        ; implicit-def: $sgpr10
	s_and_saveexec_b64 s[8:9], s[6:7]
	s_xor_b64 s[6:7], exec, s[8:9]
	s_cbranch_execnz .LBB10_4073
; %bb.2025:
	s_or_saveexec_b64 s[6:7], s[6:7]
	v_mov_b32_e32 v0, s10
	s_xor_b64 exec, exec, s[6:7]
	s_cbranch_execnz .LBB10_4076
.LBB10_2026:
	s_or_b64 exec, exec, s[6:7]
	s_and_saveexec_b64 s[6:7], s[4:5]
	s_cbranch_execz .LBB10_2028
.LBB10_2027:
	v_bfe_u32 v0, v7, 8, 3
	v_ffbh_u32_e32 v4, v0
	v_min_u32_e32 v4, 32, v4
	v_lshrrev_b16_e32 v2, 3, v1
	v_subrev_u32_e32 v5, 28, v4
	v_and_b32_e32 v2, 15, v2
	v_lshlrev_b32_e32 v1, v5, v1
	v_sub_u32_e32 v4, 29, v4
	v_and_b32_e32 v1, 7, v1
	v_cmp_eq_u16_e32 vcc, 0, v2
	v_cndmask_b32_e32 v0, v0, v1, vcc
	v_cndmask_b32_e32 v1, v2, v4, vcc
	v_lshlrev_b32_e32 v2, 16, v7
	v_mov_b32_e32 v4, 0x3b800000
	v_lshlrev_b32_e32 v0, 20, v0
	v_and_b32_e32 v2, 0x80000000, v2
	v_lshl_add_u32 v1, v1, 23, v4
	v_or3_b32 v0, v2, v1, v0
.LBB10_2028:
	s_or_b64 exec, exec, s[6:7]
	v_lshrrev_b32_e32 v1, 8, v3
	s_movk_i32 s4, 0x7f
	v_cmp_gt_i16_sdwa s[6:7], v1, s4 src0_sel:BYTE_0 src1_sel:DWORD
	s_mov_b64 s[4:5], 0
                                        ; implicit-def: $sgpr10
	s_and_saveexec_b64 s[8:9], s[6:7]
	s_xor_b64 s[6:7], exec, s[8:9]
	s_cbranch_execnz .LBB10_4077
; %bb.2029:
	s_or_saveexec_b64 s[6:7], s[6:7]
	v_mov_b32_e32 v2, s10
	s_xor_b64 exec, exec, s[6:7]
	s_cbranch_execnz .LBB10_4080
.LBB10_2030:
	s_or_b64 exec, exec, s[6:7]
	s_and_saveexec_b64 s[6:7], s[4:5]
	s_cbranch_execz .LBB10_2032
.LBB10_2031:
	v_bfe_u32 v2, v3, 8, 3
	v_ffbh_u32_e32 v5, v2
	v_min_u32_e32 v5, 32, v5
	v_lshrrev_b16_e32 v4, 3, v1
	v_subrev_u32_e32 v6, 28, v5
	v_and_b32_e32 v4, 15, v4
	v_lshlrev_b32_e32 v1, v6, v1
	v_sub_u32_e32 v5, 29, v5
	v_and_b32_e32 v1, 7, v1
	v_cmp_eq_u16_e32 vcc, 0, v4
	v_cndmask_b32_e32 v1, v2, v1, vcc
	v_cndmask_b32_e32 v2, v4, v5, vcc
	v_lshlrev_b32_e32 v4, 16, v3
	v_mov_b32_e32 v5, 0x3b800000
	v_lshlrev_b32_e32 v1, 20, v1
	v_and_b32_e32 v4, 0x80000000, v4
	v_lshl_add_u32 v2, v2, 23, v5
	v_or3_b32 v2, v4, v2, v1
.LBB10_2032:
	s_or_b64 exec, exec, s[6:7]
	s_nop 0
	v_mfma_f32_16x16x4f32 a[0:3], v0, v2, a[0:3]
	s_movk_i32 s4, 0xff
	v_and_b32_sdwa v1, v7, s4 dst_sel:DWORD dst_unused:UNUSED_PAD src0_sel:WORD_1 src1_sel:DWORD
	s_movk_i32 s4, 0x7f
	v_cmp_lt_i16_e32 vcc, s4, v1
	s_mov_b64 s[4:5], 0
                                        ; implicit-def: $sgpr10
	s_and_saveexec_b64 s[6:7], vcc
	s_xor_b64 s[6:7], exec, s[6:7]
	s_cbranch_execnz .LBB10_4081
; %bb.2033:
	s_or_saveexec_b64 s[6:7], s[6:7]
	v_mov_b32_e32 v0, s10
	s_xor_b64 exec, exec, s[6:7]
	s_cbranch_execnz .LBB10_4084
.LBB10_2034:
	s_or_b64 exec, exec, s[6:7]
	s_and_saveexec_b64 s[6:7], s[4:5]
	s_cbranch_execz .LBB10_2036
.LBB10_2035:
	v_bfe_u32 v0, v7, 16, 3
	v_ffbh_u32_e32 v4, v0
	v_min_u32_e32 v4, 32, v4
	v_lshrrev_b32_e32 v1, 19, v7
	v_subrev_u32_e32 v5, 28, v4
	v_and_b32_e32 v1, 15, v1
	v_lshlrev_b32_sdwa v5, v5, v7 dst_sel:DWORD dst_unused:UNUSED_PAD src0_sel:DWORD src1_sel:WORD_1
	v_bfe_u32 v2, v7, 19, 4
	v_sub_u32_e32 v4, 29, v4
	v_and_b32_e32 v5, 7, v5
	v_cmp_eq_u16_e32 vcc, 0, v1
	v_cndmask_b32_e32 v0, v0, v5, vcc
	v_cndmask_b32_e32 v1, v2, v4, vcc
	v_lshlrev_b32_e32 v2, 8, v7
	v_mov_b32_e32 v4, 0x3b800000
	v_lshlrev_b32_e32 v0, 20, v0
	v_and_b32_e32 v2, 0x80000000, v2
	v_lshl_add_u32 v1, v1, 23, v4
	v_or3_b32 v0, v2, v1, v0
.LBB10_2036:
	s_or_b64 exec, exec, s[6:7]
	s_movk_i32 s4, 0xff
	v_and_b32_sdwa v1, v3, s4 dst_sel:DWORD dst_unused:UNUSED_PAD src0_sel:WORD_1 src1_sel:DWORD
	s_movk_i32 s4, 0x7f
	v_cmp_lt_i16_e32 vcc, s4, v1
	s_mov_b64 s[4:5], 0
                                        ; implicit-def: $sgpr10
	s_and_saveexec_b64 s[6:7], vcc
	s_xor_b64 s[6:7], exec, s[6:7]
	s_cbranch_execnz .LBB10_4085
; %bb.2037:
	s_or_saveexec_b64 s[6:7], s[6:7]
	v_mov_b32_e32 v2, s10
	s_xor_b64 exec, exec, s[6:7]
	s_cbranch_execnz .LBB10_4088
.LBB10_2038:
	s_or_b64 exec, exec, s[6:7]
	s_and_saveexec_b64 s[6:7], s[4:5]
	s_cbranch_execz .LBB10_2040
.LBB10_2039:
	v_bfe_u32 v1, v3, 16, 3
	v_ffbh_u32_e32 v5, v1
	v_min_u32_e32 v5, 32, v5
	v_lshrrev_b32_e32 v2, 19, v3
	v_subrev_u32_e32 v6, 28, v5
	v_and_b32_e32 v2, 15, v2
	v_lshlrev_b32_sdwa v6, v6, v3 dst_sel:DWORD dst_unused:UNUSED_PAD src0_sel:DWORD src1_sel:WORD_1
	v_bfe_u32 v4, v3, 19, 4
	v_sub_u32_e32 v5, 29, v5
	v_and_b32_e32 v6, 7, v6
	v_cmp_eq_u16_e32 vcc, 0, v2
	v_cndmask_b32_e32 v1, v1, v6, vcc
	v_cndmask_b32_e32 v2, v4, v5, vcc
	v_lshlrev_b32_e32 v4, 8, v3
	v_mov_b32_e32 v5, 0x3b800000
	v_lshlrev_b32_e32 v1, 20, v1
	v_and_b32_e32 v4, 0x80000000, v4
	v_lshl_add_u32 v2, v2, 23, v5
	v_or3_b32 v2, v4, v2, v1
.LBB10_2040:
	s_or_b64 exec, exec, s[6:7]
	s_nop 0
	v_mfma_f32_16x16x4f32 a[0:3], v0, v2, a[0:3]
	s_movk_i32 s4, 0x7f
	v_cmp_gt_i16_sdwa s[6:7], v7, s4 src0_sel:BYTE_3 src1_sel:DWORD
	s_mov_b64 s[4:5], 0
                                        ; implicit-def: $sgpr10
	s_and_saveexec_b64 s[8:9], s[6:7]
	s_xor_b64 s[6:7], exec, s[8:9]
	s_cbranch_execnz .LBB10_4089
; %bb.2041:
	s_or_saveexec_b64 s[6:7], s[6:7]
	v_mov_b32_e32 v0, s10
	s_xor_b64 exec, exec, s[6:7]
	s_cbranch_execnz .LBB10_4092
.LBB10_2042:
	s_or_b64 exec, exec, s[6:7]
	s_and_saveexec_b64 s[6:7], s[4:5]
	s_cbranch_execz .LBB10_2044
.LBB10_2043:
	v_bfe_u32 v0, v7, 24, 3
	v_ffbh_u32_e32 v5, v0
	v_min_u32_e32 v5, 32, v5
	v_lshrrev_b32_e32 v2, 27, v7
	v_subrev_u32_e32 v6, 28, v5
	v_and_b32_e32 v2, 15, v2
	v_lshlrev_b32_sdwa v6, v6, v7 dst_sel:DWORD dst_unused:UNUSED_PAD src0_sel:DWORD src1_sel:BYTE_3
	v_bfe_u32 v4, v7, 27, 4
	v_sub_u32_e32 v5, 29, v5
	v_and_b32_e32 v6, 7, v6
	v_cmp_eq_u16_e32 vcc, 0, v2
	v_cndmask_b32_e32 v0, v0, v6, vcc
	v_cndmask_b32_e32 v2, v4, v5, vcc
	v_mov_b32_e32 v4, 0x3b800000
	v_and_b32_e32 v1, 0x80000000, v7
	v_lshlrev_b32_e32 v0, 20, v0
	v_lshl_add_u32 v2, v2, 23, v4
	v_or3_b32 v0, v1, v2, v0
.LBB10_2044:
	s_or_b64 exec, exec, s[6:7]
	s_movk_i32 s4, 0x7f
	v_cmp_gt_i16_sdwa s[6:7], v3, s4 src0_sel:BYTE_3 src1_sel:DWORD
	s_mov_b64 s[4:5], 0
                                        ; implicit-def: $sgpr10
	s_and_saveexec_b64 s[8:9], s[6:7]
	s_xor_b64 s[6:7], exec, s[8:9]
	s_cbranch_execnz .LBB10_4093
; %bb.2045:
	s_or_saveexec_b64 s[6:7], s[6:7]
	v_mov_b32_e32 v1, s10
	s_xor_b64 exec, exec, s[6:7]
	s_cbranch_execnz .LBB10_4096
.LBB10_2046:
	s_or_b64 exec, exec, s[6:7]
	s_and_saveexec_b64 s[6:7], s[4:5]
	s_cbranch_execz .LBB10_2048
.LBB10_2047:
	v_bfe_u32 v1, v3, 24, 3
	v_ffbh_u32_e32 v6, v1
	v_min_u32_e32 v6, 32, v6
	v_lshrrev_b32_e32 v4, 27, v3
	v_subrev_u32_e32 v7, 28, v6
	v_and_b32_e32 v2, 0x80000000, v3
	v_and_b32_e32 v4, 15, v4
	v_bfe_u32 v5, v3, 27, 4
	v_lshlrev_b32_sdwa v3, v7, v3 dst_sel:DWORD dst_unused:UNUSED_PAD src0_sel:DWORD src1_sel:BYTE_3
	v_sub_u32_e32 v6, 29, v6
	v_and_b32_e32 v3, 7, v3
	v_cmp_eq_u16_e32 vcc, 0, v4
	v_cndmask_b32_e32 v1, v1, v3, vcc
	v_cndmask_b32_e32 v3, v5, v6, vcc
	v_mov_b32_e32 v4, 0x3b800000
	v_lshlrev_b32_e32 v1, 20, v1
	v_lshl_add_u32 v3, v3, 23, v4
	v_or3_b32 v1, v2, v3, v1
.LBB10_2048:
	s_or_b64 exec, exec, s[6:7]
	s_nop 0
	v_mfma_f32_16x16x4f32 a[0:3], v0, v1, a[0:3]
	s_nop 7
	s_nop 2
	flat_store_dwordx4 v[8:9], a[0:3] offset:240
	s_waitcnt vmcnt(0) lgkmcnt(0)
	s_setpc_b64 s[30:31]
.LBB10_2049:
	s_movk_i32 s4, 0x80
	v_cmp_eq_u16_sdwa s[12:13], v6, s4 src0_sel:BYTE_0 src1_sel:DWORD
	s_mov_b64 s[4:5], -1
                                        ; implicit-def: $sgpr10
	s_and_saveexec_b64 s[8:9], s[12:13]
; %bb.2050:
	s_mov_b32 s10, 0x7f800001
	s_xor_b64 s[4:5], exec, -1
; %bb.2051:
	s_or_b64 exec, exec, s[8:9]
	s_and_b64 s[4:5], s[4:5], exec
	s_or_saveexec_b64 s[6:7], s[6:7]
	v_mov_b32_e32 v12, s10
	s_xor_b64 exec, exec, s[6:7]
	s_cbranch_execz .LBB10_2
.LBB10_2052:
	v_mov_b32_e32 v12, 0
	v_cmp_ne_u16_sdwa s[8:9], v6, v12 src0_sel:BYTE_0 src1_sel:DWORD
	s_andn2_b64 s[4:5], s[4:5], exec
	s_and_b64 s[8:9], s[8:9], exec
	s_or_b64 s[4:5], s[4:5], s[8:9]
	s_or_b64 exec, exec, s[6:7]
	s_and_saveexec_b64 s[6:7], s[4:5]
	s_cbranch_execnz .LBB10_3
	s_branch .LBB10_4
.LBB10_2053:
	s_movk_i32 s4, 0x80
	v_cmp_eq_u16_sdwa s[12:13], v2, s4 src0_sel:BYTE_0 src1_sel:DWORD
	s_mov_b64 s[4:5], -1
                                        ; implicit-def: $sgpr10
	s_and_saveexec_b64 s[8:9], s[12:13]
; %bb.2054:
	s_mov_b32 s10, 0x7f800001
	s_xor_b64 s[4:5], exec, -1
; %bb.2055:
	s_or_b64 exec, exec, s[8:9]
	s_and_b64 s[4:5], s[4:5], exec
	s_or_saveexec_b64 s[6:7], s[6:7]
	v_mov_b32_e32 v13, s10
	s_xor_b64 exec, exec, s[6:7]
	s_cbranch_execz .LBB10_6
.LBB10_2056:
	v_mov_b32_e32 v13, 0
	v_cmp_ne_u16_sdwa s[8:9], v2, v13 src0_sel:BYTE_0 src1_sel:DWORD
	s_andn2_b64 s[4:5], s[4:5], exec
	s_and_b64 s[8:9], s[8:9], exec
	s_or_b64 s[4:5], s[4:5], s[8:9]
	s_or_b64 exec, exec, s[6:7]
	s_and_saveexec_b64 s[6:7], s[4:5]
	s_cbranch_execnz .LBB10_7
	s_branch .LBB10_8
.LBB10_2057:
	s_movk_i32 s4, 0x80
	v_cmp_eq_u16_sdwa s[12:13], v13, s4 src0_sel:BYTE_0 src1_sel:DWORD
	s_mov_b64 s[4:5], -1
                                        ; implicit-def: $sgpr10
	s_and_saveexec_b64 s[8:9], s[12:13]
; %bb.2058:
	s_mov_b32 s10, 0x7f800001
	s_xor_b64 s[4:5], exec, -1
; %bb.2059:
	s_or_b64 exec, exec, s[8:9]
	s_and_b64 s[4:5], s[4:5], exec
	s_or_saveexec_b64 s[6:7], s[6:7]
	v_mov_b32_e32 v12, s10
	s_xor_b64 exec, exec, s[6:7]
	s_cbranch_execz .LBB10_10
.LBB10_2060:
	v_mov_b32_e32 v12, 0
	v_cmp_ne_u16_sdwa s[8:9], v13, v12 src0_sel:BYTE_0 src1_sel:DWORD
	s_andn2_b64 s[4:5], s[4:5], exec
	s_and_b64 s[8:9], s[8:9], exec
	s_or_b64 s[4:5], s[4:5], s[8:9]
	s_or_b64 exec, exec, s[6:7]
	s_and_saveexec_b64 s[6:7], s[4:5]
	s_cbranch_execnz .LBB10_11
	s_branch .LBB10_12
.LBB10_2061:
	s_movk_i32 s4, 0x80
	v_cmp_eq_u16_sdwa s[12:13], v13, s4 src0_sel:BYTE_0 src1_sel:DWORD
	s_mov_b64 s[4:5], -1
                                        ; implicit-def: $sgpr10
	s_and_saveexec_b64 s[8:9], s[12:13]
; %bb.2062:
	s_mov_b32 s10, 0x7f800001
	s_xor_b64 s[4:5], exec, -1
; %bb.2063:
	s_or_b64 exec, exec, s[8:9]
	s_and_b64 s[4:5], s[4:5], exec
	s_or_saveexec_b64 s[6:7], s[6:7]
	v_mov_b32_e32 v14, s10
	s_xor_b64 exec, exec, s[6:7]
	s_cbranch_execz .LBB10_14
.LBB10_2064:
	v_mov_b32_e32 v14, 0
	v_cmp_ne_u16_sdwa s[8:9], v13, v14 src0_sel:BYTE_0 src1_sel:DWORD
	s_andn2_b64 s[4:5], s[4:5], exec
	s_and_b64 s[8:9], s[8:9], exec
	s_or_b64 s[4:5], s[4:5], s[8:9]
	s_or_b64 exec, exec, s[6:7]
	s_and_saveexec_b64 s[6:7], s[4:5]
	s_cbranch_execnz .LBB10_15
	s_branch .LBB10_16
.LBB10_2065:
	s_movk_i32 s4, 0x80
	v_cmp_eq_u16_e32 vcc, s4, v13
	s_mov_b64 s[4:5], -1
                                        ; implicit-def: $sgpr10
	s_and_saveexec_b64 s[8:9], vcc
; %bb.2066:
	s_mov_b32 s10, 0x7f800001
	s_xor_b64 s[4:5], exec, -1
; %bb.2067:
	s_or_b64 exec, exec, s[8:9]
	s_and_b64 s[4:5], s[4:5], exec
                                        ; implicit-def: $vgpr13
	s_or_saveexec_b64 s[6:7], s[6:7]
	v_mov_b32_e32 v12, s10
	s_xor_b64 exec, exec, s[6:7]
	s_cbranch_execz .LBB10_18
.LBB10_2068:
	v_cmp_ne_u16_e32 vcc, 0, v13
	s_andn2_b64 s[4:5], s[4:5], exec
	s_and_b64 s[8:9], vcc, exec
	v_mov_b32_e32 v12, 0
	s_or_b64 s[4:5], s[4:5], s[8:9]
	s_or_b64 exec, exec, s[6:7]
	s_and_saveexec_b64 s[6:7], s[4:5]
	s_cbranch_execnz .LBB10_19
	s_branch .LBB10_20
.LBB10_2069:
	s_movk_i32 s4, 0x80
	v_cmp_eq_u16_e32 vcc, s4, v13
	s_mov_b64 s[4:5], -1
                                        ; implicit-def: $sgpr10
	s_and_saveexec_b64 s[8:9], vcc
; %bb.2070:
	s_mov_b32 s10, 0x7f800001
	s_xor_b64 s[4:5], exec, -1
; %bb.2071:
	s_or_b64 exec, exec, s[8:9]
	s_and_b64 s[4:5], s[4:5], exec
                                        ; implicit-def: $vgpr13
	s_or_saveexec_b64 s[6:7], s[6:7]
	v_mov_b32_e32 v14, s10
	s_xor_b64 exec, exec, s[6:7]
	s_cbranch_execz .LBB10_22
.LBB10_2072:
	v_cmp_ne_u16_e32 vcc, 0, v13
	s_andn2_b64 s[4:5], s[4:5], exec
	s_and_b64 s[8:9], vcc, exec
	v_mov_b32_e32 v14, 0
	s_or_b64 s[4:5], s[4:5], s[8:9]
	s_or_b64 exec, exec, s[6:7]
	s_and_saveexec_b64 s[6:7], s[4:5]
	s_cbranch_execnz .LBB10_23
	s_branch .LBB10_24
.LBB10_2073:
	s_movk_i32 s4, 0x80
	v_cmp_eq_u16_sdwa s[12:13], v6, s4 src0_sel:BYTE_3 src1_sel:DWORD
	s_mov_b64 s[4:5], -1
                                        ; implicit-def: $sgpr10
	s_and_saveexec_b64 s[8:9], s[12:13]
; %bb.2074:
	s_mov_b32 s10, 0x7f800001
	s_xor_b64 s[4:5], exec, -1
; %bb.2075:
	s_or_b64 exec, exec, s[8:9]
	s_and_b64 s[4:5], s[4:5], exec
	s_or_saveexec_b64 s[6:7], s[6:7]
	v_mov_b32_e32 v12, s10
	s_xor_b64 exec, exec, s[6:7]
	s_cbranch_execz .LBB10_26
.LBB10_2076:
	v_mov_b32_e32 v12, 0
	v_cmp_ne_u16_sdwa s[8:9], v6, v12 src0_sel:BYTE_3 src1_sel:DWORD
	s_andn2_b64 s[4:5], s[4:5], exec
	s_and_b64 s[8:9], s[8:9], exec
	s_or_b64 s[4:5], s[4:5], s[8:9]
	s_or_b64 exec, exec, s[6:7]
	s_and_saveexec_b64 s[6:7], s[4:5]
	s_cbranch_execnz .LBB10_27
	s_branch .LBB10_28
.LBB10_2077:
	s_movk_i32 s4, 0x80
	v_cmp_eq_u16_sdwa s[12:13], v2, s4 src0_sel:BYTE_3 src1_sel:DWORD
	s_mov_b64 s[4:5], -1
                                        ; implicit-def: $sgpr10
	s_and_saveexec_b64 s[8:9], s[12:13]
; %bb.2078:
	s_mov_b32 s10, 0x7f800001
	s_xor_b64 s[4:5], exec, -1
; %bb.2079:
	s_or_b64 exec, exec, s[8:9]
	s_and_b64 s[4:5], s[4:5], exec
	s_or_saveexec_b64 s[6:7], s[6:7]
	v_mov_b32_e32 v6, s10
	s_xor_b64 exec, exec, s[6:7]
	s_cbranch_execz .LBB10_30
.LBB10_2080:
	v_mov_b32_e32 v6, 0
	v_cmp_ne_u16_sdwa s[8:9], v2, v6 src0_sel:BYTE_3 src1_sel:DWORD
	s_andn2_b64 s[4:5], s[4:5], exec
	s_and_b64 s[8:9], s[8:9], exec
	s_or_b64 s[4:5], s[4:5], s[8:9]
	s_or_b64 exec, exec, s[6:7]
	s_and_saveexec_b64 s[6:7], s[4:5]
	s_cbranch_execnz .LBB10_31
	s_branch .LBB10_32
.LBB10_2081:
	s_movk_i32 s4, 0x80
	v_cmp_eq_u16_sdwa s[12:13], v7, s4 src0_sel:BYTE_0 src1_sel:DWORD
	s_mov_b64 s[4:5], -1
                                        ; implicit-def: $sgpr10
	s_and_saveexec_b64 s[8:9], s[12:13]
; %bb.2082:
	s_mov_b32 s10, 0x7f800001
	s_xor_b64 s[4:5], exec, -1
; %bb.2083:
	s_or_b64 exec, exec, s[8:9]
	s_and_b64 s[4:5], s[4:5], exec
	s_or_saveexec_b64 s[6:7], s[6:7]
	v_mov_b32_e32 v2, s10
	s_xor_b64 exec, exec, s[6:7]
	s_cbranch_execz .LBB10_34
.LBB10_2084:
	v_mov_b32_e32 v2, 0
	v_cmp_ne_u16_sdwa s[8:9], v7, v2 src0_sel:BYTE_0 src1_sel:DWORD
	s_andn2_b64 s[4:5], s[4:5], exec
	s_and_b64 s[8:9], s[8:9], exec
	s_or_b64 s[4:5], s[4:5], s[8:9]
	s_or_b64 exec, exec, s[6:7]
	s_and_saveexec_b64 s[6:7], s[4:5]
	s_cbranch_execnz .LBB10_35
	s_branch .LBB10_36
.LBB10_2085:
	s_movk_i32 s4, 0x80
	v_cmp_eq_u16_sdwa s[12:13], v3, s4 src0_sel:BYTE_0 src1_sel:DWORD
	s_mov_b64 s[4:5], -1
                                        ; implicit-def: $sgpr10
	s_and_saveexec_b64 s[8:9], s[12:13]
; %bb.2086:
	s_mov_b32 s10, 0x7f800001
	s_xor_b64 s[4:5], exec, -1
; %bb.2087:
	s_or_b64 exec, exec, s[8:9]
	s_and_b64 s[4:5], s[4:5], exec
	s_or_saveexec_b64 s[6:7], s[6:7]
	v_mov_b32_e32 v6, s10
	s_xor_b64 exec, exec, s[6:7]
	s_cbranch_execz .LBB10_38
.LBB10_2088:
	v_mov_b32_e32 v6, 0
	v_cmp_ne_u16_sdwa s[8:9], v3, v6 src0_sel:BYTE_0 src1_sel:DWORD
	s_andn2_b64 s[4:5], s[4:5], exec
	s_and_b64 s[8:9], s[8:9], exec
	s_or_b64 s[4:5], s[4:5], s[8:9]
	s_or_b64 exec, exec, s[6:7]
	s_and_saveexec_b64 s[6:7], s[4:5]
	s_cbranch_execnz .LBB10_39
	s_branch .LBB10_40
.LBB10_2089:
	s_movk_i32 s4, 0x80
	v_cmp_eq_u16_sdwa s[12:13], v6, s4 src0_sel:BYTE_0 src1_sel:DWORD
	s_mov_b64 s[4:5], -1
                                        ; implicit-def: $sgpr10
	s_and_saveexec_b64 s[8:9], s[12:13]
; %bb.2090:
	s_mov_b32 s10, 0x7f800001
	s_xor_b64 s[4:5], exec, -1
; %bb.2091:
	s_or_b64 exec, exec, s[8:9]
	s_and_b64 s[4:5], s[4:5], exec
	s_or_saveexec_b64 s[6:7], s[6:7]
	v_mov_b32_e32 v2, s10
	s_xor_b64 exec, exec, s[6:7]
	s_cbranch_execz .LBB10_42
.LBB10_2092:
	v_mov_b32_e32 v2, 0
	v_cmp_ne_u16_sdwa s[8:9], v6, v2 src0_sel:BYTE_0 src1_sel:DWORD
	s_andn2_b64 s[4:5], s[4:5], exec
	s_and_b64 s[8:9], s[8:9], exec
	s_or_b64 s[4:5], s[4:5], s[8:9]
	s_or_b64 exec, exec, s[6:7]
	s_and_saveexec_b64 s[6:7], s[4:5]
	s_cbranch_execnz .LBB10_43
	s_branch .LBB10_44
.LBB10_2093:
	s_movk_i32 s4, 0x80
	v_cmp_eq_u16_sdwa s[12:13], v6, s4 src0_sel:BYTE_0 src1_sel:DWORD
	s_mov_b64 s[4:5], -1
                                        ; implicit-def: $sgpr10
	s_and_saveexec_b64 s[8:9], s[12:13]
; %bb.2094:
	s_mov_b32 s10, 0x7f800001
	s_xor_b64 s[4:5], exec, -1
; %bb.2095:
	s_or_b64 exec, exec, s[8:9]
	s_and_b64 s[4:5], s[4:5], exec
	s_or_saveexec_b64 s[6:7], s[6:7]
	v_mov_b32_e32 v12, s10
	s_xor_b64 exec, exec, s[6:7]
	s_cbranch_execz .LBB10_46
.LBB10_2096:
	v_mov_b32_e32 v12, 0
	v_cmp_ne_u16_sdwa s[8:9], v6, v12 src0_sel:BYTE_0 src1_sel:DWORD
	s_andn2_b64 s[4:5], s[4:5], exec
	s_and_b64 s[8:9], s[8:9], exec
	s_or_b64 s[4:5], s[4:5], s[8:9]
	s_or_b64 exec, exec, s[6:7]
	s_and_saveexec_b64 s[6:7], s[4:5]
	s_cbranch_execnz .LBB10_47
	s_branch .LBB10_48
.LBB10_2097:
	s_movk_i32 s4, 0x80
	v_cmp_eq_u16_e32 vcc, s4, v6
	s_mov_b64 s[4:5], -1
                                        ; implicit-def: $sgpr10
	s_and_saveexec_b64 s[8:9], vcc
; %bb.2098:
	s_mov_b32 s10, 0x7f800001
	s_xor_b64 s[4:5], exec, -1
; %bb.2099:
	s_or_b64 exec, exec, s[8:9]
	s_and_b64 s[4:5], s[4:5], exec
                                        ; implicit-def: $vgpr6
	s_or_saveexec_b64 s[6:7], s[6:7]
	v_mov_b32_e32 v2, s10
	s_xor_b64 exec, exec, s[6:7]
	s_cbranch_execz .LBB10_50
.LBB10_2100:
	v_cmp_ne_u16_e32 vcc, 0, v6
	s_andn2_b64 s[4:5], s[4:5], exec
	s_and_b64 s[8:9], vcc, exec
	v_mov_b32_e32 v2, 0
	s_or_b64 s[4:5], s[4:5], s[8:9]
	s_or_b64 exec, exec, s[6:7]
	s_and_saveexec_b64 s[6:7], s[4:5]
	s_cbranch_execnz .LBB10_51
	s_branch .LBB10_52
.LBB10_2101:
	s_movk_i32 s4, 0x80
	v_cmp_eq_u16_e32 vcc, s4, v6
	s_mov_b64 s[4:5], -1
                                        ; implicit-def: $sgpr10
	s_and_saveexec_b64 s[8:9], vcc
; %bb.2102:
	s_mov_b32 s10, 0x7f800001
	s_xor_b64 s[4:5], exec, -1
; %bb.2103:
	s_or_b64 exec, exec, s[8:9]
	s_and_b64 s[4:5], s[4:5], exec
                                        ; implicit-def: $vgpr6
	s_or_saveexec_b64 s[6:7], s[6:7]
	v_mov_b32_e32 v12, s10
	s_xor_b64 exec, exec, s[6:7]
	s_cbranch_execz .LBB10_54
.LBB10_2104:
	v_cmp_ne_u16_e32 vcc, 0, v6
	s_andn2_b64 s[4:5], s[4:5], exec
	s_and_b64 s[8:9], vcc, exec
	v_mov_b32_e32 v12, 0
	s_or_b64 s[4:5], s[4:5], s[8:9]
	s_or_b64 exec, exec, s[6:7]
	s_and_saveexec_b64 s[6:7], s[4:5]
	s_cbranch_execnz .LBB10_55
	s_branch .LBB10_56
.LBB10_2105:
	s_movk_i32 s4, 0x80
	v_cmp_eq_u16_sdwa s[12:13], v7, s4 src0_sel:BYTE_3 src1_sel:DWORD
	s_mov_b64 s[4:5], -1
                                        ; implicit-def: $sgpr10
	s_and_saveexec_b64 s[8:9], s[12:13]
; %bb.2106:
	s_mov_b32 s10, 0x7f800001
	s_xor_b64 s[4:5], exec, -1
; %bb.2107:
	s_or_b64 exec, exec, s[8:9]
	s_and_b64 s[4:5], s[4:5], exec
	s_or_saveexec_b64 s[6:7], s[6:7]
	v_mov_b32_e32 v2, s10
	s_xor_b64 exec, exec, s[6:7]
	s_cbranch_execz .LBB10_58
.LBB10_2108:
	v_mov_b32_e32 v2, 0
	v_cmp_ne_u16_sdwa s[8:9], v7, v2 src0_sel:BYTE_3 src1_sel:DWORD
	s_andn2_b64 s[4:5], s[4:5], exec
	s_and_b64 s[8:9], s[8:9], exec
	s_or_b64 s[4:5], s[4:5], s[8:9]
	s_or_b64 exec, exec, s[6:7]
	s_and_saveexec_b64 s[6:7], s[4:5]
	s_cbranch_execnz .LBB10_59
	s_branch .LBB10_60
.LBB10_2109:
	s_movk_i32 s4, 0x80
	v_cmp_eq_u16_sdwa s[12:13], v3, s4 src0_sel:BYTE_3 src1_sel:DWORD
	s_mov_b64 s[4:5], -1
                                        ; implicit-def: $sgpr10
	s_and_saveexec_b64 s[8:9], s[12:13]
; %bb.2110:
	s_mov_b32 s10, 0x7f800001
	s_xor_b64 s[4:5], exec, -1
; %bb.2111:
	s_or_b64 exec, exec, s[8:9]
	s_and_b64 s[4:5], s[4:5], exec
	s_or_saveexec_b64 s[6:7], s[6:7]
	v_mov_b32_e32 v6, s10
	s_xor_b64 exec, exec, s[6:7]
	s_cbranch_execz .LBB10_62
.LBB10_2112:
	v_mov_b32_e32 v6, 0
	v_cmp_ne_u16_sdwa s[8:9], v3, v6 src0_sel:BYTE_3 src1_sel:DWORD
	s_andn2_b64 s[4:5], s[4:5], exec
	s_and_b64 s[8:9], s[8:9], exec
	s_or_b64 s[4:5], s[4:5], s[8:9]
	s_or_b64 exec, exec, s[6:7]
	s_and_saveexec_b64 s[6:7], s[4:5]
	s_cbranch_execnz .LBB10_63
	s_branch .LBB10_64
.LBB10_2113:
	s_movk_i32 s4, 0x80
	v_cmp_eq_u16_sdwa s[12:13], v8, s4 src0_sel:BYTE_0 src1_sel:DWORD
	s_mov_b64 s[4:5], -1
                                        ; implicit-def: $sgpr10
	s_and_saveexec_b64 s[8:9], s[12:13]
; %bb.2114:
	s_mov_b32 s10, 0x7f800001
	s_xor_b64 s[4:5], exec, -1
; %bb.2115:
	s_or_b64 exec, exec, s[8:9]
	s_and_b64 s[4:5], s[4:5], exec
	s_or_saveexec_b64 s[6:7], s[6:7]
	v_mov_b32_e32 v2, s10
	s_xor_b64 exec, exec, s[6:7]
	s_cbranch_execz .LBB10_66
.LBB10_2116:
	v_mov_b32_e32 v2, 0
	v_cmp_ne_u16_sdwa s[8:9], v8, v2 src0_sel:BYTE_0 src1_sel:DWORD
	s_andn2_b64 s[4:5], s[4:5], exec
	s_and_b64 s[8:9], s[8:9], exec
	s_or_b64 s[4:5], s[4:5], s[8:9]
	s_or_b64 exec, exec, s[6:7]
	s_and_saveexec_b64 s[6:7], s[4:5]
	s_cbranch_execnz .LBB10_67
	s_branch .LBB10_68
.LBB10_2117:
	s_movk_i32 s4, 0x80
	v_cmp_eq_u16_sdwa s[12:13], v4, s4 src0_sel:BYTE_0 src1_sel:DWORD
	s_mov_b64 s[4:5], -1
                                        ; implicit-def: $sgpr10
	s_and_saveexec_b64 s[8:9], s[12:13]
; %bb.2118:
	s_mov_b32 s10, 0x7f800001
	s_xor_b64 s[4:5], exec, -1
; %bb.2119:
	s_or_b64 exec, exec, s[8:9]
	s_and_b64 s[4:5], s[4:5], exec
	s_or_saveexec_b64 s[6:7], s[6:7]
	v_mov_b32_e32 v3, s10
	s_xor_b64 exec, exec, s[6:7]
	s_cbranch_execz .LBB10_70
.LBB10_2120:
	v_mov_b32_e32 v3, 0
	v_cmp_ne_u16_sdwa s[8:9], v4, v3 src0_sel:BYTE_0 src1_sel:DWORD
	s_andn2_b64 s[4:5], s[4:5], exec
	s_and_b64 s[8:9], s[8:9], exec
	s_or_b64 s[4:5], s[4:5], s[8:9]
	s_or_b64 exec, exec, s[6:7]
	s_and_saveexec_b64 s[6:7], s[4:5]
	s_cbranch_execnz .LBB10_71
	s_branch .LBB10_72
.LBB10_2121:
	s_movk_i32 s4, 0x80
	v_cmp_eq_u16_sdwa s[12:13], v3, s4 src0_sel:BYTE_0 src1_sel:DWORD
	s_mov_b64 s[4:5], -1
                                        ; implicit-def: $sgpr10
	s_and_saveexec_b64 s[8:9], s[12:13]
; %bb.2122:
	s_mov_b32 s10, 0x7f800001
	s_xor_b64 s[4:5], exec, -1
; %bb.2123:
	s_or_b64 exec, exec, s[8:9]
	s_and_b64 s[4:5], s[4:5], exec
	s_or_saveexec_b64 s[6:7], s[6:7]
	v_mov_b32_e32 v2, s10
	s_xor_b64 exec, exec, s[6:7]
	s_cbranch_execz .LBB10_74
.LBB10_2124:
	v_mov_b32_e32 v2, 0
	v_cmp_ne_u16_sdwa s[8:9], v3, v2 src0_sel:BYTE_0 src1_sel:DWORD
	s_andn2_b64 s[4:5], s[4:5], exec
	s_and_b64 s[8:9], s[8:9], exec
	s_or_b64 s[4:5], s[4:5], s[8:9]
	s_or_b64 exec, exec, s[6:7]
	s_and_saveexec_b64 s[6:7], s[4:5]
	s_cbranch_execnz .LBB10_75
	s_branch .LBB10_76
.LBB10_2125:
	s_movk_i32 s4, 0x80
	v_cmp_eq_u16_sdwa s[12:13], v3, s4 src0_sel:BYTE_0 src1_sel:DWORD
	s_mov_b64 s[4:5], -1
                                        ; implicit-def: $sgpr10
	s_and_saveexec_b64 s[8:9], s[12:13]
; %bb.2126:
	s_mov_b32 s10, 0x7f800001
	s_xor_b64 s[4:5], exec, -1
; %bb.2127:
	s_or_b64 exec, exec, s[8:9]
	s_and_b64 s[4:5], s[4:5], exec
	s_or_saveexec_b64 s[6:7], s[6:7]
	v_mov_b32_e32 v6, s10
	s_xor_b64 exec, exec, s[6:7]
	s_cbranch_execz .LBB10_78
.LBB10_2128:
	v_mov_b32_e32 v6, 0
	v_cmp_ne_u16_sdwa s[8:9], v3, v6 src0_sel:BYTE_0 src1_sel:DWORD
	s_andn2_b64 s[4:5], s[4:5], exec
	s_and_b64 s[8:9], s[8:9], exec
	s_or_b64 s[4:5], s[4:5], s[8:9]
	s_or_b64 exec, exec, s[6:7]
	s_and_saveexec_b64 s[6:7], s[4:5]
	s_cbranch_execnz .LBB10_79
	s_branch .LBB10_80
.LBB10_2129:
	s_movk_i32 s4, 0x80
	v_cmp_eq_u16_e32 vcc, s4, v3
	s_mov_b64 s[4:5], -1
                                        ; implicit-def: $sgpr10
	s_and_saveexec_b64 s[8:9], vcc
; %bb.2130:
	s_mov_b32 s10, 0x7f800001
	s_xor_b64 s[4:5], exec, -1
; %bb.2131:
	s_or_b64 exec, exec, s[8:9]
	s_and_b64 s[4:5], s[4:5], exec
                                        ; implicit-def: $vgpr3
	s_or_saveexec_b64 s[6:7], s[6:7]
	v_mov_b32_e32 v2, s10
	s_xor_b64 exec, exec, s[6:7]
	s_cbranch_execz .LBB10_82
.LBB10_2132:
	v_cmp_ne_u16_e32 vcc, 0, v3
	s_andn2_b64 s[4:5], s[4:5], exec
	s_and_b64 s[8:9], vcc, exec
	v_mov_b32_e32 v2, 0
	s_or_b64 s[4:5], s[4:5], s[8:9]
	s_or_b64 exec, exec, s[6:7]
	s_and_saveexec_b64 s[6:7], s[4:5]
	s_cbranch_execnz .LBB10_83
	s_branch .LBB10_84
.LBB10_2133:
	s_movk_i32 s4, 0x80
	v_cmp_eq_u16_e32 vcc, s4, v3
	s_mov_b64 s[4:5], -1
                                        ; implicit-def: $sgpr10
	s_and_saveexec_b64 s[8:9], vcc
; %bb.2134:
	s_mov_b32 s10, 0x7f800001
	s_xor_b64 s[4:5], exec, -1
; %bb.2135:
	s_or_b64 exec, exec, s[8:9]
	s_and_b64 s[4:5], s[4:5], exec
                                        ; implicit-def: $vgpr3
	s_or_saveexec_b64 s[6:7], s[6:7]
	v_mov_b32_e32 v6, s10
	s_xor_b64 exec, exec, s[6:7]
	s_cbranch_execz .LBB10_86
.LBB10_2136:
	v_cmp_ne_u16_e32 vcc, 0, v3
	s_andn2_b64 s[4:5], s[4:5], exec
	s_and_b64 s[8:9], vcc, exec
	v_mov_b32_e32 v6, 0
	s_or_b64 s[4:5], s[4:5], s[8:9]
	s_or_b64 exec, exec, s[6:7]
	s_and_saveexec_b64 s[6:7], s[4:5]
	s_cbranch_execnz .LBB10_87
	s_branch .LBB10_88
.LBB10_2137:
	s_movk_i32 s4, 0x80
	v_cmp_eq_u16_sdwa s[12:13], v8, s4 src0_sel:BYTE_3 src1_sel:DWORD
	s_mov_b64 s[4:5], -1
                                        ; implicit-def: $sgpr10
	s_and_saveexec_b64 s[8:9], s[12:13]
; %bb.2138:
	s_mov_b32 s10, 0x7f800001
	s_xor_b64 s[4:5], exec, -1
; %bb.2139:
	s_or_b64 exec, exec, s[8:9]
	s_and_b64 s[4:5], s[4:5], exec
	s_or_saveexec_b64 s[6:7], s[6:7]
	v_mov_b32_e32 v2, s10
	s_xor_b64 exec, exec, s[6:7]
	s_cbranch_execz .LBB10_90
.LBB10_2140:
	v_mov_b32_e32 v2, 0
	v_cmp_ne_u16_sdwa s[8:9], v8, v2 src0_sel:BYTE_3 src1_sel:DWORD
	s_andn2_b64 s[4:5], s[4:5], exec
	s_and_b64 s[8:9], s[8:9], exec
	s_or_b64 s[4:5], s[4:5], s[8:9]
	s_or_b64 exec, exec, s[6:7]
	s_and_saveexec_b64 s[6:7], s[4:5]
	s_cbranch_execnz .LBB10_91
	s_branch .LBB10_92
.LBB10_2141:
	s_movk_i32 s4, 0x80
	v_cmp_eq_u16_sdwa s[12:13], v4, s4 src0_sel:BYTE_3 src1_sel:DWORD
	s_mov_b64 s[4:5], -1
                                        ; implicit-def: $sgpr10
	s_and_saveexec_b64 s[8:9], s[12:13]
; %bb.2142:
	s_mov_b32 s10, 0x7f800001
	s_xor_b64 s[4:5], exec, -1
; %bb.2143:
	s_or_b64 exec, exec, s[8:9]
	s_and_b64 s[4:5], s[4:5], exec
	s_or_saveexec_b64 s[6:7], s[6:7]
	v_mov_b32_e32 v3, s10
	s_xor_b64 exec, exec, s[6:7]
	s_cbranch_execz .LBB10_94
.LBB10_2144:
	v_mov_b32_e32 v3, 0
	v_cmp_ne_u16_sdwa s[8:9], v4, v3 src0_sel:BYTE_3 src1_sel:DWORD
	s_andn2_b64 s[4:5], s[4:5], exec
	s_and_b64 s[8:9], s[8:9], exec
	s_or_b64 s[4:5], s[4:5], s[8:9]
	s_or_b64 exec, exec, s[6:7]
	s_and_saveexec_b64 s[6:7], s[4:5]
	s_cbranch_execnz .LBB10_95
	s_branch .LBB10_96
.LBB10_2145:
	s_movk_i32 s4, 0x80
	v_cmp_eq_u16_sdwa s[12:13], v9, s4 src0_sel:BYTE_0 src1_sel:DWORD
	s_mov_b64 s[4:5], -1
                                        ; implicit-def: $sgpr10
	s_and_saveexec_b64 s[8:9], s[12:13]
; %bb.2146:
	s_mov_b32 s10, 0x7f800001
	s_xor_b64 s[4:5], exec, -1
; %bb.2147:
	s_or_b64 exec, exec, s[8:9]
	s_and_b64 s[4:5], s[4:5], exec
	s_or_saveexec_b64 s[6:7], s[6:7]
	v_mov_b32_e32 v2, s10
	s_xor_b64 exec, exec, s[6:7]
	s_cbranch_execz .LBB10_98
.LBB10_2148:
	v_mov_b32_e32 v2, 0
	v_cmp_ne_u16_sdwa s[8:9], v9, v2 src0_sel:BYTE_0 src1_sel:DWORD
	s_andn2_b64 s[4:5], s[4:5], exec
	s_and_b64 s[8:9], s[8:9], exec
	s_or_b64 s[4:5], s[4:5], s[8:9]
	s_or_b64 exec, exec, s[6:7]
	s_and_saveexec_b64 s[6:7], s[4:5]
	s_cbranch_execnz .LBB10_99
	s_branch .LBB10_100
.LBB10_2149:
	s_movk_i32 s4, 0x80
	v_cmp_eq_u16_sdwa s[12:13], v5, s4 src0_sel:BYTE_0 src1_sel:DWORD
	s_mov_b64 s[4:5], -1
                                        ; implicit-def: $sgpr10
	s_and_saveexec_b64 s[8:9], s[12:13]
; %bb.2150:
	s_mov_b32 s10, 0x7f800001
	s_xor_b64 s[4:5], exec, -1
; %bb.2151:
	s_or_b64 exec, exec, s[8:9]
	s_and_b64 s[4:5], s[4:5], exec
	s_or_saveexec_b64 s[6:7], s[6:7]
	v_mov_b32_e32 v3, s10
	s_xor_b64 exec, exec, s[6:7]
	s_cbranch_execz .LBB10_102
.LBB10_2152:
	v_mov_b32_e32 v3, 0
	v_cmp_ne_u16_sdwa s[8:9], v5, v3 src0_sel:BYTE_0 src1_sel:DWORD
	s_andn2_b64 s[4:5], s[4:5], exec
	s_and_b64 s[8:9], s[8:9], exec
	s_or_b64 s[4:5], s[4:5], s[8:9]
	s_or_b64 exec, exec, s[6:7]
	s_and_saveexec_b64 s[6:7], s[4:5]
	s_cbranch_execnz .LBB10_103
	s_branch .LBB10_104
.LBB10_2153:
	s_movk_i32 s4, 0x80
	v_cmp_eq_u16_sdwa s[12:13], v3, s4 src0_sel:BYTE_0 src1_sel:DWORD
	s_mov_b64 s[4:5], -1
                                        ; implicit-def: $sgpr10
	s_and_saveexec_b64 s[8:9], s[12:13]
; %bb.2154:
	s_mov_b32 s10, 0x7f800001
	s_xor_b64 s[4:5], exec, -1
; %bb.2155:
	s_or_b64 exec, exec, s[8:9]
	s_and_b64 s[4:5], s[4:5], exec
	s_or_saveexec_b64 s[6:7], s[6:7]
	v_mov_b32_e32 v2, s10
	s_xor_b64 exec, exec, s[6:7]
	s_cbranch_execz .LBB10_106
.LBB10_2156:
	v_mov_b32_e32 v2, 0
	v_cmp_ne_u16_sdwa s[8:9], v3, v2 src0_sel:BYTE_0 src1_sel:DWORD
	s_andn2_b64 s[4:5], s[4:5], exec
	s_and_b64 s[8:9], s[8:9], exec
	s_or_b64 s[4:5], s[4:5], s[8:9]
	s_or_b64 exec, exec, s[6:7]
	s_and_saveexec_b64 s[6:7], s[4:5]
	s_cbranch_execnz .LBB10_107
	s_branch .LBB10_108
.LBB10_2157:
	s_movk_i32 s4, 0x80
	v_cmp_eq_u16_sdwa s[12:13], v3, s4 src0_sel:BYTE_0 src1_sel:DWORD
	s_mov_b64 s[4:5], -1
                                        ; implicit-def: $sgpr10
	s_and_saveexec_b64 s[8:9], s[12:13]
; %bb.2158:
	s_mov_b32 s10, 0x7f800001
	s_xor_b64 s[4:5], exec, -1
; %bb.2159:
	s_or_b64 exec, exec, s[8:9]
	s_and_b64 s[4:5], s[4:5], exec
	s_or_saveexec_b64 s[6:7], s[6:7]
	v_mov_b32_e32 v4, s10
	s_xor_b64 exec, exec, s[6:7]
	s_cbranch_execz .LBB10_110
.LBB10_2160:
	v_mov_b32_e32 v4, 0
	v_cmp_ne_u16_sdwa s[8:9], v3, v4 src0_sel:BYTE_0 src1_sel:DWORD
	s_andn2_b64 s[4:5], s[4:5], exec
	s_and_b64 s[8:9], s[8:9], exec
	s_or_b64 s[4:5], s[4:5], s[8:9]
	s_or_b64 exec, exec, s[6:7]
	s_and_saveexec_b64 s[6:7], s[4:5]
	s_cbranch_execnz .LBB10_111
	s_branch .LBB10_112
.LBB10_2161:
	s_movk_i32 s4, 0x80
	v_cmp_eq_u16_e32 vcc, s4, v3
	s_mov_b64 s[4:5], -1
                                        ; implicit-def: $sgpr10
	s_and_saveexec_b64 s[8:9], vcc
; %bb.2162:
	s_mov_b32 s10, 0x7f800001
	s_xor_b64 s[4:5], exec, -1
; %bb.2163:
	s_or_b64 exec, exec, s[8:9]
	s_and_b64 s[4:5], s[4:5], exec
                                        ; implicit-def: $vgpr3
	s_or_saveexec_b64 s[6:7], s[6:7]
	v_mov_b32_e32 v2, s10
	s_xor_b64 exec, exec, s[6:7]
	s_cbranch_execz .LBB10_114
.LBB10_2164:
	v_cmp_ne_u16_e32 vcc, 0, v3
	s_andn2_b64 s[4:5], s[4:5], exec
	s_and_b64 s[8:9], vcc, exec
	v_mov_b32_e32 v2, 0
	s_or_b64 s[4:5], s[4:5], s[8:9]
	s_or_b64 exec, exec, s[6:7]
	s_and_saveexec_b64 s[6:7], s[4:5]
	s_cbranch_execnz .LBB10_115
	s_branch .LBB10_116
.LBB10_2165:
	s_movk_i32 s4, 0x80
	v_cmp_eq_u16_e32 vcc, s4, v3
	s_mov_b64 s[4:5], -1
                                        ; implicit-def: $sgpr10
	s_and_saveexec_b64 s[8:9], vcc
; %bb.2166:
	s_mov_b32 s10, 0x7f800001
	s_xor_b64 s[4:5], exec, -1
; %bb.2167:
	s_or_b64 exec, exec, s[8:9]
	s_and_b64 s[4:5], s[4:5], exec
                                        ; implicit-def: $vgpr3
	s_or_saveexec_b64 s[6:7], s[6:7]
	v_mov_b32_e32 v4, s10
	s_xor_b64 exec, exec, s[6:7]
	s_cbranch_execz .LBB10_118
.LBB10_2168:
	v_cmp_ne_u16_e32 vcc, 0, v3
	s_andn2_b64 s[4:5], s[4:5], exec
	s_and_b64 s[8:9], vcc, exec
	v_mov_b32_e32 v4, 0
	s_or_b64 s[4:5], s[4:5], s[8:9]
	s_or_b64 exec, exec, s[6:7]
	s_and_saveexec_b64 s[6:7], s[4:5]
	s_cbranch_execnz .LBB10_119
	s_branch .LBB10_120
.LBB10_2169:
	s_movk_i32 s4, 0x80
	v_cmp_eq_u16_sdwa s[12:13], v9, s4 src0_sel:BYTE_3 src1_sel:DWORD
	s_mov_b64 s[4:5], -1
                                        ; implicit-def: $sgpr10
	s_and_saveexec_b64 s[8:9], s[12:13]
; %bb.2170:
	s_mov_b32 s10, 0x7f800001
	s_xor_b64 s[4:5], exec, -1
; %bb.2171:
	s_or_b64 exec, exec, s[8:9]
	s_and_b64 s[4:5], s[4:5], exec
	s_or_saveexec_b64 s[6:7], s[6:7]
	v_mov_b32_e32 v2, s10
	s_xor_b64 exec, exec, s[6:7]
	s_cbranch_execz .LBB10_122
.LBB10_2172:
	v_mov_b32_e32 v2, 0
	v_cmp_ne_u16_sdwa s[8:9], v9, v2 src0_sel:BYTE_3 src1_sel:DWORD
	s_andn2_b64 s[4:5], s[4:5], exec
	s_and_b64 s[8:9], s[8:9], exec
	s_or_b64 s[4:5], s[4:5], s[8:9]
	s_or_b64 exec, exec, s[6:7]
	s_and_saveexec_b64 s[6:7], s[4:5]
	s_cbranch_execnz .LBB10_123
	s_branch .LBB10_124
.LBB10_2173:
	s_movk_i32 s4, 0x80
	v_cmp_eq_u16_sdwa s[12:13], v5, s4 src0_sel:BYTE_3 src1_sel:DWORD
	s_mov_b64 s[4:5], -1
                                        ; implicit-def: $sgpr10
	s_and_saveexec_b64 s[8:9], s[12:13]
; %bb.2174:
	s_mov_b32 s10, 0x7f800001
	s_xor_b64 s[4:5], exec, -1
; %bb.2175:
	s_or_b64 exec, exec, s[8:9]
	s_and_b64 s[4:5], s[4:5], exec
	s_or_saveexec_b64 s[6:7], s[6:7]
	v_mov_b32_e32 v3, s10
	s_xor_b64 exec, exec, s[6:7]
	s_cbranch_execz .LBB10_126
.LBB10_2176:
	v_mov_b32_e32 v3, 0
	v_cmp_ne_u16_sdwa s[8:9], v5, v3 src0_sel:BYTE_3 src1_sel:DWORD
	s_andn2_b64 s[4:5], s[4:5], exec
	s_and_b64 s[8:9], s[8:9], exec
	s_or_b64 s[4:5], s[4:5], s[8:9]
	s_or_b64 exec, exec, s[6:7]
	s_and_saveexec_b64 s[6:7], s[4:5]
	s_cbranch_execnz .LBB10_127
	s_branch .LBB10_128
.LBB10_2177:
	s_movk_i32 s4, 0x80
	v_cmp_eq_u16_sdwa s[12:13], v6, s4 src0_sel:BYTE_0 src1_sel:DWORD
	s_mov_b64 s[4:5], -1
                                        ; implicit-def: $sgpr10
	s_and_saveexec_b64 s[8:9], s[12:13]
; %bb.2178:
	s_mov_b32 s10, 0x7f800001
	s_xor_b64 s[4:5], exec, -1
; %bb.2179:
	s_or_b64 exec, exec, s[8:9]
	s_and_b64 s[4:5], s[4:5], exec
	s_or_saveexec_b64 s[6:7], s[6:7]
	v_mov_b32_e32 v12, s10
	s_xor_b64 exec, exec, s[6:7]
	s_cbranch_execz .LBB10_130
.LBB10_2180:
	v_mov_b32_e32 v12, 0
	v_cmp_ne_u16_sdwa s[8:9], v6, v12 src0_sel:BYTE_0 src1_sel:DWORD
	s_andn2_b64 s[4:5], s[4:5], exec
	s_and_b64 s[8:9], s[8:9], exec
	s_or_b64 s[4:5], s[4:5], s[8:9]
	s_or_b64 exec, exec, s[6:7]
	s_and_saveexec_b64 s[6:7], s[4:5]
	s_cbranch_execnz .LBB10_131
	s_branch .LBB10_132
.LBB10_2181:
	s_movk_i32 s4, 0x80
	v_cmp_eq_u16_sdwa s[12:13], v2, s4 src0_sel:BYTE_0 src1_sel:DWORD
	s_mov_b64 s[4:5], -1
                                        ; implicit-def: $sgpr10
	s_and_saveexec_b64 s[8:9], s[12:13]
; %bb.2182:
	s_mov_b32 s10, 0x7f800001
	s_xor_b64 s[4:5], exec, -1
; %bb.2183:
	s_or_b64 exec, exec, s[8:9]
	s_and_b64 s[4:5], s[4:5], exec
	s_or_saveexec_b64 s[6:7], s[6:7]
	v_mov_b32_e32 v13, s10
	s_xor_b64 exec, exec, s[6:7]
	s_cbranch_execz .LBB10_134
.LBB10_2184:
	v_mov_b32_e32 v13, 0
	v_cmp_ne_u16_sdwa s[8:9], v2, v13 src0_sel:BYTE_0 src1_sel:DWORD
	s_andn2_b64 s[4:5], s[4:5], exec
	s_and_b64 s[8:9], s[8:9], exec
	s_or_b64 s[4:5], s[4:5], s[8:9]
	s_or_b64 exec, exec, s[6:7]
	s_and_saveexec_b64 s[6:7], s[4:5]
	s_cbranch_execnz .LBB10_135
	s_branch .LBB10_136
.LBB10_2185:
	s_movk_i32 s4, 0x80
	v_cmp_eq_u16_sdwa s[12:13], v13, s4 src0_sel:BYTE_0 src1_sel:DWORD
	s_mov_b64 s[4:5], -1
                                        ; implicit-def: $sgpr10
	s_and_saveexec_b64 s[8:9], s[12:13]
; %bb.2186:
	s_mov_b32 s10, 0x7f800001
	s_xor_b64 s[4:5], exec, -1
; %bb.2187:
	s_or_b64 exec, exec, s[8:9]
	s_and_b64 s[4:5], s[4:5], exec
	s_or_saveexec_b64 s[6:7], s[6:7]
	v_mov_b32_e32 v12, s10
	s_xor_b64 exec, exec, s[6:7]
	s_cbranch_execz .LBB10_138
.LBB10_2188:
	v_mov_b32_e32 v12, 0
	v_cmp_ne_u16_sdwa s[8:9], v13, v12 src0_sel:BYTE_0 src1_sel:DWORD
	s_andn2_b64 s[4:5], s[4:5], exec
	s_and_b64 s[8:9], s[8:9], exec
	s_or_b64 s[4:5], s[4:5], s[8:9]
	s_or_b64 exec, exec, s[6:7]
	s_and_saveexec_b64 s[6:7], s[4:5]
	s_cbranch_execnz .LBB10_139
	s_branch .LBB10_140
.LBB10_2189:
	s_movk_i32 s4, 0x80
	v_cmp_eq_u16_sdwa s[12:13], v13, s4 src0_sel:BYTE_0 src1_sel:DWORD
	s_mov_b64 s[4:5], -1
                                        ; implicit-def: $sgpr10
	s_and_saveexec_b64 s[8:9], s[12:13]
; %bb.2190:
	s_mov_b32 s10, 0x7f800001
	s_xor_b64 s[4:5], exec, -1
; %bb.2191:
	s_or_b64 exec, exec, s[8:9]
	s_and_b64 s[4:5], s[4:5], exec
	s_or_saveexec_b64 s[6:7], s[6:7]
	v_mov_b32_e32 v14, s10
	s_xor_b64 exec, exec, s[6:7]
	s_cbranch_execz .LBB10_142
.LBB10_2192:
	v_mov_b32_e32 v14, 0
	v_cmp_ne_u16_sdwa s[8:9], v13, v14 src0_sel:BYTE_0 src1_sel:DWORD
	s_andn2_b64 s[4:5], s[4:5], exec
	s_and_b64 s[8:9], s[8:9], exec
	s_or_b64 s[4:5], s[4:5], s[8:9]
	s_or_b64 exec, exec, s[6:7]
	s_and_saveexec_b64 s[6:7], s[4:5]
	s_cbranch_execnz .LBB10_143
	s_branch .LBB10_144
.LBB10_2193:
	s_movk_i32 s4, 0x80
	v_cmp_eq_u16_e32 vcc, s4, v13
	s_mov_b64 s[4:5], -1
                                        ; implicit-def: $sgpr10
	s_and_saveexec_b64 s[8:9], vcc
; %bb.2194:
	s_mov_b32 s10, 0x7f800001
	s_xor_b64 s[4:5], exec, -1
; %bb.2195:
	s_or_b64 exec, exec, s[8:9]
	s_and_b64 s[4:5], s[4:5], exec
                                        ; implicit-def: $vgpr13
	s_or_saveexec_b64 s[6:7], s[6:7]
	v_mov_b32_e32 v12, s10
	s_xor_b64 exec, exec, s[6:7]
	s_cbranch_execz .LBB10_146
.LBB10_2196:
	v_cmp_ne_u16_e32 vcc, 0, v13
	s_andn2_b64 s[4:5], s[4:5], exec
	s_and_b64 s[8:9], vcc, exec
	v_mov_b32_e32 v12, 0
	s_or_b64 s[4:5], s[4:5], s[8:9]
	s_or_b64 exec, exec, s[6:7]
	s_and_saveexec_b64 s[6:7], s[4:5]
	s_cbranch_execnz .LBB10_147
	s_branch .LBB10_148
.LBB10_2197:
	s_movk_i32 s4, 0x80
	v_cmp_eq_u16_e32 vcc, s4, v13
	s_mov_b64 s[4:5], -1
                                        ; implicit-def: $sgpr10
	s_and_saveexec_b64 s[8:9], vcc
; %bb.2198:
	s_mov_b32 s10, 0x7f800001
	s_xor_b64 s[4:5], exec, -1
; %bb.2199:
	s_or_b64 exec, exec, s[8:9]
	s_and_b64 s[4:5], s[4:5], exec
                                        ; implicit-def: $vgpr13
	s_or_saveexec_b64 s[6:7], s[6:7]
	v_mov_b32_e32 v14, s10
	s_xor_b64 exec, exec, s[6:7]
	s_cbranch_execz .LBB10_150
.LBB10_2200:
	v_cmp_ne_u16_e32 vcc, 0, v13
	s_andn2_b64 s[4:5], s[4:5], exec
	s_and_b64 s[8:9], vcc, exec
	v_mov_b32_e32 v14, 0
	s_or_b64 s[4:5], s[4:5], s[8:9]
	s_or_b64 exec, exec, s[6:7]
	s_and_saveexec_b64 s[6:7], s[4:5]
	s_cbranch_execnz .LBB10_151
	s_branch .LBB10_152
.LBB10_2201:
	s_movk_i32 s4, 0x80
	v_cmp_eq_u16_sdwa s[12:13], v6, s4 src0_sel:BYTE_3 src1_sel:DWORD
	s_mov_b64 s[4:5], -1
                                        ; implicit-def: $sgpr10
	s_and_saveexec_b64 s[8:9], s[12:13]
; %bb.2202:
	s_mov_b32 s10, 0x7f800001
	s_xor_b64 s[4:5], exec, -1
; %bb.2203:
	s_or_b64 exec, exec, s[8:9]
	s_and_b64 s[4:5], s[4:5], exec
	s_or_saveexec_b64 s[6:7], s[6:7]
	v_mov_b32_e32 v12, s10
	s_xor_b64 exec, exec, s[6:7]
	s_cbranch_execz .LBB10_154
.LBB10_2204:
	v_mov_b32_e32 v12, 0
	v_cmp_ne_u16_sdwa s[8:9], v6, v12 src0_sel:BYTE_3 src1_sel:DWORD
	s_andn2_b64 s[4:5], s[4:5], exec
	s_and_b64 s[8:9], s[8:9], exec
	s_or_b64 s[4:5], s[4:5], s[8:9]
	s_or_b64 exec, exec, s[6:7]
	s_and_saveexec_b64 s[6:7], s[4:5]
	s_cbranch_execnz .LBB10_155
	s_branch .LBB10_156
.LBB10_2205:
	s_movk_i32 s4, 0x80
	v_cmp_eq_u16_sdwa s[12:13], v2, s4 src0_sel:BYTE_3 src1_sel:DWORD
	s_mov_b64 s[4:5], -1
                                        ; implicit-def: $sgpr10
	s_and_saveexec_b64 s[8:9], s[12:13]
; %bb.2206:
	s_mov_b32 s10, 0x7f800001
	s_xor_b64 s[4:5], exec, -1
; %bb.2207:
	s_or_b64 exec, exec, s[8:9]
	s_and_b64 s[4:5], s[4:5], exec
	s_or_saveexec_b64 s[6:7], s[6:7]
	v_mov_b32_e32 v6, s10
	s_xor_b64 exec, exec, s[6:7]
	s_cbranch_execz .LBB10_158
.LBB10_2208:
	v_mov_b32_e32 v6, 0
	v_cmp_ne_u16_sdwa s[8:9], v2, v6 src0_sel:BYTE_3 src1_sel:DWORD
	s_andn2_b64 s[4:5], s[4:5], exec
	s_and_b64 s[8:9], s[8:9], exec
	s_or_b64 s[4:5], s[4:5], s[8:9]
	s_or_b64 exec, exec, s[6:7]
	s_and_saveexec_b64 s[6:7], s[4:5]
	s_cbranch_execnz .LBB10_159
	s_branch .LBB10_160
.LBB10_2209:
	s_movk_i32 s4, 0x80
	v_cmp_eq_u16_sdwa s[12:13], v7, s4 src0_sel:BYTE_0 src1_sel:DWORD
	s_mov_b64 s[4:5], -1
                                        ; implicit-def: $sgpr10
	s_and_saveexec_b64 s[8:9], s[12:13]
; %bb.2210:
	s_mov_b32 s10, 0x7f800001
	s_xor_b64 s[4:5], exec, -1
; %bb.2211:
	s_or_b64 exec, exec, s[8:9]
	s_and_b64 s[4:5], s[4:5], exec
	s_or_saveexec_b64 s[6:7], s[6:7]
	v_mov_b32_e32 v2, s10
	s_xor_b64 exec, exec, s[6:7]
	s_cbranch_execz .LBB10_162
.LBB10_2212:
	v_mov_b32_e32 v2, 0
	v_cmp_ne_u16_sdwa s[8:9], v7, v2 src0_sel:BYTE_0 src1_sel:DWORD
	s_andn2_b64 s[4:5], s[4:5], exec
	s_and_b64 s[8:9], s[8:9], exec
	s_or_b64 s[4:5], s[4:5], s[8:9]
	s_or_b64 exec, exec, s[6:7]
	s_and_saveexec_b64 s[6:7], s[4:5]
	s_cbranch_execnz .LBB10_163
	s_branch .LBB10_164
.LBB10_2213:
	s_movk_i32 s4, 0x80
	v_cmp_eq_u16_sdwa s[12:13], v3, s4 src0_sel:BYTE_0 src1_sel:DWORD
	s_mov_b64 s[4:5], -1
                                        ; implicit-def: $sgpr10
	s_and_saveexec_b64 s[8:9], s[12:13]
; %bb.2214:
	s_mov_b32 s10, 0x7f800001
	s_xor_b64 s[4:5], exec, -1
; %bb.2215:
	s_or_b64 exec, exec, s[8:9]
	s_and_b64 s[4:5], s[4:5], exec
	s_or_saveexec_b64 s[6:7], s[6:7]
	v_mov_b32_e32 v6, s10
	s_xor_b64 exec, exec, s[6:7]
	s_cbranch_execz .LBB10_166
.LBB10_2216:
	v_mov_b32_e32 v6, 0
	v_cmp_ne_u16_sdwa s[8:9], v3, v6 src0_sel:BYTE_0 src1_sel:DWORD
	s_andn2_b64 s[4:5], s[4:5], exec
	s_and_b64 s[8:9], s[8:9], exec
	s_or_b64 s[4:5], s[4:5], s[8:9]
	s_or_b64 exec, exec, s[6:7]
	s_and_saveexec_b64 s[6:7], s[4:5]
	s_cbranch_execnz .LBB10_167
	s_branch .LBB10_168
.LBB10_2217:
	s_movk_i32 s4, 0x80
	v_cmp_eq_u16_sdwa s[12:13], v6, s4 src0_sel:BYTE_0 src1_sel:DWORD
	s_mov_b64 s[4:5], -1
                                        ; implicit-def: $sgpr10
	s_and_saveexec_b64 s[8:9], s[12:13]
; %bb.2218:
	s_mov_b32 s10, 0x7f800001
	s_xor_b64 s[4:5], exec, -1
; %bb.2219:
	s_or_b64 exec, exec, s[8:9]
	s_and_b64 s[4:5], s[4:5], exec
	s_or_saveexec_b64 s[6:7], s[6:7]
	v_mov_b32_e32 v2, s10
	s_xor_b64 exec, exec, s[6:7]
	s_cbranch_execz .LBB10_170
.LBB10_2220:
	v_mov_b32_e32 v2, 0
	v_cmp_ne_u16_sdwa s[8:9], v6, v2 src0_sel:BYTE_0 src1_sel:DWORD
	s_andn2_b64 s[4:5], s[4:5], exec
	s_and_b64 s[8:9], s[8:9], exec
	s_or_b64 s[4:5], s[4:5], s[8:9]
	s_or_b64 exec, exec, s[6:7]
	s_and_saveexec_b64 s[6:7], s[4:5]
	s_cbranch_execnz .LBB10_171
	s_branch .LBB10_172
.LBB10_2221:
	s_movk_i32 s4, 0x80
	v_cmp_eq_u16_sdwa s[12:13], v6, s4 src0_sel:BYTE_0 src1_sel:DWORD
	s_mov_b64 s[4:5], -1
                                        ; implicit-def: $sgpr10
	s_and_saveexec_b64 s[8:9], s[12:13]
; %bb.2222:
	s_mov_b32 s10, 0x7f800001
	s_xor_b64 s[4:5], exec, -1
; %bb.2223:
	s_or_b64 exec, exec, s[8:9]
	s_and_b64 s[4:5], s[4:5], exec
	s_or_saveexec_b64 s[6:7], s[6:7]
	v_mov_b32_e32 v12, s10
	s_xor_b64 exec, exec, s[6:7]
	s_cbranch_execz .LBB10_174
.LBB10_2224:
	v_mov_b32_e32 v12, 0
	v_cmp_ne_u16_sdwa s[8:9], v6, v12 src0_sel:BYTE_0 src1_sel:DWORD
	s_andn2_b64 s[4:5], s[4:5], exec
	s_and_b64 s[8:9], s[8:9], exec
	s_or_b64 s[4:5], s[4:5], s[8:9]
	s_or_b64 exec, exec, s[6:7]
	s_and_saveexec_b64 s[6:7], s[4:5]
	s_cbranch_execnz .LBB10_175
	s_branch .LBB10_176
.LBB10_2225:
	s_movk_i32 s4, 0x80
	v_cmp_eq_u16_e32 vcc, s4, v6
	s_mov_b64 s[4:5], -1
                                        ; implicit-def: $sgpr10
	s_and_saveexec_b64 s[8:9], vcc
; %bb.2226:
	s_mov_b32 s10, 0x7f800001
	s_xor_b64 s[4:5], exec, -1
; %bb.2227:
	s_or_b64 exec, exec, s[8:9]
	s_and_b64 s[4:5], s[4:5], exec
                                        ; implicit-def: $vgpr6
	s_or_saveexec_b64 s[6:7], s[6:7]
	v_mov_b32_e32 v2, s10
	s_xor_b64 exec, exec, s[6:7]
	s_cbranch_execz .LBB10_178
.LBB10_2228:
	v_cmp_ne_u16_e32 vcc, 0, v6
	s_andn2_b64 s[4:5], s[4:5], exec
	s_and_b64 s[8:9], vcc, exec
	v_mov_b32_e32 v2, 0
	s_or_b64 s[4:5], s[4:5], s[8:9]
	s_or_b64 exec, exec, s[6:7]
	s_and_saveexec_b64 s[6:7], s[4:5]
	s_cbranch_execnz .LBB10_179
	s_branch .LBB10_180
.LBB10_2229:
	s_movk_i32 s4, 0x80
	v_cmp_eq_u16_e32 vcc, s4, v6
	s_mov_b64 s[4:5], -1
                                        ; implicit-def: $sgpr10
	s_and_saveexec_b64 s[8:9], vcc
; %bb.2230:
	s_mov_b32 s10, 0x7f800001
	s_xor_b64 s[4:5], exec, -1
; %bb.2231:
	s_or_b64 exec, exec, s[8:9]
	s_and_b64 s[4:5], s[4:5], exec
                                        ; implicit-def: $vgpr6
	s_or_saveexec_b64 s[6:7], s[6:7]
	v_mov_b32_e32 v12, s10
	s_xor_b64 exec, exec, s[6:7]
	s_cbranch_execz .LBB10_182
.LBB10_2232:
	v_cmp_ne_u16_e32 vcc, 0, v6
	s_andn2_b64 s[4:5], s[4:5], exec
	s_and_b64 s[8:9], vcc, exec
	v_mov_b32_e32 v12, 0
	s_or_b64 s[4:5], s[4:5], s[8:9]
	s_or_b64 exec, exec, s[6:7]
	s_and_saveexec_b64 s[6:7], s[4:5]
	s_cbranch_execnz .LBB10_183
	s_branch .LBB10_184
.LBB10_2233:
	s_movk_i32 s4, 0x80
	v_cmp_eq_u16_sdwa s[12:13], v7, s4 src0_sel:BYTE_3 src1_sel:DWORD
	s_mov_b64 s[4:5], -1
                                        ; implicit-def: $sgpr10
	s_and_saveexec_b64 s[8:9], s[12:13]
; %bb.2234:
	s_mov_b32 s10, 0x7f800001
	s_xor_b64 s[4:5], exec, -1
; %bb.2235:
	s_or_b64 exec, exec, s[8:9]
	s_and_b64 s[4:5], s[4:5], exec
	s_or_saveexec_b64 s[6:7], s[6:7]
	v_mov_b32_e32 v2, s10
	s_xor_b64 exec, exec, s[6:7]
	s_cbranch_execz .LBB10_186
.LBB10_2236:
	v_mov_b32_e32 v2, 0
	v_cmp_ne_u16_sdwa s[8:9], v7, v2 src0_sel:BYTE_3 src1_sel:DWORD
	s_andn2_b64 s[4:5], s[4:5], exec
	s_and_b64 s[8:9], s[8:9], exec
	s_or_b64 s[4:5], s[4:5], s[8:9]
	s_or_b64 exec, exec, s[6:7]
	s_and_saveexec_b64 s[6:7], s[4:5]
	s_cbranch_execnz .LBB10_187
	s_branch .LBB10_188
.LBB10_2237:
	s_movk_i32 s4, 0x80
	v_cmp_eq_u16_sdwa s[12:13], v3, s4 src0_sel:BYTE_3 src1_sel:DWORD
	s_mov_b64 s[4:5], -1
                                        ; implicit-def: $sgpr10
	s_and_saveexec_b64 s[8:9], s[12:13]
; %bb.2238:
	s_mov_b32 s10, 0x7f800001
	s_xor_b64 s[4:5], exec, -1
; %bb.2239:
	s_or_b64 exec, exec, s[8:9]
	s_and_b64 s[4:5], s[4:5], exec
	s_or_saveexec_b64 s[6:7], s[6:7]
	v_mov_b32_e32 v6, s10
	s_xor_b64 exec, exec, s[6:7]
	s_cbranch_execz .LBB10_190
.LBB10_2240:
	v_mov_b32_e32 v6, 0
	v_cmp_ne_u16_sdwa s[8:9], v3, v6 src0_sel:BYTE_3 src1_sel:DWORD
	s_andn2_b64 s[4:5], s[4:5], exec
	s_and_b64 s[8:9], s[8:9], exec
	s_or_b64 s[4:5], s[4:5], s[8:9]
	s_or_b64 exec, exec, s[6:7]
	s_and_saveexec_b64 s[6:7], s[4:5]
	s_cbranch_execnz .LBB10_191
	s_branch .LBB10_192
.LBB10_2241:
	s_movk_i32 s4, 0x80
	v_cmp_eq_u16_sdwa s[12:13], v8, s4 src0_sel:BYTE_0 src1_sel:DWORD
	s_mov_b64 s[4:5], -1
                                        ; implicit-def: $sgpr10
	s_and_saveexec_b64 s[8:9], s[12:13]
; %bb.2242:
	s_mov_b32 s10, 0x7f800001
	s_xor_b64 s[4:5], exec, -1
; %bb.2243:
	s_or_b64 exec, exec, s[8:9]
	s_and_b64 s[4:5], s[4:5], exec
	s_or_saveexec_b64 s[6:7], s[6:7]
	v_mov_b32_e32 v2, s10
	s_xor_b64 exec, exec, s[6:7]
	s_cbranch_execz .LBB10_194
.LBB10_2244:
	v_mov_b32_e32 v2, 0
	v_cmp_ne_u16_sdwa s[8:9], v8, v2 src0_sel:BYTE_0 src1_sel:DWORD
	s_andn2_b64 s[4:5], s[4:5], exec
	s_and_b64 s[8:9], s[8:9], exec
	s_or_b64 s[4:5], s[4:5], s[8:9]
	s_or_b64 exec, exec, s[6:7]
	s_and_saveexec_b64 s[6:7], s[4:5]
	s_cbranch_execnz .LBB10_195
	s_branch .LBB10_196
.LBB10_2245:
	s_movk_i32 s4, 0x80
	v_cmp_eq_u16_sdwa s[12:13], v4, s4 src0_sel:BYTE_0 src1_sel:DWORD
	s_mov_b64 s[4:5], -1
                                        ; implicit-def: $sgpr10
	s_and_saveexec_b64 s[8:9], s[12:13]
; %bb.2246:
	s_mov_b32 s10, 0x7f800001
	s_xor_b64 s[4:5], exec, -1
; %bb.2247:
	s_or_b64 exec, exec, s[8:9]
	s_and_b64 s[4:5], s[4:5], exec
	s_or_saveexec_b64 s[6:7], s[6:7]
	v_mov_b32_e32 v3, s10
	s_xor_b64 exec, exec, s[6:7]
	s_cbranch_execz .LBB10_198
.LBB10_2248:
	v_mov_b32_e32 v3, 0
	v_cmp_ne_u16_sdwa s[8:9], v4, v3 src0_sel:BYTE_0 src1_sel:DWORD
	s_andn2_b64 s[4:5], s[4:5], exec
	s_and_b64 s[8:9], s[8:9], exec
	s_or_b64 s[4:5], s[4:5], s[8:9]
	s_or_b64 exec, exec, s[6:7]
	s_and_saveexec_b64 s[6:7], s[4:5]
	s_cbranch_execnz .LBB10_199
	s_branch .LBB10_200
.LBB10_2249:
	s_movk_i32 s4, 0x80
	v_cmp_eq_u16_sdwa s[12:13], v3, s4 src0_sel:BYTE_0 src1_sel:DWORD
	s_mov_b64 s[4:5], -1
                                        ; implicit-def: $sgpr10
	s_and_saveexec_b64 s[8:9], s[12:13]
; %bb.2250:
	s_mov_b32 s10, 0x7f800001
	s_xor_b64 s[4:5], exec, -1
; %bb.2251:
	s_or_b64 exec, exec, s[8:9]
	s_and_b64 s[4:5], s[4:5], exec
	s_or_saveexec_b64 s[6:7], s[6:7]
	v_mov_b32_e32 v2, s10
	s_xor_b64 exec, exec, s[6:7]
	s_cbranch_execz .LBB10_202
.LBB10_2252:
	v_mov_b32_e32 v2, 0
	v_cmp_ne_u16_sdwa s[8:9], v3, v2 src0_sel:BYTE_0 src1_sel:DWORD
	s_andn2_b64 s[4:5], s[4:5], exec
	s_and_b64 s[8:9], s[8:9], exec
	s_or_b64 s[4:5], s[4:5], s[8:9]
	s_or_b64 exec, exec, s[6:7]
	s_and_saveexec_b64 s[6:7], s[4:5]
	s_cbranch_execnz .LBB10_203
	s_branch .LBB10_204
.LBB10_2253:
	s_movk_i32 s4, 0x80
	v_cmp_eq_u16_sdwa s[12:13], v3, s4 src0_sel:BYTE_0 src1_sel:DWORD
	s_mov_b64 s[4:5], -1
                                        ; implicit-def: $sgpr10
	s_and_saveexec_b64 s[8:9], s[12:13]
; %bb.2254:
	s_mov_b32 s10, 0x7f800001
	s_xor_b64 s[4:5], exec, -1
; %bb.2255:
	s_or_b64 exec, exec, s[8:9]
	s_and_b64 s[4:5], s[4:5], exec
	s_or_saveexec_b64 s[6:7], s[6:7]
	v_mov_b32_e32 v6, s10
	s_xor_b64 exec, exec, s[6:7]
	s_cbranch_execz .LBB10_206
.LBB10_2256:
	v_mov_b32_e32 v6, 0
	v_cmp_ne_u16_sdwa s[8:9], v3, v6 src0_sel:BYTE_0 src1_sel:DWORD
	s_andn2_b64 s[4:5], s[4:5], exec
	s_and_b64 s[8:9], s[8:9], exec
	s_or_b64 s[4:5], s[4:5], s[8:9]
	s_or_b64 exec, exec, s[6:7]
	s_and_saveexec_b64 s[6:7], s[4:5]
	s_cbranch_execnz .LBB10_207
	s_branch .LBB10_208
.LBB10_2257:
	s_movk_i32 s4, 0x80
	v_cmp_eq_u16_e32 vcc, s4, v3
	s_mov_b64 s[4:5], -1
                                        ; implicit-def: $sgpr10
	s_and_saveexec_b64 s[8:9], vcc
; %bb.2258:
	s_mov_b32 s10, 0x7f800001
	s_xor_b64 s[4:5], exec, -1
; %bb.2259:
	s_or_b64 exec, exec, s[8:9]
	s_and_b64 s[4:5], s[4:5], exec
                                        ; implicit-def: $vgpr3
	s_or_saveexec_b64 s[6:7], s[6:7]
	v_mov_b32_e32 v2, s10
	s_xor_b64 exec, exec, s[6:7]
	s_cbranch_execz .LBB10_210
.LBB10_2260:
	v_cmp_ne_u16_e32 vcc, 0, v3
	s_andn2_b64 s[4:5], s[4:5], exec
	s_and_b64 s[8:9], vcc, exec
	v_mov_b32_e32 v2, 0
	s_or_b64 s[4:5], s[4:5], s[8:9]
	s_or_b64 exec, exec, s[6:7]
	s_and_saveexec_b64 s[6:7], s[4:5]
	s_cbranch_execnz .LBB10_211
	s_branch .LBB10_212
.LBB10_2261:
	s_movk_i32 s4, 0x80
	v_cmp_eq_u16_e32 vcc, s4, v3
	s_mov_b64 s[4:5], -1
                                        ; implicit-def: $sgpr10
	s_and_saveexec_b64 s[8:9], vcc
; %bb.2262:
	s_mov_b32 s10, 0x7f800001
	s_xor_b64 s[4:5], exec, -1
; %bb.2263:
	s_or_b64 exec, exec, s[8:9]
	s_and_b64 s[4:5], s[4:5], exec
                                        ; implicit-def: $vgpr3
	s_or_saveexec_b64 s[6:7], s[6:7]
	v_mov_b32_e32 v6, s10
	s_xor_b64 exec, exec, s[6:7]
	s_cbranch_execz .LBB10_214
.LBB10_2264:
	v_cmp_ne_u16_e32 vcc, 0, v3
	s_andn2_b64 s[4:5], s[4:5], exec
	s_and_b64 s[8:9], vcc, exec
	v_mov_b32_e32 v6, 0
	s_or_b64 s[4:5], s[4:5], s[8:9]
	s_or_b64 exec, exec, s[6:7]
	s_and_saveexec_b64 s[6:7], s[4:5]
	s_cbranch_execnz .LBB10_215
	s_branch .LBB10_216
.LBB10_2265:
	s_movk_i32 s4, 0x80
	v_cmp_eq_u16_sdwa s[12:13], v8, s4 src0_sel:BYTE_3 src1_sel:DWORD
	s_mov_b64 s[4:5], -1
                                        ; implicit-def: $sgpr10
	s_and_saveexec_b64 s[8:9], s[12:13]
; %bb.2266:
	s_mov_b32 s10, 0x7f800001
	s_xor_b64 s[4:5], exec, -1
; %bb.2267:
	s_or_b64 exec, exec, s[8:9]
	s_and_b64 s[4:5], s[4:5], exec
	s_or_saveexec_b64 s[6:7], s[6:7]
	v_mov_b32_e32 v2, s10
	s_xor_b64 exec, exec, s[6:7]
	s_cbranch_execz .LBB10_218
.LBB10_2268:
	v_mov_b32_e32 v2, 0
	v_cmp_ne_u16_sdwa s[8:9], v8, v2 src0_sel:BYTE_3 src1_sel:DWORD
	s_andn2_b64 s[4:5], s[4:5], exec
	s_and_b64 s[8:9], s[8:9], exec
	s_or_b64 s[4:5], s[4:5], s[8:9]
	s_or_b64 exec, exec, s[6:7]
	s_and_saveexec_b64 s[6:7], s[4:5]
	s_cbranch_execnz .LBB10_219
	s_branch .LBB10_220
.LBB10_2269:
	s_movk_i32 s4, 0x80
	v_cmp_eq_u16_sdwa s[12:13], v4, s4 src0_sel:BYTE_3 src1_sel:DWORD
	s_mov_b64 s[4:5], -1
                                        ; implicit-def: $sgpr10
	s_and_saveexec_b64 s[8:9], s[12:13]
; %bb.2270:
	s_mov_b32 s10, 0x7f800001
	s_xor_b64 s[4:5], exec, -1
; %bb.2271:
	s_or_b64 exec, exec, s[8:9]
	s_and_b64 s[4:5], s[4:5], exec
	s_or_saveexec_b64 s[6:7], s[6:7]
	v_mov_b32_e32 v3, s10
	s_xor_b64 exec, exec, s[6:7]
	s_cbranch_execz .LBB10_222
.LBB10_2272:
	v_mov_b32_e32 v3, 0
	v_cmp_ne_u16_sdwa s[8:9], v4, v3 src0_sel:BYTE_3 src1_sel:DWORD
	s_andn2_b64 s[4:5], s[4:5], exec
	s_and_b64 s[8:9], s[8:9], exec
	s_or_b64 s[4:5], s[4:5], s[8:9]
	s_or_b64 exec, exec, s[6:7]
	s_and_saveexec_b64 s[6:7], s[4:5]
	s_cbranch_execnz .LBB10_223
	s_branch .LBB10_224
.LBB10_2273:
	s_movk_i32 s4, 0x80
	v_cmp_eq_u16_sdwa s[12:13], v9, s4 src0_sel:BYTE_0 src1_sel:DWORD
	s_mov_b64 s[4:5], -1
                                        ; implicit-def: $sgpr10
	s_and_saveexec_b64 s[8:9], s[12:13]
; %bb.2274:
	s_mov_b32 s10, 0x7f800001
	s_xor_b64 s[4:5], exec, -1
; %bb.2275:
	s_or_b64 exec, exec, s[8:9]
	s_and_b64 s[4:5], s[4:5], exec
	s_or_saveexec_b64 s[6:7], s[6:7]
	v_mov_b32_e32 v2, s10
	s_xor_b64 exec, exec, s[6:7]
	s_cbranch_execz .LBB10_226
.LBB10_2276:
	v_mov_b32_e32 v2, 0
	v_cmp_ne_u16_sdwa s[8:9], v9, v2 src0_sel:BYTE_0 src1_sel:DWORD
	s_andn2_b64 s[4:5], s[4:5], exec
	s_and_b64 s[8:9], s[8:9], exec
	s_or_b64 s[4:5], s[4:5], s[8:9]
	s_or_b64 exec, exec, s[6:7]
	s_and_saveexec_b64 s[6:7], s[4:5]
	s_cbranch_execnz .LBB10_227
	s_branch .LBB10_228
.LBB10_2277:
	s_movk_i32 s4, 0x80
	v_cmp_eq_u16_sdwa s[12:13], v5, s4 src0_sel:BYTE_0 src1_sel:DWORD
	s_mov_b64 s[4:5], -1
                                        ; implicit-def: $sgpr10
	s_and_saveexec_b64 s[8:9], s[12:13]
; %bb.2278:
	s_mov_b32 s10, 0x7f800001
	s_xor_b64 s[4:5], exec, -1
; %bb.2279:
	s_or_b64 exec, exec, s[8:9]
	s_and_b64 s[4:5], s[4:5], exec
	s_or_saveexec_b64 s[6:7], s[6:7]
	v_mov_b32_e32 v3, s10
	s_xor_b64 exec, exec, s[6:7]
	s_cbranch_execz .LBB10_230
.LBB10_2280:
	v_mov_b32_e32 v3, 0
	v_cmp_ne_u16_sdwa s[8:9], v5, v3 src0_sel:BYTE_0 src1_sel:DWORD
	s_andn2_b64 s[4:5], s[4:5], exec
	s_and_b64 s[8:9], s[8:9], exec
	s_or_b64 s[4:5], s[4:5], s[8:9]
	s_or_b64 exec, exec, s[6:7]
	s_and_saveexec_b64 s[6:7], s[4:5]
	s_cbranch_execnz .LBB10_231
	s_branch .LBB10_232
.LBB10_2281:
	s_movk_i32 s4, 0x80
	v_cmp_eq_u16_sdwa s[12:13], v3, s4 src0_sel:BYTE_0 src1_sel:DWORD
	s_mov_b64 s[4:5], -1
                                        ; implicit-def: $sgpr10
	s_and_saveexec_b64 s[8:9], s[12:13]
; %bb.2282:
	s_mov_b32 s10, 0x7f800001
	s_xor_b64 s[4:5], exec, -1
; %bb.2283:
	s_or_b64 exec, exec, s[8:9]
	s_and_b64 s[4:5], s[4:5], exec
	s_or_saveexec_b64 s[6:7], s[6:7]
	v_mov_b32_e32 v2, s10
	s_xor_b64 exec, exec, s[6:7]
	s_cbranch_execz .LBB10_234
.LBB10_2284:
	v_mov_b32_e32 v2, 0
	v_cmp_ne_u16_sdwa s[8:9], v3, v2 src0_sel:BYTE_0 src1_sel:DWORD
	s_andn2_b64 s[4:5], s[4:5], exec
	s_and_b64 s[8:9], s[8:9], exec
	s_or_b64 s[4:5], s[4:5], s[8:9]
	s_or_b64 exec, exec, s[6:7]
	s_and_saveexec_b64 s[6:7], s[4:5]
	s_cbranch_execnz .LBB10_235
	s_branch .LBB10_236
.LBB10_2285:
	s_movk_i32 s4, 0x80
	v_cmp_eq_u16_sdwa s[12:13], v3, s4 src0_sel:BYTE_0 src1_sel:DWORD
	s_mov_b64 s[4:5], -1
                                        ; implicit-def: $sgpr10
	s_and_saveexec_b64 s[8:9], s[12:13]
; %bb.2286:
	s_mov_b32 s10, 0x7f800001
	s_xor_b64 s[4:5], exec, -1
; %bb.2287:
	s_or_b64 exec, exec, s[8:9]
	s_and_b64 s[4:5], s[4:5], exec
	s_or_saveexec_b64 s[6:7], s[6:7]
	v_mov_b32_e32 v4, s10
	s_xor_b64 exec, exec, s[6:7]
	s_cbranch_execz .LBB10_238
.LBB10_2288:
	v_mov_b32_e32 v4, 0
	v_cmp_ne_u16_sdwa s[8:9], v3, v4 src0_sel:BYTE_0 src1_sel:DWORD
	s_andn2_b64 s[4:5], s[4:5], exec
	s_and_b64 s[8:9], s[8:9], exec
	s_or_b64 s[4:5], s[4:5], s[8:9]
	s_or_b64 exec, exec, s[6:7]
	s_and_saveexec_b64 s[6:7], s[4:5]
	s_cbranch_execnz .LBB10_239
	s_branch .LBB10_240
.LBB10_2289:
	s_movk_i32 s4, 0x80
	v_cmp_eq_u16_e32 vcc, s4, v3
	s_mov_b64 s[4:5], -1
                                        ; implicit-def: $sgpr10
	s_and_saveexec_b64 s[8:9], vcc
; %bb.2290:
	s_mov_b32 s10, 0x7f800001
	s_xor_b64 s[4:5], exec, -1
; %bb.2291:
	s_or_b64 exec, exec, s[8:9]
	s_and_b64 s[4:5], s[4:5], exec
                                        ; implicit-def: $vgpr3
	s_or_saveexec_b64 s[6:7], s[6:7]
	v_mov_b32_e32 v2, s10
	s_xor_b64 exec, exec, s[6:7]
	s_cbranch_execz .LBB10_242
.LBB10_2292:
	v_cmp_ne_u16_e32 vcc, 0, v3
	s_andn2_b64 s[4:5], s[4:5], exec
	s_and_b64 s[8:9], vcc, exec
	v_mov_b32_e32 v2, 0
	s_or_b64 s[4:5], s[4:5], s[8:9]
	s_or_b64 exec, exec, s[6:7]
	s_and_saveexec_b64 s[6:7], s[4:5]
	s_cbranch_execnz .LBB10_243
	s_branch .LBB10_244
.LBB10_2293:
	s_movk_i32 s4, 0x80
	v_cmp_eq_u16_e32 vcc, s4, v3
	s_mov_b64 s[4:5], -1
                                        ; implicit-def: $sgpr10
	s_and_saveexec_b64 s[8:9], vcc
; %bb.2294:
	s_mov_b32 s10, 0x7f800001
	s_xor_b64 s[4:5], exec, -1
; %bb.2295:
	s_or_b64 exec, exec, s[8:9]
	s_and_b64 s[4:5], s[4:5], exec
                                        ; implicit-def: $vgpr3
	s_or_saveexec_b64 s[6:7], s[6:7]
	v_mov_b32_e32 v4, s10
	s_xor_b64 exec, exec, s[6:7]
	s_cbranch_execz .LBB10_246
.LBB10_2296:
	v_cmp_ne_u16_e32 vcc, 0, v3
	s_andn2_b64 s[4:5], s[4:5], exec
	s_and_b64 s[8:9], vcc, exec
	v_mov_b32_e32 v4, 0
	s_or_b64 s[4:5], s[4:5], s[8:9]
	s_or_b64 exec, exec, s[6:7]
	s_and_saveexec_b64 s[6:7], s[4:5]
	s_cbranch_execnz .LBB10_247
	s_branch .LBB10_248
.LBB10_2297:
	s_movk_i32 s4, 0x80
	v_cmp_eq_u16_sdwa s[12:13], v9, s4 src0_sel:BYTE_3 src1_sel:DWORD
	s_mov_b64 s[4:5], -1
                                        ; implicit-def: $sgpr10
	s_and_saveexec_b64 s[8:9], s[12:13]
; %bb.2298:
	s_mov_b32 s10, 0x7f800001
	s_xor_b64 s[4:5], exec, -1
; %bb.2299:
	s_or_b64 exec, exec, s[8:9]
	s_and_b64 s[4:5], s[4:5], exec
	s_or_saveexec_b64 s[6:7], s[6:7]
	v_mov_b32_e32 v2, s10
	s_xor_b64 exec, exec, s[6:7]
	s_cbranch_execz .LBB10_250
.LBB10_2300:
	v_mov_b32_e32 v2, 0
	v_cmp_ne_u16_sdwa s[8:9], v9, v2 src0_sel:BYTE_3 src1_sel:DWORD
	s_andn2_b64 s[4:5], s[4:5], exec
	s_and_b64 s[8:9], s[8:9], exec
	s_or_b64 s[4:5], s[4:5], s[8:9]
	s_or_b64 exec, exec, s[6:7]
	s_and_saveexec_b64 s[6:7], s[4:5]
	s_cbranch_execnz .LBB10_251
	s_branch .LBB10_252
.LBB10_2301:
	s_movk_i32 s4, 0x80
	v_cmp_eq_u16_sdwa s[12:13], v5, s4 src0_sel:BYTE_3 src1_sel:DWORD
	s_mov_b64 s[4:5], -1
                                        ; implicit-def: $sgpr10
	s_and_saveexec_b64 s[8:9], s[12:13]
; %bb.2302:
	s_mov_b32 s10, 0x7f800001
	s_xor_b64 s[4:5], exec, -1
; %bb.2303:
	s_or_b64 exec, exec, s[8:9]
	s_and_b64 s[4:5], s[4:5], exec
	s_or_saveexec_b64 s[6:7], s[6:7]
	v_mov_b32_e32 v3, s10
	s_xor_b64 exec, exec, s[6:7]
	s_cbranch_execz .LBB10_254
.LBB10_2304:
	v_mov_b32_e32 v3, 0
	v_cmp_ne_u16_sdwa s[8:9], v5, v3 src0_sel:BYTE_3 src1_sel:DWORD
	s_andn2_b64 s[4:5], s[4:5], exec
	s_and_b64 s[8:9], s[8:9], exec
	s_or_b64 s[4:5], s[4:5], s[8:9]
	s_or_b64 exec, exec, s[6:7]
	s_and_saveexec_b64 s[6:7], s[4:5]
	s_cbranch_execnz .LBB10_255
	s_branch .LBB10_256
.LBB10_2305:
	s_movk_i32 s4, 0x80
	v_cmp_eq_u16_sdwa s[12:13], v6, s4 src0_sel:BYTE_0 src1_sel:DWORD
	s_mov_b64 s[4:5], -1
                                        ; implicit-def: $sgpr10
	s_and_saveexec_b64 s[8:9], s[12:13]
; %bb.2306:
	s_mov_b32 s10, 0x7f800001
	s_xor_b64 s[4:5], exec, -1
; %bb.2307:
	s_or_b64 exec, exec, s[8:9]
	s_and_b64 s[4:5], s[4:5], exec
	s_or_saveexec_b64 s[6:7], s[6:7]
	v_mov_b32_e32 v12, s10
	s_xor_b64 exec, exec, s[6:7]
	s_cbranch_execz .LBB10_258
.LBB10_2308:
	v_mov_b32_e32 v12, 0
	v_cmp_ne_u16_sdwa s[8:9], v6, v12 src0_sel:BYTE_0 src1_sel:DWORD
	s_andn2_b64 s[4:5], s[4:5], exec
	s_and_b64 s[8:9], s[8:9], exec
	s_or_b64 s[4:5], s[4:5], s[8:9]
	s_or_b64 exec, exec, s[6:7]
	s_and_saveexec_b64 s[6:7], s[4:5]
	s_cbranch_execnz .LBB10_259
	s_branch .LBB10_260
.LBB10_2309:
	s_movk_i32 s4, 0x80
	v_cmp_eq_u16_sdwa s[12:13], v2, s4 src0_sel:BYTE_0 src1_sel:DWORD
	s_mov_b64 s[4:5], -1
                                        ; implicit-def: $sgpr10
	s_and_saveexec_b64 s[8:9], s[12:13]
; %bb.2310:
	s_mov_b32 s10, 0x7f800001
	s_xor_b64 s[4:5], exec, -1
; %bb.2311:
	s_or_b64 exec, exec, s[8:9]
	s_and_b64 s[4:5], s[4:5], exec
	s_or_saveexec_b64 s[6:7], s[6:7]
	v_mov_b32_e32 v13, s10
	s_xor_b64 exec, exec, s[6:7]
	s_cbranch_execz .LBB10_262
.LBB10_2312:
	v_mov_b32_e32 v13, 0
	v_cmp_ne_u16_sdwa s[8:9], v2, v13 src0_sel:BYTE_0 src1_sel:DWORD
	s_andn2_b64 s[4:5], s[4:5], exec
	s_and_b64 s[8:9], s[8:9], exec
	s_or_b64 s[4:5], s[4:5], s[8:9]
	s_or_b64 exec, exec, s[6:7]
	s_and_saveexec_b64 s[6:7], s[4:5]
	s_cbranch_execnz .LBB10_263
	s_branch .LBB10_264
.LBB10_2313:
	s_movk_i32 s4, 0x80
	v_cmp_eq_u16_sdwa s[12:13], v13, s4 src0_sel:BYTE_0 src1_sel:DWORD
	s_mov_b64 s[4:5], -1
                                        ; implicit-def: $sgpr10
	s_and_saveexec_b64 s[8:9], s[12:13]
; %bb.2314:
	s_mov_b32 s10, 0x7f800001
	s_xor_b64 s[4:5], exec, -1
; %bb.2315:
	s_or_b64 exec, exec, s[8:9]
	s_and_b64 s[4:5], s[4:5], exec
	s_or_saveexec_b64 s[6:7], s[6:7]
	v_mov_b32_e32 v12, s10
	s_xor_b64 exec, exec, s[6:7]
	s_cbranch_execz .LBB10_266
.LBB10_2316:
	v_mov_b32_e32 v12, 0
	v_cmp_ne_u16_sdwa s[8:9], v13, v12 src0_sel:BYTE_0 src1_sel:DWORD
	s_andn2_b64 s[4:5], s[4:5], exec
	s_and_b64 s[8:9], s[8:9], exec
	s_or_b64 s[4:5], s[4:5], s[8:9]
	s_or_b64 exec, exec, s[6:7]
	s_and_saveexec_b64 s[6:7], s[4:5]
	s_cbranch_execnz .LBB10_267
	s_branch .LBB10_268
.LBB10_2317:
	s_movk_i32 s4, 0x80
	v_cmp_eq_u16_sdwa s[12:13], v13, s4 src0_sel:BYTE_0 src1_sel:DWORD
	s_mov_b64 s[4:5], -1
                                        ; implicit-def: $sgpr10
	s_and_saveexec_b64 s[8:9], s[12:13]
; %bb.2318:
	s_mov_b32 s10, 0x7f800001
	s_xor_b64 s[4:5], exec, -1
; %bb.2319:
	s_or_b64 exec, exec, s[8:9]
	s_and_b64 s[4:5], s[4:5], exec
	s_or_saveexec_b64 s[6:7], s[6:7]
	v_mov_b32_e32 v14, s10
	s_xor_b64 exec, exec, s[6:7]
	s_cbranch_execz .LBB10_270
.LBB10_2320:
	v_mov_b32_e32 v14, 0
	v_cmp_ne_u16_sdwa s[8:9], v13, v14 src0_sel:BYTE_0 src1_sel:DWORD
	s_andn2_b64 s[4:5], s[4:5], exec
	s_and_b64 s[8:9], s[8:9], exec
	s_or_b64 s[4:5], s[4:5], s[8:9]
	s_or_b64 exec, exec, s[6:7]
	s_and_saveexec_b64 s[6:7], s[4:5]
	s_cbranch_execnz .LBB10_271
	s_branch .LBB10_272
.LBB10_2321:
	s_movk_i32 s4, 0x80
	v_cmp_eq_u16_e32 vcc, s4, v13
	s_mov_b64 s[4:5], -1
                                        ; implicit-def: $sgpr10
	s_and_saveexec_b64 s[8:9], vcc
; %bb.2322:
	s_mov_b32 s10, 0x7f800001
	s_xor_b64 s[4:5], exec, -1
; %bb.2323:
	s_or_b64 exec, exec, s[8:9]
	s_and_b64 s[4:5], s[4:5], exec
                                        ; implicit-def: $vgpr13
	s_or_saveexec_b64 s[6:7], s[6:7]
	v_mov_b32_e32 v12, s10
	s_xor_b64 exec, exec, s[6:7]
	s_cbranch_execz .LBB10_274
.LBB10_2324:
	v_cmp_ne_u16_e32 vcc, 0, v13
	s_andn2_b64 s[4:5], s[4:5], exec
	s_and_b64 s[8:9], vcc, exec
	v_mov_b32_e32 v12, 0
	s_or_b64 s[4:5], s[4:5], s[8:9]
	s_or_b64 exec, exec, s[6:7]
	s_and_saveexec_b64 s[6:7], s[4:5]
	s_cbranch_execnz .LBB10_275
	s_branch .LBB10_276
.LBB10_2325:
	s_movk_i32 s4, 0x80
	v_cmp_eq_u16_e32 vcc, s4, v13
	s_mov_b64 s[4:5], -1
                                        ; implicit-def: $sgpr10
	s_and_saveexec_b64 s[8:9], vcc
; %bb.2326:
	s_mov_b32 s10, 0x7f800001
	s_xor_b64 s[4:5], exec, -1
; %bb.2327:
	s_or_b64 exec, exec, s[8:9]
	s_and_b64 s[4:5], s[4:5], exec
                                        ; implicit-def: $vgpr13
	s_or_saveexec_b64 s[6:7], s[6:7]
	v_mov_b32_e32 v14, s10
	s_xor_b64 exec, exec, s[6:7]
	s_cbranch_execz .LBB10_278
.LBB10_2328:
	v_cmp_ne_u16_e32 vcc, 0, v13
	s_andn2_b64 s[4:5], s[4:5], exec
	s_and_b64 s[8:9], vcc, exec
	v_mov_b32_e32 v14, 0
	s_or_b64 s[4:5], s[4:5], s[8:9]
	s_or_b64 exec, exec, s[6:7]
	s_and_saveexec_b64 s[6:7], s[4:5]
	s_cbranch_execnz .LBB10_279
	s_branch .LBB10_280
.LBB10_2329:
	s_movk_i32 s4, 0x80
	v_cmp_eq_u16_sdwa s[12:13], v6, s4 src0_sel:BYTE_3 src1_sel:DWORD
	s_mov_b64 s[4:5], -1
                                        ; implicit-def: $sgpr10
	s_and_saveexec_b64 s[8:9], s[12:13]
; %bb.2330:
	s_mov_b32 s10, 0x7f800001
	s_xor_b64 s[4:5], exec, -1
; %bb.2331:
	s_or_b64 exec, exec, s[8:9]
	s_and_b64 s[4:5], s[4:5], exec
	s_or_saveexec_b64 s[6:7], s[6:7]
	v_mov_b32_e32 v12, s10
	s_xor_b64 exec, exec, s[6:7]
	s_cbranch_execz .LBB10_282
.LBB10_2332:
	v_mov_b32_e32 v12, 0
	v_cmp_ne_u16_sdwa s[8:9], v6, v12 src0_sel:BYTE_3 src1_sel:DWORD
	s_andn2_b64 s[4:5], s[4:5], exec
	s_and_b64 s[8:9], s[8:9], exec
	s_or_b64 s[4:5], s[4:5], s[8:9]
	s_or_b64 exec, exec, s[6:7]
	s_and_saveexec_b64 s[6:7], s[4:5]
	s_cbranch_execnz .LBB10_283
	s_branch .LBB10_284
.LBB10_2333:
	s_movk_i32 s4, 0x80
	v_cmp_eq_u16_sdwa s[12:13], v2, s4 src0_sel:BYTE_3 src1_sel:DWORD
	s_mov_b64 s[4:5], -1
                                        ; implicit-def: $sgpr10
	s_and_saveexec_b64 s[8:9], s[12:13]
; %bb.2334:
	s_mov_b32 s10, 0x7f800001
	s_xor_b64 s[4:5], exec, -1
; %bb.2335:
	s_or_b64 exec, exec, s[8:9]
	s_and_b64 s[4:5], s[4:5], exec
	s_or_saveexec_b64 s[6:7], s[6:7]
	v_mov_b32_e32 v6, s10
	s_xor_b64 exec, exec, s[6:7]
	s_cbranch_execz .LBB10_286
.LBB10_2336:
	v_mov_b32_e32 v6, 0
	v_cmp_ne_u16_sdwa s[8:9], v2, v6 src0_sel:BYTE_3 src1_sel:DWORD
	s_andn2_b64 s[4:5], s[4:5], exec
	s_and_b64 s[8:9], s[8:9], exec
	s_or_b64 s[4:5], s[4:5], s[8:9]
	s_or_b64 exec, exec, s[6:7]
	s_and_saveexec_b64 s[6:7], s[4:5]
	s_cbranch_execnz .LBB10_287
	s_branch .LBB10_288
.LBB10_2337:
	s_movk_i32 s4, 0x80
	v_cmp_eq_u16_sdwa s[12:13], v7, s4 src0_sel:BYTE_0 src1_sel:DWORD
	s_mov_b64 s[4:5], -1
                                        ; implicit-def: $sgpr10
	s_and_saveexec_b64 s[8:9], s[12:13]
; %bb.2338:
	s_mov_b32 s10, 0x7f800001
	s_xor_b64 s[4:5], exec, -1
; %bb.2339:
	s_or_b64 exec, exec, s[8:9]
	s_and_b64 s[4:5], s[4:5], exec
	s_or_saveexec_b64 s[6:7], s[6:7]
	v_mov_b32_e32 v2, s10
	s_xor_b64 exec, exec, s[6:7]
	s_cbranch_execz .LBB10_290
.LBB10_2340:
	v_mov_b32_e32 v2, 0
	v_cmp_ne_u16_sdwa s[8:9], v7, v2 src0_sel:BYTE_0 src1_sel:DWORD
	s_andn2_b64 s[4:5], s[4:5], exec
	s_and_b64 s[8:9], s[8:9], exec
	s_or_b64 s[4:5], s[4:5], s[8:9]
	s_or_b64 exec, exec, s[6:7]
	s_and_saveexec_b64 s[6:7], s[4:5]
	s_cbranch_execnz .LBB10_291
	s_branch .LBB10_292
.LBB10_2341:
	s_movk_i32 s4, 0x80
	v_cmp_eq_u16_sdwa s[12:13], v3, s4 src0_sel:BYTE_0 src1_sel:DWORD
	s_mov_b64 s[4:5], -1
                                        ; implicit-def: $sgpr10
	s_and_saveexec_b64 s[8:9], s[12:13]
; %bb.2342:
	s_mov_b32 s10, 0x7f800001
	s_xor_b64 s[4:5], exec, -1
; %bb.2343:
	s_or_b64 exec, exec, s[8:9]
	s_and_b64 s[4:5], s[4:5], exec
	s_or_saveexec_b64 s[6:7], s[6:7]
	v_mov_b32_e32 v6, s10
	s_xor_b64 exec, exec, s[6:7]
	s_cbranch_execz .LBB10_294
.LBB10_2344:
	v_mov_b32_e32 v6, 0
	v_cmp_ne_u16_sdwa s[8:9], v3, v6 src0_sel:BYTE_0 src1_sel:DWORD
	s_andn2_b64 s[4:5], s[4:5], exec
	s_and_b64 s[8:9], s[8:9], exec
	s_or_b64 s[4:5], s[4:5], s[8:9]
	s_or_b64 exec, exec, s[6:7]
	s_and_saveexec_b64 s[6:7], s[4:5]
	s_cbranch_execnz .LBB10_295
	s_branch .LBB10_296
.LBB10_2345:
	s_movk_i32 s4, 0x80
	v_cmp_eq_u16_sdwa s[12:13], v6, s4 src0_sel:BYTE_0 src1_sel:DWORD
	s_mov_b64 s[4:5], -1
                                        ; implicit-def: $sgpr10
	s_and_saveexec_b64 s[8:9], s[12:13]
; %bb.2346:
	s_mov_b32 s10, 0x7f800001
	s_xor_b64 s[4:5], exec, -1
; %bb.2347:
	s_or_b64 exec, exec, s[8:9]
	s_and_b64 s[4:5], s[4:5], exec
	s_or_saveexec_b64 s[6:7], s[6:7]
	v_mov_b32_e32 v2, s10
	s_xor_b64 exec, exec, s[6:7]
	s_cbranch_execz .LBB10_298
.LBB10_2348:
	v_mov_b32_e32 v2, 0
	v_cmp_ne_u16_sdwa s[8:9], v6, v2 src0_sel:BYTE_0 src1_sel:DWORD
	s_andn2_b64 s[4:5], s[4:5], exec
	s_and_b64 s[8:9], s[8:9], exec
	s_or_b64 s[4:5], s[4:5], s[8:9]
	s_or_b64 exec, exec, s[6:7]
	s_and_saveexec_b64 s[6:7], s[4:5]
	s_cbranch_execnz .LBB10_299
	s_branch .LBB10_300
.LBB10_2349:
	s_movk_i32 s4, 0x80
	v_cmp_eq_u16_sdwa s[12:13], v6, s4 src0_sel:BYTE_0 src1_sel:DWORD
	s_mov_b64 s[4:5], -1
                                        ; implicit-def: $sgpr10
	s_and_saveexec_b64 s[8:9], s[12:13]
; %bb.2350:
	s_mov_b32 s10, 0x7f800001
	s_xor_b64 s[4:5], exec, -1
; %bb.2351:
	s_or_b64 exec, exec, s[8:9]
	s_and_b64 s[4:5], s[4:5], exec
	s_or_saveexec_b64 s[6:7], s[6:7]
	v_mov_b32_e32 v12, s10
	s_xor_b64 exec, exec, s[6:7]
	s_cbranch_execz .LBB10_302
.LBB10_2352:
	v_mov_b32_e32 v12, 0
	v_cmp_ne_u16_sdwa s[8:9], v6, v12 src0_sel:BYTE_0 src1_sel:DWORD
	s_andn2_b64 s[4:5], s[4:5], exec
	s_and_b64 s[8:9], s[8:9], exec
	s_or_b64 s[4:5], s[4:5], s[8:9]
	s_or_b64 exec, exec, s[6:7]
	s_and_saveexec_b64 s[6:7], s[4:5]
	s_cbranch_execnz .LBB10_303
	s_branch .LBB10_304
.LBB10_2353:
	s_movk_i32 s4, 0x80
	v_cmp_eq_u16_e32 vcc, s4, v6
	s_mov_b64 s[4:5], -1
                                        ; implicit-def: $sgpr10
	s_and_saveexec_b64 s[8:9], vcc
; %bb.2354:
	s_mov_b32 s10, 0x7f800001
	s_xor_b64 s[4:5], exec, -1
; %bb.2355:
	s_or_b64 exec, exec, s[8:9]
	s_and_b64 s[4:5], s[4:5], exec
                                        ; implicit-def: $vgpr6
	s_or_saveexec_b64 s[6:7], s[6:7]
	v_mov_b32_e32 v2, s10
	s_xor_b64 exec, exec, s[6:7]
	s_cbranch_execz .LBB10_306
.LBB10_2356:
	v_cmp_ne_u16_e32 vcc, 0, v6
	s_andn2_b64 s[4:5], s[4:5], exec
	s_and_b64 s[8:9], vcc, exec
	v_mov_b32_e32 v2, 0
	s_or_b64 s[4:5], s[4:5], s[8:9]
	s_or_b64 exec, exec, s[6:7]
	s_and_saveexec_b64 s[6:7], s[4:5]
	s_cbranch_execnz .LBB10_307
	s_branch .LBB10_308
.LBB10_2357:
	s_movk_i32 s4, 0x80
	v_cmp_eq_u16_e32 vcc, s4, v6
	s_mov_b64 s[4:5], -1
                                        ; implicit-def: $sgpr10
	s_and_saveexec_b64 s[8:9], vcc
; %bb.2358:
	s_mov_b32 s10, 0x7f800001
	s_xor_b64 s[4:5], exec, -1
; %bb.2359:
	s_or_b64 exec, exec, s[8:9]
	s_and_b64 s[4:5], s[4:5], exec
                                        ; implicit-def: $vgpr6
	s_or_saveexec_b64 s[6:7], s[6:7]
	v_mov_b32_e32 v12, s10
	s_xor_b64 exec, exec, s[6:7]
	s_cbranch_execz .LBB10_310
.LBB10_2360:
	v_cmp_ne_u16_e32 vcc, 0, v6
	s_andn2_b64 s[4:5], s[4:5], exec
	s_and_b64 s[8:9], vcc, exec
	v_mov_b32_e32 v12, 0
	s_or_b64 s[4:5], s[4:5], s[8:9]
	s_or_b64 exec, exec, s[6:7]
	s_and_saveexec_b64 s[6:7], s[4:5]
	s_cbranch_execnz .LBB10_311
	s_branch .LBB10_312
.LBB10_2361:
	s_movk_i32 s4, 0x80
	v_cmp_eq_u16_sdwa s[12:13], v7, s4 src0_sel:BYTE_3 src1_sel:DWORD
	s_mov_b64 s[4:5], -1
                                        ; implicit-def: $sgpr10
	s_and_saveexec_b64 s[8:9], s[12:13]
; %bb.2362:
	s_mov_b32 s10, 0x7f800001
	s_xor_b64 s[4:5], exec, -1
; %bb.2363:
	s_or_b64 exec, exec, s[8:9]
	s_and_b64 s[4:5], s[4:5], exec
	s_or_saveexec_b64 s[6:7], s[6:7]
	v_mov_b32_e32 v2, s10
	s_xor_b64 exec, exec, s[6:7]
	s_cbranch_execz .LBB10_314
.LBB10_2364:
	v_mov_b32_e32 v2, 0
	v_cmp_ne_u16_sdwa s[8:9], v7, v2 src0_sel:BYTE_3 src1_sel:DWORD
	s_andn2_b64 s[4:5], s[4:5], exec
	s_and_b64 s[8:9], s[8:9], exec
	s_or_b64 s[4:5], s[4:5], s[8:9]
	s_or_b64 exec, exec, s[6:7]
	s_and_saveexec_b64 s[6:7], s[4:5]
	s_cbranch_execnz .LBB10_315
	s_branch .LBB10_316
.LBB10_2365:
	s_movk_i32 s4, 0x80
	v_cmp_eq_u16_sdwa s[12:13], v3, s4 src0_sel:BYTE_3 src1_sel:DWORD
	s_mov_b64 s[4:5], -1
                                        ; implicit-def: $sgpr10
	s_and_saveexec_b64 s[8:9], s[12:13]
; %bb.2366:
	s_mov_b32 s10, 0x7f800001
	s_xor_b64 s[4:5], exec, -1
; %bb.2367:
	s_or_b64 exec, exec, s[8:9]
	s_and_b64 s[4:5], s[4:5], exec
	s_or_saveexec_b64 s[6:7], s[6:7]
	v_mov_b32_e32 v6, s10
	s_xor_b64 exec, exec, s[6:7]
	s_cbranch_execz .LBB10_318
.LBB10_2368:
	v_mov_b32_e32 v6, 0
	v_cmp_ne_u16_sdwa s[8:9], v3, v6 src0_sel:BYTE_3 src1_sel:DWORD
	s_andn2_b64 s[4:5], s[4:5], exec
	s_and_b64 s[8:9], s[8:9], exec
	s_or_b64 s[4:5], s[4:5], s[8:9]
	s_or_b64 exec, exec, s[6:7]
	s_and_saveexec_b64 s[6:7], s[4:5]
	s_cbranch_execnz .LBB10_319
	s_branch .LBB10_320
.LBB10_2369:
	s_movk_i32 s4, 0x80
	v_cmp_eq_u16_sdwa s[12:13], v8, s4 src0_sel:BYTE_0 src1_sel:DWORD
	s_mov_b64 s[4:5], -1
                                        ; implicit-def: $sgpr10
	s_and_saveexec_b64 s[8:9], s[12:13]
; %bb.2370:
	s_mov_b32 s10, 0x7f800001
	s_xor_b64 s[4:5], exec, -1
; %bb.2371:
	s_or_b64 exec, exec, s[8:9]
	s_and_b64 s[4:5], s[4:5], exec
	s_or_saveexec_b64 s[6:7], s[6:7]
	v_mov_b32_e32 v2, s10
	s_xor_b64 exec, exec, s[6:7]
	s_cbranch_execz .LBB10_322
.LBB10_2372:
	v_mov_b32_e32 v2, 0
	v_cmp_ne_u16_sdwa s[8:9], v8, v2 src0_sel:BYTE_0 src1_sel:DWORD
	s_andn2_b64 s[4:5], s[4:5], exec
	s_and_b64 s[8:9], s[8:9], exec
	s_or_b64 s[4:5], s[4:5], s[8:9]
	s_or_b64 exec, exec, s[6:7]
	s_and_saveexec_b64 s[6:7], s[4:5]
	s_cbranch_execnz .LBB10_323
	s_branch .LBB10_324
.LBB10_2373:
	s_movk_i32 s4, 0x80
	v_cmp_eq_u16_sdwa s[12:13], v4, s4 src0_sel:BYTE_0 src1_sel:DWORD
	s_mov_b64 s[4:5], -1
                                        ; implicit-def: $sgpr10
	s_and_saveexec_b64 s[8:9], s[12:13]
; %bb.2374:
	s_mov_b32 s10, 0x7f800001
	s_xor_b64 s[4:5], exec, -1
; %bb.2375:
	s_or_b64 exec, exec, s[8:9]
	s_and_b64 s[4:5], s[4:5], exec
	s_or_saveexec_b64 s[6:7], s[6:7]
	v_mov_b32_e32 v3, s10
	s_xor_b64 exec, exec, s[6:7]
	s_cbranch_execz .LBB10_326
.LBB10_2376:
	v_mov_b32_e32 v3, 0
	v_cmp_ne_u16_sdwa s[8:9], v4, v3 src0_sel:BYTE_0 src1_sel:DWORD
	s_andn2_b64 s[4:5], s[4:5], exec
	s_and_b64 s[8:9], s[8:9], exec
	s_or_b64 s[4:5], s[4:5], s[8:9]
	s_or_b64 exec, exec, s[6:7]
	s_and_saveexec_b64 s[6:7], s[4:5]
	s_cbranch_execnz .LBB10_327
	s_branch .LBB10_328
.LBB10_2377:
	s_movk_i32 s4, 0x80
	v_cmp_eq_u16_sdwa s[12:13], v3, s4 src0_sel:BYTE_0 src1_sel:DWORD
	s_mov_b64 s[4:5], -1
                                        ; implicit-def: $sgpr10
	s_and_saveexec_b64 s[8:9], s[12:13]
; %bb.2378:
	s_mov_b32 s10, 0x7f800001
	s_xor_b64 s[4:5], exec, -1
; %bb.2379:
	s_or_b64 exec, exec, s[8:9]
	s_and_b64 s[4:5], s[4:5], exec
	s_or_saveexec_b64 s[6:7], s[6:7]
	v_mov_b32_e32 v2, s10
	s_xor_b64 exec, exec, s[6:7]
	s_cbranch_execz .LBB10_330
.LBB10_2380:
	v_mov_b32_e32 v2, 0
	v_cmp_ne_u16_sdwa s[8:9], v3, v2 src0_sel:BYTE_0 src1_sel:DWORD
	s_andn2_b64 s[4:5], s[4:5], exec
	s_and_b64 s[8:9], s[8:9], exec
	s_or_b64 s[4:5], s[4:5], s[8:9]
	s_or_b64 exec, exec, s[6:7]
	s_and_saveexec_b64 s[6:7], s[4:5]
	s_cbranch_execnz .LBB10_331
	s_branch .LBB10_332
.LBB10_2381:
	s_movk_i32 s4, 0x80
	v_cmp_eq_u16_sdwa s[12:13], v3, s4 src0_sel:BYTE_0 src1_sel:DWORD
	s_mov_b64 s[4:5], -1
                                        ; implicit-def: $sgpr10
	s_and_saveexec_b64 s[8:9], s[12:13]
; %bb.2382:
	s_mov_b32 s10, 0x7f800001
	s_xor_b64 s[4:5], exec, -1
; %bb.2383:
	s_or_b64 exec, exec, s[8:9]
	s_and_b64 s[4:5], s[4:5], exec
	s_or_saveexec_b64 s[6:7], s[6:7]
	v_mov_b32_e32 v6, s10
	s_xor_b64 exec, exec, s[6:7]
	s_cbranch_execz .LBB10_334
.LBB10_2384:
	v_mov_b32_e32 v6, 0
	v_cmp_ne_u16_sdwa s[8:9], v3, v6 src0_sel:BYTE_0 src1_sel:DWORD
	s_andn2_b64 s[4:5], s[4:5], exec
	s_and_b64 s[8:9], s[8:9], exec
	s_or_b64 s[4:5], s[4:5], s[8:9]
	s_or_b64 exec, exec, s[6:7]
	s_and_saveexec_b64 s[6:7], s[4:5]
	s_cbranch_execnz .LBB10_335
	s_branch .LBB10_336
.LBB10_2385:
	s_movk_i32 s4, 0x80
	v_cmp_eq_u16_e32 vcc, s4, v3
	s_mov_b64 s[4:5], -1
                                        ; implicit-def: $sgpr10
	s_and_saveexec_b64 s[8:9], vcc
; %bb.2386:
	s_mov_b32 s10, 0x7f800001
	s_xor_b64 s[4:5], exec, -1
; %bb.2387:
	s_or_b64 exec, exec, s[8:9]
	s_and_b64 s[4:5], s[4:5], exec
                                        ; implicit-def: $vgpr3
	s_or_saveexec_b64 s[6:7], s[6:7]
	v_mov_b32_e32 v2, s10
	s_xor_b64 exec, exec, s[6:7]
	s_cbranch_execz .LBB10_338
.LBB10_2388:
	v_cmp_ne_u16_e32 vcc, 0, v3
	s_andn2_b64 s[4:5], s[4:5], exec
	s_and_b64 s[8:9], vcc, exec
	v_mov_b32_e32 v2, 0
	s_or_b64 s[4:5], s[4:5], s[8:9]
	s_or_b64 exec, exec, s[6:7]
	s_and_saveexec_b64 s[6:7], s[4:5]
	s_cbranch_execnz .LBB10_339
	s_branch .LBB10_340
.LBB10_2389:
	s_movk_i32 s4, 0x80
	v_cmp_eq_u16_e32 vcc, s4, v3
	s_mov_b64 s[4:5], -1
                                        ; implicit-def: $sgpr10
	s_and_saveexec_b64 s[8:9], vcc
; %bb.2390:
	s_mov_b32 s10, 0x7f800001
	s_xor_b64 s[4:5], exec, -1
; %bb.2391:
	s_or_b64 exec, exec, s[8:9]
	s_and_b64 s[4:5], s[4:5], exec
                                        ; implicit-def: $vgpr3
	s_or_saveexec_b64 s[6:7], s[6:7]
	v_mov_b32_e32 v6, s10
	s_xor_b64 exec, exec, s[6:7]
	s_cbranch_execz .LBB10_342
.LBB10_2392:
	v_cmp_ne_u16_e32 vcc, 0, v3
	s_andn2_b64 s[4:5], s[4:5], exec
	s_and_b64 s[8:9], vcc, exec
	v_mov_b32_e32 v6, 0
	s_or_b64 s[4:5], s[4:5], s[8:9]
	s_or_b64 exec, exec, s[6:7]
	s_and_saveexec_b64 s[6:7], s[4:5]
	s_cbranch_execnz .LBB10_343
	s_branch .LBB10_344
.LBB10_2393:
	s_movk_i32 s4, 0x80
	v_cmp_eq_u16_sdwa s[12:13], v8, s4 src0_sel:BYTE_3 src1_sel:DWORD
	s_mov_b64 s[4:5], -1
                                        ; implicit-def: $sgpr10
	s_and_saveexec_b64 s[8:9], s[12:13]
; %bb.2394:
	s_mov_b32 s10, 0x7f800001
	s_xor_b64 s[4:5], exec, -1
; %bb.2395:
	s_or_b64 exec, exec, s[8:9]
	s_and_b64 s[4:5], s[4:5], exec
	s_or_saveexec_b64 s[6:7], s[6:7]
	v_mov_b32_e32 v2, s10
	s_xor_b64 exec, exec, s[6:7]
	s_cbranch_execz .LBB10_346
.LBB10_2396:
	v_mov_b32_e32 v2, 0
	v_cmp_ne_u16_sdwa s[8:9], v8, v2 src0_sel:BYTE_3 src1_sel:DWORD
	s_andn2_b64 s[4:5], s[4:5], exec
	s_and_b64 s[8:9], s[8:9], exec
	s_or_b64 s[4:5], s[4:5], s[8:9]
	s_or_b64 exec, exec, s[6:7]
	s_and_saveexec_b64 s[6:7], s[4:5]
	s_cbranch_execnz .LBB10_347
	s_branch .LBB10_348
.LBB10_2397:
	s_movk_i32 s4, 0x80
	v_cmp_eq_u16_sdwa s[12:13], v4, s4 src0_sel:BYTE_3 src1_sel:DWORD
	s_mov_b64 s[4:5], -1
                                        ; implicit-def: $sgpr10
	s_and_saveexec_b64 s[8:9], s[12:13]
; %bb.2398:
	s_mov_b32 s10, 0x7f800001
	s_xor_b64 s[4:5], exec, -1
; %bb.2399:
	s_or_b64 exec, exec, s[8:9]
	s_and_b64 s[4:5], s[4:5], exec
	s_or_saveexec_b64 s[6:7], s[6:7]
	v_mov_b32_e32 v3, s10
	s_xor_b64 exec, exec, s[6:7]
	s_cbranch_execz .LBB10_350
.LBB10_2400:
	v_mov_b32_e32 v3, 0
	v_cmp_ne_u16_sdwa s[8:9], v4, v3 src0_sel:BYTE_3 src1_sel:DWORD
	s_andn2_b64 s[4:5], s[4:5], exec
	s_and_b64 s[8:9], s[8:9], exec
	s_or_b64 s[4:5], s[4:5], s[8:9]
	s_or_b64 exec, exec, s[6:7]
	s_and_saveexec_b64 s[6:7], s[4:5]
	s_cbranch_execnz .LBB10_351
	s_branch .LBB10_352
.LBB10_2401:
	s_movk_i32 s4, 0x80
	v_cmp_eq_u16_sdwa s[12:13], v9, s4 src0_sel:BYTE_0 src1_sel:DWORD
	s_mov_b64 s[4:5], -1
                                        ; implicit-def: $sgpr10
	s_and_saveexec_b64 s[8:9], s[12:13]
; %bb.2402:
	s_mov_b32 s10, 0x7f800001
	s_xor_b64 s[4:5], exec, -1
; %bb.2403:
	s_or_b64 exec, exec, s[8:9]
	s_and_b64 s[4:5], s[4:5], exec
	s_or_saveexec_b64 s[6:7], s[6:7]
	v_mov_b32_e32 v2, s10
	s_xor_b64 exec, exec, s[6:7]
	s_cbranch_execz .LBB10_354
.LBB10_2404:
	v_mov_b32_e32 v2, 0
	v_cmp_ne_u16_sdwa s[8:9], v9, v2 src0_sel:BYTE_0 src1_sel:DWORD
	s_andn2_b64 s[4:5], s[4:5], exec
	s_and_b64 s[8:9], s[8:9], exec
	s_or_b64 s[4:5], s[4:5], s[8:9]
	s_or_b64 exec, exec, s[6:7]
	s_and_saveexec_b64 s[6:7], s[4:5]
	s_cbranch_execnz .LBB10_355
	s_branch .LBB10_356
.LBB10_2405:
	s_movk_i32 s4, 0x80
	v_cmp_eq_u16_sdwa s[12:13], v5, s4 src0_sel:BYTE_0 src1_sel:DWORD
	s_mov_b64 s[4:5], -1
                                        ; implicit-def: $sgpr10
	s_and_saveexec_b64 s[8:9], s[12:13]
; %bb.2406:
	s_mov_b32 s10, 0x7f800001
	s_xor_b64 s[4:5], exec, -1
; %bb.2407:
	s_or_b64 exec, exec, s[8:9]
	s_and_b64 s[4:5], s[4:5], exec
	s_or_saveexec_b64 s[6:7], s[6:7]
	v_mov_b32_e32 v3, s10
	s_xor_b64 exec, exec, s[6:7]
	s_cbranch_execz .LBB10_358
.LBB10_2408:
	v_mov_b32_e32 v3, 0
	v_cmp_ne_u16_sdwa s[8:9], v5, v3 src0_sel:BYTE_0 src1_sel:DWORD
	s_andn2_b64 s[4:5], s[4:5], exec
	s_and_b64 s[8:9], s[8:9], exec
	s_or_b64 s[4:5], s[4:5], s[8:9]
	s_or_b64 exec, exec, s[6:7]
	s_and_saveexec_b64 s[6:7], s[4:5]
	s_cbranch_execnz .LBB10_359
	s_branch .LBB10_360
.LBB10_2409:
	s_movk_i32 s4, 0x80
	v_cmp_eq_u16_sdwa s[12:13], v3, s4 src0_sel:BYTE_0 src1_sel:DWORD
	s_mov_b64 s[4:5], -1
                                        ; implicit-def: $sgpr10
	s_and_saveexec_b64 s[8:9], s[12:13]
; %bb.2410:
	s_mov_b32 s10, 0x7f800001
	s_xor_b64 s[4:5], exec, -1
; %bb.2411:
	s_or_b64 exec, exec, s[8:9]
	s_and_b64 s[4:5], s[4:5], exec
	s_or_saveexec_b64 s[6:7], s[6:7]
	v_mov_b32_e32 v2, s10
	s_xor_b64 exec, exec, s[6:7]
	s_cbranch_execz .LBB10_362
.LBB10_2412:
	v_mov_b32_e32 v2, 0
	v_cmp_ne_u16_sdwa s[8:9], v3, v2 src0_sel:BYTE_0 src1_sel:DWORD
	s_andn2_b64 s[4:5], s[4:5], exec
	s_and_b64 s[8:9], s[8:9], exec
	s_or_b64 s[4:5], s[4:5], s[8:9]
	s_or_b64 exec, exec, s[6:7]
	s_and_saveexec_b64 s[6:7], s[4:5]
	s_cbranch_execnz .LBB10_363
	s_branch .LBB10_364
.LBB10_2413:
	s_movk_i32 s4, 0x80
	v_cmp_eq_u16_sdwa s[12:13], v3, s4 src0_sel:BYTE_0 src1_sel:DWORD
	s_mov_b64 s[4:5], -1
                                        ; implicit-def: $sgpr10
	s_and_saveexec_b64 s[8:9], s[12:13]
; %bb.2414:
	s_mov_b32 s10, 0x7f800001
	s_xor_b64 s[4:5], exec, -1
; %bb.2415:
	s_or_b64 exec, exec, s[8:9]
	s_and_b64 s[4:5], s[4:5], exec
	s_or_saveexec_b64 s[6:7], s[6:7]
	v_mov_b32_e32 v4, s10
	s_xor_b64 exec, exec, s[6:7]
	s_cbranch_execz .LBB10_366
.LBB10_2416:
	v_mov_b32_e32 v4, 0
	v_cmp_ne_u16_sdwa s[8:9], v3, v4 src0_sel:BYTE_0 src1_sel:DWORD
	s_andn2_b64 s[4:5], s[4:5], exec
	s_and_b64 s[8:9], s[8:9], exec
	s_or_b64 s[4:5], s[4:5], s[8:9]
	s_or_b64 exec, exec, s[6:7]
	s_and_saveexec_b64 s[6:7], s[4:5]
	s_cbranch_execnz .LBB10_367
	s_branch .LBB10_368
.LBB10_2417:
	s_movk_i32 s4, 0x80
	v_cmp_eq_u16_e32 vcc, s4, v3
	s_mov_b64 s[4:5], -1
                                        ; implicit-def: $sgpr10
	s_and_saveexec_b64 s[8:9], vcc
; %bb.2418:
	s_mov_b32 s10, 0x7f800001
	s_xor_b64 s[4:5], exec, -1
; %bb.2419:
	s_or_b64 exec, exec, s[8:9]
	s_and_b64 s[4:5], s[4:5], exec
                                        ; implicit-def: $vgpr3
	s_or_saveexec_b64 s[6:7], s[6:7]
	v_mov_b32_e32 v2, s10
	s_xor_b64 exec, exec, s[6:7]
	s_cbranch_execz .LBB10_370
.LBB10_2420:
	v_cmp_ne_u16_e32 vcc, 0, v3
	s_andn2_b64 s[4:5], s[4:5], exec
	s_and_b64 s[8:9], vcc, exec
	v_mov_b32_e32 v2, 0
	s_or_b64 s[4:5], s[4:5], s[8:9]
	s_or_b64 exec, exec, s[6:7]
	s_and_saveexec_b64 s[6:7], s[4:5]
	s_cbranch_execnz .LBB10_371
	s_branch .LBB10_372
.LBB10_2421:
	s_movk_i32 s4, 0x80
	v_cmp_eq_u16_e32 vcc, s4, v3
	s_mov_b64 s[4:5], -1
                                        ; implicit-def: $sgpr10
	s_and_saveexec_b64 s[8:9], vcc
; %bb.2422:
	s_mov_b32 s10, 0x7f800001
	s_xor_b64 s[4:5], exec, -1
; %bb.2423:
	s_or_b64 exec, exec, s[8:9]
	s_and_b64 s[4:5], s[4:5], exec
                                        ; implicit-def: $vgpr3
	s_or_saveexec_b64 s[6:7], s[6:7]
	v_mov_b32_e32 v4, s10
	s_xor_b64 exec, exec, s[6:7]
	s_cbranch_execz .LBB10_374
.LBB10_2424:
	v_cmp_ne_u16_e32 vcc, 0, v3
	s_andn2_b64 s[4:5], s[4:5], exec
	s_and_b64 s[8:9], vcc, exec
	v_mov_b32_e32 v4, 0
	s_or_b64 s[4:5], s[4:5], s[8:9]
	s_or_b64 exec, exec, s[6:7]
	s_and_saveexec_b64 s[6:7], s[4:5]
	s_cbranch_execnz .LBB10_375
	s_branch .LBB10_376
.LBB10_2425:
	s_movk_i32 s4, 0x80
	v_cmp_eq_u16_sdwa s[12:13], v9, s4 src0_sel:BYTE_3 src1_sel:DWORD
	s_mov_b64 s[4:5], -1
                                        ; implicit-def: $sgpr10
	s_and_saveexec_b64 s[8:9], s[12:13]
; %bb.2426:
	s_mov_b32 s10, 0x7f800001
	s_xor_b64 s[4:5], exec, -1
; %bb.2427:
	s_or_b64 exec, exec, s[8:9]
	s_and_b64 s[4:5], s[4:5], exec
	s_or_saveexec_b64 s[6:7], s[6:7]
	v_mov_b32_e32 v2, s10
	s_xor_b64 exec, exec, s[6:7]
	s_cbranch_execz .LBB10_378
.LBB10_2428:
	v_mov_b32_e32 v2, 0
	v_cmp_ne_u16_sdwa s[8:9], v9, v2 src0_sel:BYTE_3 src1_sel:DWORD
	s_andn2_b64 s[4:5], s[4:5], exec
	s_and_b64 s[8:9], s[8:9], exec
	s_or_b64 s[4:5], s[4:5], s[8:9]
	s_or_b64 exec, exec, s[6:7]
	s_and_saveexec_b64 s[6:7], s[4:5]
	s_cbranch_execnz .LBB10_379
	s_branch .LBB10_380
.LBB10_2429:
	s_movk_i32 s4, 0x80
	v_cmp_eq_u16_sdwa s[12:13], v5, s4 src0_sel:BYTE_3 src1_sel:DWORD
	s_mov_b64 s[4:5], -1
                                        ; implicit-def: $sgpr10
	s_and_saveexec_b64 s[8:9], s[12:13]
; %bb.2430:
	s_mov_b32 s10, 0x7f800001
	s_xor_b64 s[4:5], exec, -1
; %bb.2431:
	s_or_b64 exec, exec, s[8:9]
	s_and_b64 s[4:5], s[4:5], exec
	s_or_saveexec_b64 s[6:7], s[6:7]
	v_mov_b32_e32 v3, s10
	s_xor_b64 exec, exec, s[6:7]
	s_cbranch_execz .LBB10_382
.LBB10_2432:
	v_mov_b32_e32 v3, 0
	v_cmp_ne_u16_sdwa s[8:9], v5, v3 src0_sel:BYTE_3 src1_sel:DWORD
	s_andn2_b64 s[4:5], s[4:5], exec
	s_and_b64 s[8:9], s[8:9], exec
	s_or_b64 s[4:5], s[4:5], s[8:9]
	s_or_b64 exec, exec, s[6:7]
	s_and_saveexec_b64 s[6:7], s[4:5]
	s_cbranch_execnz .LBB10_383
	s_branch .LBB10_384
.LBB10_2433:
	s_movk_i32 s4, 0x80
	v_cmp_eq_u16_sdwa s[12:13], v6, s4 src0_sel:BYTE_0 src1_sel:DWORD
	s_mov_b64 s[4:5], -1
                                        ; implicit-def: $sgpr10
	s_and_saveexec_b64 s[8:9], s[12:13]
; %bb.2434:
	s_mov_b32 s10, 0x7f800001
	s_xor_b64 s[4:5], exec, -1
; %bb.2435:
	s_or_b64 exec, exec, s[8:9]
	s_and_b64 s[4:5], s[4:5], exec
	s_or_saveexec_b64 s[6:7], s[6:7]
	v_mov_b32_e32 v12, s10
	s_xor_b64 exec, exec, s[6:7]
	s_cbranch_execz .LBB10_386
.LBB10_2436:
	v_mov_b32_e32 v12, 0
	v_cmp_ne_u16_sdwa s[8:9], v6, v12 src0_sel:BYTE_0 src1_sel:DWORD
	s_andn2_b64 s[4:5], s[4:5], exec
	s_and_b64 s[8:9], s[8:9], exec
	s_or_b64 s[4:5], s[4:5], s[8:9]
	s_or_b64 exec, exec, s[6:7]
	s_and_saveexec_b64 s[6:7], s[4:5]
	s_cbranch_execnz .LBB10_387
	s_branch .LBB10_388
.LBB10_2437:
	s_movk_i32 s4, 0x80
	v_cmp_eq_u16_sdwa s[12:13], v2, s4 src0_sel:BYTE_0 src1_sel:DWORD
	s_mov_b64 s[4:5], -1
                                        ; implicit-def: $sgpr10
	s_and_saveexec_b64 s[8:9], s[12:13]
; %bb.2438:
	s_mov_b32 s10, 0x7f800001
	s_xor_b64 s[4:5], exec, -1
; %bb.2439:
	s_or_b64 exec, exec, s[8:9]
	s_and_b64 s[4:5], s[4:5], exec
	s_or_saveexec_b64 s[6:7], s[6:7]
	v_mov_b32_e32 v13, s10
	s_xor_b64 exec, exec, s[6:7]
	s_cbranch_execz .LBB10_390
.LBB10_2440:
	v_mov_b32_e32 v13, 0
	v_cmp_ne_u16_sdwa s[8:9], v2, v13 src0_sel:BYTE_0 src1_sel:DWORD
	s_andn2_b64 s[4:5], s[4:5], exec
	s_and_b64 s[8:9], s[8:9], exec
	s_or_b64 s[4:5], s[4:5], s[8:9]
	s_or_b64 exec, exec, s[6:7]
	s_and_saveexec_b64 s[6:7], s[4:5]
	s_cbranch_execnz .LBB10_391
	s_branch .LBB10_392
.LBB10_2441:
	s_movk_i32 s4, 0x80
	v_cmp_eq_u16_sdwa s[12:13], v13, s4 src0_sel:BYTE_0 src1_sel:DWORD
	s_mov_b64 s[4:5], -1
                                        ; implicit-def: $sgpr10
	s_and_saveexec_b64 s[8:9], s[12:13]
; %bb.2442:
	s_mov_b32 s10, 0x7f800001
	s_xor_b64 s[4:5], exec, -1
; %bb.2443:
	s_or_b64 exec, exec, s[8:9]
	s_and_b64 s[4:5], s[4:5], exec
	s_or_saveexec_b64 s[6:7], s[6:7]
	v_mov_b32_e32 v12, s10
	s_xor_b64 exec, exec, s[6:7]
	s_cbranch_execz .LBB10_394
.LBB10_2444:
	v_mov_b32_e32 v12, 0
	v_cmp_ne_u16_sdwa s[8:9], v13, v12 src0_sel:BYTE_0 src1_sel:DWORD
	s_andn2_b64 s[4:5], s[4:5], exec
	s_and_b64 s[8:9], s[8:9], exec
	s_or_b64 s[4:5], s[4:5], s[8:9]
	s_or_b64 exec, exec, s[6:7]
	s_and_saveexec_b64 s[6:7], s[4:5]
	s_cbranch_execnz .LBB10_395
	s_branch .LBB10_396
.LBB10_2445:
	s_movk_i32 s4, 0x80
	v_cmp_eq_u16_sdwa s[12:13], v13, s4 src0_sel:BYTE_0 src1_sel:DWORD
	s_mov_b64 s[4:5], -1
                                        ; implicit-def: $sgpr10
	s_and_saveexec_b64 s[8:9], s[12:13]
; %bb.2446:
	s_mov_b32 s10, 0x7f800001
	s_xor_b64 s[4:5], exec, -1
; %bb.2447:
	s_or_b64 exec, exec, s[8:9]
	s_and_b64 s[4:5], s[4:5], exec
	s_or_saveexec_b64 s[6:7], s[6:7]
	v_mov_b32_e32 v14, s10
	s_xor_b64 exec, exec, s[6:7]
	s_cbranch_execz .LBB10_398
.LBB10_2448:
	v_mov_b32_e32 v14, 0
	v_cmp_ne_u16_sdwa s[8:9], v13, v14 src0_sel:BYTE_0 src1_sel:DWORD
	s_andn2_b64 s[4:5], s[4:5], exec
	s_and_b64 s[8:9], s[8:9], exec
	s_or_b64 s[4:5], s[4:5], s[8:9]
	s_or_b64 exec, exec, s[6:7]
	s_and_saveexec_b64 s[6:7], s[4:5]
	s_cbranch_execnz .LBB10_399
	s_branch .LBB10_400
.LBB10_2449:
	s_movk_i32 s4, 0x80
	v_cmp_eq_u16_e32 vcc, s4, v13
	s_mov_b64 s[4:5], -1
                                        ; implicit-def: $sgpr10
	s_and_saveexec_b64 s[8:9], vcc
; %bb.2450:
	s_mov_b32 s10, 0x7f800001
	s_xor_b64 s[4:5], exec, -1
; %bb.2451:
	s_or_b64 exec, exec, s[8:9]
	s_and_b64 s[4:5], s[4:5], exec
                                        ; implicit-def: $vgpr13
	s_or_saveexec_b64 s[6:7], s[6:7]
	v_mov_b32_e32 v12, s10
	s_xor_b64 exec, exec, s[6:7]
	s_cbranch_execz .LBB10_402
.LBB10_2452:
	v_cmp_ne_u16_e32 vcc, 0, v13
	s_andn2_b64 s[4:5], s[4:5], exec
	s_and_b64 s[8:9], vcc, exec
	v_mov_b32_e32 v12, 0
	s_or_b64 s[4:5], s[4:5], s[8:9]
	s_or_b64 exec, exec, s[6:7]
	s_and_saveexec_b64 s[6:7], s[4:5]
	s_cbranch_execnz .LBB10_403
	s_branch .LBB10_404
.LBB10_2453:
	s_movk_i32 s4, 0x80
	v_cmp_eq_u16_e32 vcc, s4, v13
	s_mov_b64 s[4:5], -1
                                        ; implicit-def: $sgpr10
	s_and_saveexec_b64 s[8:9], vcc
; %bb.2454:
	s_mov_b32 s10, 0x7f800001
	s_xor_b64 s[4:5], exec, -1
; %bb.2455:
	s_or_b64 exec, exec, s[8:9]
	s_and_b64 s[4:5], s[4:5], exec
                                        ; implicit-def: $vgpr13
	s_or_saveexec_b64 s[6:7], s[6:7]
	v_mov_b32_e32 v14, s10
	s_xor_b64 exec, exec, s[6:7]
	s_cbranch_execz .LBB10_406
.LBB10_2456:
	v_cmp_ne_u16_e32 vcc, 0, v13
	s_andn2_b64 s[4:5], s[4:5], exec
	s_and_b64 s[8:9], vcc, exec
	v_mov_b32_e32 v14, 0
	s_or_b64 s[4:5], s[4:5], s[8:9]
	s_or_b64 exec, exec, s[6:7]
	s_and_saveexec_b64 s[6:7], s[4:5]
	s_cbranch_execnz .LBB10_407
	s_branch .LBB10_408
.LBB10_2457:
	s_movk_i32 s4, 0x80
	v_cmp_eq_u16_sdwa s[12:13], v6, s4 src0_sel:BYTE_3 src1_sel:DWORD
	s_mov_b64 s[4:5], -1
                                        ; implicit-def: $sgpr10
	s_and_saveexec_b64 s[8:9], s[12:13]
; %bb.2458:
	s_mov_b32 s10, 0x7f800001
	s_xor_b64 s[4:5], exec, -1
; %bb.2459:
	s_or_b64 exec, exec, s[8:9]
	s_and_b64 s[4:5], s[4:5], exec
	s_or_saveexec_b64 s[6:7], s[6:7]
	v_mov_b32_e32 v12, s10
	s_xor_b64 exec, exec, s[6:7]
	s_cbranch_execz .LBB10_410
.LBB10_2460:
	v_mov_b32_e32 v12, 0
	v_cmp_ne_u16_sdwa s[8:9], v6, v12 src0_sel:BYTE_3 src1_sel:DWORD
	s_andn2_b64 s[4:5], s[4:5], exec
	s_and_b64 s[8:9], s[8:9], exec
	s_or_b64 s[4:5], s[4:5], s[8:9]
	s_or_b64 exec, exec, s[6:7]
	s_and_saveexec_b64 s[6:7], s[4:5]
	s_cbranch_execnz .LBB10_411
	s_branch .LBB10_412
.LBB10_2461:
	s_movk_i32 s4, 0x80
	v_cmp_eq_u16_sdwa s[12:13], v2, s4 src0_sel:BYTE_3 src1_sel:DWORD
	s_mov_b64 s[4:5], -1
                                        ; implicit-def: $sgpr10
	s_and_saveexec_b64 s[8:9], s[12:13]
; %bb.2462:
	s_mov_b32 s10, 0x7f800001
	s_xor_b64 s[4:5], exec, -1
; %bb.2463:
	s_or_b64 exec, exec, s[8:9]
	s_and_b64 s[4:5], s[4:5], exec
	s_or_saveexec_b64 s[6:7], s[6:7]
	v_mov_b32_e32 v6, s10
	s_xor_b64 exec, exec, s[6:7]
	s_cbranch_execz .LBB10_414
.LBB10_2464:
	v_mov_b32_e32 v6, 0
	v_cmp_ne_u16_sdwa s[8:9], v2, v6 src0_sel:BYTE_3 src1_sel:DWORD
	s_andn2_b64 s[4:5], s[4:5], exec
	s_and_b64 s[8:9], s[8:9], exec
	s_or_b64 s[4:5], s[4:5], s[8:9]
	s_or_b64 exec, exec, s[6:7]
	s_and_saveexec_b64 s[6:7], s[4:5]
	s_cbranch_execnz .LBB10_415
	s_branch .LBB10_416
.LBB10_2465:
	s_movk_i32 s4, 0x80
	v_cmp_eq_u16_sdwa s[12:13], v7, s4 src0_sel:BYTE_0 src1_sel:DWORD
	s_mov_b64 s[4:5], -1
                                        ; implicit-def: $sgpr10
	s_and_saveexec_b64 s[8:9], s[12:13]
; %bb.2466:
	s_mov_b32 s10, 0x7f800001
	s_xor_b64 s[4:5], exec, -1
; %bb.2467:
	s_or_b64 exec, exec, s[8:9]
	s_and_b64 s[4:5], s[4:5], exec
	s_or_saveexec_b64 s[6:7], s[6:7]
	v_mov_b32_e32 v2, s10
	s_xor_b64 exec, exec, s[6:7]
	s_cbranch_execz .LBB10_418
.LBB10_2468:
	v_mov_b32_e32 v2, 0
	v_cmp_ne_u16_sdwa s[8:9], v7, v2 src0_sel:BYTE_0 src1_sel:DWORD
	s_andn2_b64 s[4:5], s[4:5], exec
	s_and_b64 s[8:9], s[8:9], exec
	s_or_b64 s[4:5], s[4:5], s[8:9]
	s_or_b64 exec, exec, s[6:7]
	s_and_saveexec_b64 s[6:7], s[4:5]
	s_cbranch_execnz .LBB10_419
	s_branch .LBB10_420
.LBB10_2469:
	s_movk_i32 s4, 0x80
	v_cmp_eq_u16_sdwa s[12:13], v3, s4 src0_sel:BYTE_0 src1_sel:DWORD
	s_mov_b64 s[4:5], -1
                                        ; implicit-def: $sgpr10
	s_and_saveexec_b64 s[8:9], s[12:13]
; %bb.2470:
	s_mov_b32 s10, 0x7f800001
	s_xor_b64 s[4:5], exec, -1
; %bb.2471:
	s_or_b64 exec, exec, s[8:9]
	s_and_b64 s[4:5], s[4:5], exec
	s_or_saveexec_b64 s[6:7], s[6:7]
	v_mov_b32_e32 v6, s10
	s_xor_b64 exec, exec, s[6:7]
	s_cbranch_execz .LBB10_422
.LBB10_2472:
	v_mov_b32_e32 v6, 0
	v_cmp_ne_u16_sdwa s[8:9], v3, v6 src0_sel:BYTE_0 src1_sel:DWORD
	s_andn2_b64 s[4:5], s[4:5], exec
	s_and_b64 s[8:9], s[8:9], exec
	s_or_b64 s[4:5], s[4:5], s[8:9]
	s_or_b64 exec, exec, s[6:7]
	s_and_saveexec_b64 s[6:7], s[4:5]
	s_cbranch_execnz .LBB10_423
	s_branch .LBB10_424
.LBB10_2473:
	s_movk_i32 s4, 0x80
	v_cmp_eq_u16_sdwa s[12:13], v6, s4 src0_sel:BYTE_0 src1_sel:DWORD
	s_mov_b64 s[4:5], -1
                                        ; implicit-def: $sgpr10
	s_and_saveexec_b64 s[8:9], s[12:13]
; %bb.2474:
	s_mov_b32 s10, 0x7f800001
	s_xor_b64 s[4:5], exec, -1
; %bb.2475:
	s_or_b64 exec, exec, s[8:9]
	s_and_b64 s[4:5], s[4:5], exec
	s_or_saveexec_b64 s[6:7], s[6:7]
	v_mov_b32_e32 v2, s10
	s_xor_b64 exec, exec, s[6:7]
	s_cbranch_execz .LBB10_426
.LBB10_2476:
	v_mov_b32_e32 v2, 0
	v_cmp_ne_u16_sdwa s[8:9], v6, v2 src0_sel:BYTE_0 src1_sel:DWORD
	s_andn2_b64 s[4:5], s[4:5], exec
	s_and_b64 s[8:9], s[8:9], exec
	s_or_b64 s[4:5], s[4:5], s[8:9]
	s_or_b64 exec, exec, s[6:7]
	s_and_saveexec_b64 s[6:7], s[4:5]
	s_cbranch_execnz .LBB10_427
	s_branch .LBB10_428
.LBB10_2477:
	s_movk_i32 s4, 0x80
	v_cmp_eq_u16_sdwa s[12:13], v6, s4 src0_sel:BYTE_0 src1_sel:DWORD
	s_mov_b64 s[4:5], -1
                                        ; implicit-def: $sgpr10
	s_and_saveexec_b64 s[8:9], s[12:13]
; %bb.2478:
	s_mov_b32 s10, 0x7f800001
	s_xor_b64 s[4:5], exec, -1
; %bb.2479:
	s_or_b64 exec, exec, s[8:9]
	s_and_b64 s[4:5], s[4:5], exec
	s_or_saveexec_b64 s[6:7], s[6:7]
	v_mov_b32_e32 v12, s10
	s_xor_b64 exec, exec, s[6:7]
	s_cbranch_execz .LBB10_430
.LBB10_2480:
	v_mov_b32_e32 v12, 0
	v_cmp_ne_u16_sdwa s[8:9], v6, v12 src0_sel:BYTE_0 src1_sel:DWORD
	s_andn2_b64 s[4:5], s[4:5], exec
	s_and_b64 s[8:9], s[8:9], exec
	s_or_b64 s[4:5], s[4:5], s[8:9]
	s_or_b64 exec, exec, s[6:7]
	s_and_saveexec_b64 s[6:7], s[4:5]
	s_cbranch_execnz .LBB10_431
	s_branch .LBB10_432
.LBB10_2481:
	s_movk_i32 s4, 0x80
	v_cmp_eq_u16_e32 vcc, s4, v6
	s_mov_b64 s[4:5], -1
                                        ; implicit-def: $sgpr10
	s_and_saveexec_b64 s[8:9], vcc
; %bb.2482:
	s_mov_b32 s10, 0x7f800001
	s_xor_b64 s[4:5], exec, -1
; %bb.2483:
	s_or_b64 exec, exec, s[8:9]
	s_and_b64 s[4:5], s[4:5], exec
                                        ; implicit-def: $vgpr6
	s_or_saveexec_b64 s[6:7], s[6:7]
	v_mov_b32_e32 v2, s10
	s_xor_b64 exec, exec, s[6:7]
	s_cbranch_execz .LBB10_434
.LBB10_2484:
	v_cmp_ne_u16_e32 vcc, 0, v6
	s_andn2_b64 s[4:5], s[4:5], exec
	s_and_b64 s[8:9], vcc, exec
	v_mov_b32_e32 v2, 0
	s_or_b64 s[4:5], s[4:5], s[8:9]
	s_or_b64 exec, exec, s[6:7]
	s_and_saveexec_b64 s[6:7], s[4:5]
	s_cbranch_execnz .LBB10_435
	s_branch .LBB10_436
.LBB10_2485:
	s_movk_i32 s4, 0x80
	v_cmp_eq_u16_e32 vcc, s4, v6
	s_mov_b64 s[4:5], -1
                                        ; implicit-def: $sgpr10
	s_and_saveexec_b64 s[8:9], vcc
; %bb.2486:
	s_mov_b32 s10, 0x7f800001
	s_xor_b64 s[4:5], exec, -1
; %bb.2487:
	s_or_b64 exec, exec, s[8:9]
	s_and_b64 s[4:5], s[4:5], exec
                                        ; implicit-def: $vgpr6
	s_or_saveexec_b64 s[6:7], s[6:7]
	v_mov_b32_e32 v12, s10
	s_xor_b64 exec, exec, s[6:7]
	s_cbranch_execz .LBB10_438
.LBB10_2488:
	v_cmp_ne_u16_e32 vcc, 0, v6
	s_andn2_b64 s[4:5], s[4:5], exec
	s_and_b64 s[8:9], vcc, exec
	v_mov_b32_e32 v12, 0
	s_or_b64 s[4:5], s[4:5], s[8:9]
	s_or_b64 exec, exec, s[6:7]
	s_and_saveexec_b64 s[6:7], s[4:5]
	s_cbranch_execnz .LBB10_439
	s_branch .LBB10_440
.LBB10_2489:
	s_movk_i32 s4, 0x80
	v_cmp_eq_u16_sdwa s[12:13], v7, s4 src0_sel:BYTE_3 src1_sel:DWORD
	s_mov_b64 s[4:5], -1
                                        ; implicit-def: $sgpr10
	s_and_saveexec_b64 s[8:9], s[12:13]
; %bb.2490:
	s_mov_b32 s10, 0x7f800001
	s_xor_b64 s[4:5], exec, -1
; %bb.2491:
	s_or_b64 exec, exec, s[8:9]
	s_and_b64 s[4:5], s[4:5], exec
	s_or_saveexec_b64 s[6:7], s[6:7]
	v_mov_b32_e32 v2, s10
	s_xor_b64 exec, exec, s[6:7]
	s_cbranch_execz .LBB10_442
.LBB10_2492:
	v_mov_b32_e32 v2, 0
	v_cmp_ne_u16_sdwa s[8:9], v7, v2 src0_sel:BYTE_3 src1_sel:DWORD
	s_andn2_b64 s[4:5], s[4:5], exec
	s_and_b64 s[8:9], s[8:9], exec
	s_or_b64 s[4:5], s[4:5], s[8:9]
	s_or_b64 exec, exec, s[6:7]
	s_and_saveexec_b64 s[6:7], s[4:5]
	s_cbranch_execnz .LBB10_443
	s_branch .LBB10_444
.LBB10_2493:
	s_movk_i32 s4, 0x80
	v_cmp_eq_u16_sdwa s[12:13], v3, s4 src0_sel:BYTE_3 src1_sel:DWORD
	s_mov_b64 s[4:5], -1
                                        ; implicit-def: $sgpr10
	s_and_saveexec_b64 s[8:9], s[12:13]
; %bb.2494:
	s_mov_b32 s10, 0x7f800001
	s_xor_b64 s[4:5], exec, -1
; %bb.2495:
	s_or_b64 exec, exec, s[8:9]
	s_and_b64 s[4:5], s[4:5], exec
	s_or_saveexec_b64 s[6:7], s[6:7]
	v_mov_b32_e32 v6, s10
	s_xor_b64 exec, exec, s[6:7]
	s_cbranch_execz .LBB10_446
.LBB10_2496:
	v_mov_b32_e32 v6, 0
	v_cmp_ne_u16_sdwa s[8:9], v3, v6 src0_sel:BYTE_3 src1_sel:DWORD
	s_andn2_b64 s[4:5], s[4:5], exec
	s_and_b64 s[8:9], s[8:9], exec
	s_or_b64 s[4:5], s[4:5], s[8:9]
	s_or_b64 exec, exec, s[6:7]
	s_and_saveexec_b64 s[6:7], s[4:5]
	s_cbranch_execnz .LBB10_447
	s_branch .LBB10_448
.LBB10_2497:
	s_movk_i32 s4, 0x80
	v_cmp_eq_u16_sdwa s[12:13], v8, s4 src0_sel:BYTE_0 src1_sel:DWORD
	s_mov_b64 s[4:5], -1
                                        ; implicit-def: $sgpr10
	s_and_saveexec_b64 s[8:9], s[12:13]
; %bb.2498:
	s_mov_b32 s10, 0x7f800001
	s_xor_b64 s[4:5], exec, -1
; %bb.2499:
	s_or_b64 exec, exec, s[8:9]
	s_and_b64 s[4:5], s[4:5], exec
	s_or_saveexec_b64 s[6:7], s[6:7]
	v_mov_b32_e32 v2, s10
	s_xor_b64 exec, exec, s[6:7]
	s_cbranch_execz .LBB10_450
.LBB10_2500:
	v_mov_b32_e32 v2, 0
	v_cmp_ne_u16_sdwa s[8:9], v8, v2 src0_sel:BYTE_0 src1_sel:DWORD
	s_andn2_b64 s[4:5], s[4:5], exec
	s_and_b64 s[8:9], s[8:9], exec
	s_or_b64 s[4:5], s[4:5], s[8:9]
	s_or_b64 exec, exec, s[6:7]
	s_and_saveexec_b64 s[6:7], s[4:5]
	s_cbranch_execnz .LBB10_451
	s_branch .LBB10_452
.LBB10_2501:
	s_movk_i32 s4, 0x80
	v_cmp_eq_u16_sdwa s[12:13], v4, s4 src0_sel:BYTE_0 src1_sel:DWORD
	s_mov_b64 s[4:5], -1
                                        ; implicit-def: $sgpr10
	s_and_saveexec_b64 s[8:9], s[12:13]
; %bb.2502:
	s_mov_b32 s10, 0x7f800001
	s_xor_b64 s[4:5], exec, -1
; %bb.2503:
	s_or_b64 exec, exec, s[8:9]
	s_and_b64 s[4:5], s[4:5], exec
	s_or_saveexec_b64 s[6:7], s[6:7]
	v_mov_b32_e32 v3, s10
	s_xor_b64 exec, exec, s[6:7]
	s_cbranch_execz .LBB10_454
.LBB10_2504:
	v_mov_b32_e32 v3, 0
	v_cmp_ne_u16_sdwa s[8:9], v4, v3 src0_sel:BYTE_0 src1_sel:DWORD
	s_andn2_b64 s[4:5], s[4:5], exec
	s_and_b64 s[8:9], s[8:9], exec
	s_or_b64 s[4:5], s[4:5], s[8:9]
	s_or_b64 exec, exec, s[6:7]
	s_and_saveexec_b64 s[6:7], s[4:5]
	s_cbranch_execnz .LBB10_455
	s_branch .LBB10_456
.LBB10_2505:
	s_movk_i32 s4, 0x80
	v_cmp_eq_u16_sdwa s[12:13], v3, s4 src0_sel:BYTE_0 src1_sel:DWORD
	s_mov_b64 s[4:5], -1
                                        ; implicit-def: $sgpr10
	s_and_saveexec_b64 s[8:9], s[12:13]
; %bb.2506:
	s_mov_b32 s10, 0x7f800001
	s_xor_b64 s[4:5], exec, -1
; %bb.2507:
	s_or_b64 exec, exec, s[8:9]
	s_and_b64 s[4:5], s[4:5], exec
	s_or_saveexec_b64 s[6:7], s[6:7]
	v_mov_b32_e32 v2, s10
	s_xor_b64 exec, exec, s[6:7]
	s_cbranch_execz .LBB10_458
.LBB10_2508:
	v_mov_b32_e32 v2, 0
	v_cmp_ne_u16_sdwa s[8:9], v3, v2 src0_sel:BYTE_0 src1_sel:DWORD
	s_andn2_b64 s[4:5], s[4:5], exec
	s_and_b64 s[8:9], s[8:9], exec
	s_or_b64 s[4:5], s[4:5], s[8:9]
	s_or_b64 exec, exec, s[6:7]
	s_and_saveexec_b64 s[6:7], s[4:5]
	s_cbranch_execnz .LBB10_459
	s_branch .LBB10_460
.LBB10_2509:
	s_movk_i32 s4, 0x80
	v_cmp_eq_u16_sdwa s[12:13], v3, s4 src0_sel:BYTE_0 src1_sel:DWORD
	s_mov_b64 s[4:5], -1
                                        ; implicit-def: $sgpr10
	s_and_saveexec_b64 s[8:9], s[12:13]
; %bb.2510:
	s_mov_b32 s10, 0x7f800001
	s_xor_b64 s[4:5], exec, -1
; %bb.2511:
	s_or_b64 exec, exec, s[8:9]
	s_and_b64 s[4:5], s[4:5], exec
	s_or_saveexec_b64 s[6:7], s[6:7]
	v_mov_b32_e32 v6, s10
	s_xor_b64 exec, exec, s[6:7]
	s_cbranch_execz .LBB10_462
.LBB10_2512:
	v_mov_b32_e32 v6, 0
	v_cmp_ne_u16_sdwa s[8:9], v3, v6 src0_sel:BYTE_0 src1_sel:DWORD
	s_andn2_b64 s[4:5], s[4:5], exec
	s_and_b64 s[8:9], s[8:9], exec
	s_or_b64 s[4:5], s[4:5], s[8:9]
	s_or_b64 exec, exec, s[6:7]
	s_and_saveexec_b64 s[6:7], s[4:5]
	s_cbranch_execnz .LBB10_463
	s_branch .LBB10_464
.LBB10_2513:
	s_movk_i32 s4, 0x80
	v_cmp_eq_u16_e32 vcc, s4, v3
	s_mov_b64 s[4:5], -1
                                        ; implicit-def: $sgpr10
	s_and_saveexec_b64 s[8:9], vcc
; %bb.2514:
	s_mov_b32 s10, 0x7f800001
	s_xor_b64 s[4:5], exec, -1
; %bb.2515:
	s_or_b64 exec, exec, s[8:9]
	s_and_b64 s[4:5], s[4:5], exec
                                        ; implicit-def: $vgpr3
	s_or_saveexec_b64 s[6:7], s[6:7]
	v_mov_b32_e32 v2, s10
	s_xor_b64 exec, exec, s[6:7]
	s_cbranch_execz .LBB10_466
.LBB10_2516:
	v_cmp_ne_u16_e32 vcc, 0, v3
	s_andn2_b64 s[4:5], s[4:5], exec
	s_and_b64 s[8:9], vcc, exec
	v_mov_b32_e32 v2, 0
	s_or_b64 s[4:5], s[4:5], s[8:9]
	s_or_b64 exec, exec, s[6:7]
	s_and_saveexec_b64 s[6:7], s[4:5]
	s_cbranch_execnz .LBB10_467
	s_branch .LBB10_468
.LBB10_2517:
	s_movk_i32 s4, 0x80
	v_cmp_eq_u16_e32 vcc, s4, v3
	s_mov_b64 s[4:5], -1
                                        ; implicit-def: $sgpr10
	s_and_saveexec_b64 s[8:9], vcc
; %bb.2518:
	s_mov_b32 s10, 0x7f800001
	s_xor_b64 s[4:5], exec, -1
; %bb.2519:
	s_or_b64 exec, exec, s[8:9]
	s_and_b64 s[4:5], s[4:5], exec
                                        ; implicit-def: $vgpr3
	s_or_saveexec_b64 s[6:7], s[6:7]
	v_mov_b32_e32 v6, s10
	s_xor_b64 exec, exec, s[6:7]
	s_cbranch_execz .LBB10_470
.LBB10_2520:
	v_cmp_ne_u16_e32 vcc, 0, v3
	s_andn2_b64 s[4:5], s[4:5], exec
	s_and_b64 s[8:9], vcc, exec
	v_mov_b32_e32 v6, 0
	s_or_b64 s[4:5], s[4:5], s[8:9]
	s_or_b64 exec, exec, s[6:7]
	s_and_saveexec_b64 s[6:7], s[4:5]
	s_cbranch_execnz .LBB10_471
	s_branch .LBB10_472
.LBB10_2521:
	s_movk_i32 s4, 0x80
	v_cmp_eq_u16_sdwa s[12:13], v8, s4 src0_sel:BYTE_3 src1_sel:DWORD
	s_mov_b64 s[4:5], -1
                                        ; implicit-def: $sgpr10
	s_and_saveexec_b64 s[8:9], s[12:13]
; %bb.2522:
	s_mov_b32 s10, 0x7f800001
	s_xor_b64 s[4:5], exec, -1
; %bb.2523:
	s_or_b64 exec, exec, s[8:9]
	s_and_b64 s[4:5], s[4:5], exec
	s_or_saveexec_b64 s[6:7], s[6:7]
	v_mov_b32_e32 v2, s10
	s_xor_b64 exec, exec, s[6:7]
	s_cbranch_execz .LBB10_474
.LBB10_2524:
	v_mov_b32_e32 v2, 0
	v_cmp_ne_u16_sdwa s[8:9], v8, v2 src0_sel:BYTE_3 src1_sel:DWORD
	s_andn2_b64 s[4:5], s[4:5], exec
	s_and_b64 s[8:9], s[8:9], exec
	s_or_b64 s[4:5], s[4:5], s[8:9]
	s_or_b64 exec, exec, s[6:7]
	s_and_saveexec_b64 s[6:7], s[4:5]
	s_cbranch_execnz .LBB10_475
	s_branch .LBB10_476
.LBB10_2525:
	s_movk_i32 s4, 0x80
	v_cmp_eq_u16_sdwa s[12:13], v4, s4 src0_sel:BYTE_3 src1_sel:DWORD
	s_mov_b64 s[4:5], -1
                                        ; implicit-def: $sgpr10
	s_and_saveexec_b64 s[8:9], s[12:13]
; %bb.2526:
	s_mov_b32 s10, 0x7f800001
	s_xor_b64 s[4:5], exec, -1
; %bb.2527:
	s_or_b64 exec, exec, s[8:9]
	s_and_b64 s[4:5], s[4:5], exec
	s_or_saveexec_b64 s[6:7], s[6:7]
	v_mov_b32_e32 v3, s10
	s_xor_b64 exec, exec, s[6:7]
	s_cbranch_execz .LBB10_478
.LBB10_2528:
	v_mov_b32_e32 v3, 0
	v_cmp_ne_u16_sdwa s[8:9], v4, v3 src0_sel:BYTE_3 src1_sel:DWORD
	s_andn2_b64 s[4:5], s[4:5], exec
	s_and_b64 s[8:9], s[8:9], exec
	s_or_b64 s[4:5], s[4:5], s[8:9]
	s_or_b64 exec, exec, s[6:7]
	s_and_saveexec_b64 s[6:7], s[4:5]
	s_cbranch_execnz .LBB10_479
	s_branch .LBB10_480
.LBB10_2529:
	s_movk_i32 s4, 0x80
	v_cmp_eq_u16_sdwa s[12:13], v9, s4 src0_sel:BYTE_0 src1_sel:DWORD
	s_mov_b64 s[4:5], -1
                                        ; implicit-def: $sgpr10
	s_and_saveexec_b64 s[8:9], s[12:13]
; %bb.2530:
	s_mov_b32 s10, 0x7f800001
	s_xor_b64 s[4:5], exec, -1
; %bb.2531:
	s_or_b64 exec, exec, s[8:9]
	s_and_b64 s[4:5], s[4:5], exec
	s_or_saveexec_b64 s[6:7], s[6:7]
	v_mov_b32_e32 v2, s10
	s_xor_b64 exec, exec, s[6:7]
	s_cbranch_execz .LBB10_482
.LBB10_2532:
	v_mov_b32_e32 v2, 0
	v_cmp_ne_u16_sdwa s[8:9], v9, v2 src0_sel:BYTE_0 src1_sel:DWORD
	s_andn2_b64 s[4:5], s[4:5], exec
	s_and_b64 s[8:9], s[8:9], exec
	s_or_b64 s[4:5], s[4:5], s[8:9]
	s_or_b64 exec, exec, s[6:7]
	s_and_saveexec_b64 s[6:7], s[4:5]
	s_cbranch_execnz .LBB10_483
	s_branch .LBB10_484
.LBB10_2533:
	s_movk_i32 s4, 0x80
	v_cmp_eq_u16_sdwa s[12:13], v5, s4 src0_sel:BYTE_0 src1_sel:DWORD
	s_mov_b64 s[4:5], -1
                                        ; implicit-def: $sgpr10
	s_and_saveexec_b64 s[8:9], s[12:13]
; %bb.2534:
	s_mov_b32 s10, 0x7f800001
	s_xor_b64 s[4:5], exec, -1
; %bb.2535:
	s_or_b64 exec, exec, s[8:9]
	s_and_b64 s[4:5], s[4:5], exec
	s_or_saveexec_b64 s[6:7], s[6:7]
	v_mov_b32_e32 v3, s10
	s_xor_b64 exec, exec, s[6:7]
	s_cbranch_execz .LBB10_486
.LBB10_2536:
	v_mov_b32_e32 v3, 0
	v_cmp_ne_u16_sdwa s[8:9], v5, v3 src0_sel:BYTE_0 src1_sel:DWORD
	s_andn2_b64 s[4:5], s[4:5], exec
	s_and_b64 s[8:9], s[8:9], exec
	s_or_b64 s[4:5], s[4:5], s[8:9]
	s_or_b64 exec, exec, s[6:7]
	s_and_saveexec_b64 s[6:7], s[4:5]
	s_cbranch_execnz .LBB10_487
	s_branch .LBB10_488
.LBB10_2537:
	s_movk_i32 s4, 0x80
	v_cmp_eq_u16_sdwa s[12:13], v3, s4 src0_sel:BYTE_0 src1_sel:DWORD
	s_mov_b64 s[4:5], -1
                                        ; implicit-def: $sgpr10
	s_and_saveexec_b64 s[8:9], s[12:13]
; %bb.2538:
	s_mov_b32 s10, 0x7f800001
	s_xor_b64 s[4:5], exec, -1
; %bb.2539:
	s_or_b64 exec, exec, s[8:9]
	s_and_b64 s[4:5], s[4:5], exec
	s_or_saveexec_b64 s[6:7], s[6:7]
	v_mov_b32_e32 v2, s10
	s_xor_b64 exec, exec, s[6:7]
	s_cbranch_execz .LBB10_490
.LBB10_2540:
	v_mov_b32_e32 v2, 0
	v_cmp_ne_u16_sdwa s[8:9], v3, v2 src0_sel:BYTE_0 src1_sel:DWORD
	s_andn2_b64 s[4:5], s[4:5], exec
	s_and_b64 s[8:9], s[8:9], exec
	s_or_b64 s[4:5], s[4:5], s[8:9]
	s_or_b64 exec, exec, s[6:7]
	s_and_saveexec_b64 s[6:7], s[4:5]
	s_cbranch_execnz .LBB10_491
	s_branch .LBB10_492
.LBB10_2541:
	s_movk_i32 s4, 0x80
	v_cmp_eq_u16_sdwa s[12:13], v3, s4 src0_sel:BYTE_0 src1_sel:DWORD
	s_mov_b64 s[4:5], -1
                                        ; implicit-def: $sgpr10
	s_and_saveexec_b64 s[8:9], s[12:13]
; %bb.2542:
	s_mov_b32 s10, 0x7f800001
	s_xor_b64 s[4:5], exec, -1
; %bb.2543:
	s_or_b64 exec, exec, s[8:9]
	s_and_b64 s[4:5], s[4:5], exec
	s_or_saveexec_b64 s[6:7], s[6:7]
	v_mov_b32_e32 v4, s10
	s_xor_b64 exec, exec, s[6:7]
	s_cbranch_execz .LBB10_494
.LBB10_2544:
	v_mov_b32_e32 v4, 0
	v_cmp_ne_u16_sdwa s[8:9], v3, v4 src0_sel:BYTE_0 src1_sel:DWORD
	s_andn2_b64 s[4:5], s[4:5], exec
	s_and_b64 s[8:9], s[8:9], exec
	s_or_b64 s[4:5], s[4:5], s[8:9]
	s_or_b64 exec, exec, s[6:7]
	s_and_saveexec_b64 s[6:7], s[4:5]
	s_cbranch_execnz .LBB10_495
	s_branch .LBB10_496
.LBB10_2545:
	s_movk_i32 s4, 0x80
	v_cmp_eq_u16_e32 vcc, s4, v3
	s_mov_b64 s[4:5], -1
                                        ; implicit-def: $sgpr10
	s_and_saveexec_b64 s[8:9], vcc
; %bb.2546:
	s_mov_b32 s10, 0x7f800001
	s_xor_b64 s[4:5], exec, -1
; %bb.2547:
	s_or_b64 exec, exec, s[8:9]
	s_and_b64 s[4:5], s[4:5], exec
                                        ; implicit-def: $vgpr3
	s_or_saveexec_b64 s[6:7], s[6:7]
	v_mov_b32_e32 v2, s10
	s_xor_b64 exec, exec, s[6:7]
	s_cbranch_execz .LBB10_498
.LBB10_2548:
	v_cmp_ne_u16_e32 vcc, 0, v3
	s_andn2_b64 s[4:5], s[4:5], exec
	s_and_b64 s[8:9], vcc, exec
	v_mov_b32_e32 v2, 0
	s_or_b64 s[4:5], s[4:5], s[8:9]
	s_or_b64 exec, exec, s[6:7]
	s_and_saveexec_b64 s[6:7], s[4:5]
	s_cbranch_execnz .LBB10_499
	s_branch .LBB10_500
.LBB10_2549:
	s_movk_i32 s4, 0x80
	v_cmp_eq_u16_e32 vcc, s4, v3
	s_mov_b64 s[4:5], -1
                                        ; implicit-def: $sgpr10
	s_and_saveexec_b64 s[8:9], vcc
; %bb.2550:
	s_mov_b32 s10, 0x7f800001
	s_xor_b64 s[4:5], exec, -1
; %bb.2551:
	s_or_b64 exec, exec, s[8:9]
	s_and_b64 s[4:5], s[4:5], exec
                                        ; implicit-def: $vgpr3
	s_or_saveexec_b64 s[6:7], s[6:7]
	v_mov_b32_e32 v4, s10
	s_xor_b64 exec, exec, s[6:7]
	s_cbranch_execz .LBB10_502
.LBB10_2552:
	v_cmp_ne_u16_e32 vcc, 0, v3
	s_andn2_b64 s[4:5], s[4:5], exec
	s_and_b64 s[8:9], vcc, exec
	v_mov_b32_e32 v4, 0
	s_or_b64 s[4:5], s[4:5], s[8:9]
	s_or_b64 exec, exec, s[6:7]
	s_and_saveexec_b64 s[6:7], s[4:5]
	s_cbranch_execnz .LBB10_503
	s_branch .LBB10_504
.LBB10_2553:
	s_movk_i32 s4, 0x80
	v_cmp_eq_u16_sdwa s[12:13], v9, s4 src0_sel:BYTE_3 src1_sel:DWORD
	s_mov_b64 s[4:5], -1
                                        ; implicit-def: $sgpr10
	s_and_saveexec_b64 s[8:9], s[12:13]
; %bb.2554:
	s_mov_b32 s10, 0x7f800001
	s_xor_b64 s[4:5], exec, -1
; %bb.2555:
	s_or_b64 exec, exec, s[8:9]
	s_and_b64 s[4:5], s[4:5], exec
	s_or_saveexec_b64 s[6:7], s[6:7]
	v_mov_b32_e32 v2, s10
	s_xor_b64 exec, exec, s[6:7]
	s_cbranch_execz .LBB10_506
.LBB10_2556:
	v_mov_b32_e32 v2, 0
	v_cmp_ne_u16_sdwa s[8:9], v9, v2 src0_sel:BYTE_3 src1_sel:DWORD
	s_andn2_b64 s[4:5], s[4:5], exec
	s_and_b64 s[8:9], s[8:9], exec
	s_or_b64 s[4:5], s[4:5], s[8:9]
	s_or_b64 exec, exec, s[6:7]
	s_and_saveexec_b64 s[6:7], s[4:5]
	s_cbranch_execnz .LBB10_507
	s_branch .LBB10_508
.LBB10_2557:
	s_movk_i32 s4, 0x80
	v_cmp_eq_u16_sdwa s[12:13], v5, s4 src0_sel:BYTE_3 src1_sel:DWORD
	s_mov_b64 s[4:5], -1
                                        ; implicit-def: $sgpr10
	s_and_saveexec_b64 s[8:9], s[12:13]
; %bb.2558:
	s_mov_b32 s10, 0x7f800001
	s_xor_b64 s[4:5], exec, -1
; %bb.2559:
	s_or_b64 exec, exec, s[8:9]
	s_and_b64 s[4:5], s[4:5], exec
	s_or_saveexec_b64 s[6:7], s[6:7]
	v_mov_b32_e32 v3, s10
	s_xor_b64 exec, exec, s[6:7]
	s_cbranch_execz .LBB10_510
.LBB10_2560:
	v_mov_b32_e32 v3, 0
	v_cmp_ne_u16_sdwa s[8:9], v5, v3 src0_sel:BYTE_3 src1_sel:DWORD
	s_andn2_b64 s[4:5], s[4:5], exec
	s_and_b64 s[8:9], s[8:9], exec
	s_or_b64 s[4:5], s[4:5], s[8:9]
	s_or_b64 exec, exec, s[6:7]
	s_and_saveexec_b64 s[6:7], s[4:5]
	s_cbranch_execnz .LBB10_511
	s_branch .LBB10_512
.LBB10_2561:
	s_movk_i32 s4, 0x80
	v_cmp_eq_u16_sdwa s[12:13], v6, s4 src0_sel:BYTE_0 src1_sel:DWORD
	s_mov_b64 s[4:5], -1
                                        ; implicit-def: $sgpr10
	s_and_saveexec_b64 s[8:9], s[12:13]
; %bb.2562:
	s_mov_b32 s10, 0x7f800001
	s_xor_b64 s[4:5], exec, -1
; %bb.2563:
	s_or_b64 exec, exec, s[8:9]
	s_and_b64 s[4:5], s[4:5], exec
	s_or_saveexec_b64 s[6:7], s[6:7]
	v_mov_b32_e32 v12, s10
	s_xor_b64 exec, exec, s[6:7]
	s_cbranch_execz .LBB10_514
.LBB10_2564:
	v_mov_b32_e32 v12, 0
	v_cmp_ne_u16_sdwa s[8:9], v6, v12 src0_sel:BYTE_0 src1_sel:DWORD
	s_andn2_b64 s[4:5], s[4:5], exec
	s_and_b64 s[8:9], s[8:9], exec
	s_or_b64 s[4:5], s[4:5], s[8:9]
	s_or_b64 exec, exec, s[6:7]
	s_and_saveexec_b64 s[6:7], s[4:5]
	s_cbranch_execnz .LBB10_515
	s_branch .LBB10_516
.LBB10_2565:
	s_movk_i32 s4, 0x80
	v_cmp_eq_u16_sdwa s[12:13], v2, s4 src0_sel:BYTE_0 src1_sel:DWORD
	s_mov_b64 s[4:5], -1
                                        ; implicit-def: $sgpr10
	s_and_saveexec_b64 s[8:9], s[12:13]
; %bb.2566:
	s_mov_b32 s10, 0x7f800001
	s_xor_b64 s[4:5], exec, -1
; %bb.2567:
	s_or_b64 exec, exec, s[8:9]
	s_and_b64 s[4:5], s[4:5], exec
	s_or_saveexec_b64 s[6:7], s[6:7]
	v_mov_b32_e32 v13, s10
	s_xor_b64 exec, exec, s[6:7]
	s_cbranch_execz .LBB10_518
.LBB10_2568:
	v_mov_b32_e32 v13, 0
	v_cmp_ne_u16_sdwa s[8:9], v2, v13 src0_sel:BYTE_0 src1_sel:DWORD
	s_andn2_b64 s[4:5], s[4:5], exec
	s_and_b64 s[8:9], s[8:9], exec
	s_or_b64 s[4:5], s[4:5], s[8:9]
	s_or_b64 exec, exec, s[6:7]
	s_and_saveexec_b64 s[6:7], s[4:5]
	s_cbranch_execnz .LBB10_519
	s_branch .LBB10_520
.LBB10_2569:
	s_movk_i32 s4, 0x80
	v_cmp_eq_u16_sdwa s[12:13], v13, s4 src0_sel:BYTE_0 src1_sel:DWORD
	s_mov_b64 s[4:5], -1
                                        ; implicit-def: $sgpr10
	s_and_saveexec_b64 s[8:9], s[12:13]
; %bb.2570:
	s_mov_b32 s10, 0x7f800001
	s_xor_b64 s[4:5], exec, -1
; %bb.2571:
	s_or_b64 exec, exec, s[8:9]
	s_and_b64 s[4:5], s[4:5], exec
	s_or_saveexec_b64 s[6:7], s[6:7]
	v_mov_b32_e32 v12, s10
	s_xor_b64 exec, exec, s[6:7]
	s_cbranch_execz .LBB10_522
.LBB10_2572:
	v_mov_b32_e32 v12, 0
	v_cmp_ne_u16_sdwa s[8:9], v13, v12 src0_sel:BYTE_0 src1_sel:DWORD
	s_andn2_b64 s[4:5], s[4:5], exec
	s_and_b64 s[8:9], s[8:9], exec
	s_or_b64 s[4:5], s[4:5], s[8:9]
	s_or_b64 exec, exec, s[6:7]
	s_and_saveexec_b64 s[6:7], s[4:5]
	s_cbranch_execnz .LBB10_523
	s_branch .LBB10_524
.LBB10_2573:
	s_movk_i32 s4, 0x80
	v_cmp_eq_u16_sdwa s[12:13], v13, s4 src0_sel:BYTE_0 src1_sel:DWORD
	s_mov_b64 s[4:5], -1
                                        ; implicit-def: $sgpr10
	s_and_saveexec_b64 s[8:9], s[12:13]
; %bb.2574:
	s_mov_b32 s10, 0x7f800001
	s_xor_b64 s[4:5], exec, -1
; %bb.2575:
	s_or_b64 exec, exec, s[8:9]
	s_and_b64 s[4:5], s[4:5], exec
	s_or_saveexec_b64 s[6:7], s[6:7]
	v_mov_b32_e32 v14, s10
	s_xor_b64 exec, exec, s[6:7]
	s_cbranch_execz .LBB10_526
.LBB10_2576:
	v_mov_b32_e32 v14, 0
	v_cmp_ne_u16_sdwa s[8:9], v13, v14 src0_sel:BYTE_0 src1_sel:DWORD
	s_andn2_b64 s[4:5], s[4:5], exec
	s_and_b64 s[8:9], s[8:9], exec
	s_or_b64 s[4:5], s[4:5], s[8:9]
	s_or_b64 exec, exec, s[6:7]
	s_and_saveexec_b64 s[6:7], s[4:5]
	s_cbranch_execnz .LBB10_527
	s_branch .LBB10_528
.LBB10_2577:
	s_movk_i32 s4, 0x80
	v_cmp_eq_u16_e32 vcc, s4, v13
	s_mov_b64 s[4:5], -1
                                        ; implicit-def: $sgpr10
	s_and_saveexec_b64 s[8:9], vcc
; %bb.2578:
	s_mov_b32 s10, 0x7f800001
	s_xor_b64 s[4:5], exec, -1
; %bb.2579:
	s_or_b64 exec, exec, s[8:9]
	s_and_b64 s[4:5], s[4:5], exec
                                        ; implicit-def: $vgpr13
	s_or_saveexec_b64 s[6:7], s[6:7]
	v_mov_b32_e32 v12, s10
	s_xor_b64 exec, exec, s[6:7]
	s_cbranch_execz .LBB10_530
.LBB10_2580:
	v_cmp_ne_u16_e32 vcc, 0, v13
	s_andn2_b64 s[4:5], s[4:5], exec
	s_and_b64 s[8:9], vcc, exec
	v_mov_b32_e32 v12, 0
	s_or_b64 s[4:5], s[4:5], s[8:9]
	s_or_b64 exec, exec, s[6:7]
	s_and_saveexec_b64 s[6:7], s[4:5]
	s_cbranch_execnz .LBB10_531
	s_branch .LBB10_532
.LBB10_2581:
	s_movk_i32 s4, 0x80
	v_cmp_eq_u16_e32 vcc, s4, v13
	s_mov_b64 s[4:5], -1
                                        ; implicit-def: $sgpr10
	s_and_saveexec_b64 s[8:9], vcc
; %bb.2582:
	s_mov_b32 s10, 0x7f800001
	s_xor_b64 s[4:5], exec, -1
; %bb.2583:
	s_or_b64 exec, exec, s[8:9]
	s_and_b64 s[4:5], s[4:5], exec
                                        ; implicit-def: $vgpr13
	s_or_saveexec_b64 s[6:7], s[6:7]
	v_mov_b32_e32 v14, s10
	s_xor_b64 exec, exec, s[6:7]
	s_cbranch_execz .LBB10_534
.LBB10_2584:
	v_cmp_ne_u16_e32 vcc, 0, v13
	s_andn2_b64 s[4:5], s[4:5], exec
	s_and_b64 s[8:9], vcc, exec
	v_mov_b32_e32 v14, 0
	s_or_b64 s[4:5], s[4:5], s[8:9]
	s_or_b64 exec, exec, s[6:7]
	s_and_saveexec_b64 s[6:7], s[4:5]
	s_cbranch_execnz .LBB10_535
	s_branch .LBB10_536
.LBB10_2585:
	s_movk_i32 s4, 0x80
	v_cmp_eq_u16_sdwa s[12:13], v6, s4 src0_sel:BYTE_3 src1_sel:DWORD
	s_mov_b64 s[4:5], -1
                                        ; implicit-def: $sgpr10
	s_and_saveexec_b64 s[8:9], s[12:13]
; %bb.2586:
	s_mov_b32 s10, 0x7f800001
	s_xor_b64 s[4:5], exec, -1
; %bb.2587:
	s_or_b64 exec, exec, s[8:9]
	s_and_b64 s[4:5], s[4:5], exec
	s_or_saveexec_b64 s[6:7], s[6:7]
	v_mov_b32_e32 v12, s10
	s_xor_b64 exec, exec, s[6:7]
	s_cbranch_execz .LBB10_538
.LBB10_2588:
	v_mov_b32_e32 v12, 0
	v_cmp_ne_u16_sdwa s[8:9], v6, v12 src0_sel:BYTE_3 src1_sel:DWORD
	s_andn2_b64 s[4:5], s[4:5], exec
	s_and_b64 s[8:9], s[8:9], exec
	s_or_b64 s[4:5], s[4:5], s[8:9]
	s_or_b64 exec, exec, s[6:7]
	s_and_saveexec_b64 s[6:7], s[4:5]
	s_cbranch_execnz .LBB10_539
	s_branch .LBB10_540
.LBB10_2589:
	s_movk_i32 s4, 0x80
	v_cmp_eq_u16_sdwa s[12:13], v2, s4 src0_sel:BYTE_3 src1_sel:DWORD
	s_mov_b64 s[4:5], -1
                                        ; implicit-def: $sgpr10
	s_and_saveexec_b64 s[8:9], s[12:13]
; %bb.2590:
	s_mov_b32 s10, 0x7f800001
	s_xor_b64 s[4:5], exec, -1
; %bb.2591:
	s_or_b64 exec, exec, s[8:9]
	s_and_b64 s[4:5], s[4:5], exec
	s_or_saveexec_b64 s[6:7], s[6:7]
	v_mov_b32_e32 v6, s10
	s_xor_b64 exec, exec, s[6:7]
	s_cbranch_execz .LBB10_542
.LBB10_2592:
	v_mov_b32_e32 v6, 0
	v_cmp_ne_u16_sdwa s[8:9], v2, v6 src0_sel:BYTE_3 src1_sel:DWORD
	s_andn2_b64 s[4:5], s[4:5], exec
	s_and_b64 s[8:9], s[8:9], exec
	s_or_b64 s[4:5], s[4:5], s[8:9]
	s_or_b64 exec, exec, s[6:7]
	s_and_saveexec_b64 s[6:7], s[4:5]
	s_cbranch_execnz .LBB10_543
	s_branch .LBB10_544
.LBB10_2593:
	s_movk_i32 s4, 0x80
	v_cmp_eq_u16_sdwa s[12:13], v7, s4 src0_sel:BYTE_0 src1_sel:DWORD
	s_mov_b64 s[4:5], -1
                                        ; implicit-def: $sgpr10
	s_and_saveexec_b64 s[8:9], s[12:13]
; %bb.2594:
	s_mov_b32 s10, 0x7f800001
	s_xor_b64 s[4:5], exec, -1
; %bb.2595:
	s_or_b64 exec, exec, s[8:9]
	s_and_b64 s[4:5], s[4:5], exec
	s_or_saveexec_b64 s[6:7], s[6:7]
	v_mov_b32_e32 v2, s10
	s_xor_b64 exec, exec, s[6:7]
	s_cbranch_execz .LBB10_546
.LBB10_2596:
	v_mov_b32_e32 v2, 0
	v_cmp_ne_u16_sdwa s[8:9], v7, v2 src0_sel:BYTE_0 src1_sel:DWORD
	s_andn2_b64 s[4:5], s[4:5], exec
	s_and_b64 s[8:9], s[8:9], exec
	s_or_b64 s[4:5], s[4:5], s[8:9]
	s_or_b64 exec, exec, s[6:7]
	s_and_saveexec_b64 s[6:7], s[4:5]
	s_cbranch_execnz .LBB10_547
	s_branch .LBB10_548
.LBB10_2597:
	s_movk_i32 s4, 0x80
	v_cmp_eq_u16_sdwa s[12:13], v3, s4 src0_sel:BYTE_0 src1_sel:DWORD
	s_mov_b64 s[4:5], -1
                                        ; implicit-def: $sgpr10
	s_and_saveexec_b64 s[8:9], s[12:13]
; %bb.2598:
	s_mov_b32 s10, 0x7f800001
	s_xor_b64 s[4:5], exec, -1
; %bb.2599:
	s_or_b64 exec, exec, s[8:9]
	s_and_b64 s[4:5], s[4:5], exec
	s_or_saveexec_b64 s[6:7], s[6:7]
	v_mov_b32_e32 v6, s10
	s_xor_b64 exec, exec, s[6:7]
	s_cbranch_execz .LBB10_550
.LBB10_2600:
	v_mov_b32_e32 v6, 0
	v_cmp_ne_u16_sdwa s[8:9], v3, v6 src0_sel:BYTE_0 src1_sel:DWORD
	s_andn2_b64 s[4:5], s[4:5], exec
	s_and_b64 s[8:9], s[8:9], exec
	s_or_b64 s[4:5], s[4:5], s[8:9]
	s_or_b64 exec, exec, s[6:7]
	s_and_saveexec_b64 s[6:7], s[4:5]
	s_cbranch_execnz .LBB10_551
	s_branch .LBB10_552
.LBB10_2601:
	s_movk_i32 s4, 0x80
	v_cmp_eq_u16_sdwa s[12:13], v6, s4 src0_sel:BYTE_0 src1_sel:DWORD
	s_mov_b64 s[4:5], -1
                                        ; implicit-def: $sgpr10
	s_and_saveexec_b64 s[8:9], s[12:13]
; %bb.2602:
	s_mov_b32 s10, 0x7f800001
	s_xor_b64 s[4:5], exec, -1
; %bb.2603:
	s_or_b64 exec, exec, s[8:9]
	s_and_b64 s[4:5], s[4:5], exec
	s_or_saveexec_b64 s[6:7], s[6:7]
	v_mov_b32_e32 v2, s10
	s_xor_b64 exec, exec, s[6:7]
	s_cbranch_execz .LBB10_554
.LBB10_2604:
	v_mov_b32_e32 v2, 0
	v_cmp_ne_u16_sdwa s[8:9], v6, v2 src0_sel:BYTE_0 src1_sel:DWORD
	s_andn2_b64 s[4:5], s[4:5], exec
	s_and_b64 s[8:9], s[8:9], exec
	s_or_b64 s[4:5], s[4:5], s[8:9]
	s_or_b64 exec, exec, s[6:7]
	s_and_saveexec_b64 s[6:7], s[4:5]
	s_cbranch_execnz .LBB10_555
	s_branch .LBB10_556
.LBB10_2605:
	s_movk_i32 s4, 0x80
	v_cmp_eq_u16_sdwa s[12:13], v6, s4 src0_sel:BYTE_0 src1_sel:DWORD
	s_mov_b64 s[4:5], -1
                                        ; implicit-def: $sgpr10
	s_and_saveexec_b64 s[8:9], s[12:13]
; %bb.2606:
	s_mov_b32 s10, 0x7f800001
	s_xor_b64 s[4:5], exec, -1
; %bb.2607:
	s_or_b64 exec, exec, s[8:9]
	s_and_b64 s[4:5], s[4:5], exec
	s_or_saveexec_b64 s[6:7], s[6:7]
	v_mov_b32_e32 v12, s10
	s_xor_b64 exec, exec, s[6:7]
	s_cbranch_execz .LBB10_558
.LBB10_2608:
	v_mov_b32_e32 v12, 0
	v_cmp_ne_u16_sdwa s[8:9], v6, v12 src0_sel:BYTE_0 src1_sel:DWORD
	s_andn2_b64 s[4:5], s[4:5], exec
	s_and_b64 s[8:9], s[8:9], exec
	s_or_b64 s[4:5], s[4:5], s[8:9]
	s_or_b64 exec, exec, s[6:7]
	s_and_saveexec_b64 s[6:7], s[4:5]
	s_cbranch_execnz .LBB10_559
	s_branch .LBB10_560
.LBB10_2609:
	s_movk_i32 s4, 0x80
	v_cmp_eq_u16_e32 vcc, s4, v6
	s_mov_b64 s[4:5], -1
                                        ; implicit-def: $sgpr10
	s_and_saveexec_b64 s[8:9], vcc
; %bb.2610:
	s_mov_b32 s10, 0x7f800001
	s_xor_b64 s[4:5], exec, -1
; %bb.2611:
	s_or_b64 exec, exec, s[8:9]
	s_and_b64 s[4:5], s[4:5], exec
                                        ; implicit-def: $vgpr6
	s_or_saveexec_b64 s[6:7], s[6:7]
	v_mov_b32_e32 v2, s10
	s_xor_b64 exec, exec, s[6:7]
	s_cbranch_execz .LBB10_562
.LBB10_2612:
	v_cmp_ne_u16_e32 vcc, 0, v6
	s_andn2_b64 s[4:5], s[4:5], exec
	s_and_b64 s[8:9], vcc, exec
	v_mov_b32_e32 v2, 0
	s_or_b64 s[4:5], s[4:5], s[8:9]
	s_or_b64 exec, exec, s[6:7]
	s_and_saveexec_b64 s[6:7], s[4:5]
	s_cbranch_execnz .LBB10_563
	s_branch .LBB10_564
.LBB10_2613:
	s_movk_i32 s4, 0x80
	v_cmp_eq_u16_e32 vcc, s4, v6
	s_mov_b64 s[4:5], -1
                                        ; implicit-def: $sgpr10
	s_and_saveexec_b64 s[8:9], vcc
; %bb.2614:
	s_mov_b32 s10, 0x7f800001
	s_xor_b64 s[4:5], exec, -1
; %bb.2615:
	s_or_b64 exec, exec, s[8:9]
	s_and_b64 s[4:5], s[4:5], exec
                                        ; implicit-def: $vgpr6
	s_or_saveexec_b64 s[6:7], s[6:7]
	v_mov_b32_e32 v12, s10
	s_xor_b64 exec, exec, s[6:7]
	s_cbranch_execz .LBB10_566
.LBB10_2616:
	v_cmp_ne_u16_e32 vcc, 0, v6
	s_andn2_b64 s[4:5], s[4:5], exec
	s_and_b64 s[8:9], vcc, exec
	v_mov_b32_e32 v12, 0
	s_or_b64 s[4:5], s[4:5], s[8:9]
	s_or_b64 exec, exec, s[6:7]
	s_and_saveexec_b64 s[6:7], s[4:5]
	s_cbranch_execnz .LBB10_567
	s_branch .LBB10_568
.LBB10_2617:
	s_movk_i32 s4, 0x80
	v_cmp_eq_u16_sdwa s[12:13], v7, s4 src0_sel:BYTE_3 src1_sel:DWORD
	s_mov_b64 s[4:5], -1
                                        ; implicit-def: $sgpr10
	s_and_saveexec_b64 s[8:9], s[12:13]
; %bb.2618:
	s_mov_b32 s10, 0x7f800001
	s_xor_b64 s[4:5], exec, -1
; %bb.2619:
	s_or_b64 exec, exec, s[8:9]
	s_and_b64 s[4:5], s[4:5], exec
	s_or_saveexec_b64 s[6:7], s[6:7]
	v_mov_b32_e32 v2, s10
	s_xor_b64 exec, exec, s[6:7]
	s_cbranch_execz .LBB10_570
.LBB10_2620:
	v_mov_b32_e32 v2, 0
	v_cmp_ne_u16_sdwa s[8:9], v7, v2 src0_sel:BYTE_3 src1_sel:DWORD
	s_andn2_b64 s[4:5], s[4:5], exec
	s_and_b64 s[8:9], s[8:9], exec
	s_or_b64 s[4:5], s[4:5], s[8:9]
	s_or_b64 exec, exec, s[6:7]
	s_and_saveexec_b64 s[6:7], s[4:5]
	s_cbranch_execnz .LBB10_571
	s_branch .LBB10_572
.LBB10_2621:
	s_movk_i32 s4, 0x80
	v_cmp_eq_u16_sdwa s[12:13], v3, s4 src0_sel:BYTE_3 src1_sel:DWORD
	s_mov_b64 s[4:5], -1
                                        ; implicit-def: $sgpr10
	s_and_saveexec_b64 s[8:9], s[12:13]
; %bb.2622:
	s_mov_b32 s10, 0x7f800001
	s_xor_b64 s[4:5], exec, -1
; %bb.2623:
	s_or_b64 exec, exec, s[8:9]
	s_and_b64 s[4:5], s[4:5], exec
	s_or_saveexec_b64 s[6:7], s[6:7]
	v_mov_b32_e32 v6, s10
	s_xor_b64 exec, exec, s[6:7]
	s_cbranch_execz .LBB10_574
.LBB10_2624:
	v_mov_b32_e32 v6, 0
	v_cmp_ne_u16_sdwa s[8:9], v3, v6 src0_sel:BYTE_3 src1_sel:DWORD
	s_andn2_b64 s[4:5], s[4:5], exec
	s_and_b64 s[8:9], s[8:9], exec
	s_or_b64 s[4:5], s[4:5], s[8:9]
	s_or_b64 exec, exec, s[6:7]
	s_and_saveexec_b64 s[6:7], s[4:5]
	s_cbranch_execnz .LBB10_575
	s_branch .LBB10_576
.LBB10_2625:
	s_movk_i32 s4, 0x80
	v_cmp_eq_u16_sdwa s[12:13], v8, s4 src0_sel:BYTE_0 src1_sel:DWORD
	s_mov_b64 s[4:5], -1
                                        ; implicit-def: $sgpr10
	s_and_saveexec_b64 s[8:9], s[12:13]
; %bb.2626:
	s_mov_b32 s10, 0x7f800001
	s_xor_b64 s[4:5], exec, -1
; %bb.2627:
	s_or_b64 exec, exec, s[8:9]
	s_and_b64 s[4:5], s[4:5], exec
	s_or_saveexec_b64 s[6:7], s[6:7]
	v_mov_b32_e32 v2, s10
	s_xor_b64 exec, exec, s[6:7]
	s_cbranch_execz .LBB10_578
.LBB10_2628:
	v_mov_b32_e32 v2, 0
	v_cmp_ne_u16_sdwa s[8:9], v8, v2 src0_sel:BYTE_0 src1_sel:DWORD
	s_andn2_b64 s[4:5], s[4:5], exec
	s_and_b64 s[8:9], s[8:9], exec
	s_or_b64 s[4:5], s[4:5], s[8:9]
	s_or_b64 exec, exec, s[6:7]
	s_and_saveexec_b64 s[6:7], s[4:5]
	s_cbranch_execnz .LBB10_579
	s_branch .LBB10_580
.LBB10_2629:
	s_movk_i32 s4, 0x80
	v_cmp_eq_u16_sdwa s[12:13], v4, s4 src0_sel:BYTE_0 src1_sel:DWORD
	s_mov_b64 s[4:5], -1
                                        ; implicit-def: $sgpr10
	s_and_saveexec_b64 s[8:9], s[12:13]
; %bb.2630:
	s_mov_b32 s10, 0x7f800001
	s_xor_b64 s[4:5], exec, -1
; %bb.2631:
	s_or_b64 exec, exec, s[8:9]
	s_and_b64 s[4:5], s[4:5], exec
	s_or_saveexec_b64 s[6:7], s[6:7]
	v_mov_b32_e32 v3, s10
	s_xor_b64 exec, exec, s[6:7]
	s_cbranch_execz .LBB10_582
.LBB10_2632:
	v_mov_b32_e32 v3, 0
	v_cmp_ne_u16_sdwa s[8:9], v4, v3 src0_sel:BYTE_0 src1_sel:DWORD
	s_andn2_b64 s[4:5], s[4:5], exec
	s_and_b64 s[8:9], s[8:9], exec
	s_or_b64 s[4:5], s[4:5], s[8:9]
	s_or_b64 exec, exec, s[6:7]
	s_and_saveexec_b64 s[6:7], s[4:5]
	s_cbranch_execnz .LBB10_583
	s_branch .LBB10_584
.LBB10_2633:
	s_movk_i32 s4, 0x80
	v_cmp_eq_u16_sdwa s[12:13], v3, s4 src0_sel:BYTE_0 src1_sel:DWORD
	s_mov_b64 s[4:5], -1
                                        ; implicit-def: $sgpr10
	s_and_saveexec_b64 s[8:9], s[12:13]
; %bb.2634:
	s_mov_b32 s10, 0x7f800001
	s_xor_b64 s[4:5], exec, -1
; %bb.2635:
	s_or_b64 exec, exec, s[8:9]
	s_and_b64 s[4:5], s[4:5], exec
	s_or_saveexec_b64 s[6:7], s[6:7]
	v_mov_b32_e32 v2, s10
	s_xor_b64 exec, exec, s[6:7]
	s_cbranch_execz .LBB10_586
.LBB10_2636:
	v_mov_b32_e32 v2, 0
	v_cmp_ne_u16_sdwa s[8:9], v3, v2 src0_sel:BYTE_0 src1_sel:DWORD
	s_andn2_b64 s[4:5], s[4:5], exec
	s_and_b64 s[8:9], s[8:9], exec
	s_or_b64 s[4:5], s[4:5], s[8:9]
	s_or_b64 exec, exec, s[6:7]
	s_and_saveexec_b64 s[6:7], s[4:5]
	s_cbranch_execnz .LBB10_587
	s_branch .LBB10_588
.LBB10_2637:
	s_movk_i32 s4, 0x80
	v_cmp_eq_u16_sdwa s[12:13], v3, s4 src0_sel:BYTE_0 src1_sel:DWORD
	s_mov_b64 s[4:5], -1
                                        ; implicit-def: $sgpr10
	s_and_saveexec_b64 s[8:9], s[12:13]
; %bb.2638:
	s_mov_b32 s10, 0x7f800001
	s_xor_b64 s[4:5], exec, -1
; %bb.2639:
	s_or_b64 exec, exec, s[8:9]
	s_and_b64 s[4:5], s[4:5], exec
	s_or_saveexec_b64 s[6:7], s[6:7]
	v_mov_b32_e32 v6, s10
	s_xor_b64 exec, exec, s[6:7]
	s_cbranch_execz .LBB10_590
.LBB10_2640:
	v_mov_b32_e32 v6, 0
	v_cmp_ne_u16_sdwa s[8:9], v3, v6 src0_sel:BYTE_0 src1_sel:DWORD
	s_andn2_b64 s[4:5], s[4:5], exec
	s_and_b64 s[8:9], s[8:9], exec
	s_or_b64 s[4:5], s[4:5], s[8:9]
	s_or_b64 exec, exec, s[6:7]
	s_and_saveexec_b64 s[6:7], s[4:5]
	s_cbranch_execnz .LBB10_591
	s_branch .LBB10_592
.LBB10_2641:
	s_movk_i32 s4, 0x80
	v_cmp_eq_u16_e32 vcc, s4, v3
	s_mov_b64 s[4:5], -1
                                        ; implicit-def: $sgpr10
	s_and_saveexec_b64 s[8:9], vcc
; %bb.2642:
	s_mov_b32 s10, 0x7f800001
	s_xor_b64 s[4:5], exec, -1
; %bb.2643:
	s_or_b64 exec, exec, s[8:9]
	s_and_b64 s[4:5], s[4:5], exec
                                        ; implicit-def: $vgpr3
	s_or_saveexec_b64 s[6:7], s[6:7]
	v_mov_b32_e32 v2, s10
	s_xor_b64 exec, exec, s[6:7]
	s_cbranch_execz .LBB10_594
.LBB10_2644:
	v_cmp_ne_u16_e32 vcc, 0, v3
	s_andn2_b64 s[4:5], s[4:5], exec
	s_and_b64 s[8:9], vcc, exec
	v_mov_b32_e32 v2, 0
	s_or_b64 s[4:5], s[4:5], s[8:9]
	s_or_b64 exec, exec, s[6:7]
	s_and_saveexec_b64 s[6:7], s[4:5]
	s_cbranch_execnz .LBB10_595
	s_branch .LBB10_596
.LBB10_2645:
	s_movk_i32 s4, 0x80
	v_cmp_eq_u16_e32 vcc, s4, v3
	s_mov_b64 s[4:5], -1
                                        ; implicit-def: $sgpr10
	s_and_saveexec_b64 s[8:9], vcc
; %bb.2646:
	s_mov_b32 s10, 0x7f800001
	s_xor_b64 s[4:5], exec, -1
; %bb.2647:
	s_or_b64 exec, exec, s[8:9]
	s_and_b64 s[4:5], s[4:5], exec
                                        ; implicit-def: $vgpr3
	s_or_saveexec_b64 s[6:7], s[6:7]
	v_mov_b32_e32 v6, s10
	s_xor_b64 exec, exec, s[6:7]
	s_cbranch_execz .LBB10_598
.LBB10_2648:
	v_cmp_ne_u16_e32 vcc, 0, v3
	s_andn2_b64 s[4:5], s[4:5], exec
	s_and_b64 s[8:9], vcc, exec
	v_mov_b32_e32 v6, 0
	s_or_b64 s[4:5], s[4:5], s[8:9]
	s_or_b64 exec, exec, s[6:7]
	s_and_saveexec_b64 s[6:7], s[4:5]
	s_cbranch_execnz .LBB10_599
	s_branch .LBB10_600
.LBB10_2649:
	s_movk_i32 s4, 0x80
	v_cmp_eq_u16_sdwa s[12:13], v8, s4 src0_sel:BYTE_3 src1_sel:DWORD
	s_mov_b64 s[4:5], -1
                                        ; implicit-def: $sgpr10
	s_and_saveexec_b64 s[8:9], s[12:13]
; %bb.2650:
	s_mov_b32 s10, 0x7f800001
	s_xor_b64 s[4:5], exec, -1
; %bb.2651:
	s_or_b64 exec, exec, s[8:9]
	s_and_b64 s[4:5], s[4:5], exec
	s_or_saveexec_b64 s[6:7], s[6:7]
	v_mov_b32_e32 v2, s10
	s_xor_b64 exec, exec, s[6:7]
	s_cbranch_execz .LBB10_602
.LBB10_2652:
	v_mov_b32_e32 v2, 0
	v_cmp_ne_u16_sdwa s[8:9], v8, v2 src0_sel:BYTE_3 src1_sel:DWORD
	s_andn2_b64 s[4:5], s[4:5], exec
	s_and_b64 s[8:9], s[8:9], exec
	s_or_b64 s[4:5], s[4:5], s[8:9]
	s_or_b64 exec, exec, s[6:7]
	s_and_saveexec_b64 s[6:7], s[4:5]
	s_cbranch_execnz .LBB10_603
	s_branch .LBB10_604
.LBB10_2653:
	s_movk_i32 s4, 0x80
	v_cmp_eq_u16_sdwa s[12:13], v4, s4 src0_sel:BYTE_3 src1_sel:DWORD
	s_mov_b64 s[4:5], -1
                                        ; implicit-def: $sgpr10
	s_and_saveexec_b64 s[8:9], s[12:13]
; %bb.2654:
	s_mov_b32 s10, 0x7f800001
	s_xor_b64 s[4:5], exec, -1
; %bb.2655:
	s_or_b64 exec, exec, s[8:9]
	s_and_b64 s[4:5], s[4:5], exec
	s_or_saveexec_b64 s[6:7], s[6:7]
	v_mov_b32_e32 v3, s10
	s_xor_b64 exec, exec, s[6:7]
	s_cbranch_execz .LBB10_606
.LBB10_2656:
	v_mov_b32_e32 v3, 0
	v_cmp_ne_u16_sdwa s[8:9], v4, v3 src0_sel:BYTE_3 src1_sel:DWORD
	s_andn2_b64 s[4:5], s[4:5], exec
	s_and_b64 s[8:9], s[8:9], exec
	s_or_b64 s[4:5], s[4:5], s[8:9]
	s_or_b64 exec, exec, s[6:7]
	s_and_saveexec_b64 s[6:7], s[4:5]
	s_cbranch_execnz .LBB10_607
	s_branch .LBB10_608
.LBB10_2657:
	s_movk_i32 s4, 0x80
	v_cmp_eq_u16_sdwa s[12:13], v9, s4 src0_sel:BYTE_0 src1_sel:DWORD
	s_mov_b64 s[4:5], -1
                                        ; implicit-def: $sgpr10
	s_and_saveexec_b64 s[8:9], s[12:13]
; %bb.2658:
	s_mov_b32 s10, 0x7f800001
	s_xor_b64 s[4:5], exec, -1
; %bb.2659:
	s_or_b64 exec, exec, s[8:9]
	s_and_b64 s[4:5], s[4:5], exec
	s_or_saveexec_b64 s[6:7], s[6:7]
	v_mov_b32_e32 v2, s10
	s_xor_b64 exec, exec, s[6:7]
	s_cbranch_execz .LBB10_610
.LBB10_2660:
	v_mov_b32_e32 v2, 0
	v_cmp_ne_u16_sdwa s[8:9], v9, v2 src0_sel:BYTE_0 src1_sel:DWORD
	s_andn2_b64 s[4:5], s[4:5], exec
	s_and_b64 s[8:9], s[8:9], exec
	s_or_b64 s[4:5], s[4:5], s[8:9]
	s_or_b64 exec, exec, s[6:7]
	s_and_saveexec_b64 s[6:7], s[4:5]
	s_cbranch_execnz .LBB10_611
	s_branch .LBB10_612
.LBB10_2661:
	s_movk_i32 s4, 0x80
	v_cmp_eq_u16_sdwa s[12:13], v5, s4 src0_sel:BYTE_0 src1_sel:DWORD
	s_mov_b64 s[4:5], -1
                                        ; implicit-def: $sgpr10
	s_and_saveexec_b64 s[8:9], s[12:13]
; %bb.2662:
	s_mov_b32 s10, 0x7f800001
	s_xor_b64 s[4:5], exec, -1
; %bb.2663:
	s_or_b64 exec, exec, s[8:9]
	s_and_b64 s[4:5], s[4:5], exec
	s_or_saveexec_b64 s[6:7], s[6:7]
	v_mov_b32_e32 v3, s10
	s_xor_b64 exec, exec, s[6:7]
	s_cbranch_execz .LBB10_614
.LBB10_2664:
	v_mov_b32_e32 v3, 0
	v_cmp_ne_u16_sdwa s[8:9], v5, v3 src0_sel:BYTE_0 src1_sel:DWORD
	s_andn2_b64 s[4:5], s[4:5], exec
	s_and_b64 s[8:9], s[8:9], exec
	s_or_b64 s[4:5], s[4:5], s[8:9]
	s_or_b64 exec, exec, s[6:7]
	s_and_saveexec_b64 s[6:7], s[4:5]
	s_cbranch_execnz .LBB10_615
	s_branch .LBB10_616
.LBB10_2665:
	s_movk_i32 s4, 0x80
	v_cmp_eq_u16_sdwa s[12:13], v3, s4 src0_sel:BYTE_0 src1_sel:DWORD
	s_mov_b64 s[4:5], -1
                                        ; implicit-def: $sgpr10
	s_and_saveexec_b64 s[8:9], s[12:13]
; %bb.2666:
	s_mov_b32 s10, 0x7f800001
	s_xor_b64 s[4:5], exec, -1
; %bb.2667:
	s_or_b64 exec, exec, s[8:9]
	s_and_b64 s[4:5], s[4:5], exec
	s_or_saveexec_b64 s[6:7], s[6:7]
	v_mov_b32_e32 v2, s10
	s_xor_b64 exec, exec, s[6:7]
	s_cbranch_execz .LBB10_618
.LBB10_2668:
	v_mov_b32_e32 v2, 0
	v_cmp_ne_u16_sdwa s[8:9], v3, v2 src0_sel:BYTE_0 src1_sel:DWORD
	s_andn2_b64 s[4:5], s[4:5], exec
	s_and_b64 s[8:9], s[8:9], exec
	s_or_b64 s[4:5], s[4:5], s[8:9]
	s_or_b64 exec, exec, s[6:7]
	s_and_saveexec_b64 s[6:7], s[4:5]
	s_cbranch_execnz .LBB10_619
	s_branch .LBB10_620
.LBB10_2669:
	s_movk_i32 s4, 0x80
	v_cmp_eq_u16_sdwa s[12:13], v3, s4 src0_sel:BYTE_0 src1_sel:DWORD
	s_mov_b64 s[4:5], -1
                                        ; implicit-def: $sgpr10
	s_and_saveexec_b64 s[8:9], s[12:13]
; %bb.2670:
	s_mov_b32 s10, 0x7f800001
	s_xor_b64 s[4:5], exec, -1
; %bb.2671:
	s_or_b64 exec, exec, s[8:9]
	s_and_b64 s[4:5], s[4:5], exec
	s_or_saveexec_b64 s[6:7], s[6:7]
	v_mov_b32_e32 v4, s10
	s_xor_b64 exec, exec, s[6:7]
	s_cbranch_execz .LBB10_622
.LBB10_2672:
	v_mov_b32_e32 v4, 0
	v_cmp_ne_u16_sdwa s[8:9], v3, v4 src0_sel:BYTE_0 src1_sel:DWORD
	s_andn2_b64 s[4:5], s[4:5], exec
	s_and_b64 s[8:9], s[8:9], exec
	s_or_b64 s[4:5], s[4:5], s[8:9]
	s_or_b64 exec, exec, s[6:7]
	s_and_saveexec_b64 s[6:7], s[4:5]
	s_cbranch_execnz .LBB10_623
	s_branch .LBB10_624
.LBB10_2673:
	s_movk_i32 s4, 0x80
	v_cmp_eq_u16_e32 vcc, s4, v3
	s_mov_b64 s[4:5], -1
                                        ; implicit-def: $sgpr10
	s_and_saveexec_b64 s[8:9], vcc
; %bb.2674:
	s_mov_b32 s10, 0x7f800001
	s_xor_b64 s[4:5], exec, -1
; %bb.2675:
	s_or_b64 exec, exec, s[8:9]
	s_and_b64 s[4:5], s[4:5], exec
                                        ; implicit-def: $vgpr3
	s_or_saveexec_b64 s[6:7], s[6:7]
	v_mov_b32_e32 v2, s10
	s_xor_b64 exec, exec, s[6:7]
	s_cbranch_execz .LBB10_626
.LBB10_2676:
	v_cmp_ne_u16_e32 vcc, 0, v3
	s_andn2_b64 s[4:5], s[4:5], exec
	s_and_b64 s[8:9], vcc, exec
	v_mov_b32_e32 v2, 0
	s_or_b64 s[4:5], s[4:5], s[8:9]
	s_or_b64 exec, exec, s[6:7]
	s_and_saveexec_b64 s[6:7], s[4:5]
	s_cbranch_execnz .LBB10_627
	s_branch .LBB10_628
.LBB10_2677:
	s_movk_i32 s4, 0x80
	v_cmp_eq_u16_e32 vcc, s4, v3
	s_mov_b64 s[4:5], -1
                                        ; implicit-def: $sgpr10
	s_and_saveexec_b64 s[8:9], vcc
; %bb.2678:
	s_mov_b32 s10, 0x7f800001
	s_xor_b64 s[4:5], exec, -1
; %bb.2679:
	s_or_b64 exec, exec, s[8:9]
	s_and_b64 s[4:5], s[4:5], exec
                                        ; implicit-def: $vgpr3
	s_or_saveexec_b64 s[6:7], s[6:7]
	v_mov_b32_e32 v4, s10
	s_xor_b64 exec, exec, s[6:7]
	s_cbranch_execz .LBB10_630
.LBB10_2680:
	v_cmp_ne_u16_e32 vcc, 0, v3
	s_andn2_b64 s[4:5], s[4:5], exec
	s_and_b64 s[8:9], vcc, exec
	v_mov_b32_e32 v4, 0
	s_or_b64 s[4:5], s[4:5], s[8:9]
	s_or_b64 exec, exec, s[6:7]
	s_and_saveexec_b64 s[6:7], s[4:5]
	s_cbranch_execnz .LBB10_631
	s_branch .LBB10_632
.LBB10_2681:
	s_movk_i32 s4, 0x80
	v_cmp_eq_u16_sdwa s[12:13], v9, s4 src0_sel:BYTE_3 src1_sel:DWORD
	s_mov_b64 s[4:5], -1
                                        ; implicit-def: $sgpr10
	s_and_saveexec_b64 s[8:9], s[12:13]
; %bb.2682:
	s_mov_b32 s10, 0x7f800001
	s_xor_b64 s[4:5], exec, -1
; %bb.2683:
	s_or_b64 exec, exec, s[8:9]
	s_and_b64 s[4:5], s[4:5], exec
	s_or_saveexec_b64 s[6:7], s[6:7]
	v_mov_b32_e32 v2, s10
	s_xor_b64 exec, exec, s[6:7]
	s_cbranch_execz .LBB10_634
.LBB10_2684:
	v_mov_b32_e32 v2, 0
	v_cmp_ne_u16_sdwa s[8:9], v9, v2 src0_sel:BYTE_3 src1_sel:DWORD
	s_andn2_b64 s[4:5], s[4:5], exec
	s_and_b64 s[8:9], s[8:9], exec
	s_or_b64 s[4:5], s[4:5], s[8:9]
	s_or_b64 exec, exec, s[6:7]
	s_and_saveexec_b64 s[6:7], s[4:5]
	s_cbranch_execnz .LBB10_635
	s_branch .LBB10_636
.LBB10_2685:
	s_movk_i32 s4, 0x80
	v_cmp_eq_u16_sdwa s[12:13], v5, s4 src0_sel:BYTE_3 src1_sel:DWORD
	s_mov_b64 s[4:5], -1
                                        ; implicit-def: $sgpr10
	s_and_saveexec_b64 s[8:9], s[12:13]
; %bb.2686:
	s_mov_b32 s10, 0x7f800001
	s_xor_b64 s[4:5], exec, -1
; %bb.2687:
	s_or_b64 exec, exec, s[8:9]
	s_and_b64 s[4:5], s[4:5], exec
	s_or_saveexec_b64 s[6:7], s[6:7]
	v_mov_b32_e32 v3, s10
	s_xor_b64 exec, exec, s[6:7]
	s_cbranch_execz .LBB10_638
.LBB10_2688:
	v_mov_b32_e32 v3, 0
	v_cmp_ne_u16_sdwa s[8:9], v5, v3 src0_sel:BYTE_3 src1_sel:DWORD
	s_andn2_b64 s[4:5], s[4:5], exec
	s_and_b64 s[8:9], s[8:9], exec
	s_or_b64 s[4:5], s[4:5], s[8:9]
	s_or_b64 exec, exec, s[6:7]
	s_and_saveexec_b64 s[6:7], s[4:5]
	s_cbranch_execnz .LBB10_639
	s_branch .LBB10_640
.LBB10_2689:
	s_movk_i32 s4, 0x80
	v_cmp_eq_u16_sdwa s[12:13], v6, s4 src0_sel:BYTE_0 src1_sel:DWORD
	s_mov_b64 s[4:5], -1
                                        ; implicit-def: $sgpr10
	s_and_saveexec_b64 s[8:9], s[12:13]
; %bb.2690:
	s_mov_b32 s10, 0x7f800001
	s_xor_b64 s[4:5], exec, -1
; %bb.2691:
	s_or_b64 exec, exec, s[8:9]
	s_and_b64 s[4:5], s[4:5], exec
	s_or_saveexec_b64 s[6:7], s[6:7]
	v_mov_b32_e32 v12, s10
	s_xor_b64 exec, exec, s[6:7]
	s_cbranch_execz .LBB10_642
.LBB10_2692:
	v_mov_b32_e32 v12, 0
	v_cmp_ne_u16_sdwa s[8:9], v6, v12 src0_sel:BYTE_0 src1_sel:DWORD
	s_andn2_b64 s[4:5], s[4:5], exec
	s_and_b64 s[8:9], s[8:9], exec
	s_or_b64 s[4:5], s[4:5], s[8:9]
	s_or_b64 exec, exec, s[6:7]
	s_and_saveexec_b64 s[6:7], s[4:5]
	s_cbranch_execnz .LBB10_643
	s_branch .LBB10_644
.LBB10_2693:
	s_movk_i32 s4, 0x80
	v_cmp_eq_u16_sdwa s[12:13], v2, s4 src0_sel:BYTE_0 src1_sel:DWORD
	s_mov_b64 s[4:5], -1
                                        ; implicit-def: $sgpr10
	s_and_saveexec_b64 s[8:9], s[12:13]
; %bb.2694:
	s_mov_b32 s10, 0x7f800001
	s_xor_b64 s[4:5], exec, -1
; %bb.2695:
	s_or_b64 exec, exec, s[8:9]
	s_and_b64 s[4:5], s[4:5], exec
	s_or_saveexec_b64 s[6:7], s[6:7]
	v_mov_b32_e32 v13, s10
	s_xor_b64 exec, exec, s[6:7]
	s_cbranch_execz .LBB10_646
.LBB10_2696:
	v_mov_b32_e32 v13, 0
	v_cmp_ne_u16_sdwa s[8:9], v2, v13 src0_sel:BYTE_0 src1_sel:DWORD
	s_andn2_b64 s[4:5], s[4:5], exec
	s_and_b64 s[8:9], s[8:9], exec
	s_or_b64 s[4:5], s[4:5], s[8:9]
	s_or_b64 exec, exec, s[6:7]
	s_and_saveexec_b64 s[6:7], s[4:5]
	s_cbranch_execnz .LBB10_647
	s_branch .LBB10_648
.LBB10_2697:
	s_movk_i32 s4, 0x80
	v_cmp_eq_u16_sdwa s[12:13], v13, s4 src0_sel:BYTE_0 src1_sel:DWORD
	s_mov_b64 s[4:5], -1
                                        ; implicit-def: $sgpr10
	s_and_saveexec_b64 s[8:9], s[12:13]
; %bb.2698:
	s_mov_b32 s10, 0x7f800001
	s_xor_b64 s[4:5], exec, -1
; %bb.2699:
	s_or_b64 exec, exec, s[8:9]
	s_and_b64 s[4:5], s[4:5], exec
	s_or_saveexec_b64 s[6:7], s[6:7]
	v_mov_b32_e32 v12, s10
	s_xor_b64 exec, exec, s[6:7]
	s_cbranch_execz .LBB10_650
.LBB10_2700:
	v_mov_b32_e32 v12, 0
	v_cmp_ne_u16_sdwa s[8:9], v13, v12 src0_sel:BYTE_0 src1_sel:DWORD
	s_andn2_b64 s[4:5], s[4:5], exec
	s_and_b64 s[8:9], s[8:9], exec
	s_or_b64 s[4:5], s[4:5], s[8:9]
	s_or_b64 exec, exec, s[6:7]
	s_and_saveexec_b64 s[6:7], s[4:5]
	s_cbranch_execnz .LBB10_651
	s_branch .LBB10_652
.LBB10_2701:
	s_movk_i32 s4, 0x80
	v_cmp_eq_u16_sdwa s[12:13], v13, s4 src0_sel:BYTE_0 src1_sel:DWORD
	s_mov_b64 s[4:5], -1
                                        ; implicit-def: $sgpr10
	s_and_saveexec_b64 s[8:9], s[12:13]
; %bb.2702:
	s_mov_b32 s10, 0x7f800001
	s_xor_b64 s[4:5], exec, -1
; %bb.2703:
	s_or_b64 exec, exec, s[8:9]
	s_and_b64 s[4:5], s[4:5], exec
	s_or_saveexec_b64 s[6:7], s[6:7]
	v_mov_b32_e32 v14, s10
	s_xor_b64 exec, exec, s[6:7]
	s_cbranch_execz .LBB10_654
.LBB10_2704:
	v_mov_b32_e32 v14, 0
	v_cmp_ne_u16_sdwa s[8:9], v13, v14 src0_sel:BYTE_0 src1_sel:DWORD
	s_andn2_b64 s[4:5], s[4:5], exec
	s_and_b64 s[8:9], s[8:9], exec
	s_or_b64 s[4:5], s[4:5], s[8:9]
	s_or_b64 exec, exec, s[6:7]
	s_and_saveexec_b64 s[6:7], s[4:5]
	s_cbranch_execnz .LBB10_655
	s_branch .LBB10_656
.LBB10_2705:
	s_movk_i32 s4, 0x80
	v_cmp_eq_u16_e32 vcc, s4, v13
	s_mov_b64 s[4:5], -1
                                        ; implicit-def: $sgpr10
	s_and_saveexec_b64 s[8:9], vcc
; %bb.2706:
	s_mov_b32 s10, 0x7f800001
	s_xor_b64 s[4:5], exec, -1
; %bb.2707:
	s_or_b64 exec, exec, s[8:9]
	s_and_b64 s[4:5], s[4:5], exec
                                        ; implicit-def: $vgpr13
	s_or_saveexec_b64 s[6:7], s[6:7]
	v_mov_b32_e32 v12, s10
	s_xor_b64 exec, exec, s[6:7]
	s_cbranch_execz .LBB10_658
.LBB10_2708:
	v_cmp_ne_u16_e32 vcc, 0, v13
	s_andn2_b64 s[4:5], s[4:5], exec
	s_and_b64 s[8:9], vcc, exec
	v_mov_b32_e32 v12, 0
	s_or_b64 s[4:5], s[4:5], s[8:9]
	s_or_b64 exec, exec, s[6:7]
	s_and_saveexec_b64 s[6:7], s[4:5]
	s_cbranch_execnz .LBB10_659
	s_branch .LBB10_660
.LBB10_2709:
	s_movk_i32 s4, 0x80
	v_cmp_eq_u16_e32 vcc, s4, v13
	s_mov_b64 s[4:5], -1
                                        ; implicit-def: $sgpr10
	s_and_saveexec_b64 s[8:9], vcc
; %bb.2710:
	s_mov_b32 s10, 0x7f800001
	s_xor_b64 s[4:5], exec, -1
; %bb.2711:
	s_or_b64 exec, exec, s[8:9]
	s_and_b64 s[4:5], s[4:5], exec
                                        ; implicit-def: $vgpr13
	s_or_saveexec_b64 s[6:7], s[6:7]
	v_mov_b32_e32 v14, s10
	s_xor_b64 exec, exec, s[6:7]
	s_cbranch_execz .LBB10_662
.LBB10_2712:
	v_cmp_ne_u16_e32 vcc, 0, v13
	s_andn2_b64 s[4:5], s[4:5], exec
	s_and_b64 s[8:9], vcc, exec
	v_mov_b32_e32 v14, 0
	s_or_b64 s[4:5], s[4:5], s[8:9]
	s_or_b64 exec, exec, s[6:7]
	s_and_saveexec_b64 s[6:7], s[4:5]
	s_cbranch_execnz .LBB10_663
	s_branch .LBB10_664
.LBB10_2713:
	s_movk_i32 s4, 0x80
	v_cmp_eq_u16_sdwa s[12:13], v6, s4 src0_sel:BYTE_3 src1_sel:DWORD
	s_mov_b64 s[4:5], -1
                                        ; implicit-def: $sgpr10
	s_and_saveexec_b64 s[8:9], s[12:13]
; %bb.2714:
	s_mov_b32 s10, 0x7f800001
	s_xor_b64 s[4:5], exec, -1
; %bb.2715:
	s_or_b64 exec, exec, s[8:9]
	s_and_b64 s[4:5], s[4:5], exec
	s_or_saveexec_b64 s[6:7], s[6:7]
	v_mov_b32_e32 v12, s10
	s_xor_b64 exec, exec, s[6:7]
	s_cbranch_execz .LBB10_666
.LBB10_2716:
	v_mov_b32_e32 v12, 0
	v_cmp_ne_u16_sdwa s[8:9], v6, v12 src0_sel:BYTE_3 src1_sel:DWORD
	s_andn2_b64 s[4:5], s[4:5], exec
	s_and_b64 s[8:9], s[8:9], exec
	s_or_b64 s[4:5], s[4:5], s[8:9]
	s_or_b64 exec, exec, s[6:7]
	s_and_saveexec_b64 s[6:7], s[4:5]
	s_cbranch_execnz .LBB10_667
	s_branch .LBB10_668
.LBB10_2717:
	s_movk_i32 s4, 0x80
	v_cmp_eq_u16_sdwa s[12:13], v2, s4 src0_sel:BYTE_3 src1_sel:DWORD
	s_mov_b64 s[4:5], -1
                                        ; implicit-def: $sgpr10
	s_and_saveexec_b64 s[8:9], s[12:13]
; %bb.2718:
	s_mov_b32 s10, 0x7f800001
	s_xor_b64 s[4:5], exec, -1
; %bb.2719:
	s_or_b64 exec, exec, s[8:9]
	s_and_b64 s[4:5], s[4:5], exec
	s_or_saveexec_b64 s[6:7], s[6:7]
	v_mov_b32_e32 v6, s10
	s_xor_b64 exec, exec, s[6:7]
	s_cbranch_execz .LBB10_670
.LBB10_2720:
	v_mov_b32_e32 v6, 0
	v_cmp_ne_u16_sdwa s[8:9], v2, v6 src0_sel:BYTE_3 src1_sel:DWORD
	s_andn2_b64 s[4:5], s[4:5], exec
	s_and_b64 s[8:9], s[8:9], exec
	s_or_b64 s[4:5], s[4:5], s[8:9]
	s_or_b64 exec, exec, s[6:7]
	s_and_saveexec_b64 s[6:7], s[4:5]
	s_cbranch_execnz .LBB10_671
	s_branch .LBB10_672
.LBB10_2721:
	s_movk_i32 s4, 0x80
	v_cmp_eq_u16_sdwa s[12:13], v7, s4 src0_sel:BYTE_0 src1_sel:DWORD
	s_mov_b64 s[4:5], -1
                                        ; implicit-def: $sgpr10
	s_and_saveexec_b64 s[8:9], s[12:13]
; %bb.2722:
	s_mov_b32 s10, 0x7f800001
	s_xor_b64 s[4:5], exec, -1
; %bb.2723:
	s_or_b64 exec, exec, s[8:9]
	s_and_b64 s[4:5], s[4:5], exec
	s_or_saveexec_b64 s[6:7], s[6:7]
	v_mov_b32_e32 v2, s10
	s_xor_b64 exec, exec, s[6:7]
	s_cbranch_execz .LBB10_674
.LBB10_2724:
	v_mov_b32_e32 v2, 0
	v_cmp_ne_u16_sdwa s[8:9], v7, v2 src0_sel:BYTE_0 src1_sel:DWORD
	s_andn2_b64 s[4:5], s[4:5], exec
	s_and_b64 s[8:9], s[8:9], exec
	s_or_b64 s[4:5], s[4:5], s[8:9]
	s_or_b64 exec, exec, s[6:7]
	s_and_saveexec_b64 s[6:7], s[4:5]
	s_cbranch_execnz .LBB10_675
	s_branch .LBB10_676
.LBB10_2725:
	s_movk_i32 s4, 0x80
	v_cmp_eq_u16_sdwa s[12:13], v3, s4 src0_sel:BYTE_0 src1_sel:DWORD
	s_mov_b64 s[4:5], -1
                                        ; implicit-def: $sgpr10
	s_and_saveexec_b64 s[8:9], s[12:13]
; %bb.2726:
	s_mov_b32 s10, 0x7f800001
	s_xor_b64 s[4:5], exec, -1
; %bb.2727:
	s_or_b64 exec, exec, s[8:9]
	s_and_b64 s[4:5], s[4:5], exec
	s_or_saveexec_b64 s[6:7], s[6:7]
	v_mov_b32_e32 v6, s10
	s_xor_b64 exec, exec, s[6:7]
	s_cbranch_execz .LBB10_678
.LBB10_2728:
	v_mov_b32_e32 v6, 0
	v_cmp_ne_u16_sdwa s[8:9], v3, v6 src0_sel:BYTE_0 src1_sel:DWORD
	s_andn2_b64 s[4:5], s[4:5], exec
	s_and_b64 s[8:9], s[8:9], exec
	s_or_b64 s[4:5], s[4:5], s[8:9]
	s_or_b64 exec, exec, s[6:7]
	s_and_saveexec_b64 s[6:7], s[4:5]
	s_cbranch_execnz .LBB10_679
	s_branch .LBB10_680
.LBB10_2729:
	s_movk_i32 s4, 0x80
	v_cmp_eq_u16_sdwa s[12:13], v6, s4 src0_sel:BYTE_0 src1_sel:DWORD
	s_mov_b64 s[4:5], -1
                                        ; implicit-def: $sgpr10
	s_and_saveexec_b64 s[8:9], s[12:13]
; %bb.2730:
	s_mov_b32 s10, 0x7f800001
	s_xor_b64 s[4:5], exec, -1
; %bb.2731:
	s_or_b64 exec, exec, s[8:9]
	s_and_b64 s[4:5], s[4:5], exec
	s_or_saveexec_b64 s[6:7], s[6:7]
	v_mov_b32_e32 v2, s10
	s_xor_b64 exec, exec, s[6:7]
	s_cbranch_execz .LBB10_682
.LBB10_2732:
	v_mov_b32_e32 v2, 0
	v_cmp_ne_u16_sdwa s[8:9], v6, v2 src0_sel:BYTE_0 src1_sel:DWORD
	s_andn2_b64 s[4:5], s[4:5], exec
	s_and_b64 s[8:9], s[8:9], exec
	s_or_b64 s[4:5], s[4:5], s[8:9]
	s_or_b64 exec, exec, s[6:7]
	s_and_saveexec_b64 s[6:7], s[4:5]
	s_cbranch_execnz .LBB10_683
	s_branch .LBB10_684
.LBB10_2733:
	s_movk_i32 s4, 0x80
	v_cmp_eq_u16_sdwa s[12:13], v6, s4 src0_sel:BYTE_0 src1_sel:DWORD
	s_mov_b64 s[4:5], -1
                                        ; implicit-def: $sgpr10
	s_and_saveexec_b64 s[8:9], s[12:13]
; %bb.2734:
	s_mov_b32 s10, 0x7f800001
	s_xor_b64 s[4:5], exec, -1
; %bb.2735:
	s_or_b64 exec, exec, s[8:9]
	s_and_b64 s[4:5], s[4:5], exec
	s_or_saveexec_b64 s[6:7], s[6:7]
	v_mov_b32_e32 v12, s10
	s_xor_b64 exec, exec, s[6:7]
	s_cbranch_execz .LBB10_686
.LBB10_2736:
	v_mov_b32_e32 v12, 0
	v_cmp_ne_u16_sdwa s[8:9], v6, v12 src0_sel:BYTE_0 src1_sel:DWORD
	s_andn2_b64 s[4:5], s[4:5], exec
	s_and_b64 s[8:9], s[8:9], exec
	s_or_b64 s[4:5], s[4:5], s[8:9]
	s_or_b64 exec, exec, s[6:7]
	s_and_saveexec_b64 s[6:7], s[4:5]
	s_cbranch_execnz .LBB10_687
	s_branch .LBB10_688
.LBB10_2737:
	s_movk_i32 s4, 0x80
	v_cmp_eq_u16_e32 vcc, s4, v6
	s_mov_b64 s[4:5], -1
                                        ; implicit-def: $sgpr10
	s_and_saveexec_b64 s[8:9], vcc
; %bb.2738:
	s_mov_b32 s10, 0x7f800001
	s_xor_b64 s[4:5], exec, -1
; %bb.2739:
	s_or_b64 exec, exec, s[8:9]
	s_and_b64 s[4:5], s[4:5], exec
                                        ; implicit-def: $vgpr6
	s_or_saveexec_b64 s[6:7], s[6:7]
	v_mov_b32_e32 v2, s10
	s_xor_b64 exec, exec, s[6:7]
	s_cbranch_execz .LBB10_690
.LBB10_2740:
	v_cmp_ne_u16_e32 vcc, 0, v6
	s_andn2_b64 s[4:5], s[4:5], exec
	s_and_b64 s[8:9], vcc, exec
	v_mov_b32_e32 v2, 0
	s_or_b64 s[4:5], s[4:5], s[8:9]
	s_or_b64 exec, exec, s[6:7]
	s_and_saveexec_b64 s[6:7], s[4:5]
	s_cbranch_execnz .LBB10_691
	s_branch .LBB10_692
.LBB10_2741:
	s_movk_i32 s4, 0x80
	v_cmp_eq_u16_e32 vcc, s4, v6
	s_mov_b64 s[4:5], -1
                                        ; implicit-def: $sgpr10
	s_and_saveexec_b64 s[8:9], vcc
; %bb.2742:
	s_mov_b32 s10, 0x7f800001
	s_xor_b64 s[4:5], exec, -1
; %bb.2743:
	s_or_b64 exec, exec, s[8:9]
	s_and_b64 s[4:5], s[4:5], exec
                                        ; implicit-def: $vgpr6
	s_or_saveexec_b64 s[6:7], s[6:7]
	v_mov_b32_e32 v12, s10
	s_xor_b64 exec, exec, s[6:7]
	s_cbranch_execz .LBB10_694
.LBB10_2744:
	v_cmp_ne_u16_e32 vcc, 0, v6
	s_andn2_b64 s[4:5], s[4:5], exec
	s_and_b64 s[8:9], vcc, exec
	v_mov_b32_e32 v12, 0
	s_or_b64 s[4:5], s[4:5], s[8:9]
	s_or_b64 exec, exec, s[6:7]
	s_and_saveexec_b64 s[6:7], s[4:5]
	s_cbranch_execnz .LBB10_695
	s_branch .LBB10_696
.LBB10_2745:
	s_movk_i32 s4, 0x80
	v_cmp_eq_u16_sdwa s[12:13], v7, s4 src0_sel:BYTE_3 src1_sel:DWORD
	s_mov_b64 s[4:5], -1
                                        ; implicit-def: $sgpr10
	s_and_saveexec_b64 s[8:9], s[12:13]
; %bb.2746:
	s_mov_b32 s10, 0x7f800001
	s_xor_b64 s[4:5], exec, -1
; %bb.2747:
	s_or_b64 exec, exec, s[8:9]
	s_and_b64 s[4:5], s[4:5], exec
	s_or_saveexec_b64 s[6:7], s[6:7]
	v_mov_b32_e32 v2, s10
	s_xor_b64 exec, exec, s[6:7]
	s_cbranch_execz .LBB10_698
.LBB10_2748:
	v_mov_b32_e32 v2, 0
	v_cmp_ne_u16_sdwa s[8:9], v7, v2 src0_sel:BYTE_3 src1_sel:DWORD
	s_andn2_b64 s[4:5], s[4:5], exec
	s_and_b64 s[8:9], s[8:9], exec
	s_or_b64 s[4:5], s[4:5], s[8:9]
	s_or_b64 exec, exec, s[6:7]
	s_and_saveexec_b64 s[6:7], s[4:5]
	s_cbranch_execnz .LBB10_699
	s_branch .LBB10_700
.LBB10_2749:
	s_movk_i32 s4, 0x80
	v_cmp_eq_u16_sdwa s[12:13], v3, s4 src0_sel:BYTE_3 src1_sel:DWORD
	s_mov_b64 s[4:5], -1
                                        ; implicit-def: $sgpr10
	s_and_saveexec_b64 s[8:9], s[12:13]
; %bb.2750:
	s_mov_b32 s10, 0x7f800001
	s_xor_b64 s[4:5], exec, -1
; %bb.2751:
	s_or_b64 exec, exec, s[8:9]
	s_and_b64 s[4:5], s[4:5], exec
	s_or_saveexec_b64 s[6:7], s[6:7]
	v_mov_b32_e32 v6, s10
	s_xor_b64 exec, exec, s[6:7]
	s_cbranch_execz .LBB10_702
.LBB10_2752:
	v_mov_b32_e32 v6, 0
	v_cmp_ne_u16_sdwa s[8:9], v3, v6 src0_sel:BYTE_3 src1_sel:DWORD
	s_andn2_b64 s[4:5], s[4:5], exec
	s_and_b64 s[8:9], s[8:9], exec
	s_or_b64 s[4:5], s[4:5], s[8:9]
	s_or_b64 exec, exec, s[6:7]
	s_and_saveexec_b64 s[6:7], s[4:5]
	s_cbranch_execnz .LBB10_703
	s_branch .LBB10_704
.LBB10_2753:
	s_movk_i32 s4, 0x80
	v_cmp_eq_u16_sdwa s[12:13], v8, s4 src0_sel:BYTE_0 src1_sel:DWORD
	s_mov_b64 s[4:5], -1
                                        ; implicit-def: $sgpr10
	s_and_saveexec_b64 s[8:9], s[12:13]
; %bb.2754:
	s_mov_b32 s10, 0x7f800001
	s_xor_b64 s[4:5], exec, -1
; %bb.2755:
	s_or_b64 exec, exec, s[8:9]
	s_and_b64 s[4:5], s[4:5], exec
	s_or_saveexec_b64 s[6:7], s[6:7]
	v_mov_b32_e32 v2, s10
	s_xor_b64 exec, exec, s[6:7]
	s_cbranch_execz .LBB10_706
.LBB10_2756:
	v_mov_b32_e32 v2, 0
	v_cmp_ne_u16_sdwa s[8:9], v8, v2 src0_sel:BYTE_0 src1_sel:DWORD
	s_andn2_b64 s[4:5], s[4:5], exec
	s_and_b64 s[8:9], s[8:9], exec
	s_or_b64 s[4:5], s[4:5], s[8:9]
	s_or_b64 exec, exec, s[6:7]
	s_and_saveexec_b64 s[6:7], s[4:5]
	s_cbranch_execnz .LBB10_707
	s_branch .LBB10_708
.LBB10_2757:
	s_movk_i32 s4, 0x80
	v_cmp_eq_u16_sdwa s[12:13], v4, s4 src0_sel:BYTE_0 src1_sel:DWORD
	s_mov_b64 s[4:5], -1
                                        ; implicit-def: $sgpr10
	s_and_saveexec_b64 s[8:9], s[12:13]
; %bb.2758:
	s_mov_b32 s10, 0x7f800001
	s_xor_b64 s[4:5], exec, -1
; %bb.2759:
	s_or_b64 exec, exec, s[8:9]
	s_and_b64 s[4:5], s[4:5], exec
	s_or_saveexec_b64 s[6:7], s[6:7]
	v_mov_b32_e32 v3, s10
	s_xor_b64 exec, exec, s[6:7]
	s_cbranch_execz .LBB10_710
.LBB10_2760:
	v_mov_b32_e32 v3, 0
	v_cmp_ne_u16_sdwa s[8:9], v4, v3 src0_sel:BYTE_0 src1_sel:DWORD
	s_andn2_b64 s[4:5], s[4:5], exec
	s_and_b64 s[8:9], s[8:9], exec
	s_or_b64 s[4:5], s[4:5], s[8:9]
	s_or_b64 exec, exec, s[6:7]
	s_and_saveexec_b64 s[6:7], s[4:5]
	s_cbranch_execnz .LBB10_711
	s_branch .LBB10_712
.LBB10_2761:
	s_movk_i32 s4, 0x80
	v_cmp_eq_u16_sdwa s[12:13], v3, s4 src0_sel:BYTE_0 src1_sel:DWORD
	s_mov_b64 s[4:5], -1
                                        ; implicit-def: $sgpr10
	s_and_saveexec_b64 s[8:9], s[12:13]
; %bb.2762:
	s_mov_b32 s10, 0x7f800001
	s_xor_b64 s[4:5], exec, -1
; %bb.2763:
	s_or_b64 exec, exec, s[8:9]
	s_and_b64 s[4:5], s[4:5], exec
	s_or_saveexec_b64 s[6:7], s[6:7]
	v_mov_b32_e32 v2, s10
	s_xor_b64 exec, exec, s[6:7]
	s_cbranch_execz .LBB10_714
.LBB10_2764:
	v_mov_b32_e32 v2, 0
	v_cmp_ne_u16_sdwa s[8:9], v3, v2 src0_sel:BYTE_0 src1_sel:DWORD
	s_andn2_b64 s[4:5], s[4:5], exec
	s_and_b64 s[8:9], s[8:9], exec
	s_or_b64 s[4:5], s[4:5], s[8:9]
	s_or_b64 exec, exec, s[6:7]
	s_and_saveexec_b64 s[6:7], s[4:5]
	s_cbranch_execnz .LBB10_715
	s_branch .LBB10_716
.LBB10_2765:
	s_movk_i32 s4, 0x80
	v_cmp_eq_u16_sdwa s[12:13], v3, s4 src0_sel:BYTE_0 src1_sel:DWORD
	s_mov_b64 s[4:5], -1
                                        ; implicit-def: $sgpr10
	s_and_saveexec_b64 s[8:9], s[12:13]
; %bb.2766:
	s_mov_b32 s10, 0x7f800001
	s_xor_b64 s[4:5], exec, -1
; %bb.2767:
	s_or_b64 exec, exec, s[8:9]
	s_and_b64 s[4:5], s[4:5], exec
	s_or_saveexec_b64 s[6:7], s[6:7]
	v_mov_b32_e32 v6, s10
	s_xor_b64 exec, exec, s[6:7]
	s_cbranch_execz .LBB10_718
.LBB10_2768:
	v_mov_b32_e32 v6, 0
	v_cmp_ne_u16_sdwa s[8:9], v3, v6 src0_sel:BYTE_0 src1_sel:DWORD
	s_andn2_b64 s[4:5], s[4:5], exec
	s_and_b64 s[8:9], s[8:9], exec
	s_or_b64 s[4:5], s[4:5], s[8:9]
	s_or_b64 exec, exec, s[6:7]
	s_and_saveexec_b64 s[6:7], s[4:5]
	s_cbranch_execnz .LBB10_719
	s_branch .LBB10_720
.LBB10_2769:
	s_movk_i32 s4, 0x80
	v_cmp_eq_u16_e32 vcc, s4, v3
	s_mov_b64 s[4:5], -1
                                        ; implicit-def: $sgpr10
	s_and_saveexec_b64 s[8:9], vcc
; %bb.2770:
	s_mov_b32 s10, 0x7f800001
	s_xor_b64 s[4:5], exec, -1
; %bb.2771:
	s_or_b64 exec, exec, s[8:9]
	s_and_b64 s[4:5], s[4:5], exec
                                        ; implicit-def: $vgpr3
	s_or_saveexec_b64 s[6:7], s[6:7]
	v_mov_b32_e32 v2, s10
	s_xor_b64 exec, exec, s[6:7]
	s_cbranch_execz .LBB10_722
.LBB10_2772:
	v_cmp_ne_u16_e32 vcc, 0, v3
	s_andn2_b64 s[4:5], s[4:5], exec
	s_and_b64 s[8:9], vcc, exec
	v_mov_b32_e32 v2, 0
	s_or_b64 s[4:5], s[4:5], s[8:9]
	s_or_b64 exec, exec, s[6:7]
	s_and_saveexec_b64 s[6:7], s[4:5]
	s_cbranch_execnz .LBB10_723
	s_branch .LBB10_724
.LBB10_2773:
	s_movk_i32 s4, 0x80
	v_cmp_eq_u16_e32 vcc, s4, v3
	s_mov_b64 s[4:5], -1
                                        ; implicit-def: $sgpr10
	s_and_saveexec_b64 s[8:9], vcc
; %bb.2774:
	s_mov_b32 s10, 0x7f800001
	s_xor_b64 s[4:5], exec, -1
; %bb.2775:
	s_or_b64 exec, exec, s[8:9]
	s_and_b64 s[4:5], s[4:5], exec
                                        ; implicit-def: $vgpr3
	s_or_saveexec_b64 s[6:7], s[6:7]
	v_mov_b32_e32 v6, s10
	s_xor_b64 exec, exec, s[6:7]
	s_cbranch_execz .LBB10_726
.LBB10_2776:
	v_cmp_ne_u16_e32 vcc, 0, v3
	s_andn2_b64 s[4:5], s[4:5], exec
	s_and_b64 s[8:9], vcc, exec
	v_mov_b32_e32 v6, 0
	s_or_b64 s[4:5], s[4:5], s[8:9]
	s_or_b64 exec, exec, s[6:7]
	s_and_saveexec_b64 s[6:7], s[4:5]
	s_cbranch_execnz .LBB10_727
	s_branch .LBB10_728
.LBB10_2777:
	s_movk_i32 s4, 0x80
	v_cmp_eq_u16_sdwa s[12:13], v8, s4 src0_sel:BYTE_3 src1_sel:DWORD
	s_mov_b64 s[4:5], -1
                                        ; implicit-def: $sgpr10
	s_and_saveexec_b64 s[8:9], s[12:13]
; %bb.2778:
	s_mov_b32 s10, 0x7f800001
	s_xor_b64 s[4:5], exec, -1
; %bb.2779:
	s_or_b64 exec, exec, s[8:9]
	s_and_b64 s[4:5], s[4:5], exec
	s_or_saveexec_b64 s[6:7], s[6:7]
	v_mov_b32_e32 v2, s10
	s_xor_b64 exec, exec, s[6:7]
	s_cbranch_execz .LBB10_730
.LBB10_2780:
	v_mov_b32_e32 v2, 0
	v_cmp_ne_u16_sdwa s[8:9], v8, v2 src0_sel:BYTE_3 src1_sel:DWORD
	s_andn2_b64 s[4:5], s[4:5], exec
	s_and_b64 s[8:9], s[8:9], exec
	s_or_b64 s[4:5], s[4:5], s[8:9]
	s_or_b64 exec, exec, s[6:7]
	s_and_saveexec_b64 s[6:7], s[4:5]
	s_cbranch_execnz .LBB10_731
	s_branch .LBB10_732
.LBB10_2781:
	s_movk_i32 s4, 0x80
	v_cmp_eq_u16_sdwa s[12:13], v4, s4 src0_sel:BYTE_3 src1_sel:DWORD
	s_mov_b64 s[4:5], -1
                                        ; implicit-def: $sgpr10
	s_and_saveexec_b64 s[8:9], s[12:13]
; %bb.2782:
	s_mov_b32 s10, 0x7f800001
	s_xor_b64 s[4:5], exec, -1
; %bb.2783:
	s_or_b64 exec, exec, s[8:9]
	s_and_b64 s[4:5], s[4:5], exec
	s_or_saveexec_b64 s[6:7], s[6:7]
	v_mov_b32_e32 v3, s10
	s_xor_b64 exec, exec, s[6:7]
	s_cbranch_execz .LBB10_734
.LBB10_2784:
	v_mov_b32_e32 v3, 0
	v_cmp_ne_u16_sdwa s[8:9], v4, v3 src0_sel:BYTE_3 src1_sel:DWORD
	s_andn2_b64 s[4:5], s[4:5], exec
	s_and_b64 s[8:9], s[8:9], exec
	s_or_b64 s[4:5], s[4:5], s[8:9]
	s_or_b64 exec, exec, s[6:7]
	s_and_saveexec_b64 s[6:7], s[4:5]
	s_cbranch_execnz .LBB10_735
	s_branch .LBB10_736
.LBB10_2785:
	s_movk_i32 s4, 0x80
	v_cmp_eq_u16_sdwa s[12:13], v9, s4 src0_sel:BYTE_0 src1_sel:DWORD
	s_mov_b64 s[4:5], -1
                                        ; implicit-def: $sgpr10
	s_and_saveexec_b64 s[8:9], s[12:13]
; %bb.2786:
	s_mov_b32 s10, 0x7f800001
	s_xor_b64 s[4:5], exec, -1
; %bb.2787:
	s_or_b64 exec, exec, s[8:9]
	s_and_b64 s[4:5], s[4:5], exec
	s_or_saveexec_b64 s[6:7], s[6:7]
	v_mov_b32_e32 v2, s10
	s_xor_b64 exec, exec, s[6:7]
	s_cbranch_execz .LBB10_738
.LBB10_2788:
	v_mov_b32_e32 v2, 0
	v_cmp_ne_u16_sdwa s[8:9], v9, v2 src0_sel:BYTE_0 src1_sel:DWORD
	s_andn2_b64 s[4:5], s[4:5], exec
	s_and_b64 s[8:9], s[8:9], exec
	s_or_b64 s[4:5], s[4:5], s[8:9]
	s_or_b64 exec, exec, s[6:7]
	s_and_saveexec_b64 s[6:7], s[4:5]
	s_cbranch_execnz .LBB10_739
	s_branch .LBB10_740
.LBB10_2789:
	s_movk_i32 s4, 0x80
	v_cmp_eq_u16_sdwa s[12:13], v5, s4 src0_sel:BYTE_0 src1_sel:DWORD
	s_mov_b64 s[4:5], -1
                                        ; implicit-def: $sgpr10
	s_and_saveexec_b64 s[8:9], s[12:13]
; %bb.2790:
	s_mov_b32 s10, 0x7f800001
	s_xor_b64 s[4:5], exec, -1
; %bb.2791:
	s_or_b64 exec, exec, s[8:9]
	s_and_b64 s[4:5], s[4:5], exec
	s_or_saveexec_b64 s[6:7], s[6:7]
	v_mov_b32_e32 v3, s10
	s_xor_b64 exec, exec, s[6:7]
	s_cbranch_execz .LBB10_742
.LBB10_2792:
	v_mov_b32_e32 v3, 0
	v_cmp_ne_u16_sdwa s[8:9], v5, v3 src0_sel:BYTE_0 src1_sel:DWORD
	s_andn2_b64 s[4:5], s[4:5], exec
	s_and_b64 s[8:9], s[8:9], exec
	s_or_b64 s[4:5], s[4:5], s[8:9]
	s_or_b64 exec, exec, s[6:7]
	s_and_saveexec_b64 s[6:7], s[4:5]
	s_cbranch_execnz .LBB10_743
	s_branch .LBB10_744
.LBB10_2793:
	s_movk_i32 s4, 0x80
	v_cmp_eq_u16_sdwa s[12:13], v3, s4 src0_sel:BYTE_0 src1_sel:DWORD
	s_mov_b64 s[4:5], -1
                                        ; implicit-def: $sgpr10
	s_and_saveexec_b64 s[8:9], s[12:13]
; %bb.2794:
	s_mov_b32 s10, 0x7f800001
	s_xor_b64 s[4:5], exec, -1
; %bb.2795:
	s_or_b64 exec, exec, s[8:9]
	s_and_b64 s[4:5], s[4:5], exec
	s_or_saveexec_b64 s[6:7], s[6:7]
	v_mov_b32_e32 v2, s10
	s_xor_b64 exec, exec, s[6:7]
	s_cbranch_execz .LBB10_746
.LBB10_2796:
	v_mov_b32_e32 v2, 0
	v_cmp_ne_u16_sdwa s[8:9], v3, v2 src0_sel:BYTE_0 src1_sel:DWORD
	s_andn2_b64 s[4:5], s[4:5], exec
	s_and_b64 s[8:9], s[8:9], exec
	s_or_b64 s[4:5], s[4:5], s[8:9]
	s_or_b64 exec, exec, s[6:7]
	s_and_saveexec_b64 s[6:7], s[4:5]
	s_cbranch_execnz .LBB10_747
	s_branch .LBB10_748
.LBB10_2797:
	s_movk_i32 s4, 0x80
	v_cmp_eq_u16_sdwa s[12:13], v3, s4 src0_sel:BYTE_0 src1_sel:DWORD
	s_mov_b64 s[4:5], -1
                                        ; implicit-def: $sgpr10
	s_and_saveexec_b64 s[8:9], s[12:13]
; %bb.2798:
	s_mov_b32 s10, 0x7f800001
	s_xor_b64 s[4:5], exec, -1
; %bb.2799:
	s_or_b64 exec, exec, s[8:9]
	s_and_b64 s[4:5], s[4:5], exec
	s_or_saveexec_b64 s[6:7], s[6:7]
	v_mov_b32_e32 v4, s10
	s_xor_b64 exec, exec, s[6:7]
	s_cbranch_execz .LBB10_750
.LBB10_2800:
	v_mov_b32_e32 v4, 0
	v_cmp_ne_u16_sdwa s[8:9], v3, v4 src0_sel:BYTE_0 src1_sel:DWORD
	s_andn2_b64 s[4:5], s[4:5], exec
	s_and_b64 s[8:9], s[8:9], exec
	s_or_b64 s[4:5], s[4:5], s[8:9]
	s_or_b64 exec, exec, s[6:7]
	s_and_saveexec_b64 s[6:7], s[4:5]
	s_cbranch_execnz .LBB10_751
	s_branch .LBB10_752
.LBB10_2801:
	s_movk_i32 s4, 0x80
	v_cmp_eq_u16_e32 vcc, s4, v3
	s_mov_b64 s[4:5], -1
                                        ; implicit-def: $sgpr10
	s_and_saveexec_b64 s[8:9], vcc
; %bb.2802:
	s_mov_b32 s10, 0x7f800001
	s_xor_b64 s[4:5], exec, -1
; %bb.2803:
	s_or_b64 exec, exec, s[8:9]
	s_and_b64 s[4:5], s[4:5], exec
                                        ; implicit-def: $vgpr3
	s_or_saveexec_b64 s[6:7], s[6:7]
	v_mov_b32_e32 v2, s10
	s_xor_b64 exec, exec, s[6:7]
	s_cbranch_execz .LBB10_754
.LBB10_2804:
	v_cmp_ne_u16_e32 vcc, 0, v3
	s_andn2_b64 s[4:5], s[4:5], exec
	s_and_b64 s[8:9], vcc, exec
	v_mov_b32_e32 v2, 0
	s_or_b64 s[4:5], s[4:5], s[8:9]
	s_or_b64 exec, exec, s[6:7]
	s_and_saveexec_b64 s[6:7], s[4:5]
	s_cbranch_execnz .LBB10_755
	s_branch .LBB10_756
.LBB10_2805:
	s_movk_i32 s4, 0x80
	v_cmp_eq_u16_e32 vcc, s4, v3
	s_mov_b64 s[4:5], -1
                                        ; implicit-def: $sgpr10
	s_and_saveexec_b64 s[8:9], vcc
; %bb.2806:
	s_mov_b32 s10, 0x7f800001
	s_xor_b64 s[4:5], exec, -1
; %bb.2807:
	s_or_b64 exec, exec, s[8:9]
	s_and_b64 s[4:5], s[4:5], exec
                                        ; implicit-def: $vgpr3
	s_or_saveexec_b64 s[6:7], s[6:7]
	v_mov_b32_e32 v4, s10
	s_xor_b64 exec, exec, s[6:7]
	s_cbranch_execz .LBB10_758
.LBB10_2808:
	v_cmp_ne_u16_e32 vcc, 0, v3
	s_andn2_b64 s[4:5], s[4:5], exec
	s_and_b64 s[8:9], vcc, exec
	v_mov_b32_e32 v4, 0
	s_or_b64 s[4:5], s[4:5], s[8:9]
	s_or_b64 exec, exec, s[6:7]
	s_and_saveexec_b64 s[6:7], s[4:5]
	s_cbranch_execnz .LBB10_759
	s_branch .LBB10_760
.LBB10_2809:
	s_movk_i32 s4, 0x80
	v_cmp_eq_u16_sdwa s[12:13], v9, s4 src0_sel:BYTE_3 src1_sel:DWORD
	s_mov_b64 s[4:5], -1
                                        ; implicit-def: $sgpr10
	s_and_saveexec_b64 s[8:9], s[12:13]
; %bb.2810:
	s_mov_b32 s10, 0x7f800001
	s_xor_b64 s[4:5], exec, -1
; %bb.2811:
	s_or_b64 exec, exec, s[8:9]
	s_and_b64 s[4:5], s[4:5], exec
	s_or_saveexec_b64 s[6:7], s[6:7]
	v_mov_b32_e32 v2, s10
	s_xor_b64 exec, exec, s[6:7]
	s_cbranch_execz .LBB10_762
.LBB10_2812:
	v_mov_b32_e32 v2, 0
	v_cmp_ne_u16_sdwa s[8:9], v9, v2 src0_sel:BYTE_3 src1_sel:DWORD
	s_andn2_b64 s[4:5], s[4:5], exec
	s_and_b64 s[8:9], s[8:9], exec
	s_or_b64 s[4:5], s[4:5], s[8:9]
	s_or_b64 exec, exec, s[6:7]
	s_and_saveexec_b64 s[6:7], s[4:5]
	s_cbranch_execnz .LBB10_763
	s_branch .LBB10_764
.LBB10_2813:
	s_movk_i32 s4, 0x80
	v_cmp_eq_u16_sdwa s[12:13], v5, s4 src0_sel:BYTE_3 src1_sel:DWORD
	s_mov_b64 s[4:5], -1
                                        ; implicit-def: $sgpr10
	s_and_saveexec_b64 s[8:9], s[12:13]
; %bb.2814:
	s_mov_b32 s10, 0x7f800001
	s_xor_b64 s[4:5], exec, -1
; %bb.2815:
	s_or_b64 exec, exec, s[8:9]
	s_and_b64 s[4:5], s[4:5], exec
	s_or_saveexec_b64 s[6:7], s[6:7]
	v_mov_b32_e32 v3, s10
	s_xor_b64 exec, exec, s[6:7]
	s_cbranch_execz .LBB10_766
.LBB10_2816:
	v_mov_b32_e32 v3, 0
	v_cmp_ne_u16_sdwa s[8:9], v5, v3 src0_sel:BYTE_3 src1_sel:DWORD
	s_andn2_b64 s[4:5], s[4:5], exec
	s_and_b64 s[8:9], s[8:9], exec
	s_or_b64 s[4:5], s[4:5], s[8:9]
	s_or_b64 exec, exec, s[6:7]
	s_and_saveexec_b64 s[6:7], s[4:5]
	s_cbranch_execnz .LBB10_767
	s_branch .LBB10_768
.LBB10_2817:
	s_movk_i32 s4, 0x80
	v_cmp_eq_u16_sdwa s[12:13], v6, s4 src0_sel:BYTE_0 src1_sel:DWORD
	s_mov_b64 s[4:5], -1
                                        ; implicit-def: $sgpr10
	s_and_saveexec_b64 s[8:9], s[12:13]
; %bb.2818:
	s_mov_b32 s10, 0x7f800001
	s_xor_b64 s[4:5], exec, -1
; %bb.2819:
	s_or_b64 exec, exec, s[8:9]
	s_and_b64 s[4:5], s[4:5], exec
	s_or_saveexec_b64 s[6:7], s[6:7]
	v_mov_b32_e32 v12, s10
	s_xor_b64 exec, exec, s[6:7]
	s_cbranch_execz .LBB10_770
.LBB10_2820:
	v_mov_b32_e32 v12, 0
	v_cmp_ne_u16_sdwa s[8:9], v6, v12 src0_sel:BYTE_0 src1_sel:DWORD
	s_andn2_b64 s[4:5], s[4:5], exec
	s_and_b64 s[8:9], s[8:9], exec
	s_or_b64 s[4:5], s[4:5], s[8:9]
	s_or_b64 exec, exec, s[6:7]
	s_and_saveexec_b64 s[6:7], s[4:5]
	s_cbranch_execnz .LBB10_771
	s_branch .LBB10_772
.LBB10_2821:
	s_movk_i32 s4, 0x80
	v_cmp_eq_u16_sdwa s[12:13], v2, s4 src0_sel:BYTE_0 src1_sel:DWORD
	s_mov_b64 s[4:5], -1
                                        ; implicit-def: $sgpr10
	s_and_saveexec_b64 s[8:9], s[12:13]
; %bb.2822:
	s_mov_b32 s10, 0x7f800001
	s_xor_b64 s[4:5], exec, -1
; %bb.2823:
	s_or_b64 exec, exec, s[8:9]
	s_and_b64 s[4:5], s[4:5], exec
	s_or_saveexec_b64 s[6:7], s[6:7]
	v_mov_b32_e32 v13, s10
	s_xor_b64 exec, exec, s[6:7]
	s_cbranch_execz .LBB10_774
.LBB10_2824:
	v_mov_b32_e32 v13, 0
	v_cmp_ne_u16_sdwa s[8:9], v2, v13 src0_sel:BYTE_0 src1_sel:DWORD
	s_andn2_b64 s[4:5], s[4:5], exec
	s_and_b64 s[8:9], s[8:9], exec
	s_or_b64 s[4:5], s[4:5], s[8:9]
	s_or_b64 exec, exec, s[6:7]
	s_and_saveexec_b64 s[6:7], s[4:5]
	s_cbranch_execnz .LBB10_775
	s_branch .LBB10_776
.LBB10_2825:
	s_movk_i32 s4, 0x80
	v_cmp_eq_u16_sdwa s[12:13], v13, s4 src0_sel:BYTE_0 src1_sel:DWORD
	s_mov_b64 s[4:5], -1
                                        ; implicit-def: $sgpr10
	s_and_saveexec_b64 s[8:9], s[12:13]
; %bb.2826:
	s_mov_b32 s10, 0x7f800001
	s_xor_b64 s[4:5], exec, -1
; %bb.2827:
	s_or_b64 exec, exec, s[8:9]
	s_and_b64 s[4:5], s[4:5], exec
	s_or_saveexec_b64 s[6:7], s[6:7]
	v_mov_b32_e32 v12, s10
	s_xor_b64 exec, exec, s[6:7]
	s_cbranch_execz .LBB10_778
.LBB10_2828:
	v_mov_b32_e32 v12, 0
	v_cmp_ne_u16_sdwa s[8:9], v13, v12 src0_sel:BYTE_0 src1_sel:DWORD
	s_andn2_b64 s[4:5], s[4:5], exec
	s_and_b64 s[8:9], s[8:9], exec
	s_or_b64 s[4:5], s[4:5], s[8:9]
	s_or_b64 exec, exec, s[6:7]
	s_and_saveexec_b64 s[6:7], s[4:5]
	s_cbranch_execnz .LBB10_779
	s_branch .LBB10_780
.LBB10_2829:
	s_movk_i32 s4, 0x80
	v_cmp_eq_u16_sdwa s[12:13], v13, s4 src0_sel:BYTE_0 src1_sel:DWORD
	s_mov_b64 s[4:5], -1
                                        ; implicit-def: $sgpr10
	s_and_saveexec_b64 s[8:9], s[12:13]
; %bb.2830:
	s_mov_b32 s10, 0x7f800001
	s_xor_b64 s[4:5], exec, -1
; %bb.2831:
	s_or_b64 exec, exec, s[8:9]
	s_and_b64 s[4:5], s[4:5], exec
	s_or_saveexec_b64 s[6:7], s[6:7]
	v_mov_b32_e32 v14, s10
	s_xor_b64 exec, exec, s[6:7]
	s_cbranch_execz .LBB10_782
.LBB10_2832:
	v_mov_b32_e32 v14, 0
	v_cmp_ne_u16_sdwa s[8:9], v13, v14 src0_sel:BYTE_0 src1_sel:DWORD
	s_andn2_b64 s[4:5], s[4:5], exec
	s_and_b64 s[8:9], s[8:9], exec
	s_or_b64 s[4:5], s[4:5], s[8:9]
	s_or_b64 exec, exec, s[6:7]
	s_and_saveexec_b64 s[6:7], s[4:5]
	s_cbranch_execnz .LBB10_783
	s_branch .LBB10_784
.LBB10_2833:
	s_movk_i32 s4, 0x80
	v_cmp_eq_u16_e32 vcc, s4, v13
	s_mov_b64 s[4:5], -1
                                        ; implicit-def: $sgpr10
	s_and_saveexec_b64 s[8:9], vcc
; %bb.2834:
	s_mov_b32 s10, 0x7f800001
	s_xor_b64 s[4:5], exec, -1
; %bb.2835:
	s_or_b64 exec, exec, s[8:9]
	s_and_b64 s[4:5], s[4:5], exec
                                        ; implicit-def: $vgpr13
	s_or_saveexec_b64 s[6:7], s[6:7]
	v_mov_b32_e32 v12, s10
	s_xor_b64 exec, exec, s[6:7]
	s_cbranch_execz .LBB10_786
.LBB10_2836:
	v_cmp_ne_u16_e32 vcc, 0, v13
	s_andn2_b64 s[4:5], s[4:5], exec
	s_and_b64 s[8:9], vcc, exec
	v_mov_b32_e32 v12, 0
	s_or_b64 s[4:5], s[4:5], s[8:9]
	s_or_b64 exec, exec, s[6:7]
	s_and_saveexec_b64 s[6:7], s[4:5]
	s_cbranch_execnz .LBB10_787
	s_branch .LBB10_788
.LBB10_2837:
	s_movk_i32 s4, 0x80
	v_cmp_eq_u16_e32 vcc, s4, v13
	s_mov_b64 s[4:5], -1
                                        ; implicit-def: $sgpr10
	s_and_saveexec_b64 s[8:9], vcc
; %bb.2838:
	s_mov_b32 s10, 0x7f800001
	s_xor_b64 s[4:5], exec, -1
; %bb.2839:
	s_or_b64 exec, exec, s[8:9]
	s_and_b64 s[4:5], s[4:5], exec
                                        ; implicit-def: $vgpr13
	s_or_saveexec_b64 s[6:7], s[6:7]
	v_mov_b32_e32 v14, s10
	s_xor_b64 exec, exec, s[6:7]
	s_cbranch_execz .LBB10_790
.LBB10_2840:
	v_cmp_ne_u16_e32 vcc, 0, v13
	s_andn2_b64 s[4:5], s[4:5], exec
	s_and_b64 s[8:9], vcc, exec
	v_mov_b32_e32 v14, 0
	s_or_b64 s[4:5], s[4:5], s[8:9]
	s_or_b64 exec, exec, s[6:7]
	s_and_saveexec_b64 s[6:7], s[4:5]
	s_cbranch_execnz .LBB10_791
	s_branch .LBB10_792
.LBB10_2841:
	s_movk_i32 s4, 0x80
	v_cmp_eq_u16_sdwa s[12:13], v6, s4 src0_sel:BYTE_3 src1_sel:DWORD
	s_mov_b64 s[4:5], -1
                                        ; implicit-def: $sgpr10
	s_and_saveexec_b64 s[8:9], s[12:13]
; %bb.2842:
	s_mov_b32 s10, 0x7f800001
	s_xor_b64 s[4:5], exec, -1
; %bb.2843:
	s_or_b64 exec, exec, s[8:9]
	s_and_b64 s[4:5], s[4:5], exec
	s_or_saveexec_b64 s[6:7], s[6:7]
	v_mov_b32_e32 v12, s10
	s_xor_b64 exec, exec, s[6:7]
	s_cbranch_execz .LBB10_794
.LBB10_2844:
	v_mov_b32_e32 v12, 0
	v_cmp_ne_u16_sdwa s[8:9], v6, v12 src0_sel:BYTE_3 src1_sel:DWORD
	s_andn2_b64 s[4:5], s[4:5], exec
	s_and_b64 s[8:9], s[8:9], exec
	s_or_b64 s[4:5], s[4:5], s[8:9]
	s_or_b64 exec, exec, s[6:7]
	s_and_saveexec_b64 s[6:7], s[4:5]
	s_cbranch_execnz .LBB10_795
	s_branch .LBB10_796
.LBB10_2845:
	s_movk_i32 s4, 0x80
	v_cmp_eq_u16_sdwa s[12:13], v2, s4 src0_sel:BYTE_3 src1_sel:DWORD
	s_mov_b64 s[4:5], -1
                                        ; implicit-def: $sgpr10
	s_and_saveexec_b64 s[8:9], s[12:13]
; %bb.2846:
	s_mov_b32 s10, 0x7f800001
	s_xor_b64 s[4:5], exec, -1
; %bb.2847:
	s_or_b64 exec, exec, s[8:9]
	s_and_b64 s[4:5], s[4:5], exec
	s_or_saveexec_b64 s[6:7], s[6:7]
	v_mov_b32_e32 v6, s10
	s_xor_b64 exec, exec, s[6:7]
	s_cbranch_execz .LBB10_798
.LBB10_2848:
	v_mov_b32_e32 v6, 0
	v_cmp_ne_u16_sdwa s[8:9], v2, v6 src0_sel:BYTE_3 src1_sel:DWORD
	s_andn2_b64 s[4:5], s[4:5], exec
	s_and_b64 s[8:9], s[8:9], exec
	s_or_b64 s[4:5], s[4:5], s[8:9]
	s_or_b64 exec, exec, s[6:7]
	s_and_saveexec_b64 s[6:7], s[4:5]
	s_cbranch_execnz .LBB10_799
	s_branch .LBB10_800
.LBB10_2849:
	s_movk_i32 s4, 0x80
	v_cmp_eq_u16_sdwa s[12:13], v7, s4 src0_sel:BYTE_0 src1_sel:DWORD
	s_mov_b64 s[4:5], -1
                                        ; implicit-def: $sgpr10
	s_and_saveexec_b64 s[8:9], s[12:13]
; %bb.2850:
	s_mov_b32 s10, 0x7f800001
	s_xor_b64 s[4:5], exec, -1
; %bb.2851:
	s_or_b64 exec, exec, s[8:9]
	s_and_b64 s[4:5], s[4:5], exec
	s_or_saveexec_b64 s[6:7], s[6:7]
	v_mov_b32_e32 v2, s10
	s_xor_b64 exec, exec, s[6:7]
	s_cbranch_execz .LBB10_802
.LBB10_2852:
	v_mov_b32_e32 v2, 0
	v_cmp_ne_u16_sdwa s[8:9], v7, v2 src0_sel:BYTE_0 src1_sel:DWORD
	s_andn2_b64 s[4:5], s[4:5], exec
	s_and_b64 s[8:9], s[8:9], exec
	s_or_b64 s[4:5], s[4:5], s[8:9]
	s_or_b64 exec, exec, s[6:7]
	s_and_saveexec_b64 s[6:7], s[4:5]
	s_cbranch_execnz .LBB10_803
	s_branch .LBB10_804
.LBB10_2853:
	s_movk_i32 s4, 0x80
	v_cmp_eq_u16_sdwa s[12:13], v3, s4 src0_sel:BYTE_0 src1_sel:DWORD
	s_mov_b64 s[4:5], -1
                                        ; implicit-def: $sgpr10
	s_and_saveexec_b64 s[8:9], s[12:13]
; %bb.2854:
	s_mov_b32 s10, 0x7f800001
	s_xor_b64 s[4:5], exec, -1
; %bb.2855:
	s_or_b64 exec, exec, s[8:9]
	s_and_b64 s[4:5], s[4:5], exec
	s_or_saveexec_b64 s[6:7], s[6:7]
	v_mov_b32_e32 v6, s10
	s_xor_b64 exec, exec, s[6:7]
	s_cbranch_execz .LBB10_806
.LBB10_2856:
	v_mov_b32_e32 v6, 0
	v_cmp_ne_u16_sdwa s[8:9], v3, v6 src0_sel:BYTE_0 src1_sel:DWORD
	s_andn2_b64 s[4:5], s[4:5], exec
	s_and_b64 s[8:9], s[8:9], exec
	s_or_b64 s[4:5], s[4:5], s[8:9]
	s_or_b64 exec, exec, s[6:7]
	s_and_saveexec_b64 s[6:7], s[4:5]
	s_cbranch_execnz .LBB10_807
	s_branch .LBB10_808
.LBB10_2857:
	s_movk_i32 s4, 0x80
	v_cmp_eq_u16_sdwa s[12:13], v6, s4 src0_sel:BYTE_0 src1_sel:DWORD
	s_mov_b64 s[4:5], -1
                                        ; implicit-def: $sgpr10
	s_and_saveexec_b64 s[8:9], s[12:13]
; %bb.2858:
	s_mov_b32 s10, 0x7f800001
	s_xor_b64 s[4:5], exec, -1
; %bb.2859:
	s_or_b64 exec, exec, s[8:9]
	s_and_b64 s[4:5], s[4:5], exec
	s_or_saveexec_b64 s[6:7], s[6:7]
	v_mov_b32_e32 v2, s10
	s_xor_b64 exec, exec, s[6:7]
	s_cbranch_execz .LBB10_810
.LBB10_2860:
	v_mov_b32_e32 v2, 0
	v_cmp_ne_u16_sdwa s[8:9], v6, v2 src0_sel:BYTE_0 src1_sel:DWORD
	s_andn2_b64 s[4:5], s[4:5], exec
	s_and_b64 s[8:9], s[8:9], exec
	s_or_b64 s[4:5], s[4:5], s[8:9]
	s_or_b64 exec, exec, s[6:7]
	s_and_saveexec_b64 s[6:7], s[4:5]
	s_cbranch_execnz .LBB10_811
	s_branch .LBB10_812
.LBB10_2861:
	s_movk_i32 s4, 0x80
	v_cmp_eq_u16_sdwa s[12:13], v6, s4 src0_sel:BYTE_0 src1_sel:DWORD
	s_mov_b64 s[4:5], -1
                                        ; implicit-def: $sgpr10
	s_and_saveexec_b64 s[8:9], s[12:13]
; %bb.2862:
	s_mov_b32 s10, 0x7f800001
	s_xor_b64 s[4:5], exec, -1
; %bb.2863:
	s_or_b64 exec, exec, s[8:9]
	s_and_b64 s[4:5], s[4:5], exec
	s_or_saveexec_b64 s[6:7], s[6:7]
	v_mov_b32_e32 v12, s10
	s_xor_b64 exec, exec, s[6:7]
	s_cbranch_execz .LBB10_814
.LBB10_2864:
	v_mov_b32_e32 v12, 0
	v_cmp_ne_u16_sdwa s[8:9], v6, v12 src0_sel:BYTE_0 src1_sel:DWORD
	s_andn2_b64 s[4:5], s[4:5], exec
	s_and_b64 s[8:9], s[8:9], exec
	s_or_b64 s[4:5], s[4:5], s[8:9]
	s_or_b64 exec, exec, s[6:7]
	s_and_saveexec_b64 s[6:7], s[4:5]
	s_cbranch_execnz .LBB10_815
	s_branch .LBB10_816
.LBB10_2865:
	s_movk_i32 s4, 0x80
	v_cmp_eq_u16_e32 vcc, s4, v6
	s_mov_b64 s[4:5], -1
                                        ; implicit-def: $sgpr10
	s_and_saveexec_b64 s[8:9], vcc
; %bb.2866:
	s_mov_b32 s10, 0x7f800001
	s_xor_b64 s[4:5], exec, -1
; %bb.2867:
	s_or_b64 exec, exec, s[8:9]
	s_and_b64 s[4:5], s[4:5], exec
                                        ; implicit-def: $vgpr6
	s_or_saveexec_b64 s[6:7], s[6:7]
	v_mov_b32_e32 v2, s10
	s_xor_b64 exec, exec, s[6:7]
	s_cbranch_execz .LBB10_818
.LBB10_2868:
	v_cmp_ne_u16_e32 vcc, 0, v6
	s_andn2_b64 s[4:5], s[4:5], exec
	s_and_b64 s[8:9], vcc, exec
	v_mov_b32_e32 v2, 0
	s_or_b64 s[4:5], s[4:5], s[8:9]
	s_or_b64 exec, exec, s[6:7]
	s_and_saveexec_b64 s[6:7], s[4:5]
	s_cbranch_execnz .LBB10_819
	s_branch .LBB10_820
.LBB10_2869:
	s_movk_i32 s4, 0x80
	v_cmp_eq_u16_e32 vcc, s4, v6
	s_mov_b64 s[4:5], -1
                                        ; implicit-def: $sgpr10
	s_and_saveexec_b64 s[8:9], vcc
; %bb.2870:
	s_mov_b32 s10, 0x7f800001
	s_xor_b64 s[4:5], exec, -1
; %bb.2871:
	s_or_b64 exec, exec, s[8:9]
	s_and_b64 s[4:5], s[4:5], exec
                                        ; implicit-def: $vgpr6
	s_or_saveexec_b64 s[6:7], s[6:7]
	v_mov_b32_e32 v12, s10
	s_xor_b64 exec, exec, s[6:7]
	s_cbranch_execz .LBB10_822
.LBB10_2872:
	v_cmp_ne_u16_e32 vcc, 0, v6
	s_andn2_b64 s[4:5], s[4:5], exec
	s_and_b64 s[8:9], vcc, exec
	v_mov_b32_e32 v12, 0
	s_or_b64 s[4:5], s[4:5], s[8:9]
	s_or_b64 exec, exec, s[6:7]
	s_and_saveexec_b64 s[6:7], s[4:5]
	s_cbranch_execnz .LBB10_823
	s_branch .LBB10_824
.LBB10_2873:
	s_movk_i32 s4, 0x80
	v_cmp_eq_u16_sdwa s[12:13], v7, s4 src0_sel:BYTE_3 src1_sel:DWORD
	s_mov_b64 s[4:5], -1
                                        ; implicit-def: $sgpr10
	s_and_saveexec_b64 s[8:9], s[12:13]
; %bb.2874:
	s_mov_b32 s10, 0x7f800001
	s_xor_b64 s[4:5], exec, -1
; %bb.2875:
	s_or_b64 exec, exec, s[8:9]
	s_and_b64 s[4:5], s[4:5], exec
	s_or_saveexec_b64 s[6:7], s[6:7]
	v_mov_b32_e32 v2, s10
	s_xor_b64 exec, exec, s[6:7]
	s_cbranch_execz .LBB10_826
.LBB10_2876:
	v_mov_b32_e32 v2, 0
	v_cmp_ne_u16_sdwa s[8:9], v7, v2 src0_sel:BYTE_3 src1_sel:DWORD
	s_andn2_b64 s[4:5], s[4:5], exec
	s_and_b64 s[8:9], s[8:9], exec
	s_or_b64 s[4:5], s[4:5], s[8:9]
	s_or_b64 exec, exec, s[6:7]
	s_and_saveexec_b64 s[6:7], s[4:5]
	s_cbranch_execnz .LBB10_827
	s_branch .LBB10_828
.LBB10_2877:
	s_movk_i32 s4, 0x80
	v_cmp_eq_u16_sdwa s[12:13], v3, s4 src0_sel:BYTE_3 src1_sel:DWORD
	s_mov_b64 s[4:5], -1
                                        ; implicit-def: $sgpr10
	s_and_saveexec_b64 s[8:9], s[12:13]
; %bb.2878:
	s_mov_b32 s10, 0x7f800001
	s_xor_b64 s[4:5], exec, -1
; %bb.2879:
	s_or_b64 exec, exec, s[8:9]
	s_and_b64 s[4:5], s[4:5], exec
	s_or_saveexec_b64 s[6:7], s[6:7]
	v_mov_b32_e32 v6, s10
	s_xor_b64 exec, exec, s[6:7]
	s_cbranch_execz .LBB10_830
.LBB10_2880:
	v_mov_b32_e32 v6, 0
	v_cmp_ne_u16_sdwa s[8:9], v3, v6 src0_sel:BYTE_3 src1_sel:DWORD
	s_andn2_b64 s[4:5], s[4:5], exec
	s_and_b64 s[8:9], s[8:9], exec
	s_or_b64 s[4:5], s[4:5], s[8:9]
	s_or_b64 exec, exec, s[6:7]
	s_and_saveexec_b64 s[6:7], s[4:5]
	s_cbranch_execnz .LBB10_831
	s_branch .LBB10_832
.LBB10_2881:
	s_movk_i32 s4, 0x80
	v_cmp_eq_u16_sdwa s[12:13], v8, s4 src0_sel:BYTE_0 src1_sel:DWORD
	s_mov_b64 s[4:5], -1
                                        ; implicit-def: $sgpr10
	s_and_saveexec_b64 s[8:9], s[12:13]
; %bb.2882:
	s_mov_b32 s10, 0x7f800001
	s_xor_b64 s[4:5], exec, -1
; %bb.2883:
	s_or_b64 exec, exec, s[8:9]
	s_and_b64 s[4:5], s[4:5], exec
	s_or_saveexec_b64 s[6:7], s[6:7]
	v_mov_b32_e32 v2, s10
	s_xor_b64 exec, exec, s[6:7]
	s_cbranch_execz .LBB10_834
.LBB10_2884:
	v_mov_b32_e32 v2, 0
	v_cmp_ne_u16_sdwa s[8:9], v8, v2 src0_sel:BYTE_0 src1_sel:DWORD
	s_andn2_b64 s[4:5], s[4:5], exec
	s_and_b64 s[8:9], s[8:9], exec
	s_or_b64 s[4:5], s[4:5], s[8:9]
	s_or_b64 exec, exec, s[6:7]
	s_and_saveexec_b64 s[6:7], s[4:5]
	s_cbranch_execnz .LBB10_835
	s_branch .LBB10_836
.LBB10_2885:
	s_movk_i32 s4, 0x80
	v_cmp_eq_u16_sdwa s[12:13], v4, s4 src0_sel:BYTE_0 src1_sel:DWORD
	s_mov_b64 s[4:5], -1
                                        ; implicit-def: $sgpr10
	s_and_saveexec_b64 s[8:9], s[12:13]
; %bb.2886:
	s_mov_b32 s10, 0x7f800001
	s_xor_b64 s[4:5], exec, -1
; %bb.2887:
	s_or_b64 exec, exec, s[8:9]
	s_and_b64 s[4:5], s[4:5], exec
	s_or_saveexec_b64 s[6:7], s[6:7]
	v_mov_b32_e32 v3, s10
	s_xor_b64 exec, exec, s[6:7]
	s_cbranch_execz .LBB10_838
.LBB10_2888:
	v_mov_b32_e32 v3, 0
	v_cmp_ne_u16_sdwa s[8:9], v4, v3 src0_sel:BYTE_0 src1_sel:DWORD
	s_andn2_b64 s[4:5], s[4:5], exec
	s_and_b64 s[8:9], s[8:9], exec
	s_or_b64 s[4:5], s[4:5], s[8:9]
	s_or_b64 exec, exec, s[6:7]
	s_and_saveexec_b64 s[6:7], s[4:5]
	s_cbranch_execnz .LBB10_839
	s_branch .LBB10_840
.LBB10_2889:
	s_movk_i32 s4, 0x80
	v_cmp_eq_u16_sdwa s[12:13], v3, s4 src0_sel:BYTE_0 src1_sel:DWORD
	s_mov_b64 s[4:5], -1
                                        ; implicit-def: $sgpr10
	s_and_saveexec_b64 s[8:9], s[12:13]
; %bb.2890:
	s_mov_b32 s10, 0x7f800001
	s_xor_b64 s[4:5], exec, -1
; %bb.2891:
	s_or_b64 exec, exec, s[8:9]
	s_and_b64 s[4:5], s[4:5], exec
	s_or_saveexec_b64 s[6:7], s[6:7]
	v_mov_b32_e32 v2, s10
	s_xor_b64 exec, exec, s[6:7]
	s_cbranch_execz .LBB10_842
.LBB10_2892:
	v_mov_b32_e32 v2, 0
	v_cmp_ne_u16_sdwa s[8:9], v3, v2 src0_sel:BYTE_0 src1_sel:DWORD
	s_andn2_b64 s[4:5], s[4:5], exec
	s_and_b64 s[8:9], s[8:9], exec
	s_or_b64 s[4:5], s[4:5], s[8:9]
	s_or_b64 exec, exec, s[6:7]
	s_and_saveexec_b64 s[6:7], s[4:5]
	s_cbranch_execnz .LBB10_843
	s_branch .LBB10_844
.LBB10_2893:
	s_movk_i32 s4, 0x80
	v_cmp_eq_u16_sdwa s[12:13], v3, s4 src0_sel:BYTE_0 src1_sel:DWORD
	s_mov_b64 s[4:5], -1
                                        ; implicit-def: $sgpr10
	s_and_saveexec_b64 s[8:9], s[12:13]
; %bb.2894:
	s_mov_b32 s10, 0x7f800001
	s_xor_b64 s[4:5], exec, -1
; %bb.2895:
	s_or_b64 exec, exec, s[8:9]
	s_and_b64 s[4:5], s[4:5], exec
	s_or_saveexec_b64 s[6:7], s[6:7]
	v_mov_b32_e32 v6, s10
	s_xor_b64 exec, exec, s[6:7]
	s_cbranch_execz .LBB10_846
.LBB10_2896:
	v_mov_b32_e32 v6, 0
	v_cmp_ne_u16_sdwa s[8:9], v3, v6 src0_sel:BYTE_0 src1_sel:DWORD
	s_andn2_b64 s[4:5], s[4:5], exec
	s_and_b64 s[8:9], s[8:9], exec
	s_or_b64 s[4:5], s[4:5], s[8:9]
	s_or_b64 exec, exec, s[6:7]
	s_and_saveexec_b64 s[6:7], s[4:5]
	s_cbranch_execnz .LBB10_847
	s_branch .LBB10_848
.LBB10_2897:
	s_movk_i32 s4, 0x80
	v_cmp_eq_u16_e32 vcc, s4, v3
	s_mov_b64 s[4:5], -1
                                        ; implicit-def: $sgpr10
	s_and_saveexec_b64 s[8:9], vcc
; %bb.2898:
	s_mov_b32 s10, 0x7f800001
	s_xor_b64 s[4:5], exec, -1
; %bb.2899:
	s_or_b64 exec, exec, s[8:9]
	s_and_b64 s[4:5], s[4:5], exec
                                        ; implicit-def: $vgpr3
	s_or_saveexec_b64 s[6:7], s[6:7]
	v_mov_b32_e32 v2, s10
	s_xor_b64 exec, exec, s[6:7]
	s_cbranch_execz .LBB10_850
.LBB10_2900:
	v_cmp_ne_u16_e32 vcc, 0, v3
	s_andn2_b64 s[4:5], s[4:5], exec
	s_and_b64 s[8:9], vcc, exec
	v_mov_b32_e32 v2, 0
	s_or_b64 s[4:5], s[4:5], s[8:9]
	s_or_b64 exec, exec, s[6:7]
	s_and_saveexec_b64 s[6:7], s[4:5]
	s_cbranch_execnz .LBB10_851
	s_branch .LBB10_852
.LBB10_2901:
	s_movk_i32 s4, 0x80
	v_cmp_eq_u16_e32 vcc, s4, v3
	s_mov_b64 s[4:5], -1
                                        ; implicit-def: $sgpr10
	s_and_saveexec_b64 s[8:9], vcc
; %bb.2902:
	s_mov_b32 s10, 0x7f800001
	s_xor_b64 s[4:5], exec, -1
; %bb.2903:
	s_or_b64 exec, exec, s[8:9]
	s_and_b64 s[4:5], s[4:5], exec
                                        ; implicit-def: $vgpr3
	s_or_saveexec_b64 s[6:7], s[6:7]
	v_mov_b32_e32 v6, s10
	s_xor_b64 exec, exec, s[6:7]
	s_cbranch_execz .LBB10_854
.LBB10_2904:
	v_cmp_ne_u16_e32 vcc, 0, v3
	s_andn2_b64 s[4:5], s[4:5], exec
	s_and_b64 s[8:9], vcc, exec
	v_mov_b32_e32 v6, 0
	s_or_b64 s[4:5], s[4:5], s[8:9]
	s_or_b64 exec, exec, s[6:7]
	s_and_saveexec_b64 s[6:7], s[4:5]
	s_cbranch_execnz .LBB10_855
	s_branch .LBB10_856
.LBB10_2905:
	s_movk_i32 s4, 0x80
	v_cmp_eq_u16_sdwa s[12:13], v8, s4 src0_sel:BYTE_3 src1_sel:DWORD
	s_mov_b64 s[4:5], -1
                                        ; implicit-def: $sgpr10
	s_and_saveexec_b64 s[8:9], s[12:13]
; %bb.2906:
	s_mov_b32 s10, 0x7f800001
	s_xor_b64 s[4:5], exec, -1
; %bb.2907:
	s_or_b64 exec, exec, s[8:9]
	s_and_b64 s[4:5], s[4:5], exec
	s_or_saveexec_b64 s[6:7], s[6:7]
	v_mov_b32_e32 v2, s10
	s_xor_b64 exec, exec, s[6:7]
	s_cbranch_execz .LBB10_858
.LBB10_2908:
	v_mov_b32_e32 v2, 0
	v_cmp_ne_u16_sdwa s[8:9], v8, v2 src0_sel:BYTE_3 src1_sel:DWORD
	s_andn2_b64 s[4:5], s[4:5], exec
	s_and_b64 s[8:9], s[8:9], exec
	s_or_b64 s[4:5], s[4:5], s[8:9]
	s_or_b64 exec, exec, s[6:7]
	s_and_saveexec_b64 s[6:7], s[4:5]
	s_cbranch_execnz .LBB10_859
	s_branch .LBB10_860
.LBB10_2909:
	s_movk_i32 s4, 0x80
	v_cmp_eq_u16_sdwa s[12:13], v4, s4 src0_sel:BYTE_3 src1_sel:DWORD
	s_mov_b64 s[4:5], -1
                                        ; implicit-def: $sgpr10
	s_and_saveexec_b64 s[8:9], s[12:13]
; %bb.2910:
	s_mov_b32 s10, 0x7f800001
	s_xor_b64 s[4:5], exec, -1
; %bb.2911:
	s_or_b64 exec, exec, s[8:9]
	s_and_b64 s[4:5], s[4:5], exec
	s_or_saveexec_b64 s[6:7], s[6:7]
	v_mov_b32_e32 v3, s10
	s_xor_b64 exec, exec, s[6:7]
	s_cbranch_execz .LBB10_862
.LBB10_2912:
	v_mov_b32_e32 v3, 0
	v_cmp_ne_u16_sdwa s[8:9], v4, v3 src0_sel:BYTE_3 src1_sel:DWORD
	s_andn2_b64 s[4:5], s[4:5], exec
	s_and_b64 s[8:9], s[8:9], exec
	s_or_b64 s[4:5], s[4:5], s[8:9]
	s_or_b64 exec, exec, s[6:7]
	s_and_saveexec_b64 s[6:7], s[4:5]
	s_cbranch_execnz .LBB10_863
	s_branch .LBB10_864
.LBB10_2913:
	s_movk_i32 s4, 0x80
	v_cmp_eq_u16_sdwa s[12:13], v9, s4 src0_sel:BYTE_0 src1_sel:DWORD
	s_mov_b64 s[4:5], -1
                                        ; implicit-def: $sgpr10
	s_and_saveexec_b64 s[8:9], s[12:13]
; %bb.2914:
	s_mov_b32 s10, 0x7f800001
	s_xor_b64 s[4:5], exec, -1
; %bb.2915:
	s_or_b64 exec, exec, s[8:9]
	s_and_b64 s[4:5], s[4:5], exec
	s_or_saveexec_b64 s[6:7], s[6:7]
	v_mov_b32_e32 v2, s10
	s_xor_b64 exec, exec, s[6:7]
	s_cbranch_execz .LBB10_866
.LBB10_2916:
	v_mov_b32_e32 v2, 0
	v_cmp_ne_u16_sdwa s[8:9], v9, v2 src0_sel:BYTE_0 src1_sel:DWORD
	s_andn2_b64 s[4:5], s[4:5], exec
	s_and_b64 s[8:9], s[8:9], exec
	s_or_b64 s[4:5], s[4:5], s[8:9]
	s_or_b64 exec, exec, s[6:7]
	s_and_saveexec_b64 s[6:7], s[4:5]
	s_cbranch_execnz .LBB10_867
	s_branch .LBB10_868
.LBB10_2917:
	s_movk_i32 s4, 0x80
	v_cmp_eq_u16_sdwa s[12:13], v5, s4 src0_sel:BYTE_0 src1_sel:DWORD
	s_mov_b64 s[4:5], -1
                                        ; implicit-def: $sgpr10
	s_and_saveexec_b64 s[8:9], s[12:13]
; %bb.2918:
	s_mov_b32 s10, 0x7f800001
	s_xor_b64 s[4:5], exec, -1
; %bb.2919:
	s_or_b64 exec, exec, s[8:9]
	s_and_b64 s[4:5], s[4:5], exec
	s_or_saveexec_b64 s[6:7], s[6:7]
	v_mov_b32_e32 v3, s10
	s_xor_b64 exec, exec, s[6:7]
	s_cbranch_execz .LBB10_870
.LBB10_2920:
	v_mov_b32_e32 v3, 0
	v_cmp_ne_u16_sdwa s[8:9], v5, v3 src0_sel:BYTE_0 src1_sel:DWORD
	s_andn2_b64 s[4:5], s[4:5], exec
	s_and_b64 s[8:9], s[8:9], exec
	s_or_b64 s[4:5], s[4:5], s[8:9]
	s_or_b64 exec, exec, s[6:7]
	s_and_saveexec_b64 s[6:7], s[4:5]
	s_cbranch_execnz .LBB10_871
	s_branch .LBB10_872
.LBB10_2921:
	s_movk_i32 s4, 0x80
	v_cmp_eq_u16_sdwa s[12:13], v3, s4 src0_sel:BYTE_0 src1_sel:DWORD
	s_mov_b64 s[4:5], -1
                                        ; implicit-def: $sgpr10
	s_and_saveexec_b64 s[8:9], s[12:13]
; %bb.2922:
	s_mov_b32 s10, 0x7f800001
	s_xor_b64 s[4:5], exec, -1
; %bb.2923:
	s_or_b64 exec, exec, s[8:9]
	s_and_b64 s[4:5], s[4:5], exec
	s_or_saveexec_b64 s[6:7], s[6:7]
	v_mov_b32_e32 v2, s10
	s_xor_b64 exec, exec, s[6:7]
	s_cbranch_execz .LBB10_874
.LBB10_2924:
	v_mov_b32_e32 v2, 0
	v_cmp_ne_u16_sdwa s[8:9], v3, v2 src0_sel:BYTE_0 src1_sel:DWORD
	s_andn2_b64 s[4:5], s[4:5], exec
	s_and_b64 s[8:9], s[8:9], exec
	s_or_b64 s[4:5], s[4:5], s[8:9]
	s_or_b64 exec, exec, s[6:7]
	s_and_saveexec_b64 s[6:7], s[4:5]
	s_cbranch_execnz .LBB10_875
	s_branch .LBB10_876
.LBB10_2925:
	s_movk_i32 s4, 0x80
	v_cmp_eq_u16_sdwa s[12:13], v3, s4 src0_sel:BYTE_0 src1_sel:DWORD
	s_mov_b64 s[4:5], -1
                                        ; implicit-def: $sgpr10
	s_and_saveexec_b64 s[8:9], s[12:13]
; %bb.2926:
	s_mov_b32 s10, 0x7f800001
	s_xor_b64 s[4:5], exec, -1
; %bb.2927:
	s_or_b64 exec, exec, s[8:9]
	s_and_b64 s[4:5], s[4:5], exec
	s_or_saveexec_b64 s[6:7], s[6:7]
	v_mov_b32_e32 v4, s10
	s_xor_b64 exec, exec, s[6:7]
	s_cbranch_execz .LBB10_878
.LBB10_2928:
	v_mov_b32_e32 v4, 0
	v_cmp_ne_u16_sdwa s[8:9], v3, v4 src0_sel:BYTE_0 src1_sel:DWORD
	s_andn2_b64 s[4:5], s[4:5], exec
	s_and_b64 s[8:9], s[8:9], exec
	s_or_b64 s[4:5], s[4:5], s[8:9]
	s_or_b64 exec, exec, s[6:7]
	s_and_saveexec_b64 s[6:7], s[4:5]
	s_cbranch_execnz .LBB10_879
	s_branch .LBB10_880
.LBB10_2929:
	s_movk_i32 s4, 0x80
	v_cmp_eq_u16_e32 vcc, s4, v3
	s_mov_b64 s[4:5], -1
                                        ; implicit-def: $sgpr10
	s_and_saveexec_b64 s[8:9], vcc
; %bb.2930:
	s_mov_b32 s10, 0x7f800001
	s_xor_b64 s[4:5], exec, -1
; %bb.2931:
	s_or_b64 exec, exec, s[8:9]
	s_and_b64 s[4:5], s[4:5], exec
                                        ; implicit-def: $vgpr3
	s_or_saveexec_b64 s[6:7], s[6:7]
	v_mov_b32_e32 v2, s10
	s_xor_b64 exec, exec, s[6:7]
	s_cbranch_execz .LBB10_882
.LBB10_2932:
	v_cmp_ne_u16_e32 vcc, 0, v3
	s_andn2_b64 s[4:5], s[4:5], exec
	s_and_b64 s[8:9], vcc, exec
	v_mov_b32_e32 v2, 0
	s_or_b64 s[4:5], s[4:5], s[8:9]
	s_or_b64 exec, exec, s[6:7]
	s_and_saveexec_b64 s[6:7], s[4:5]
	s_cbranch_execnz .LBB10_883
	s_branch .LBB10_884
.LBB10_2933:
	s_movk_i32 s4, 0x80
	v_cmp_eq_u16_e32 vcc, s4, v3
	s_mov_b64 s[4:5], -1
                                        ; implicit-def: $sgpr10
	s_and_saveexec_b64 s[8:9], vcc
; %bb.2934:
	s_mov_b32 s10, 0x7f800001
	s_xor_b64 s[4:5], exec, -1
; %bb.2935:
	s_or_b64 exec, exec, s[8:9]
	s_and_b64 s[4:5], s[4:5], exec
                                        ; implicit-def: $vgpr3
	s_or_saveexec_b64 s[6:7], s[6:7]
	v_mov_b32_e32 v4, s10
	s_xor_b64 exec, exec, s[6:7]
	s_cbranch_execz .LBB10_886
.LBB10_2936:
	v_cmp_ne_u16_e32 vcc, 0, v3
	s_andn2_b64 s[4:5], s[4:5], exec
	s_and_b64 s[8:9], vcc, exec
	v_mov_b32_e32 v4, 0
	s_or_b64 s[4:5], s[4:5], s[8:9]
	s_or_b64 exec, exec, s[6:7]
	s_and_saveexec_b64 s[6:7], s[4:5]
	s_cbranch_execnz .LBB10_887
	s_branch .LBB10_888
.LBB10_2937:
	s_movk_i32 s4, 0x80
	v_cmp_eq_u16_sdwa s[12:13], v9, s4 src0_sel:BYTE_3 src1_sel:DWORD
	s_mov_b64 s[4:5], -1
                                        ; implicit-def: $sgpr10
	s_and_saveexec_b64 s[8:9], s[12:13]
; %bb.2938:
	s_mov_b32 s10, 0x7f800001
	s_xor_b64 s[4:5], exec, -1
; %bb.2939:
	s_or_b64 exec, exec, s[8:9]
	s_and_b64 s[4:5], s[4:5], exec
	s_or_saveexec_b64 s[6:7], s[6:7]
	v_mov_b32_e32 v2, s10
	s_xor_b64 exec, exec, s[6:7]
	s_cbranch_execz .LBB10_890
.LBB10_2940:
	v_mov_b32_e32 v2, 0
	v_cmp_ne_u16_sdwa s[8:9], v9, v2 src0_sel:BYTE_3 src1_sel:DWORD
	s_andn2_b64 s[4:5], s[4:5], exec
	s_and_b64 s[8:9], s[8:9], exec
	s_or_b64 s[4:5], s[4:5], s[8:9]
	s_or_b64 exec, exec, s[6:7]
	s_and_saveexec_b64 s[6:7], s[4:5]
	s_cbranch_execnz .LBB10_891
	s_branch .LBB10_892
.LBB10_2941:
	s_movk_i32 s4, 0x80
	v_cmp_eq_u16_sdwa s[12:13], v5, s4 src0_sel:BYTE_3 src1_sel:DWORD
	s_mov_b64 s[4:5], -1
                                        ; implicit-def: $sgpr10
	s_and_saveexec_b64 s[8:9], s[12:13]
; %bb.2942:
	s_mov_b32 s10, 0x7f800001
	s_xor_b64 s[4:5], exec, -1
; %bb.2943:
	s_or_b64 exec, exec, s[8:9]
	s_and_b64 s[4:5], s[4:5], exec
	s_or_saveexec_b64 s[6:7], s[6:7]
	v_mov_b32_e32 v3, s10
	s_xor_b64 exec, exec, s[6:7]
	s_cbranch_execz .LBB10_894
.LBB10_2944:
	v_mov_b32_e32 v3, 0
	v_cmp_ne_u16_sdwa s[8:9], v5, v3 src0_sel:BYTE_3 src1_sel:DWORD
	s_andn2_b64 s[4:5], s[4:5], exec
	s_and_b64 s[8:9], s[8:9], exec
	s_or_b64 s[4:5], s[4:5], s[8:9]
	s_or_b64 exec, exec, s[6:7]
	s_and_saveexec_b64 s[6:7], s[4:5]
	s_cbranch_execnz .LBB10_895
	s_branch .LBB10_896
.LBB10_2945:
	s_movk_i32 s4, 0x80
	v_cmp_eq_u16_sdwa s[12:13], v6, s4 src0_sel:BYTE_0 src1_sel:DWORD
	s_mov_b64 s[4:5], -1
                                        ; implicit-def: $sgpr10
	s_and_saveexec_b64 s[8:9], s[12:13]
; %bb.2946:
	s_mov_b32 s10, 0x7f800001
	s_xor_b64 s[4:5], exec, -1
; %bb.2947:
	s_or_b64 exec, exec, s[8:9]
	s_and_b64 s[4:5], s[4:5], exec
	s_or_saveexec_b64 s[6:7], s[6:7]
	v_mov_b32_e32 v12, s10
	s_xor_b64 exec, exec, s[6:7]
	s_cbranch_execz .LBB10_898
.LBB10_2948:
	v_mov_b32_e32 v12, 0
	v_cmp_ne_u16_sdwa s[8:9], v6, v12 src0_sel:BYTE_0 src1_sel:DWORD
	s_andn2_b64 s[4:5], s[4:5], exec
	s_and_b64 s[8:9], s[8:9], exec
	s_or_b64 s[4:5], s[4:5], s[8:9]
	s_or_b64 exec, exec, s[6:7]
	s_and_saveexec_b64 s[6:7], s[4:5]
	s_cbranch_execnz .LBB10_899
	s_branch .LBB10_900
.LBB10_2949:
	s_movk_i32 s4, 0x80
	v_cmp_eq_u16_sdwa s[12:13], v2, s4 src0_sel:BYTE_0 src1_sel:DWORD
	s_mov_b64 s[4:5], -1
                                        ; implicit-def: $sgpr10
	s_and_saveexec_b64 s[8:9], s[12:13]
; %bb.2950:
	s_mov_b32 s10, 0x7f800001
	s_xor_b64 s[4:5], exec, -1
; %bb.2951:
	s_or_b64 exec, exec, s[8:9]
	s_and_b64 s[4:5], s[4:5], exec
	s_or_saveexec_b64 s[6:7], s[6:7]
	v_mov_b32_e32 v13, s10
	s_xor_b64 exec, exec, s[6:7]
	s_cbranch_execz .LBB10_902
.LBB10_2952:
	v_mov_b32_e32 v13, 0
	v_cmp_ne_u16_sdwa s[8:9], v2, v13 src0_sel:BYTE_0 src1_sel:DWORD
	s_andn2_b64 s[4:5], s[4:5], exec
	s_and_b64 s[8:9], s[8:9], exec
	s_or_b64 s[4:5], s[4:5], s[8:9]
	s_or_b64 exec, exec, s[6:7]
	s_and_saveexec_b64 s[6:7], s[4:5]
	s_cbranch_execnz .LBB10_903
	s_branch .LBB10_904
.LBB10_2953:
	s_movk_i32 s4, 0x80
	v_cmp_eq_u16_sdwa s[12:13], v13, s4 src0_sel:BYTE_0 src1_sel:DWORD
	s_mov_b64 s[4:5], -1
                                        ; implicit-def: $sgpr10
	s_and_saveexec_b64 s[8:9], s[12:13]
; %bb.2954:
	s_mov_b32 s10, 0x7f800001
	s_xor_b64 s[4:5], exec, -1
; %bb.2955:
	s_or_b64 exec, exec, s[8:9]
	s_and_b64 s[4:5], s[4:5], exec
	s_or_saveexec_b64 s[6:7], s[6:7]
	v_mov_b32_e32 v12, s10
	s_xor_b64 exec, exec, s[6:7]
	s_cbranch_execz .LBB10_906
.LBB10_2956:
	v_mov_b32_e32 v12, 0
	v_cmp_ne_u16_sdwa s[8:9], v13, v12 src0_sel:BYTE_0 src1_sel:DWORD
	s_andn2_b64 s[4:5], s[4:5], exec
	s_and_b64 s[8:9], s[8:9], exec
	s_or_b64 s[4:5], s[4:5], s[8:9]
	s_or_b64 exec, exec, s[6:7]
	s_and_saveexec_b64 s[6:7], s[4:5]
	s_cbranch_execnz .LBB10_907
	s_branch .LBB10_908
.LBB10_2957:
	s_movk_i32 s4, 0x80
	v_cmp_eq_u16_sdwa s[12:13], v13, s4 src0_sel:BYTE_0 src1_sel:DWORD
	s_mov_b64 s[4:5], -1
                                        ; implicit-def: $sgpr10
	s_and_saveexec_b64 s[8:9], s[12:13]
; %bb.2958:
	s_mov_b32 s10, 0x7f800001
	s_xor_b64 s[4:5], exec, -1
; %bb.2959:
	s_or_b64 exec, exec, s[8:9]
	s_and_b64 s[4:5], s[4:5], exec
	s_or_saveexec_b64 s[6:7], s[6:7]
	v_mov_b32_e32 v14, s10
	s_xor_b64 exec, exec, s[6:7]
	s_cbranch_execz .LBB10_910
.LBB10_2960:
	v_mov_b32_e32 v14, 0
	v_cmp_ne_u16_sdwa s[8:9], v13, v14 src0_sel:BYTE_0 src1_sel:DWORD
	s_andn2_b64 s[4:5], s[4:5], exec
	s_and_b64 s[8:9], s[8:9], exec
	s_or_b64 s[4:5], s[4:5], s[8:9]
	s_or_b64 exec, exec, s[6:7]
	s_and_saveexec_b64 s[6:7], s[4:5]
	s_cbranch_execnz .LBB10_911
	s_branch .LBB10_912
.LBB10_2961:
	s_movk_i32 s4, 0x80
	v_cmp_eq_u16_e32 vcc, s4, v13
	s_mov_b64 s[4:5], -1
                                        ; implicit-def: $sgpr10
	s_and_saveexec_b64 s[8:9], vcc
; %bb.2962:
	s_mov_b32 s10, 0x7f800001
	s_xor_b64 s[4:5], exec, -1
; %bb.2963:
	s_or_b64 exec, exec, s[8:9]
	s_and_b64 s[4:5], s[4:5], exec
                                        ; implicit-def: $vgpr13
	s_or_saveexec_b64 s[6:7], s[6:7]
	v_mov_b32_e32 v12, s10
	s_xor_b64 exec, exec, s[6:7]
	s_cbranch_execz .LBB10_914
.LBB10_2964:
	v_cmp_ne_u16_e32 vcc, 0, v13
	s_andn2_b64 s[4:5], s[4:5], exec
	s_and_b64 s[8:9], vcc, exec
	v_mov_b32_e32 v12, 0
	s_or_b64 s[4:5], s[4:5], s[8:9]
	s_or_b64 exec, exec, s[6:7]
	s_and_saveexec_b64 s[6:7], s[4:5]
	s_cbranch_execnz .LBB10_915
	s_branch .LBB10_916
.LBB10_2965:
	s_movk_i32 s4, 0x80
	v_cmp_eq_u16_e32 vcc, s4, v13
	s_mov_b64 s[4:5], -1
                                        ; implicit-def: $sgpr10
	s_and_saveexec_b64 s[8:9], vcc
; %bb.2966:
	s_mov_b32 s10, 0x7f800001
	s_xor_b64 s[4:5], exec, -1
; %bb.2967:
	s_or_b64 exec, exec, s[8:9]
	s_and_b64 s[4:5], s[4:5], exec
                                        ; implicit-def: $vgpr13
	s_or_saveexec_b64 s[6:7], s[6:7]
	v_mov_b32_e32 v14, s10
	s_xor_b64 exec, exec, s[6:7]
	s_cbranch_execz .LBB10_918
.LBB10_2968:
	v_cmp_ne_u16_e32 vcc, 0, v13
	s_andn2_b64 s[4:5], s[4:5], exec
	s_and_b64 s[8:9], vcc, exec
	v_mov_b32_e32 v14, 0
	s_or_b64 s[4:5], s[4:5], s[8:9]
	s_or_b64 exec, exec, s[6:7]
	s_and_saveexec_b64 s[6:7], s[4:5]
	s_cbranch_execnz .LBB10_919
	s_branch .LBB10_920
.LBB10_2969:
	s_movk_i32 s4, 0x80
	v_cmp_eq_u16_sdwa s[12:13], v6, s4 src0_sel:BYTE_3 src1_sel:DWORD
	s_mov_b64 s[4:5], -1
                                        ; implicit-def: $sgpr10
	s_and_saveexec_b64 s[8:9], s[12:13]
; %bb.2970:
	s_mov_b32 s10, 0x7f800001
	s_xor_b64 s[4:5], exec, -1
; %bb.2971:
	s_or_b64 exec, exec, s[8:9]
	s_and_b64 s[4:5], s[4:5], exec
	s_or_saveexec_b64 s[6:7], s[6:7]
	v_mov_b32_e32 v12, s10
	s_xor_b64 exec, exec, s[6:7]
	s_cbranch_execz .LBB10_922
.LBB10_2972:
	v_mov_b32_e32 v12, 0
	v_cmp_ne_u16_sdwa s[8:9], v6, v12 src0_sel:BYTE_3 src1_sel:DWORD
	s_andn2_b64 s[4:5], s[4:5], exec
	s_and_b64 s[8:9], s[8:9], exec
	s_or_b64 s[4:5], s[4:5], s[8:9]
	s_or_b64 exec, exec, s[6:7]
	s_and_saveexec_b64 s[6:7], s[4:5]
	s_cbranch_execnz .LBB10_923
	s_branch .LBB10_924
.LBB10_2973:
	s_movk_i32 s4, 0x80
	v_cmp_eq_u16_sdwa s[12:13], v2, s4 src0_sel:BYTE_3 src1_sel:DWORD
	s_mov_b64 s[4:5], -1
                                        ; implicit-def: $sgpr10
	s_and_saveexec_b64 s[8:9], s[12:13]
; %bb.2974:
	s_mov_b32 s10, 0x7f800001
	s_xor_b64 s[4:5], exec, -1
; %bb.2975:
	s_or_b64 exec, exec, s[8:9]
	s_and_b64 s[4:5], s[4:5], exec
	s_or_saveexec_b64 s[6:7], s[6:7]
	v_mov_b32_e32 v6, s10
	s_xor_b64 exec, exec, s[6:7]
	s_cbranch_execz .LBB10_926
.LBB10_2976:
	v_mov_b32_e32 v6, 0
	v_cmp_ne_u16_sdwa s[8:9], v2, v6 src0_sel:BYTE_3 src1_sel:DWORD
	s_andn2_b64 s[4:5], s[4:5], exec
	s_and_b64 s[8:9], s[8:9], exec
	s_or_b64 s[4:5], s[4:5], s[8:9]
	s_or_b64 exec, exec, s[6:7]
	s_and_saveexec_b64 s[6:7], s[4:5]
	s_cbranch_execnz .LBB10_927
	s_branch .LBB10_928
.LBB10_2977:
	s_movk_i32 s4, 0x80
	v_cmp_eq_u16_sdwa s[12:13], v7, s4 src0_sel:BYTE_0 src1_sel:DWORD
	s_mov_b64 s[4:5], -1
                                        ; implicit-def: $sgpr10
	s_and_saveexec_b64 s[8:9], s[12:13]
; %bb.2978:
	s_mov_b32 s10, 0x7f800001
	s_xor_b64 s[4:5], exec, -1
; %bb.2979:
	s_or_b64 exec, exec, s[8:9]
	s_and_b64 s[4:5], s[4:5], exec
	s_or_saveexec_b64 s[6:7], s[6:7]
	v_mov_b32_e32 v2, s10
	s_xor_b64 exec, exec, s[6:7]
	s_cbranch_execz .LBB10_930
.LBB10_2980:
	v_mov_b32_e32 v2, 0
	v_cmp_ne_u16_sdwa s[8:9], v7, v2 src0_sel:BYTE_0 src1_sel:DWORD
	s_andn2_b64 s[4:5], s[4:5], exec
	s_and_b64 s[8:9], s[8:9], exec
	s_or_b64 s[4:5], s[4:5], s[8:9]
	s_or_b64 exec, exec, s[6:7]
	s_and_saveexec_b64 s[6:7], s[4:5]
	s_cbranch_execnz .LBB10_931
	s_branch .LBB10_932
.LBB10_2981:
	s_movk_i32 s4, 0x80
	v_cmp_eq_u16_sdwa s[12:13], v3, s4 src0_sel:BYTE_0 src1_sel:DWORD
	s_mov_b64 s[4:5], -1
                                        ; implicit-def: $sgpr10
	s_and_saveexec_b64 s[8:9], s[12:13]
; %bb.2982:
	s_mov_b32 s10, 0x7f800001
	s_xor_b64 s[4:5], exec, -1
; %bb.2983:
	s_or_b64 exec, exec, s[8:9]
	s_and_b64 s[4:5], s[4:5], exec
	s_or_saveexec_b64 s[6:7], s[6:7]
	v_mov_b32_e32 v6, s10
	s_xor_b64 exec, exec, s[6:7]
	s_cbranch_execz .LBB10_934
.LBB10_2984:
	v_mov_b32_e32 v6, 0
	v_cmp_ne_u16_sdwa s[8:9], v3, v6 src0_sel:BYTE_0 src1_sel:DWORD
	s_andn2_b64 s[4:5], s[4:5], exec
	s_and_b64 s[8:9], s[8:9], exec
	s_or_b64 s[4:5], s[4:5], s[8:9]
	s_or_b64 exec, exec, s[6:7]
	s_and_saveexec_b64 s[6:7], s[4:5]
	s_cbranch_execnz .LBB10_935
	s_branch .LBB10_936
.LBB10_2985:
	s_movk_i32 s4, 0x80
	v_cmp_eq_u16_sdwa s[12:13], v6, s4 src0_sel:BYTE_0 src1_sel:DWORD
	s_mov_b64 s[4:5], -1
                                        ; implicit-def: $sgpr10
	s_and_saveexec_b64 s[8:9], s[12:13]
; %bb.2986:
	s_mov_b32 s10, 0x7f800001
	s_xor_b64 s[4:5], exec, -1
; %bb.2987:
	s_or_b64 exec, exec, s[8:9]
	s_and_b64 s[4:5], s[4:5], exec
	s_or_saveexec_b64 s[6:7], s[6:7]
	v_mov_b32_e32 v2, s10
	s_xor_b64 exec, exec, s[6:7]
	s_cbranch_execz .LBB10_938
.LBB10_2988:
	v_mov_b32_e32 v2, 0
	v_cmp_ne_u16_sdwa s[8:9], v6, v2 src0_sel:BYTE_0 src1_sel:DWORD
	s_andn2_b64 s[4:5], s[4:5], exec
	s_and_b64 s[8:9], s[8:9], exec
	s_or_b64 s[4:5], s[4:5], s[8:9]
	s_or_b64 exec, exec, s[6:7]
	s_and_saveexec_b64 s[6:7], s[4:5]
	s_cbranch_execnz .LBB10_939
	s_branch .LBB10_940
.LBB10_2989:
	s_movk_i32 s4, 0x80
	v_cmp_eq_u16_sdwa s[12:13], v6, s4 src0_sel:BYTE_0 src1_sel:DWORD
	s_mov_b64 s[4:5], -1
                                        ; implicit-def: $sgpr10
	s_and_saveexec_b64 s[8:9], s[12:13]
; %bb.2990:
	s_mov_b32 s10, 0x7f800001
	s_xor_b64 s[4:5], exec, -1
; %bb.2991:
	s_or_b64 exec, exec, s[8:9]
	s_and_b64 s[4:5], s[4:5], exec
	s_or_saveexec_b64 s[6:7], s[6:7]
	v_mov_b32_e32 v12, s10
	s_xor_b64 exec, exec, s[6:7]
	s_cbranch_execz .LBB10_942
.LBB10_2992:
	v_mov_b32_e32 v12, 0
	v_cmp_ne_u16_sdwa s[8:9], v6, v12 src0_sel:BYTE_0 src1_sel:DWORD
	s_andn2_b64 s[4:5], s[4:5], exec
	s_and_b64 s[8:9], s[8:9], exec
	s_or_b64 s[4:5], s[4:5], s[8:9]
	s_or_b64 exec, exec, s[6:7]
	s_and_saveexec_b64 s[6:7], s[4:5]
	s_cbranch_execnz .LBB10_943
	s_branch .LBB10_944
.LBB10_2993:
	s_movk_i32 s4, 0x80
	v_cmp_eq_u16_e32 vcc, s4, v6
	s_mov_b64 s[4:5], -1
                                        ; implicit-def: $sgpr10
	s_and_saveexec_b64 s[8:9], vcc
; %bb.2994:
	s_mov_b32 s10, 0x7f800001
	s_xor_b64 s[4:5], exec, -1
; %bb.2995:
	s_or_b64 exec, exec, s[8:9]
	s_and_b64 s[4:5], s[4:5], exec
                                        ; implicit-def: $vgpr6
	s_or_saveexec_b64 s[6:7], s[6:7]
	v_mov_b32_e32 v2, s10
	s_xor_b64 exec, exec, s[6:7]
	s_cbranch_execz .LBB10_946
.LBB10_2996:
	v_cmp_ne_u16_e32 vcc, 0, v6
	s_andn2_b64 s[4:5], s[4:5], exec
	s_and_b64 s[8:9], vcc, exec
	v_mov_b32_e32 v2, 0
	s_or_b64 s[4:5], s[4:5], s[8:9]
	s_or_b64 exec, exec, s[6:7]
	s_and_saveexec_b64 s[6:7], s[4:5]
	s_cbranch_execnz .LBB10_947
	s_branch .LBB10_948
.LBB10_2997:
	s_movk_i32 s4, 0x80
	v_cmp_eq_u16_e32 vcc, s4, v6
	s_mov_b64 s[4:5], -1
                                        ; implicit-def: $sgpr10
	s_and_saveexec_b64 s[8:9], vcc
; %bb.2998:
	s_mov_b32 s10, 0x7f800001
	s_xor_b64 s[4:5], exec, -1
; %bb.2999:
	s_or_b64 exec, exec, s[8:9]
	s_and_b64 s[4:5], s[4:5], exec
                                        ; implicit-def: $vgpr6
	s_or_saveexec_b64 s[6:7], s[6:7]
	v_mov_b32_e32 v12, s10
	s_xor_b64 exec, exec, s[6:7]
	s_cbranch_execz .LBB10_950
.LBB10_3000:
	v_cmp_ne_u16_e32 vcc, 0, v6
	s_andn2_b64 s[4:5], s[4:5], exec
	s_and_b64 s[8:9], vcc, exec
	v_mov_b32_e32 v12, 0
	s_or_b64 s[4:5], s[4:5], s[8:9]
	s_or_b64 exec, exec, s[6:7]
	s_and_saveexec_b64 s[6:7], s[4:5]
	s_cbranch_execnz .LBB10_951
	s_branch .LBB10_952
.LBB10_3001:
	s_movk_i32 s4, 0x80
	v_cmp_eq_u16_sdwa s[12:13], v7, s4 src0_sel:BYTE_3 src1_sel:DWORD
	s_mov_b64 s[4:5], -1
                                        ; implicit-def: $sgpr10
	s_and_saveexec_b64 s[8:9], s[12:13]
; %bb.3002:
	s_mov_b32 s10, 0x7f800001
	s_xor_b64 s[4:5], exec, -1
; %bb.3003:
	s_or_b64 exec, exec, s[8:9]
	s_and_b64 s[4:5], s[4:5], exec
	s_or_saveexec_b64 s[6:7], s[6:7]
	v_mov_b32_e32 v2, s10
	s_xor_b64 exec, exec, s[6:7]
	s_cbranch_execz .LBB10_954
.LBB10_3004:
	v_mov_b32_e32 v2, 0
	v_cmp_ne_u16_sdwa s[8:9], v7, v2 src0_sel:BYTE_3 src1_sel:DWORD
	s_andn2_b64 s[4:5], s[4:5], exec
	s_and_b64 s[8:9], s[8:9], exec
	s_or_b64 s[4:5], s[4:5], s[8:9]
	s_or_b64 exec, exec, s[6:7]
	s_and_saveexec_b64 s[6:7], s[4:5]
	s_cbranch_execnz .LBB10_955
	s_branch .LBB10_956
.LBB10_3005:
	s_movk_i32 s4, 0x80
	v_cmp_eq_u16_sdwa s[12:13], v3, s4 src0_sel:BYTE_3 src1_sel:DWORD
	s_mov_b64 s[4:5], -1
                                        ; implicit-def: $sgpr10
	s_and_saveexec_b64 s[8:9], s[12:13]
; %bb.3006:
	s_mov_b32 s10, 0x7f800001
	s_xor_b64 s[4:5], exec, -1
; %bb.3007:
	s_or_b64 exec, exec, s[8:9]
	s_and_b64 s[4:5], s[4:5], exec
	s_or_saveexec_b64 s[6:7], s[6:7]
	v_mov_b32_e32 v6, s10
	s_xor_b64 exec, exec, s[6:7]
	s_cbranch_execz .LBB10_958
.LBB10_3008:
	v_mov_b32_e32 v6, 0
	v_cmp_ne_u16_sdwa s[8:9], v3, v6 src0_sel:BYTE_3 src1_sel:DWORD
	s_andn2_b64 s[4:5], s[4:5], exec
	s_and_b64 s[8:9], s[8:9], exec
	s_or_b64 s[4:5], s[4:5], s[8:9]
	s_or_b64 exec, exec, s[6:7]
	s_and_saveexec_b64 s[6:7], s[4:5]
	s_cbranch_execnz .LBB10_959
	s_branch .LBB10_960
.LBB10_3009:
	s_movk_i32 s4, 0x80
	v_cmp_eq_u16_sdwa s[12:13], v8, s4 src0_sel:BYTE_0 src1_sel:DWORD
	s_mov_b64 s[4:5], -1
                                        ; implicit-def: $sgpr10
	s_and_saveexec_b64 s[8:9], s[12:13]
; %bb.3010:
	s_mov_b32 s10, 0x7f800001
	s_xor_b64 s[4:5], exec, -1
; %bb.3011:
	s_or_b64 exec, exec, s[8:9]
	s_and_b64 s[4:5], s[4:5], exec
	s_or_saveexec_b64 s[6:7], s[6:7]
	v_mov_b32_e32 v2, s10
	s_xor_b64 exec, exec, s[6:7]
	s_cbranch_execz .LBB10_962
.LBB10_3012:
	v_mov_b32_e32 v2, 0
	v_cmp_ne_u16_sdwa s[8:9], v8, v2 src0_sel:BYTE_0 src1_sel:DWORD
	s_andn2_b64 s[4:5], s[4:5], exec
	s_and_b64 s[8:9], s[8:9], exec
	s_or_b64 s[4:5], s[4:5], s[8:9]
	s_or_b64 exec, exec, s[6:7]
	s_and_saveexec_b64 s[6:7], s[4:5]
	s_cbranch_execnz .LBB10_963
	s_branch .LBB10_964
.LBB10_3013:
	s_movk_i32 s4, 0x80
	v_cmp_eq_u16_sdwa s[12:13], v4, s4 src0_sel:BYTE_0 src1_sel:DWORD
	s_mov_b64 s[4:5], -1
                                        ; implicit-def: $sgpr10
	s_and_saveexec_b64 s[8:9], s[12:13]
; %bb.3014:
	s_mov_b32 s10, 0x7f800001
	s_xor_b64 s[4:5], exec, -1
; %bb.3015:
	s_or_b64 exec, exec, s[8:9]
	s_and_b64 s[4:5], s[4:5], exec
	s_or_saveexec_b64 s[6:7], s[6:7]
	v_mov_b32_e32 v3, s10
	s_xor_b64 exec, exec, s[6:7]
	s_cbranch_execz .LBB10_966
.LBB10_3016:
	v_mov_b32_e32 v3, 0
	v_cmp_ne_u16_sdwa s[8:9], v4, v3 src0_sel:BYTE_0 src1_sel:DWORD
	s_andn2_b64 s[4:5], s[4:5], exec
	s_and_b64 s[8:9], s[8:9], exec
	s_or_b64 s[4:5], s[4:5], s[8:9]
	s_or_b64 exec, exec, s[6:7]
	s_and_saveexec_b64 s[6:7], s[4:5]
	s_cbranch_execnz .LBB10_967
	s_branch .LBB10_968
.LBB10_3017:
	s_movk_i32 s4, 0x80
	v_cmp_eq_u16_sdwa s[12:13], v3, s4 src0_sel:BYTE_0 src1_sel:DWORD
	s_mov_b64 s[4:5], -1
                                        ; implicit-def: $sgpr10
	s_and_saveexec_b64 s[8:9], s[12:13]
; %bb.3018:
	s_mov_b32 s10, 0x7f800001
	s_xor_b64 s[4:5], exec, -1
; %bb.3019:
	s_or_b64 exec, exec, s[8:9]
	s_and_b64 s[4:5], s[4:5], exec
	s_or_saveexec_b64 s[6:7], s[6:7]
	v_mov_b32_e32 v2, s10
	s_xor_b64 exec, exec, s[6:7]
	s_cbranch_execz .LBB10_970
.LBB10_3020:
	v_mov_b32_e32 v2, 0
	v_cmp_ne_u16_sdwa s[8:9], v3, v2 src0_sel:BYTE_0 src1_sel:DWORD
	s_andn2_b64 s[4:5], s[4:5], exec
	s_and_b64 s[8:9], s[8:9], exec
	s_or_b64 s[4:5], s[4:5], s[8:9]
	s_or_b64 exec, exec, s[6:7]
	s_and_saveexec_b64 s[6:7], s[4:5]
	s_cbranch_execnz .LBB10_971
	s_branch .LBB10_972
.LBB10_3021:
	s_movk_i32 s4, 0x80
	v_cmp_eq_u16_sdwa s[12:13], v3, s4 src0_sel:BYTE_0 src1_sel:DWORD
	s_mov_b64 s[4:5], -1
                                        ; implicit-def: $sgpr10
	s_and_saveexec_b64 s[8:9], s[12:13]
; %bb.3022:
	s_mov_b32 s10, 0x7f800001
	s_xor_b64 s[4:5], exec, -1
; %bb.3023:
	s_or_b64 exec, exec, s[8:9]
	s_and_b64 s[4:5], s[4:5], exec
	s_or_saveexec_b64 s[6:7], s[6:7]
	v_mov_b32_e32 v6, s10
	s_xor_b64 exec, exec, s[6:7]
	s_cbranch_execz .LBB10_974
.LBB10_3024:
	v_mov_b32_e32 v6, 0
	v_cmp_ne_u16_sdwa s[8:9], v3, v6 src0_sel:BYTE_0 src1_sel:DWORD
	s_andn2_b64 s[4:5], s[4:5], exec
	s_and_b64 s[8:9], s[8:9], exec
	s_or_b64 s[4:5], s[4:5], s[8:9]
	s_or_b64 exec, exec, s[6:7]
	s_and_saveexec_b64 s[6:7], s[4:5]
	s_cbranch_execnz .LBB10_975
	s_branch .LBB10_976
.LBB10_3025:
	s_movk_i32 s4, 0x80
	v_cmp_eq_u16_e32 vcc, s4, v3
	s_mov_b64 s[4:5], -1
                                        ; implicit-def: $sgpr10
	s_and_saveexec_b64 s[8:9], vcc
; %bb.3026:
	s_mov_b32 s10, 0x7f800001
	s_xor_b64 s[4:5], exec, -1
; %bb.3027:
	s_or_b64 exec, exec, s[8:9]
	s_and_b64 s[4:5], s[4:5], exec
                                        ; implicit-def: $vgpr3
	s_or_saveexec_b64 s[6:7], s[6:7]
	v_mov_b32_e32 v2, s10
	s_xor_b64 exec, exec, s[6:7]
	s_cbranch_execz .LBB10_978
.LBB10_3028:
	v_cmp_ne_u16_e32 vcc, 0, v3
	s_andn2_b64 s[4:5], s[4:5], exec
	s_and_b64 s[8:9], vcc, exec
	v_mov_b32_e32 v2, 0
	s_or_b64 s[4:5], s[4:5], s[8:9]
	s_or_b64 exec, exec, s[6:7]
	s_and_saveexec_b64 s[6:7], s[4:5]
	s_cbranch_execnz .LBB10_979
	s_branch .LBB10_980
.LBB10_3029:
	s_movk_i32 s4, 0x80
	v_cmp_eq_u16_e32 vcc, s4, v3
	s_mov_b64 s[4:5], -1
                                        ; implicit-def: $sgpr10
	s_and_saveexec_b64 s[8:9], vcc
; %bb.3030:
	s_mov_b32 s10, 0x7f800001
	s_xor_b64 s[4:5], exec, -1
; %bb.3031:
	s_or_b64 exec, exec, s[8:9]
	s_and_b64 s[4:5], s[4:5], exec
                                        ; implicit-def: $vgpr3
	s_or_saveexec_b64 s[6:7], s[6:7]
	v_mov_b32_e32 v6, s10
	s_xor_b64 exec, exec, s[6:7]
	s_cbranch_execz .LBB10_982
.LBB10_3032:
	v_cmp_ne_u16_e32 vcc, 0, v3
	s_andn2_b64 s[4:5], s[4:5], exec
	s_and_b64 s[8:9], vcc, exec
	v_mov_b32_e32 v6, 0
	s_or_b64 s[4:5], s[4:5], s[8:9]
	s_or_b64 exec, exec, s[6:7]
	s_and_saveexec_b64 s[6:7], s[4:5]
	s_cbranch_execnz .LBB10_983
	s_branch .LBB10_984
.LBB10_3033:
	s_movk_i32 s4, 0x80
	v_cmp_eq_u16_sdwa s[12:13], v8, s4 src0_sel:BYTE_3 src1_sel:DWORD
	s_mov_b64 s[4:5], -1
                                        ; implicit-def: $sgpr10
	s_and_saveexec_b64 s[8:9], s[12:13]
; %bb.3034:
	s_mov_b32 s10, 0x7f800001
	s_xor_b64 s[4:5], exec, -1
; %bb.3035:
	s_or_b64 exec, exec, s[8:9]
	s_and_b64 s[4:5], s[4:5], exec
	s_or_saveexec_b64 s[6:7], s[6:7]
	v_mov_b32_e32 v2, s10
	s_xor_b64 exec, exec, s[6:7]
	s_cbranch_execz .LBB10_986
.LBB10_3036:
	v_mov_b32_e32 v2, 0
	v_cmp_ne_u16_sdwa s[8:9], v8, v2 src0_sel:BYTE_3 src1_sel:DWORD
	s_andn2_b64 s[4:5], s[4:5], exec
	s_and_b64 s[8:9], s[8:9], exec
	s_or_b64 s[4:5], s[4:5], s[8:9]
	s_or_b64 exec, exec, s[6:7]
	s_and_saveexec_b64 s[6:7], s[4:5]
	s_cbranch_execnz .LBB10_987
	s_branch .LBB10_988
.LBB10_3037:
	s_movk_i32 s4, 0x80
	v_cmp_eq_u16_sdwa s[12:13], v4, s4 src0_sel:BYTE_3 src1_sel:DWORD
	s_mov_b64 s[4:5], -1
                                        ; implicit-def: $sgpr10
	s_and_saveexec_b64 s[8:9], s[12:13]
; %bb.3038:
	s_mov_b32 s10, 0x7f800001
	s_xor_b64 s[4:5], exec, -1
; %bb.3039:
	s_or_b64 exec, exec, s[8:9]
	s_and_b64 s[4:5], s[4:5], exec
	s_or_saveexec_b64 s[6:7], s[6:7]
	v_mov_b32_e32 v3, s10
	s_xor_b64 exec, exec, s[6:7]
	s_cbranch_execz .LBB10_990
.LBB10_3040:
	v_mov_b32_e32 v3, 0
	v_cmp_ne_u16_sdwa s[8:9], v4, v3 src0_sel:BYTE_3 src1_sel:DWORD
	s_andn2_b64 s[4:5], s[4:5], exec
	s_and_b64 s[8:9], s[8:9], exec
	s_or_b64 s[4:5], s[4:5], s[8:9]
	s_or_b64 exec, exec, s[6:7]
	s_and_saveexec_b64 s[6:7], s[4:5]
	s_cbranch_execnz .LBB10_991
	s_branch .LBB10_992
.LBB10_3041:
	s_movk_i32 s4, 0x80
	v_cmp_eq_u16_sdwa s[12:13], v9, s4 src0_sel:BYTE_0 src1_sel:DWORD
	s_mov_b64 s[4:5], -1
                                        ; implicit-def: $sgpr10
	s_and_saveexec_b64 s[8:9], s[12:13]
; %bb.3042:
	s_mov_b32 s10, 0x7f800001
	s_xor_b64 s[4:5], exec, -1
; %bb.3043:
	s_or_b64 exec, exec, s[8:9]
	s_and_b64 s[4:5], s[4:5], exec
	s_or_saveexec_b64 s[6:7], s[6:7]
	v_mov_b32_e32 v2, s10
	s_xor_b64 exec, exec, s[6:7]
	s_cbranch_execz .LBB10_994
.LBB10_3044:
	v_mov_b32_e32 v2, 0
	v_cmp_ne_u16_sdwa s[8:9], v9, v2 src0_sel:BYTE_0 src1_sel:DWORD
	s_andn2_b64 s[4:5], s[4:5], exec
	s_and_b64 s[8:9], s[8:9], exec
	s_or_b64 s[4:5], s[4:5], s[8:9]
	s_or_b64 exec, exec, s[6:7]
	s_and_saveexec_b64 s[6:7], s[4:5]
	s_cbranch_execnz .LBB10_995
	s_branch .LBB10_996
.LBB10_3045:
	s_movk_i32 s4, 0x80
	v_cmp_eq_u16_sdwa s[12:13], v5, s4 src0_sel:BYTE_0 src1_sel:DWORD
	s_mov_b64 s[4:5], -1
                                        ; implicit-def: $sgpr10
	s_and_saveexec_b64 s[8:9], s[12:13]
; %bb.3046:
	s_mov_b32 s10, 0x7f800001
	s_xor_b64 s[4:5], exec, -1
; %bb.3047:
	s_or_b64 exec, exec, s[8:9]
	s_and_b64 s[4:5], s[4:5], exec
	s_or_saveexec_b64 s[6:7], s[6:7]
	v_mov_b32_e32 v3, s10
	s_xor_b64 exec, exec, s[6:7]
	s_cbranch_execz .LBB10_998
.LBB10_3048:
	v_mov_b32_e32 v3, 0
	v_cmp_ne_u16_sdwa s[8:9], v5, v3 src0_sel:BYTE_0 src1_sel:DWORD
	s_andn2_b64 s[4:5], s[4:5], exec
	s_and_b64 s[8:9], s[8:9], exec
	s_or_b64 s[4:5], s[4:5], s[8:9]
	s_or_b64 exec, exec, s[6:7]
	s_and_saveexec_b64 s[6:7], s[4:5]
	s_cbranch_execnz .LBB10_999
	s_branch .LBB10_1000
.LBB10_3049:
	s_movk_i32 s4, 0x80
	v_cmp_eq_u16_sdwa s[12:13], v3, s4 src0_sel:BYTE_0 src1_sel:DWORD
	s_mov_b64 s[4:5], -1
                                        ; implicit-def: $sgpr10
	s_and_saveexec_b64 s[8:9], s[12:13]
; %bb.3050:
	s_mov_b32 s10, 0x7f800001
	s_xor_b64 s[4:5], exec, -1
; %bb.3051:
	s_or_b64 exec, exec, s[8:9]
	s_and_b64 s[4:5], s[4:5], exec
	s_or_saveexec_b64 s[6:7], s[6:7]
	v_mov_b32_e32 v2, s10
	s_xor_b64 exec, exec, s[6:7]
	s_cbranch_execz .LBB10_1002
.LBB10_3052:
	v_mov_b32_e32 v2, 0
	v_cmp_ne_u16_sdwa s[8:9], v3, v2 src0_sel:BYTE_0 src1_sel:DWORD
	s_andn2_b64 s[4:5], s[4:5], exec
	s_and_b64 s[8:9], s[8:9], exec
	s_or_b64 s[4:5], s[4:5], s[8:9]
	s_or_b64 exec, exec, s[6:7]
	s_and_saveexec_b64 s[6:7], s[4:5]
	s_cbranch_execnz .LBB10_1003
	s_branch .LBB10_1004
.LBB10_3053:
	s_movk_i32 s4, 0x80
	v_cmp_eq_u16_sdwa s[12:13], v3, s4 src0_sel:BYTE_0 src1_sel:DWORD
	s_mov_b64 s[4:5], -1
                                        ; implicit-def: $sgpr10
	s_and_saveexec_b64 s[8:9], s[12:13]
; %bb.3054:
	s_mov_b32 s10, 0x7f800001
	s_xor_b64 s[4:5], exec, -1
; %bb.3055:
	s_or_b64 exec, exec, s[8:9]
	s_and_b64 s[4:5], s[4:5], exec
	s_or_saveexec_b64 s[6:7], s[6:7]
	v_mov_b32_e32 v4, s10
	s_xor_b64 exec, exec, s[6:7]
	s_cbranch_execz .LBB10_1006
.LBB10_3056:
	v_mov_b32_e32 v4, 0
	v_cmp_ne_u16_sdwa s[8:9], v3, v4 src0_sel:BYTE_0 src1_sel:DWORD
	s_andn2_b64 s[4:5], s[4:5], exec
	s_and_b64 s[8:9], s[8:9], exec
	s_or_b64 s[4:5], s[4:5], s[8:9]
	s_or_b64 exec, exec, s[6:7]
	s_and_saveexec_b64 s[6:7], s[4:5]
	s_cbranch_execnz .LBB10_1007
	s_branch .LBB10_1008
.LBB10_3057:
	s_movk_i32 s4, 0x80
	v_cmp_eq_u16_e32 vcc, s4, v3
	s_mov_b64 s[4:5], -1
                                        ; implicit-def: $sgpr10
	s_and_saveexec_b64 s[8:9], vcc
; %bb.3058:
	s_mov_b32 s10, 0x7f800001
	s_xor_b64 s[4:5], exec, -1
; %bb.3059:
	s_or_b64 exec, exec, s[8:9]
	s_and_b64 s[4:5], s[4:5], exec
                                        ; implicit-def: $vgpr3
	s_or_saveexec_b64 s[6:7], s[6:7]
	v_mov_b32_e32 v2, s10
	s_xor_b64 exec, exec, s[6:7]
	s_cbranch_execz .LBB10_1010
.LBB10_3060:
	v_cmp_ne_u16_e32 vcc, 0, v3
	s_andn2_b64 s[4:5], s[4:5], exec
	s_and_b64 s[8:9], vcc, exec
	v_mov_b32_e32 v2, 0
	s_or_b64 s[4:5], s[4:5], s[8:9]
	s_or_b64 exec, exec, s[6:7]
	s_and_saveexec_b64 s[6:7], s[4:5]
	s_cbranch_execnz .LBB10_1011
	s_branch .LBB10_1012
.LBB10_3061:
	s_movk_i32 s4, 0x80
	v_cmp_eq_u16_e32 vcc, s4, v3
	s_mov_b64 s[4:5], -1
                                        ; implicit-def: $sgpr10
	s_and_saveexec_b64 s[8:9], vcc
; %bb.3062:
	s_mov_b32 s10, 0x7f800001
	s_xor_b64 s[4:5], exec, -1
; %bb.3063:
	s_or_b64 exec, exec, s[8:9]
	s_and_b64 s[4:5], s[4:5], exec
                                        ; implicit-def: $vgpr3
	s_or_saveexec_b64 s[6:7], s[6:7]
	v_mov_b32_e32 v4, s10
	s_xor_b64 exec, exec, s[6:7]
	s_cbranch_execz .LBB10_1014
.LBB10_3064:
	v_cmp_ne_u16_e32 vcc, 0, v3
	s_andn2_b64 s[4:5], s[4:5], exec
	s_and_b64 s[8:9], vcc, exec
	v_mov_b32_e32 v4, 0
	s_or_b64 s[4:5], s[4:5], s[8:9]
	s_or_b64 exec, exec, s[6:7]
	s_and_saveexec_b64 s[6:7], s[4:5]
	s_cbranch_execnz .LBB10_1015
	s_branch .LBB10_1016
.LBB10_3065:
	s_movk_i32 s4, 0x80
	v_cmp_eq_u16_sdwa s[12:13], v9, s4 src0_sel:BYTE_3 src1_sel:DWORD
	s_mov_b64 s[4:5], -1
                                        ; implicit-def: $sgpr10
	s_and_saveexec_b64 s[8:9], s[12:13]
; %bb.3066:
	s_mov_b32 s10, 0x7f800001
	s_xor_b64 s[4:5], exec, -1
; %bb.3067:
	s_or_b64 exec, exec, s[8:9]
	s_and_b64 s[4:5], s[4:5], exec
	s_or_saveexec_b64 s[6:7], s[6:7]
	v_mov_b32_e32 v2, s10
	s_xor_b64 exec, exec, s[6:7]
	s_cbranch_execz .LBB10_1018
.LBB10_3068:
	v_mov_b32_e32 v2, 0
	v_cmp_ne_u16_sdwa s[8:9], v9, v2 src0_sel:BYTE_3 src1_sel:DWORD
	s_andn2_b64 s[4:5], s[4:5], exec
	s_and_b64 s[8:9], s[8:9], exec
	s_or_b64 s[4:5], s[4:5], s[8:9]
	s_or_b64 exec, exec, s[6:7]
	s_and_saveexec_b64 s[6:7], s[4:5]
	s_cbranch_execnz .LBB10_1019
	s_branch .LBB10_1020
.LBB10_3069:
	s_movk_i32 s4, 0x80
	v_cmp_eq_u16_sdwa s[12:13], v5, s4 src0_sel:BYTE_3 src1_sel:DWORD
	s_mov_b64 s[4:5], -1
                                        ; implicit-def: $sgpr10
	s_and_saveexec_b64 s[8:9], s[12:13]
; %bb.3070:
	s_mov_b32 s10, 0x7f800001
	s_xor_b64 s[4:5], exec, -1
; %bb.3071:
	s_or_b64 exec, exec, s[8:9]
	s_and_b64 s[4:5], s[4:5], exec
	s_or_saveexec_b64 s[6:7], s[6:7]
	v_mov_b32_e32 v3, s10
	s_xor_b64 exec, exec, s[6:7]
	s_cbranch_execz .LBB10_1022
.LBB10_3072:
	v_mov_b32_e32 v3, 0
	v_cmp_ne_u16_sdwa s[8:9], v5, v3 src0_sel:BYTE_3 src1_sel:DWORD
	s_andn2_b64 s[4:5], s[4:5], exec
	s_and_b64 s[8:9], s[8:9], exec
	s_or_b64 s[4:5], s[4:5], s[8:9]
	s_or_b64 exec, exec, s[6:7]
	s_and_saveexec_b64 s[6:7], s[4:5]
	s_cbranch_execnz .LBB10_1023
	s_branch .LBB10_1024
.LBB10_3073:
	s_movk_i32 s4, 0x80
	v_cmp_eq_u16_sdwa s[12:13], v6, s4 src0_sel:BYTE_0 src1_sel:DWORD
	s_mov_b64 s[4:5], -1
                                        ; implicit-def: $sgpr10
	s_and_saveexec_b64 s[8:9], s[12:13]
; %bb.3074:
	s_mov_b32 s10, 0x7f800001
	s_xor_b64 s[4:5], exec, -1
; %bb.3075:
	s_or_b64 exec, exec, s[8:9]
	s_and_b64 s[4:5], s[4:5], exec
	s_or_saveexec_b64 s[6:7], s[6:7]
	v_mov_b32_e32 v12, s10
	s_xor_b64 exec, exec, s[6:7]
	s_cbranch_execz .LBB10_1026
.LBB10_3076:
	v_mov_b32_e32 v12, 0
	v_cmp_ne_u16_sdwa s[8:9], v6, v12 src0_sel:BYTE_0 src1_sel:DWORD
	s_andn2_b64 s[4:5], s[4:5], exec
	s_and_b64 s[8:9], s[8:9], exec
	s_or_b64 s[4:5], s[4:5], s[8:9]
	s_or_b64 exec, exec, s[6:7]
	s_and_saveexec_b64 s[6:7], s[4:5]
	s_cbranch_execnz .LBB10_1027
	s_branch .LBB10_1028
.LBB10_3077:
	s_movk_i32 s4, 0x80
	v_cmp_eq_u16_sdwa s[12:13], v2, s4 src0_sel:BYTE_0 src1_sel:DWORD
	s_mov_b64 s[4:5], -1
                                        ; implicit-def: $sgpr10
	s_and_saveexec_b64 s[8:9], s[12:13]
; %bb.3078:
	s_mov_b32 s10, 0x7f800001
	s_xor_b64 s[4:5], exec, -1
; %bb.3079:
	s_or_b64 exec, exec, s[8:9]
	s_and_b64 s[4:5], s[4:5], exec
	s_or_saveexec_b64 s[6:7], s[6:7]
	v_mov_b32_e32 v13, s10
	s_xor_b64 exec, exec, s[6:7]
	s_cbranch_execz .LBB10_1030
.LBB10_3080:
	v_mov_b32_e32 v13, 0
	v_cmp_ne_u16_sdwa s[8:9], v2, v13 src0_sel:BYTE_0 src1_sel:DWORD
	s_andn2_b64 s[4:5], s[4:5], exec
	s_and_b64 s[8:9], s[8:9], exec
	s_or_b64 s[4:5], s[4:5], s[8:9]
	s_or_b64 exec, exec, s[6:7]
	s_and_saveexec_b64 s[6:7], s[4:5]
	s_cbranch_execnz .LBB10_1031
	s_branch .LBB10_1032
.LBB10_3081:
	s_movk_i32 s4, 0x80
	v_cmp_eq_u16_sdwa s[12:13], v13, s4 src0_sel:BYTE_0 src1_sel:DWORD
	s_mov_b64 s[4:5], -1
                                        ; implicit-def: $sgpr10
	s_and_saveexec_b64 s[8:9], s[12:13]
; %bb.3082:
	s_mov_b32 s10, 0x7f800001
	s_xor_b64 s[4:5], exec, -1
; %bb.3083:
	s_or_b64 exec, exec, s[8:9]
	s_and_b64 s[4:5], s[4:5], exec
	s_or_saveexec_b64 s[6:7], s[6:7]
	v_mov_b32_e32 v12, s10
	s_xor_b64 exec, exec, s[6:7]
	s_cbranch_execz .LBB10_1034
.LBB10_3084:
	v_mov_b32_e32 v12, 0
	v_cmp_ne_u16_sdwa s[8:9], v13, v12 src0_sel:BYTE_0 src1_sel:DWORD
	s_andn2_b64 s[4:5], s[4:5], exec
	s_and_b64 s[8:9], s[8:9], exec
	s_or_b64 s[4:5], s[4:5], s[8:9]
	s_or_b64 exec, exec, s[6:7]
	s_and_saveexec_b64 s[6:7], s[4:5]
	s_cbranch_execnz .LBB10_1035
	s_branch .LBB10_1036
.LBB10_3085:
	s_movk_i32 s4, 0x80
	v_cmp_eq_u16_sdwa s[12:13], v13, s4 src0_sel:BYTE_0 src1_sel:DWORD
	s_mov_b64 s[4:5], -1
                                        ; implicit-def: $sgpr10
	s_and_saveexec_b64 s[8:9], s[12:13]
; %bb.3086:
	s_mov_b32 s10, 0x7f800001
	s_xor_b64 s[4:5], exec, -1
; %bb.3087:
	s_or_b64 exec, exec, s[8:9]
	s_and_b64 s[4:5], s[4:5], exec
	s_or_saveexec_b64 s[6:7], s[6:7]
	v_mov_b32_e32 v14, s10
	s_xor_b64 exec, exec, s[6:7]
	s_cbranch_execz .LBB10_1038
.LBB10_3088:
	v_mov_b32_e32 v14, 0
	v_cmp_ne_u16_sdwa s[8:9], v13, v14 src0_sel:BYTE_0 src1_sel:DWORD
	s_andn2_b64 s[4:5], s[4:5], exec
	s_and_b64 s[8:9], s[8:9], exec
	s_or_b64 s[4:5], s[4:5], s[8:9]
	s_or_b64 exec, exec, s[6:7]
	s_and_saveexec_b64 s[6:7], s[4:5]
	s_cbranch_execnz .LBB10_1039
	s_branch .LBB10_1040
.LBB10_3089:
	s_movk_i32 s4, 0x80
	v_cmp_eq_u16_e32 vcc, s4, v13
	s_mov_b64 s[4:5], -1
                                        ; implicit-def: $sgpr10
	s_and_saveexec_b64 s[8:9], vcc
; %bb.3090:
	s_mov_b32 s10, 0x7f800001
	s_xor_b64 s[4:5], exec, -1
; %bb.3091:
	s_or_b64 exec, exec, s[8:9]
	s_and_b64 s[4:5], s[4:5], exec
                                        ; implicit-def: $vgpr13
	s_or_saveexec_b64 s[6:7], s[6:7]
	v_mov_b32_e32 v12, s10
	s_xor_b64 exec, exec, s[6:7]
	s_cbranch_execz .LBB10_1042
.LBB10_3092:
	v_cmp_ne_u16_e32 vcc, 0, v13
	s_andn2_b64 s[4:5], s[4:5], exec
	s_and_b64 s[8:9], vcc, exec
	v_mov_b32_e32 v12, 0
	s_or_b64 s[4:5], s[4:5], s[8:9]
	s_or_b64 exec, exec, s[6:7]
	s_and_saveexec_b64 s[6:7], s[4:5]
	s_cbranch_execnz .LBB10_1043
	s_branch .LBB10_1044
.LBB10_3093:
	s_movk_i32 s4, 0x80
	v_cmp_eq_u16_e32 vcc, s4, v13
	s_mov_b64 s[4:5], -1
                                        ; implicit-def: $sgpr10
	s_and_saveexec_b64 s[8:9], vcc
; %bb.3094:
	s_mov_b32 s10, 0x7f800001
	s_xor_b64 s[4:5], exec, -1
; %bb.3095:
	s_or_b64 exec, exec, s[8:9]
	s_and_b64 s[4:5], s[4:5], exec
                                        ; implicit-def: $vgpr13
	s_or_saveexec_b64 s[6:7], s[6:7]
	v_mov_b32_e32 v14, s10
	s_xor_b64 exec, exec, s[6:7]
	s_cbranch_execz .LBB10_1046
.LBB10_3096:
	v_cmp_ne_u16_e32 vcc, 0, v13
	s_andn2_b64 s[4:5], s[4:5], exec
	s_and_b64 s[8:9], vcc, exec
	v_mov_b32_e32 v14, 0
	s_or_b64 s[4:5], s[4:5], s[8:9]
	s_or_b64 exec, exec, s[6:7]
	s_and_saveexec_b64 s[6:7], s[4:5]
	s_cbranch_execnz .LBB10_1047
	s_branch .LBB10_1048
.LBB10_3097:
	s_movk_i32 s4, 0x80
	v_cmp_eq_u16_sdwa s[12:13], v6, s4 src0_sel:BYTE_3 src1_sel:DWORD
	s_mov_b64 s[4:5], -1
                                        ; implicit-def: $sgpr10
	s_and_saveexec_b64 s[8:9], s[12:13]
; %bb.3098:
	s_mov_b32 s10, 0x7f800001
	s_xor_b64 s[4:5], exec, -1
; %bb.3099:
	s_or_b64 exec, exec, s[8:9]
	s_and_b64 s[4:5], s[4:5], exec
	s_or_saveexec_b64 s[6:7], s[6:7]
	v_mov_b32_e32 v12, s10
	s_xor_b64 exec, exec, s[6:7]
	s_cbranch_execz .LBB10_1050
.LBB10_3100:
	v_mov_b32_e32 v12, 0
	v_cmp_ne_u16_sdwa s[8:9], v6, v12 src0_sel:BYTE_3 src1_sel:DWORD
	s_andn2_b64 s[4:5], s[4:5], exec
	s_and_b64 s[8:9], s[8:9], exec
	s_or_b64 s[4:5], s[4:5], s[8:9]
	s_or_b64 exec, exec, s[6:7]
	s_and_saveexec_b64 s[6:7], s[4:5]
	s_cbranch_execnz .LBB10_1051
	s_branch .LBB10_1052
.LBB10_3101:
	s_movk_i32 s4, 0x80
	v_cmp_eq_u16_sdwa s[12:13], v2, s4 src0_sel:BYTE_3 src1_sel:DWORD
	s_mov_b64 s[4:5], -1
                                        ; implicit-def: $sgpr10
	s_and_saveexec_b64 s[8:9], s[12:13]
; %bb.3102:
	s_mov_b32 s10, 0x7f800001
	s_xor_b64 s[4:5], exec, -1
; %bb.3103:
	s_or_b64 exec, exec, s[8:9]
	s_and_b64 s[4:5], s[4:5], exec
	s_or_saveexec_b64 s[6:7], s[6:7]
	v_mov_b32_e32 v6, s10
	s_xor_b64 exec, exec, s[6:7]
	s_cbranch_execz .LBB10_1054
.LBB10_3104:
	v_mov_b32_e32 v6, 0
	v_cmp_ne_u16_sdwa s[8:9], v2, v6 src0_sel:BYTE_3 src1_sel:DWORD
	s_andn2_b64 s[4:5], s[4:5], exec
	s_and_b64 s[8:9], s[8:9], exec
	s_or_b64 s[4:5], s[4:5], s[8:9]
	s_or_b64 exec, exec, s[6:7]
	s_and_saveexec_b64 s[6:7], s[4:5]
	s_cbranch_execnz .LBB10_1055
	s_branch .LBB10_1056
.LBB10_3105:
	s_movk_i32 s4, 0x80
	v_cmp_eq_u16_sdwa s[12:13], v7, s4 src0_sel:BYTE_0 src1_sel:DWORD
	s_mov_b64 s[4:5], -1
                                        ; implicit-def: $sgpr10
	s_and_saveexec_b64 s[8:9], s[12:13]
; %bb.3106:
	s_mov_b32 s10, 0x7f800001
	s_xor_b64 s[4:5], exec, -1
; %bb.3107:
	s_or_b64 exec, exec, s[8:9]
	s_and_b64 s[4:5], s[4:5], exec
	s_or_saveexec_b64 s[6:7], s[6:7]
	v_mov_b32_e32 v2, s10
	s_xor_b64 exec, exec, s[6:7]
	s_cbranch_execz .LBB10_1058
.LBB10_3108:
	v_mov_b32_e32 v2, 0
	v_cmp_ne_u16_sdwa s[8:9], v7, v2 src0_sel:BYTE_0 src1_sel:DWORD
	s_andn2_b64 s[4:5], s[4:5], exec
	s_and_b64 s[8:9], s[8:9], exec
	s_or_b64 s[4:5], s[4:5], s[8:9]
	s_or_b64 exec, exec, s[6:7]
	s_and_saveexec_b64 s[6:7], s[4:5]
	s_cbranch_execnz .LBB10_1059
	s_branch .LBB10_1060
.LBB10_3109:
	s_movk_i32 s4, 0x80
	v_cmp_eq_u16_sdwa s[12:13], v3, s4 src0_sel:BYTE_0 src1_sel:DWORD
	s_mov_b64 s[4:5], -1
                                        ; implicit-def: $sgpr10
	s_and_saveexec_b64 s[8:9], s[12:13]
; %bb.3110:
	s_mov_b32 s10, 0x7f800001
	s_xor_b64 s[4:5], exec, -1
; %bb.3111:
	s_or_b64 exec, exec, s[8:9]
	s_and_b64 s[4:5], s[4:5], exec
	s_or_saveexec_b64 s[6:7], s[6:7]
	v_mov_b32_e32 v6, s10
	s_xor_b64 exec, exec, s[6:7]
	s_cbranch_execz .LBB10_1062
.LBB10_3112:
	v_mov_b32_e32 v6, 0
	v_cmp_ne_u16_sdwa s[8:9], v3, v6 src0_sel:BYTE_0 src1_sel:DWORD
	s_andn2_b64 s[4:5], s[4:5], exec
	s_and_b64 s[8:9], s[8:9], exec
	s_or_b64 s[4:5], s[4:5], s[8:9]
	s_or_b64 exec, exec, s[6:7]
	s_and_saveexec_b64 s[6:7], s[4:5]
	s_cbranch_execnz .LBB10_1063
	s_branch .LBB10_1064
.LBB10_3113:
	s_movk_i32 s4, 0x80
	v_cmp_eq_u16_sdwa s[12:13], v6, s4 src0_sel:BYTE_0 src1_sel:DWORD
	s_mov_b64 s[4:5], -1
                                        ; implicit-def: $sgpr10
	s_and_saveexec_b64 s[8:9], s[12:13]
; %bb.3114:
	s_mov_b32 s10, 0x7f800001
	s_xor_b64 s[4:5], exec, -1
; %bb.3115:
	s_or_b64 exec, exec, s[8:9]
	s_and_b64 s[4:5], s[4:5], exec
	s_or_saveexec_b64 s[6:7], s[6:7]
	v_mov_b32_e32 v2, s10
	s_xor_b64 exec, exec, s[6:7]
	s_cbranch_execz .LBB10_1066
.LBB10_3116:
	v_mov_b32_e32 v2, 0
	v_cmp_ne_u16_sdwa s[8:9], v6, v2 src0_sel:BYTE_0 src1_sel:DWORD
	s_andn2_b64 s[4:5], s[4:5], exec
	s_and_b64 s[8:9], s[8:9], exec
	s_or_b64 s[4:5], s[4:5], s[8:9]
	s_or_b64 exec, exec, s[6:7]
	s_and_saveexec_b64 s[6:7], s[4:5]
	s_cbranch_execnz .LBB10_1067
	s_branch .LBB10_1068
.LBB10_3117:
	s_movk_i32 s4, 0x80
	v_cmp_eq_u16_sdwa s[12:13], v6, s4 src0_sel:BYTE_0 src1_sel:DWORD
	s_mov_b64 s[4:5], -1
                                        ; implicit-def: $sgpr10
	s_and_saveexec_b64 s[8:9], s[12:13]
; %bb.3118:
	s_mov_b32 s10, 0x7f800001
	s_xor_b64 s[4:5], exec, -1
; %bb.3119:
	s_or_b64 exec, exec, s[8:9]
	s_and_b64 s[4:5], s[4:5], exec
	s_or_saveexec_b64 s[6:7], s[6:7]
	v_mov_b32_e32 v12, s10
	s_xor_b64 exec, exec, s[6:7]
	s_cbranch_execz .LBB10_1070
.LBB10_3120:
	v_mov_b32_e32 v12, 0
	v_cmp_ne_u16_sdwa s[8:9], v6, v12 src0_sel:BYTE_0 src1_sel:DWORD
	s_andn2_b64 s[4:5], s[4:5], exec
	s_and_b64 s[8:9], s[8:9], exec
	s_or_b64 s[4:5], s[4:5], s[8:9]
	s_or_b64 exec, exec, s[6:7]
	s_and_saveexec_b64 s[6:7], s[4:5]
	s_cbranch_execnz .LBB10_1071
	s_branch .LBB10_1072
.LBB10_3121:
	s_movk_i32 s4, 0x80
	v_cmp_eq_u16_e32 vcc, s4, v6
	s_mov_b64 s[4:5], -1
                                        ; implicit-def: $sgpr10
	s_and_saveexec_b64 s[8:9], vcc
; %bb.3122:
	s_mov_b32 s10, 0x7f800001
	s_xor_b64 s[4:5], exec, -1
; %bb.3123:
	s_or_b64 exec, exec, s[8:9]
	s_and_b64 s[4:5], s[4:5], exec
                                        ; implicit-def: $vgpr6
	s_or_saveexec_b64 s[6:7], s[6:7]
	v_mov_b32_e32 v2, s10
	s_xor_b64 exec, exec, s[6:7]
	s_cbranch_execz .LBB10_1074
.LBB10_3124:
	v_cmp_ne_u16_e32 vcc, 0, v6
	s_andn2_b64 s[4:5], s[4:5], exec
	s_and_b64 s[8:9], vcc, exec
	v_mov_b32_e32 v2, 0
	s_or_b64 s[4:5], s[4:5], s[8:9]
	s_or_b64 exec, exec, s[6:7]
	s_and_saveexec_b64 s[6:7], s[4:5]
	s_cbranch_execnz .LBB10_1075
	s_branch .LBB10_1076
.LBB10_3125:
	s_movk_i32 s4, 0x80
	v_cmp_eq_u16_e32 vcc, s4, v6
	s_mov_b64 s[4:5], -1
                                        ; implicit-def: $sgpr10
	s_and_saveexec_b64 s[8:9], vcc
; %bb.3126:
	s_mov_b32 s10, 0x7f800001
	s_xor_b64 s[4:5], exec, -1
; %bb.3127:
	s_or_b64 exec, exec, s[8:9]
	s_and_b64 s[4:5], s[4:5], exec
                                        ; implicit-def: $vgpr6
	s_or_saveexec_b64 s[6:7], s[6:7]
	v_mov_b32_e32 v12, s10
	s_xor_b64 exec, exec, s[6:7]
	s_cbranch_execz .LBB10_1078
.LBB10_3128:
	v_cmp_ne_u16_e32 vcc, 0, v6
	s_andn2_b64 s[4:5], s[4:5], exec
	s_and_b64 s[8:9], vcc, exec
	v_mov_b32_e32 v12, 0
	s_or_b64 s[4:5], s[4:5], s[8:9]
	s_or_b64 exec, exec, s[6:7]
	s_and_saveexec_b64 s[6:7], s[4:5]
	s_cbranch_execnz .LBB10_1079
	s_branch .LBB10_1080
.LBB10_3129:
	s_movk_i32 s4, 0x80
	v_cmp_eq_u16_sdwa s[12:13], v7, s4 src0_sel:BYTE_3 src1_sel:DWORD
	s_mov_b64 s[4:5], -1
                                        ; implicit-def: $sgpr10
	s_and_saveexec_b64 s[8:9], s[12:13]
; %bb.3130:
	s_mov_b32 s10, 0x7f800001
	s_xor_b64 s[4:5], exec, -1
; %bb.3131:
	s_or_b64 exec, exec, s[8:9]
	s_and_b64 s[4:5], s[4:5], exec
	s_or_saveexec_b64 s[6:7], s[6:7]
	v_mov_b32_e32 v2, s10
	s_xor_b64 exec, exec, s[6:7]
	s_cbranch_execz .LBB10_1082
.LBB10_3132:
	v_mov_b32_e32 v2, 0
	v_cmp_ne_u16_sdwa s[8:9], v7, v2 src0_sel:BYTE_3 src1_sel:DWORD
	s_andn2_b64 s[4:5], s[4:5], exec
	s_and_b64 s[8:9], s[8:9], exec
	s_or_b64 s[4:5], s[4:5], s[8:9]
	s_or_b64 exec, exec, s[6:7]
	s_and_saveexec_b64 s[6:7], s[4:5]
	s_cbranch_execnz .LBB10_1083
	s_branch .LBB10_1084
.LBB10_3133:
	s_movk_i32 s4, 0x80
	v_cmp_eq_u16_sdwa s[12:13], v3, s4 src0_sel:BYTE_3 src1_sel:DWORD
	s_mov_b64 s[4:5], -1
                                        ; implicit-def: $sgpr10
	s_and_saveexec_b64 s[8:9], s[12:13]
; %bb.3134:
	s_mov_b32 s10, 0x7f800001
	s_xor_b64 s[4:5], exec, -1
; %bb.3135:
	s_or_b64 exec, exec, s[8:9]
	s_and_b64 s[4:5], s[4:5], exec
	s_or_saveexec_b64 s[6:7], s[6:7]
	v_mov_b32_e32 v6, s10
	s_xor_b64 exec, exec, s[6:7]
	s_cbranch_execz .LBB10_1086
.LBB10_3136:
	v_mov_b32_e32 v6, 0
	v_cmp_ne_u16_sdwa s[8:9], v3, v6 src0_sel:BYTE_3 src1_sel:DWORD
	s_andn2_b64 s[4:5], s[4:5], exec
	s_and_b64 s[8:9], s[8:9], exec
	s_or_b64 s[4:5], s[4:5], s[8:9]
	s_or_b64 exec, exec, s[6:7]
	s_and_saveexec_b64 s[6:7], s[4:5]
	s_cbranch_execnz .LBB10_1087
	s_branch .LBB10_1088
.LBB10_3137:
	s_movk_i32 s4, 0x80
	v_cmp_eq_u16_sdwa s[12:13], v8, s4 src0_sel:BYTE_0 src1_sel:DWORD
	s_mov_b64 s[4:5], -1
                                        ; implicit-def: $sgpr10
	s_and_saveexec_b64 s[8:9], s[12:13]
; %bb.3138:
	s_mov_b32 s10, 0x7f800001
	s_xor_b64 s[4:5], exec, -1
; %bb.3139:
	s_or_b64 exec, exec, s[8:9]
	s_and_b64 s[4:5], s[4:5], exec
	s_or_saveexec_b64 s[6:7], s[6:7]
	v_mov_b32_e32 v2, s10
	s_xor_b64 exec, exec, s[6:7]
	s_cbranch_execz .LBB10_1090
.LBB10_3140:
	v_mov_b32_e32 v2, 0
	v_cmp_ne_u16_sdwa s[8:9], v8, v2 src0_sel:BYTE_0 src1_sel:DWORD
	s_andn2_b64 s[4:5], s[4:5], exec
	s_and_b64 s[8:9], s[8:9], exec
	s_or_b64 s[4:5], s[4:5], s[8:9]
	s_or_b64 exec, exec, s[6:7]
	s_and_saveexec_b64 s[6:7], s[4:5]
	s_cbranch_execnz .LBB10_1091
	s_branch .LBB10_1092
.LBB10_3141:
	s_movk_i32 s4, 0x80
	v_cmp_eq_u16_sdwa s[12:13], v4, s4 src0_sel:BYTE_0 src1_sel:DWORD
	s_mov_b64 s[4:5], -1
                                        ; implicit-def: $sgpr10
	s_and_saveexec_b64 s[8:9], s[12:13]
; %bb.3142:
	s_mov_b32 s10, 0x7f800001
	s_xor_b64 s[4:5], exec, -1
; %bb.3143:
	s_or_b64 exec, exec, s[8:9]
	s_and_b64 s[4:5], s[4:5], exec
	s_or_saveexec_b64 s[6:7], s[6:7]
	v_mov_b32_e32 v3, s10
	s_xor_b64 exec, exec, s[6:7]
	s_cbranch_execz .LBB10_1094
.LBB10_3144:
	v_mov_b32_e32 v3, 0
	v_cmp_ne_u16_sdwa s[8:9], v4, v3 src0_sel:BYTE_0 src1_sel:DWORD
	s_andn2_b64 s[4:5], s[4:5], exec
	s_and_b64 s[8:9], s[8:9], exec
	s_or_b64 s[4:5], s[4:5], s[8:9]
	s_or_b64 exec, exec, s[6:7]
	s_and_saveexec_b64 s[6:7], s[4:5]
	s_cbranch_execnz .LBB10_1095
	s_branch .LBB10_1096
.LBB10_3145:
	s_movk_i32 s4, 0x80
	v_cmp_eq_u16_sdwa s[12:13], v3, s4 src0_sel:BYTE_0 src1_sel:DWORD
	s_mov_b64 s[4:5], -1
                                        ; implicit-def: $sgpr10
	s_and_saveexec_b64 s[8:9], s[12:13]
; %bb.3146:
	s_mov_b32 s10, 0x7f800001
	s_xor_b64 s[4:5], exec, -1
; %bb.3147:
	s_or_b64 exec, exec, s[8:9]
	s_and_b64 s[4:5], s[4:5], exec
	s_or_saveexec_b64 s[6:7], s[6:7]
	v_mov_b32_e32 v2, s10
	s_xor_b64 exec, exec, s[6:7]
	s_cbranch_execz .LBB10_1098
.LBB10_3148:
	v_mov_b32_e32 v2, 0
	v_cmp_ne_u16_sdwa s[8:9], v3, v2 src0_sel:BYTE_0 src1_sel:DWORD
	s_andn2_b64 s[4:5], s[4:5], exec
	s_and_b64 s[8:9], s[8:9], exec
	s_or_b64 s[4:5], s[4:5], s[8:9]
	s_or_b64 exec, exec, s[6:7]
	s_and_saveexec_b64 s[6:7], s[4:5]
	s_cbranch_execnz .LBB10_1099
	s_branch .LBB10_1100
.LBB10_3149:
	s_movk_i32 s4, 0x80
	v_cmp_eq_u16_sdwa s[12:13], v3, s4 src0_sel:BYTE_0 src1_sel:DWORD
	s_mov_b64 s[4:5], -1
                                        ; implicit-def: $sgpr10
	s_and_saveexec_b64 s[8:9], s[12:13]
; %bb.3150:
	s_mov_b32 s10, 0x7f800001
	s_xor_b64 s[4:5], exec, -1
; %bb.3151:
	s_or_b64 exec, exec, s[8:9]
	s_and_b64 s[4:5], s[4:5], exec
	s_or_saveexec_b64 s[6:7], s[6:7]
	v_mov_b32_e32 v6, s10
	s_xor_b64 exec, exec, s[6:7]
	s_cbranch_execz .LBB10_1102
.LBB10_3152:
	v_mov_b32_e32 v6, 0
	v_cmp_ne_u16_sdwa s[8:9], v3, v6 src0_sel:BYTE_0 src1_sel:DWORD
	s_andn2_b64 s[4:5], s[4:5], exec
	s_and_b64 s[8:9], s[8:9], exec
	s_or_b64 s[4:5], s[4:5], s[8:9]
	s_or_b64 exec, exec, s[6:7]
	s_and_saveexec_b64 s[6:7], s[4:5]
	s_cbranch_execnz .LBB10_1103
	s_branch .LBB10_1104
.LBB10_3153:
	s_movk_i32 s4, 0x80
	v_cmp_eq_u16_e32 vcc, s4, v3
	s_mov_b64 s[4:5], -1
                                        ; implicit-def: $sgpr10
	s_and_saveexec_b64 s[8:9], vcc
; %bb.3154:
	s_mov_b32 s10, 0x7f800001
	s_xor_b64 s[4:5], exec, -1
; %bb.3155:
	s_or_b64 exec, exec, s[8:9]
	s_and_b64 s[4:5], s[4:5], exec
                                        ; implicit-def: $vgpr3
	s_or_saveexec_b64 s[6:7], s[6:7]
	v_mov_b32_e32 v2, s10
	s_xor_b64 exec, exec, s[6:7]
	s_cbranch_execz .LBB10_1106
.LBB10_3156:
	v_cmp_ne_u16_e32 vcc, 0, v3
	s_andn2_b64 s[4:5], s[4:5], exec
	s_and_b64 s[8:9], vcc, exec
	v_mov_b32_e32 v2, 0
	s_or_b64 s[4:5], s[4:5], s[8:9]
	s_or_b64 exec, exec, s[6:7]
	s_and_saveexec_b64 s[6:7], s[4:5]
	s_cbranch_execnz .LBB10_1107
	s_branch .LBB10_1108
.LBB10_3157:
	s_movk_i32 s4, 0x80
	v_cmp_eq_u16_e32 vcc, s4, v3
	s_mov_b64 s[4:5], -1
                                        ; implicit-def: $sgpr10
	s_and_saveexec_b64 s[8:9], vcc
; %bb.3158:
	s_mov_b32 s10, 0x7f800001
	s_xor_b64 s[4:5], exec, -1
; %bb.3159:
	s_or_b64 exec, exec, s[8:9]
	s_and_b64 s[4:5], s[4:5], exec
                                        ; implicit-def: $vgpr3
	s_or_saveexec_b64 s[6:7], s[6:7]
	v_mov_b32_e32 v6, s10
	s_xor_b64 exec, exec, s[6:7]
	s_cbranch_execz .LBB10_1110
.LBB10_3160:
	v_cmp_ne_u16_e32 vcc, 0, v3
	s_andn2_b64 s[4:5], s[4:5], exec
	s_and_b64 s[8:9], vcc, exec
	v_mov_b32_e32 v6, 0
	s_or_b64 s[4:5], s[4:5], s[8:9]
	s_or_b64 exec, exec, s[6:7]
	s_and_saveexec_b64 s[6:7], s[4:5]
	s_cbranch_execnz .LBB10_1111
	s_branch .LBB10_1112
.LBB10_3161:
	s_movk_i32 s4, 0x80
	v_cmp_eq_u16_sdwa s[12:13], v8, s4 src0_sel:BYTE_3 src1_sel:DWORD
	s_mov_b64 s[4:5], -1
                                        ; implicit-def: $sgpr10
	s_and_saveexec_b64 s[8:9], s[12:13]
; %bb.3162:
	s_mov_b32 s10, 0x7f800001
	s_xor_b64 s[4:5], exec, -1
; %bb.3163:
	s_or_b64 exec, exec, s[8:9]
	s_and_b64 s[4:5], s[4:5], exec
	s_or_saveexec_b64 s[6:7], s[6:7]
	v_mov_b32_e32 v2, s10
	s_xor_b64 exec, exec, s[6:7]
	s_cbranch_execz .LBB10_1114
.LBB10_3164:
	v_mov_b32_e32 v2, 0
	v_cmp_ne_u16_sdwa s[8:9], v8, v2 src0_sel:BYTE_3 src1_sel:DWORD
	s_andn2_b64 s[4:5], s[4:5], exec
	s_and_b64 s[8:9], s[8:9], exec
	s_or_b64 s[4:5], s[4:5], s[8:9]
	s_or_b64 exec, exec, s[6:7]
	s_and_saveexec_b64 s[6:7], s[4:5]
	s_cbranch_execnz .LBB10_1115
	s_branch .LBB10_1116
.LBB10_3165:
	s_movk_i32 s4, 0x80
	v_cmp_eq_u16_sdwa s[12:13], v4, s4 src0_sel:BYTE_3 src1_sel:DWORD
	s_mov_b64 s[4:5], -1
                                        ; implicit-def: $sgpr10
	s_and_saveexec_b64 s[8:9], s[12:13]
; %bb.3166:
	s_mov_b32 s10, 0x7f800001
	s_xor_b64 s[4:5], exec, -1
; %bb.3167:
	s_or_b64 exec, exec, s[8:9]
	s_and_b64 s[4:5], s[4:5], exec
	s_or_saveexec_b64 s[6:7], s[6:7]
	v_mov_b32_e32 v3, s10
	s_xor_b64 exec, exec, s[6:7]
	s_cbranch_execz .LBB10_1118
.LBB10_3168:
	v_mov_b32_e32 v3, 0
	v_cmp_ne_u16_sdwa s[8:9], v4, v3 src0_sel:BYTE_3 src1_sel:DWORD
	s_andn2_b64 s[4:5], s[4:5], exec
	s_and_b64 s[8:9], s[8:9], exec
	s_or_b64 s[4:5], s[4:5], s[8:9]
	s_or_b64 exec, exec, s[6:7]
	s_and_saveexec_b64 s[6:7], s[4:5]
	s_cbranch_execnz .LBB10_1119
	s_branch .LBB10_1120
.LBB10_3169:
	s_movk_i32 s4, 0x80
	v_cmp_eq_u16_sdwa s[12:13], v9, s4 src0_sel:BYTE_0 src1_sel:DWORD
	s_mov_b64 s[4:5], -1
                                        ; implicit-def: $sgpr10
	s_and_saveexec_b64 s[8:9], s[12:13]
; %bb.3170:
	s_mov_b32 s10, 0x7f800001
	s_xor_b64 s[4:5], exec, -1
; %bb.3171:
	s_or_b64 exec, exec, s[8:9]
	s_and_b64 s[4:5], s[4:5], exec
	s_or_saveexec_b64 s[6:7], s[6:7]
	v_mov_b32_e32 v2, s10
	s_xor_b64 exec, exec, s[6:7]
	s_cbranch_execz .LBB10_1122
.LBB10_3172:
	v_mov_b32_e32 v2, 0
	v_cmp_ne_u16_sdwa s[8:9], v9, v2 src0_sel:BYTE_0 src1_sel:DWORD
	s_andn2_b64 s[4:5], s[4:5], exec
	s_and_b64 s[8:9], s[8:9], exec
	s_or_b64 s[4:5], s[4:5], s[8:9]
	s_or_b64 exec, exec, s[6:7]
	s_and_saveexec_b64 s[6:7], s[4:5]
	s_cbranch_execnz .LBB10_1123
	s_branch .LBB10_1124
.LBB10_3173:
	s_movk_i32 s4, 0x80
	v_cmp_eq_u16_sdwa s[12:13], v5, s4 src0_sel:BYTE_0 src1_sel:DWORD
	s_mov_b64 s[4:5], -1
                                        ; implicit-def: $sgpr10
	s_and_saveexec_b64 s[8:9], s[12:13]
; %bb.3174:
	s_mov_b32 s10, 0x7f800001
	s_xor_b64 s[4:5], exec, -1
; %bb.3175:
	s_or_b64 exec, exec, s[8:9]
	s_and_b64 s[4:5], s[4:5], exec
	s_or_saveexec_b64 s[6:7], s[6:7]
	v_mov_b32_e32 v3, s10
	s_xor_b64 exec, exec, s[6:7]
	s_cbranch_execz .LBB10_1126
.LBB10_3176:
	v_mov_b32_e32 v3, 0
	v_cmp_ne_u16_sdwa s[8:9], v5, v3 src0_sel:BYTE_0 src1_sel:DWORD
	s_andn2_b64 s[4:5], s[4:5], exec
	s_and_b64 s[8:9], s[8:9], exec
	s_or_b64 s[4:5], s[4:5], s[8:9]
	s_or_b64 exec, exec, s[6:7]
	s_and_saveexec_b64 s[6:7], s[4:5]
	s_cbranch_execnz .LBB10_1127
	s_branch .LBB10_1128
.LBB10_3177:
	s_movk_i32 s4, 0x80
	v_cmp_eq_u16_sdwa s[12:13], v3, s4 src0_sel:BYTE_0 src1_sel:DWORD
	s_mov_b64 s[4:5], -1
                                        ; implicit-def: $sgpr10
	s_and_saveexec_b64 s[8:9], s[12:13]
; %bb.3178:
	s_mov_b32 s10, 0x7f800001
	s_xor_b64 s[4:5], exec, -1
; %bb.3179:
	s_or_b64 exec, exec, s[8:9]
	s_and_b64 s[4:5], s[4:5], exec
	s_or_saveexec_b64 s[6:7], s[6:7]
	v_mov_b32_e32 v2, s10
	s_xor_b64 exec, exec, s[6:7]
	s_cbranch_execz .LBB10_1130
.LBB10_3180:
	v_mov_b32_e32 v2, 0
	v_cmp_ne_u16_sdwa s[8:9], v3, v2 src0_sel:BYTE_0 src1_sel:DWORD
	s_andn2_b64 s[4:5], s[4:5], exec
	s_and_b64 s[8:9], s[8:9], exec
	s_or_b64 s[4:5], s[4:5], s[8:9]
	s_or_b64 exec, exec, s[6:7]
	s_and_saveexec_b64 s[6:7], s[4:5]
	s_cbranch_execnz .LBB10_1131
	s_branch .LBB10_1132
.LBB10_3181:
	s_movk_i32 s4, 0x80
	v_cmp_eq_u16_sdwa s[12:13], v3, s4 src0_sel:BYTE_0 src1_sel:DWORD
	s_mov_b64 s[4:5], -1
                                        ; implicit-def: $sgpr10
	s_and_saveexec_b64 s[8:9], s[12:13]
; %bb.3182:
	s_mov_b32 s10, 0x7f800001
	s_xor_b64 s[4:5], exec, -1
; %bb.3183:
	s_or_b64 exec, exec, s[8:9]
	s_and_b64 s[4:5], s[4:5], exec
	s_or_saveexec_b64 s[6:7], s[6:7]
	v_mov_b32_e32 v4, s10
	s_xor_b64 exec, exec, s[6:7]
	s_cbranch_execz .LBB10_1134
.LBB10_3184:
	v_mov_b32_e32 v4, 0
	v_cmp_ne_u16_sdwa s[8:9], v3, v4 src0_sel:BYTE_0 src1_sel:DWORD
	s_andn2_b64 s[4:5], s[4:5], exec
	s_and_b64 s[8:9], s[8:9], exec
	s_or_b64 s[4:5], s[4:5], s[8:9]
	s_or_b64 exec, exec, s[6:7]
	s_and_saveexec_b64 s[6:7], s[4:5]
	s_cbranch_execnz .LBB10_1135
	s_branch .LBB10_1136
.LBB10_3185:
	s_movk_i32 s4, 0x80
	v_cmp_eq_u16_e32 vcc, s4, v3
	s_mov_b64 s[4:5], -1
                                        ; implicit-def: $sgpr10
	s_and_saveexec_b64 s[8:9], vcc
; %bb.3186:
	s_mov_b32 s10, 0x7f800001
	s_xor_b64 s[4:5], exec, -1
; %bb.3187:
	s_or_b64 exec, exec, s[8:9]
	s_and_b64 s[4:5], s[4:5], exec
                                        ; implicit-def: $vgpr3
	s_or_saveexec_b64 s[6:7], s[6:7]
	v_mov_b32_e32 v2, s10
	s_xor_b64 exec, exec, s[6:7]
	s_cbranch_execz .LBB10_1138
.LBB10_3188:
	v_cmp_ne_u16_e32 vcc, 0, v3
	s_andn2_b64 s[4:5], s[4:5], exec
	s_and_b64 s[8:9], vcc, exec
	v_mov_b32_e32 v2, 0
	s_or_b64 s[4:5], s[4:5], s[8:9]
	s_or_b64 exec, exec, s[6:7]
	s_and_saveexec_b64 s[6:7], s[4:5]
	s_cbranch_execnz .LBB10_1139
	s_branch .LBB10_1140
.LBB10_3189:
	s_movk_i32 s4, 0x80
	v_cmp_eq_u16_e32 vcc, s4, v3
	s_mov_b64 s[4:5], -1
                                        ; implicit-def: $sgpr10
	s_and_saveexec_b64 s[8:9], vcc
; %bb.3190:
	s_mov_b32 s10, 0x7f800001
	s_xor_b64 s[4:5], exec, -1
; %bb.3191:
	s_or_b64 exec, exec, s[8:9]
	s_and_b64 s[4:5], s[4:5], exec
                                        ; implicit-def: $vgpr3
	s_or_saveexec_b64 s[6:7], s[6:7]
	v_mov_b32_e32 v4, s10
	s_xor_b64 exec, exec, s[6:7]
	s_cbranch_execz .LBB10_1142
.LBB10_3192:
	v_cmp_ne_u16_e32 vcc, 0, v3
	s_andn2_b64 s[4:5], s[4:5], exec
	s_and_b64 s[8:9], vcc, exec
	v_mov_b32_e32 v4, 0
	s_or_b64 s[4:5], s[4:5], s[8:9]
	s_or_b64 exec, exec, s[6:7]
	s_and_saveexec_b64 s[6:7], s[4:5]
	s_cbranch_execnz .LBB10_1143
	s_branch .LBB10_1144
.LBB10_3193:
	s_movk_i32 s4, 0x80
	v_cmp_eq_u16_sdwa s[12:13], v9, s4 src0_sel:BYTE_3 src1_sel:DWORD
	s_mov_b64 s[4:5], -1
                                        ; implicit-def: $sgpr10
	s_and_saveexec_b64 s[8:9], s[12:13]
; %bb.3194:
	s_mov_b32 s10, 0x7f800001
	s_xor_b64 s[4:5], exec, -1
; %bb.3195:
	s_or_b64 exec, exec, s[8:9]
	s_and_b64 s[4:5], s[4:5], exec
	s_or_saveexec_b64 s[6:7], s[6:7]
	v_mov_b32_e32 v2, s10
	s_xor_b64 exec, exec, s[6:7]
	s_cbranch_execz .LBB10_1146
.LBB10_3196:
	v_mov_b32_e32 v2, 0
	v_cmp_ne_u16_sdwa s[8:9], v9, v2 src0_sel:BYTE_3 src1_sel:DWORD
	s_andn2_b64 s[4:5], s[4:5], exec
	s_and_b64 s[8:9], s[8:9], exec
	s_or_b64 s[4:5], s[4:5], s[8:9]
	s_or_b64 exec, exec, s[6:7]
	s_and_saveexec_b64 s[6:7], s[4:5]
	s_cbranch_execnz .LBB10_1147
	s_branch .LBB10_1148
.LBB10_3197:
	s_movk_i32 s4, 0x80
	v_cmp_eq_u16_sdwa s[12:13], v5, s4 src0_sel:BYTE_3 src1_sel:DWORD
	s_mov_b64 s[4:5], -1
                                        ; implicit-def: $sgpr10
	s_and_saveexec_b64 s[8:9], s[12:13]
; %bb.3198:
	s_mov_b32 s10, 0x7f800001
	s_xor_b64 s[4:5], exec, -1
; %bb.3199:
	s_or_b64 exec, exec, s[8:9]
	s_and_b64 s[4:5], s[4:5], exec
	s_or_saveexec_b64 s[6:7], s[6:7]
	v_mov_b32_e32 v3, s10
	s_xor_b64 exec, exec, s[6:7]
	s_cbranch_execz .LBB10_1150
.LBB10_3200:
	v_mov_b32_e32 v3, 0
	v_cmp_ne_u16_sdwa s[8:9], v5, v3 src0_sel:BYTE_3 src1_sel:DWORD
	s_andn2_b64 s[4:5], s[4:5], exec
	s_and_b64 s[8:9], s[8:9], exec
	s_or_b64 s[4:5], s[4:5], s[8:9]
	s_or_b64 exec, exec, s[6:7]
	s_and_saveexec_b64 s[6:7], s[4:5]
	s_cbranch_execnz .LBB10_1151
	s_branch .LBB10_1152
.LBB10_3201:
	s_movk_i32 s4, 0x80
	v_cmp_eq_u16_sdwa s[12:13], v6, s4 src0_sel:BYTE_0 src1_sel:DWORD
	s_mov_b64 s[4:5], -1
                                        ; implicit-def: $sgpr10
	s_and_saveexec_b64 s[8:9], s[12:13]
; %bb.3202:
	s_mov_b32 s10, 0x7f800001
	s_xor_b64 s[4:5], exec, -1
; %bb.3203:
	s_or_b64 exec, exec, s[8:9]
	s_and_b64 s[4:5], s[4:5], exec
	s_or_saveexec_b64 s[6:7], s[6:7]
	v_mov_b32_e32 v12, s10
	s_xor_b64 exec, exec, s[6:7]
	s_cbranch_execz .LBB10_1154
.LBB10_3204:
	v_mov_b32_e32 v12, 0
	v_cmp_ne_u16_sdwa s[8:9], v6, v12 src0_sel:BYTE_0 src1_sel:DWORD
	s_andn2_b64 s[4:5], s[4:5], exec
	s_and_b64 s[8:9], s[8:9], exec
	s_or_b64 s[4:5], s[4:5], s[8:9]
	s_or_b64 exec, exec, s[6:7]
	s_and_saveexec_b64 s[6:7], s[4:5]
	s_cbranch_execnz .LBB10_1155
	s_branch .LBB10_1156
.LBB10_3205:
	s_movk_i32 s4, 0x80
	v_cmp_eq_u16_sdwa s[12:13], v2, s4 src0_sel:BYTE_0 src1_sel:DWORD
	s_mov_b64 s[4:5], -1
                                        ; implicit-def: $sgpr10
	s_and_saveexec_b64 s[8:9], s[12:13]
; %bb.3206:
	s_mov_b32 s10, 0x7f800001
	s_xor_b64 s[4:5], exec, -1
; %bb.3207:
	s_or_b64 exec, exec, s[8:9]
	s_and_b64 s[4:5], s[4:5], exec
	s_or_saveexec_b64 s[6:7], s[6:7]
	v_mov_b32_e32 v13, s10
	s_xor_b64 exec, exec, s[6:7]
	s_cbranch_execz .LBB10_1158
.LBB10_3208:
	v_mov_b32_e32 v13, 0
	v_cmp_ne_u16_sdwa s[8:9], v2, v13 src0_sel:BYTE_0 src1_sel:DWORD
	s_andn2_b64 s[4:5], s[4:5], exec
	s_and_b64 s[8:9], s[8:9], exec
	s_or_b64 s[4:5], s[4:5], s[8:9]
	s_or_b64 exec, exec, s[6:7]
	s_and_saveexec_b64 s[6:7], s[4:5]
	s_cbranch_execnz .LBB10_1159
	s_branch .LBB10_1160
.LBB10_3209:
	s_movk_i32 s4, 0x80
	v_cmp_eq_u16_sdwa s[12:13], v13, s4 src0_sel:BYTE_0 src1_sel:DWORD
	s_mov_b64 s[4:5], -1
                                        ; implicit-def: $sgpr10
	s_and_saveexec_b64 s[8:9], s[12:13]
; %bb.3210:
	s_mov_b32 s10, 0x7f800001
	s_xor_b64 s[4:5], exec, -1
; %bb.3211:
	s_or_b64 exec, exec, s[8:9]
	s_and_b64 s[4:5], s[4:5], exec
	s_or_saveexec_b64 s[6:7], s[6:7]
	v_mov_b32_e32 v12, s10
	s_xor_b64 exec, exec, s[6:7]
	s_cbranch_execz .LBB10_1162
.LBB10_3212:
	v_mov_b32_e32 v12, 0
	v_cmp_ne_u16_sdwa s[8:9], v13, v12 src0_sel:BYTE_0 src1_sel:DWORD
	s_andn2_b64 s[4:5], s[4:5], exec
	s_and_b64 s[8:9], s[8:9], exec
	s_or_b64 s[4:5], s[4:5], s[8:9]
	s_or_b64 exec, exec, s[6:7]
	s_and_saveexec_b64 s[6:7], s[4:5]
	s_cbranch_execnz .LBB10_1163
	s_branch .LBB10_1164
.LBB10_3213:
	s_movk_i32 s4, 0x80
	v_cmp_eq_u16_sdwa s[12:13], v13, s4 src0_sel:BYTE_0 src1_sel:DWORD
	s_mov_b64 s[4:5], -1
                                        ; implicit-def: $sgpr10
	s_and_saveexec_b64 s[8:9], s[12:13]
; %bb.3214:
	s_mov_b32 s10, 0x7f800001
	s_xor_b64 s[4:5], exec, -1
; %bb.3215:
	s_or_b64 exec, exec, s[8:9]
	s_and_b64 s[4:5], s[4:5], exec
	s_or_saveexec_b64 s[6:7], s[6:7]
	v_mov_b32_e32 v14, s10
	s_xor_b64 exec, exec, s[6:7]
	s_cbranch_execz .LBB10_1166
.LBB10_3216:
	v_mov_b32_e32 v14, 0
	v_cmp_ne_u16_sdwa s[8:9], v13, v14 src0_sel:BYTE_0 src1_sel:DWORD
	s_andn2_b64 s[4:5], s[4:5], exec
	s_and_b64 s[8:9], s[8:9], exec
	s_or_b64 s[4:5], s[4:5], s[8:9]
	s_or_b64 exec, exec, s[6:7]
	s_and_saveexec_b64 s[6:7], s[4:5]
	s_cbranch_execnz .LBB10_1167
	s_branch .LBB10_1168
.LBB10_3217:
	s_movk_i32 s4, 0x80
	v_cmp_eq_u16_e32 vcc, s4, v13
	s_mov_b64 s[4:5], -1
                                        ; implicit-def: $sgpr10
	s_and_saveexec_b64 s[8:9], vcc
; %bb.3218:
	s_mov_b32 s10, 0x7f800001
	s_xor_b64 s[4:5], exec, -1
; %bb.3219:
	s_or_b64 exec, exec, s[8:9]
	s_and_b64 s[4:5], s[4:5], exec
                                        ; implicit-def: $vgpr13
	s_or_saveexec_b64 s[6:7], s[6:7]
	v_mov_b32_e32 v12, s10
	s_xor_b64 exec, exec, s[6:7]
	s_cbranch_execz .LBB10_1170
.LBB10_3220:
	v_cmp_ne_u16_e32 vcc, 0, v13
	s_andn2_b64 s[4:5], s[4:5], exec
	s_and_b64 s[8:9], vcc, exec
	v_mov_b32_e32 v12, 0
	s_or_b64 s[4:5], s[4:5], s[8:9]
	s_or_b64 exec, exec, s[6:7]
	s_and_saveexec_b64 s[6:7], s[4:5]
	s_cbranch_execnz .LBB10_1171
	s_branch .LBB10_1172
.LBB10_3221:
	s_movk_i32 s4, 0x80
	v_cmp_eq_u16_e32 vcc, s4, v13
	s_mov_b64 s[4:5], -1
                                        ; implicit-def: $sgpr10
	s_and_saveexec_b64 s[8:9], vcc
; %bb.3222:
	s_mov_b32 s10, 0x7f800001
	s_xor_b64 s[4:5], exec, -1
; %bb.3223:
	s_or_b64 exec, exec, s[8:9]
	s_and_b64 s[4:5], s[4:5], exec
                                        ; implicit-def: $vgpr13
	s_or_saveexec_b64 s[6:7], s[6:7]
	v_mov_b32_e32 v14, s10
	s_xor_b64 exec, exec, s[6:7]
	s_cbranch_execz .LBB10_1174
.LBB10_3224:
	v_cmp_ne_u16_e32 vcc, 0, v13
	s_andn2_b64 s[4:5], s[4:5], exec
	s_and_b64 s[8:9], vcc, exec
	v_mov_b32_e32 v14, 0
	s_or_b64 s[4:5], s[4:5], s[8:9]
	s_or_b64 exec, exec, s[6:7]
	s_and_saveexec_b64 s[6:7], s[4:5]
	s_cbranch_execnz .LBB10_1175
	s_branch .LBB10_1176
.LBB10_3225:
	s_movk_i32 s4, 0x80
	v_cmp_eq_u16_sdwa s[12:13], v6, s4 src0_sel:BYTE_3 src1_sel:DWORD
	s_mov_b64 s[4:5], -1
                                        ; implicit-def: $sgpr10
	s_and_saveexec_b64 s[8:9], s[12:13]
; %bb.3226:
	s_mov_b32 s10, 0x7f800001
	s_xor_b64 s[4:5], exec, -1
; %bb.3227:
	s_or_b64 exec, exec, s[8:9]
	s_and_b64 s[4:5], s[4:5], exec
	s_or_saveexec_b64 s[6:7], s[6:7]
	v_mov_b32_e32 v12, s10
	s_xor_b64 exec, exec, s[6:7]
	s_cbranch_execz .LBB10_1178
.LBB10_3228:
	v_mov_b32_e32 v12, 0
	v_cmp_ne_u16_sdwa s[8:9], v6, v12 src0_sel:BYTE_3 src1_sel:DWORD
	s_andn2_b64 s[4:5], s[4:5], exec
	s_and_b64 s[8:9], s[8:9], exec
	s_or_b64 s[4:5], s[4:5], s[8:9]
	s_or_b64 exec, exec, s[6:7]
	s_and_saveexec_b64 s[6:7], s[4:5]
	s_cbranch_execnz .LBB10_1179
	s_branch .LBB10_1180
.LBB10_3229:
	s_movk_i32 s4, 0x80
	v_cmp_eq_u16_sdwa s[12:13], v2, s4 src0_sel:BYTE_3 src1_sel:DWORD
	s_mov_b64 s[4:5], -1
                                        ; implicit-def: $sgpr10
	s_and_saveexec_b64 s[8:9], s[12:13]
; %bb.3230:
	s_mov_b32 s10, 0x7f800001
	s_xor_b64 s[4:5], exec, -1
; %bb.3231:
	s_or_b64 exec, exec, s[8:9]
	s_and_b64 s[4:5], s[4:5], exec
	s_or_saveexec_b64 s[6:7], s[6:7]
	v_mov_b32_e32 v6, s10
	s_xor_b64 exec, exec, s[6:7]
	s_cbranch_execz .LBB10_1182
.LBB10_3232:
	v_mov_b32_e32 v6, 0
	v_cmp_ne_u16_sdwa s[8:9], v2, v6 src0_sel:BYTE_3 src1_sel:DWORD
	s_andn2_b64 s[4:5], s[4:5], exec
	s_and_b64 s[8:9], s[8:9], exec
	s_or_b64 s[4:5], s[4:5], s[8:9]
	s_or_b64 exec, exec, s[6:7]
	s_and_saveexec_b64 s[6:7], s[4:5]
	s_cbranch_execnz .LBB10_1183
	s_branch .LBB10_1184
.LBB10_3233:
	s_movk_i32 s4, 0x80
	v_cmp_eq_u16_sdwa s[12:13], v7, s4 src0_sel:BYTE_0 src1_sel:DWORD
	s_mov_b64 s[4:5], -1
                                        ; implicit-def: $sgpr10
	s_and_saveexec_b64 s[8:9], s[12:13]
; %bb.3234:
	s_mov_b32 s10, 0x7f800001
	s_xor_b64 s[4:5], exec, -1
; %bb.3235:
	s_or_b64 exec, exec, s[8:9]
	s_and_b64 s[4:5], s[4:5], exec
	s_or_saveexec_b64 s[6:7], s[6:7]
	v_mov_b32_e32 v2, s10
	s_xor_b64 exec, exec, s[6:7]
	s_cbranch_execz .LBB10_1186
.LBB10_3236:
	v_mov_b32_e32 v2, 0
	v_cmp_ne_u16_sdwa s[8:9], v7, v2 src0_sel:BYTE_0 src1_sel:DWORD
	s_andn2_b64 s[4:5], s[4:5], exec
	s_and_b64 s[8:9], s[8:9], exec
	s_or_b64 s[4:5], s[4:5], s[8:9]
	s_or_b64 exec, exec, s[6:7]
	s_and_saveexec_b64 s[6:7], s[4:5]
	s_cbranch_execnz .LBB10_1187
	s_branch .LBB10_1188
.LBB10_3237:
	s_movk_i32 s4, 0x80
	v_cmp_eq_u16_sdwa s[12:13], v3, s4 src0_sel:BYTE_0 src1_sel:DWORD
	s_mov_b64 s[4:5], -1
                                        ; implicit-def: $sgpr10
	s_and_saveexec_b64 s[8:9], s[12:13]
; %bb.3238:
	s_mov_b32 s10, 0x7f800001
	s_xor_b64 s[4:5], exec, -1
; %bb.3239:
	s_or_b64 exec, exec, s[8:9]
	s_and_b64 s[4:5], s[4:5], exec
	s_or_saveexec_b64 s[6:7], s[6:7]
	v_mov_b32_e32 v6, s10
	s_xor_b64 exec, exec, s[6:7]
	s_cbranch_execz .LBB10_1190
.LBB10_3240:
	v_mov_b32_e32 v6, 0
	v_cmp_ne_u16_sdwa s[8:9], v3, v6 src0_sel:BYTE_0 src1_sel:DWORD
	s_andn2_b64 s[4:5], s[4:5], exec
	s_and_b64 s[8:9], s[8:9], exec
	s_or_b64 s[4:5], s[4:5], s[8:9]
	s_or_b64 exec, exec, s[6:7]
	s_and_saveexec_b64 s[6:7], s[4:5]
	s_cbranch_execnz .LBB10_1191
	s_branch .LBB10_1192
.LBB10_3241:
	s_movk_i32 s4, 0x80
	v_cmp_eq_u16_sdwa s[12:13], v6, s4 src0_sel:BYTE_0 src1_sel:DWORD
	s_mov_b64 s[4:5], -1
                                        ; implicit-def: $sgpr10
	s_and_saveexec_b64 s[8:9], s[12:13]
; %bb.3242:
	s_mov_b32 s10, 0x7f800001
	s_xor_b64 s[4:5], exec, -1
; %bb.3243:
	s_or_b64 exec, exec, s[8:9]
	s_and_b64 s[4:5], s[4:5], exec
	s_or_saveexec_b64 s[6:7], s[6:7]
	v_mov_b32_e32 v2, s10
	s_xor_b64 exec, exec, s[6:7]
	s_cbranch_execz .LBB10_1194
.LBB10_3244:
	v_mov_b32_e32 v2, 0
	v_cmp_ne_u16_sdwa s[8:9], v6, v2 src0_sel:BYTE_0 src1_sel:DWORD
	s_andn2_b64 s[4:5], s[4:5], exec
	s_and_b64 s[8:9], s[8:9], exec
	s_or_b64 s[4:5], s[4:5], s[8:9]
	s_or_b64 exec, exec, s[6:7]
	s_and_saveexec_b64 s[6:7], s[4:5]
	s_cbranch_execnz .LBB10_1195
	s_branch .LBB10_1196
.LBB10_3245:
	s_movk_i32 s4, 0x80
	v_cmp_eq_u16_sdwa s[12:13], v6, s4 src0_sel:BYTE_0 src1_sel:DWORD
	s_mov_b64 s[4:5], -1
                                        ; implicit-def: $sgpr10
	s_and_saveexec_b64 s[8:9], s[12:13]
; %bb.3246:
	s_mov_b32 s10, 0x7f800001
	s_xor_b64 s[4:5], exec, -1
; %bb.3247:
	s_or_b64 exec, exec, s[8:9]
	s_and_b64 s[4:5], s[4:5], exec
	s_or_saveexec_b64 s[6:7], s[6:7]
	v_mov_b32_e32 v12, s10
	s_xor_b64 exec, exec, s[6:7]
	s_cbranch_execz .LBB10_1198
.LBB10_3248:
	v_mov_b32_e32 v12, 0
	v_cmp_ne_u16_sdwa s[8:9], v6, v12 src0_sel:BYTE_0 src1_sel:DWORD
	s_andn2_b64 s[4:5], s[4:5], exec
	s_and_b64 s[8:9], s[8:9], exec
	s_or_b64 s[4:5], s[4:5], s[8:9]
	s_or_b64 exec, exec, s[6:7]
	s_and_saveexec_b64 s[6:7], s[4:5]
	s_cbranch_execnz .LBB10_1199
	s_branch .LBB10_1200
.LBB10_3249:
	s_movk_i32 s4, 0x80
	v_cmp_eq_u16_e32 vcc, s4, v6
	s_mov_b64 s[4:5], -1
                                        ; implicit-def: $sgpr10
	s_and_saveexec_b64 s[8:9], vcc
; %bb.3250:
	s_mov_b32 s10, 0x7f800001
	s_xor_b64 s[4:5], exec, -1
; %bb.3251:
	s_or_b64 exec, exec, s[8:9]
	s_and_b64 s[4:5], s[4:5], exec
                                        ; implicit-def: $vgpr6
	s_or_saveexec_b64 s[6:7], s[6:7]
	v_mov_b32_e32 v2, s10
	s_xor_b64 exec, exec, s[6:7]
	s_cbranch_execz .LBB10_1202
.LBB10_3252:
	v_cmp_ne_u16_e32 vcc, 0, v6
	s_andn2_b64 s[4:5], s[4:5], exec
	s_and_b64 s[8:9], vcc, exec
	v_mov_b32_e32 v2, 0
	s_or_b64 s[4:5], s[4:5], s[8:9]
	s_or_b64 exec, exec, s[6:7]
	s_and_saveexec_b64 s[6:7], s[4:5]
	s_cbranch_execnz .LBB10_1203
	s_branch .LBB10_1204
.LBB10_3253:
	s_movk_i32 s4, 0x80
	v_cmp_eq_u16_e32 vcc, s4, v6
	s_mov_b64 s[4:5], -1
                                        ; implicit-def: $sgpr10
	s_and_saveexec_b64 s[8:9], vcc
; %bb.3254:
	s_mov_b32 s10, 0x7f800001
	s_xor_b64 s[4:5], exec, -1
; %bb.3255:
	s_or_b64 exec, exec, s[8:9]
	s_and_b64 s[4:5], s[4:5], exec
                                        ; implicit-def: $vgpr6
	s_or_saveexec_b64 s[6:7], s[6:7]
	v_mov_b32_e32 v12, s10
	s_xor_b64 exec, exec, s[6:7]
	s_cbranch_execz .LBB10_1206
.LBB10_3256:
	v_cmp_ne_u16_e32 vcc, 0, v6
	s_andn2_b64 s[4:5], s[4:5], exec
	s_and_b64 s[8:9], vcc, exec
	v_mov_b32_e32 v12, 0
	s_or_b64 s[4:5], s[4:5], s[8:9]
	s_or_b64 exec, exec, s[6:7]
	s_and_saveexec_b64 s[6:7], s[4:5]
	s_cbranch_execnz .LBB10_1207
	s_branch .LBB10_1208
.LBB10_3257:
	s_movk_i32 s4, 0x80
	v_cmp_eq_u16_sdwa s[12:13], v7, s4 src0_sel:BYTE_3 src1_sel:DWORD
	s_mov_b64 s[4:5], -1
                                        ; implicit-def: $sgpr10
	s_and_saveexec_b64 s[8:9], s[12:13]
; %bb.3258:
	s_mov_b32 s10, 0x7f800001
	s_xor_b64 s[4:5], exec, -1
; %bb.3259:
	s_or_b64 exec, exec, s[8:9]
	s_and_b64 s[4:5], s[4:5], exec
	s_or_saveexec_b64 s[6:7], s[6:7]
	v_mov_b32_e32 v2, s10
	s_xor_b64 exec, exec, s[6:7]
	s_cbranch_execz .LBB10_1210
.LBB10_3260:
	v_mov_b32_e32 v2, 0
	v_cmp_ne_u16_sdwa s[8:9], v7, v2 src0_sel:BYTE_3 src1_sel:DWORD
	s_andn2_b64 s[4:5], s[4:5], exec
	s_and_b64 s[8:9], s[8:9], exec
	s_or_b64 s[4:5], s[4:5], s[8:9]
	s_or_b64 exec, exec, s[6:7]
	s_and_saveexec_b64 s[6:7], s[4:5]
	s_cbranch_execnz .LBB10_1211
	s_branch .LBB10_1212
.LBB10_3261:
	s_movk_i32 s4, 0x80
	v_cmp_eq_u16_sdwa s[12:13], v3, s4 src0_sel:BYTE_3 src1_sel:DWORD
	s_mov_b64 s[4:5], -1
                                        ; implicit-def: $sgpr10
	s_and_saveexec_b64 s[8:9], s[12:13]
; %bb.3262:
	s_mov_b32 s10, 0x7f800001
	s_xor_b64 s[4:5], exec, -1
; %bb.3263:
	s_or_b64 exec, exec, s[8:9]
	s_and_b64 s[4:5], s[4:5], exec
	s_or_saveexec_b64 s[6:7], s[6:7]
	v_mov_b32_e32 v6, s10
	s_xor_b64 exec, exec, s[6:7]
	s_cbranch_execz .LBB10_1214
.LBB10_3264:
	v_mov_b32_e32 v6, 0
	v_cmp_ne_u16_sdwa s[8:9], v3, v6 src0_sel:BYTE_3 src1_sel:DWORD
	s_andn2_b64 s[4:5], s[4:5], exec
	s_and_b64 s[8:9], s[8:9], exec
	s_or_b64 s[4:5], s[4:5], s[8:9]
	s_or_b64 exec, exec, s[6:7]
	s_and_saveexec_b64 s[6:7], s[4:5]
	s_cbranch_execnz .LBB10_1215
	s_branch .LBB10_1216
.LBB10_3265:
	s_movk_i32 s4, 0x80
	v_cmp_eq_u16_sdwa s[12:13], v8, s4 src0_sel:BYTE_0 src1_sel:DWORD
	s_mov_b64 s[4:5], -1
                                        ; implicit-def: $sgpr10
	s_and_saveexec_b64 s[8:9], s[12:13]
; %bb.3266:
	s_mov_b32 s10, 0x7f800001
	s_xor_b64 s[4:5], exec, -1
; %bb.3267:
	s_or_b64 exec, exec, s[8:9]
	s_and_b64 s[4:5], s[4:5], exec
	s_or_saveexec_b64 s[6:7], s[6:7]
	v_mov_b32_e32 v2, s10
	s_xor_b64 exec, exec, s[6:7]
	s_cbranch_execz .LBB10_1218
.LBB10_3268:
	v_mov_b32_e32 v2, 0
	v_cmp_ne_u16_sdwa s[8:9], v8, v2 src0_sel:BYTE_0 src1_sel:DWORD
	s_andn2_b64 s[4:5], s[4:5], exec
	s_and_b64 s[8:9], s[8:9], exec
	s_or_b64 s[4:5], s[4:5], s[8:9]
	s_or_b64 exec, exec, s[6:7]
	s_and_saveexec_b64 s[6:7], s[4:5]
	s_cbranch_execnz .LBB10_1219
	s_branch .LBB10_1220
.LBB10_3269:
	s_movk_i32 s4, 0x80
	v_cmp_eq_u16_sdwa s[12:13], v4, s4 src0_sel:BYTE_0 src1_sel:DWORD
	s_mov_b64 s[4:5], -1
                                        ; implicit-def: $sgpr10
	s_and_saveexec_b64 s[8:9], s[12:13]
; %bb.3270:
	s_mov_b32 s10, 0x7f800001
	s_xor_b64 s[4:5], exec, -1
; %bb.3271:
	s_or_b64 exec, exec, s[8:9]
	s_and_b64 s[4:5], s[4:5], exec
	s_or_saveexec_b64 s[6:7], s[6:7]
	v_mov_b32_e32 v3, s10
	s_xor_b64 exec, exec, s[6:7]
	s_cbranch_execz .LBB10_1222
.LBB10_3272:
	v_mov_b32_e32 v3, 0
	v_cmp_ne_u16_sdwa s[8:9], v4, v3 src0_sel:BYTE_0 src1_sel:DWORD
	s_andn2_b64 s[4:5], s[4:5], exec
	s_and_b64 s[8:9], s[8:9], exec
	s_or_b64 s[4:5], s[4:5], s[8:9]
	s_or_b64 exec, exec, s[6:7]
	s_and_saveexec_b64 s[6:7], s[4:5]
	s_cbranch_execnz .LBB10_1223
	s_branch .LBB10_1224
.LBB10_3273:
	s_movk_i32 s4, 0x80
	v_cmp_eq_u16_sdwa s[12:13], v3, s4 src0_sel:BYTE_0 src1_sel:DWORD
	s_mov_b64 s[4:5], -1
                                        ; implicit-def: $sgpr10
	s_and_saveexec_b64 s[8:9], s[12:13]
; %bb.3274:
	s_mov_b32 s10, 0x7f800001
	s_xor_b64 s[4:5], exec, -1
; %bb.3275:
	s_or_b64 exec, exec, s[8:9]
	s_and_b64 s[4:5], s[4:5], exec
	s_or_saveexec_b64 s[6:7], s[6:7]
	v_mov_b32_e32 v2, s10
	s_xor_b64 exec, exec, s[6:7]
	s_cbranch_execz .LBB10_1226
.LBB10_3276:
	v_mov_b32_e32 v2, 0
	v_cmp_ne_u16_sdwa s[8:9], v3, v2 src0_sel:BYTE_0 src1_sel:DWORD
	s_andn2_b64 s[4:5], s[4:5], exec
	s_and_b64 s[8:9], s[8:9], exec
	s_or_b64 s[4:5], s[4:5], s[8:9]
	s_or_b64 exec, exec, s[6:7]
	s_and_saveexec_b64 s[6:7], s[4:5]
	s_cbranch_execnz .LBB10_1227
	s_branch .LBB10_1228
.LBB10_3277:
	s_movk_i32 s4, 0x80
	v_cmp_eq_u16_sdwa s[12:13], v3, s4 src0_sel:BYTE_0 src1_sel:DWORD
	s_mov_b64 s[4:5], -1
                                        ; implicit-def: $sgpr10
	s_and_saveexec_b64 s[8:9], s[12:13]
; %bb.3278:
	s_mov_b32 s10, 0x7f800001
	s_xor_b64 s[4:5], exec, -1
; %bb.3279:
	s_or_b64 exec, exec, s[8:9]
	s_and_b64 s[4:5], s[4:5], exec
	s_or_saveexec_b64 s[6:7], s[6:7]
	v_mov_b32_e32 v6, s10
	s_xor_b64 exec, exec, s[6:7]
	s_cbranch_execz .LBB10_1230
.LBB10_3280:
	v_mov_b32_e32 v6, 0
	v_cmp_ne_u16_sdwa s[8:9], v3, v6 src0_sel:BYTE_0 src1_sel:DWORD
	s_andn2_b64 s[4:5], s[4:5], exec
	s_and_b64 s[8:9], s[8:9], exec
	s_or_b64 s[4:5], s[4:5], s[8:9]
	s_or_b64 exec, exec, s[6:7]
	s_and_saveexec_b64 s[6:7], s[4:5]
	s_cbranch_execnz .LBB10_1231
	s_branch .LBB10_1232
.LBB10_3281:
	s_movk_i32 s4, 0x80
	v_cmp_eq_u16_e32 vcc, s4, v3
	s_mov_b64 s[4:5], -1
                                        ; implicit-def: $sgpr10
	s_and_saveexec_b64 s[8:9], vcc
; %bb.3282:
	s_mov_b32 s10, 0x7f800001
	s_xor_b64 s[4:5], exec, -1
; %bb.3283:
	s_or_b64 exec, exec, s[8:9]
	s_and_b64 s[4:5], s[4:5], exec
                                        ; implicit-def: $vgpr3
	s_or_saveexec_b64 s[6:7], s[6:7]
	v_mov_b32_e32 v2, s10
	s_xor_b64 exec, exec, s[6:7]
	s_cbranch_execz .LBB10_1234
.LBB10_3284:
	v_cmp_ne_u16_e32 vcc, 0, v3
	s_andn2_b64 s[4:5], s[4:5], exec
	s_and_b64 s[8:9], vcc, exec
	v_mov_b32_e32 v2, 0
	s_or_b64 s[4:5], s[4:5], s[8:9]
	s_or_b64 exec, exec, s[6:7]
	s_and_saveexec_b64 s[6:7], s[4:5]
	s_cbranch_execnz .LBB10_1235
	s_branch .LBB10_1236
.LBB10_3285:
	s_movk_i32 s4, 0x80
	v_cmp_eq_u16_e32 vcc, s4, v3
	s_mov_b64 s[4:5], -1
                                        ; implicit-def: $sgpr10
	s_and_saveexec_b64 s[8:9], vcc
; %bb.3286:
	s_mov_b32 s10, 0x7f800001
	s_xor_b64 s[4:5], exec, -1
; %bb.3287:
	s_or_b64 exec, exec, s[8:9]
	s_and_b64 s[4:5], s[4:5], exec
                                        ; implicit-def: $vgpr3
	s_or_saveexec_b64 s[6:7], s[6:7]
	v_mov_b32_e32 v6, s10
	s_xor_b64 exec, exec, s[6:7]
	s_cbranch_execz .LBB10_1238
.LBB10_3288:
	v_cmp_ne_u16_e32 vcc, 0, v3
	s_andn2_b64 s[4:5], s[4:5], exec
	s_and_b64 s[8:9], vcc, exec
	v_mov_b32_e32 v6, 0
	s_or_b64 s[4:5], s[4:5], s[8:9]
	s_or_b64 exec, exec, s[6:7]
	s_and_saveexec_b64 s[6:7], s[4:5]
	s_cbranch_execnz .LBB10_1239
	s_branch .LBB10_1240
.LBB10_3289:
	s_movk_i32 s4, 0x80
	v_cmp_eq_u16_sdwa s[12:13], v8, s4 src0_sel:BYTE_3 src1_sel:DWORD
	s_mov_b64 s[4:5], -1
                                        ; implicit-def: $sgpr10
	s_and_saveexec_b64 s[8:9], s[12:13]
; %bb.3290:
	s_mov_b32 s10, 0x7f800001
	s_xor_b64 s[4:5], exec, -1
; %bb.3291:
	s_or_b64 exec, exec, s[8:9]
	s_and_b64 s[4:5], s[4:5], exec
	s_or_saveexec_b64 s[6:7], s[6:7]
	v_mov_b32_e32 v2, s10
	s_xor_b64 exec, exec, s[6:7]
	s_cbranch_execz .LBB10_1242
.LBB10_3292:
	v_mov_b32_e32 v2, 0
	v_cmp_ne_u16_sdwa s[8:9], v8, v2 src0_sel:BYTE_3 src1_sel:DWORD
	s_andn2_b64 s[4:5], s[4:5], exec
	s_and_b64 s[8:9], s[8:9], exec
	s_or_b64 s[4:5], s[4:5], s[8:9]
	s_or_b64 exec, exec, s[6:7]
	s_and_saveexec_b64 s[6:7], s[4:5]
	s_cbranch_execnz .LBB10_1243
	s_branch .LBB10_1244
.LBB10_3293:
	s_movk_i32 s4, 0x80
	v_cmp_eq_u16_sdwa s[12:13], v4, s4 src0_sel:BYTE_3 src1_sel:DWORD
	s_mov_b64 s[4:5], -1
                                        ; implicit-def: $sgpr10
	s_and_saveexec_b64 s[8:9], s[12:13]
; %bb.3294:
	s_mov_b32 s10, 0x7f800001
	s_xor_b64 s[4:5], exec, -1
; %bb.3295:
	s_or_b64 exec, exec, s[8:9]
	s_and_b64 s[4:5], s[4:5], exec
	s_or_saveexec_b64 s[6:7], s[6:7]
	v_mov_b32_e32 v3, s10
	s_xor_b64 exec, exec, s[6:7]
	s_cbranch_execz .LBB10_1246
.LBB10_3296:
	v_mov_b32_e32 v3, 0
	v_cmp_ne_u16_sdwa s[8:9], v4, v3 src0_sel:BYTE_3 src1_sel:DWORD
	s_andn2_b64 s[4:5], s[4:5], exec
	s_and_b64 s[8:9], s[8:9], exec
	s_or_b64 s[4:5], s[4:5], s[8:9]
	s_or_b64 exec, exec, s[6:7]
	s_and_saveexec_b64 s[6:7], s[4:5]
	s_cbranch_execnz .LBB10_1247
	s_branch .LBB10_1248
.LBB10_3297:
	s_movk_i32 s4, 0x80
	v_cmp_eq_u16_sdwa s[12:13], v9, s4 src0_sel:BYTE_0 src1_sel:DWORD
	s_mov_b64 s[4:5], -1
                                        ; implicit-def: $sgpr10
	s_and_saveexec_b64 s[8:9], s[12:13]
; %bb.3298:
	s_mov_b32 s10, 0x7f800001
	s_xor_b64 s[4:5], exec, -1
; %bb.3299:
	s_or_b64 exec, exec, s[8:9]
	s_and_b64 s[4:5], s[4:5], exec
	s_or_saveexec_b64 s[6:7], s[6:7]
	v_mov_b32_e32 v2, s10
	s_xor_b64 exec, exec, s[6:7]
	s_cbranch_execz .LBB10_1250
.LBB10_3300:
	v_mov_b32_e32 v2, 0
	v_cmp_ne_u16_sdwa s[8:9], v9, v2 src0_sel:BYTE_0 src1_sel:DWORD
	s_andn2_b64 s[4:5], s[4:5], exec
	s_and_b64 s[8:9], s[8:9], exec
	s_or_b64 s[4:5], s[4:5], s[8:9]
	s_or_b64 exec, exec, s[6:7]
	s_and_saveexec_b64 s[6:7], s[4:5]
	s_cbranch_execnz .LBB10_1251
	s_branch .LBB10_1252
.LBB10_3301:
	s_movk_i32 s4, 0x80
	v_cmp_eq_u16_sdwa s[12:13], v5, s4 src0_sel:BYTE_0 src1_sel:DWORD
	s_mov_b64 s[4:5], -1
                                        ; implicit-def: $sgpr10
	s_and_saveexec_b64 s[8:9], s[12:13]
; %bb.3302:
	s_mov_b32 s10, 0x7f800001
	s_xor_b64 s[4:5], exec, -1
; %bb.3303:
	s_or_b64 exec, exec, s[8:9]
	s_and_b64 s[4:5], s[4:5], exec
	s_or_saveexec_b64 s[6:7], s[6:7]
	v_mov_b32_e32 v3, s10
	s_xor_b64 exec, exec, s[6:7]
	s_cbranch_execz .LBB10_1254
.LBB10_3304:
	v_mov_b32_e32 v3, 0
	v_cmp_ne_u16_sdwa s[8:9], v5, v3 src0_sel:BYTE_0 src1_sel:DWORD
	s_andn2_b64 s[4:5], s[4:5], exec
	s_and_b64 s[8:9], s[8:9], exec
	s_or_b64 s[4:5], s[4:5], s[8:9]
	s_or_b64 exec, exec, s[6:7]
	s_and_saveexec_b64 s[6:7], s[4:5]
	s_cbranch_execnz .LBB10_1255
	s_branch .LBB10_1256
.LBB10_3305:
	s_movk_i32 s4, 0x80
	v_cmp_eq_u16_sdwa s[12:13], v3, s4 src0_sel:BYTE_0 src1_sel:DWORD
	s_mov_b64 s[4:5], -1
                                        ; implicit-def: $sgpr10
	s_and_saveexec_b64 s[8:9], s[12:13]
; %bb.3306:
	s_mov_b32 s10, 0x7f800001
	s_xor_b64 s[4:5], exec, -1
; %bb.3307:
	s_or_b64 exec, exec, s[8:9]
	s_and_b64 s[4:5], s[4:5], exec
	s_or_saveexec_b64 s[6:7], s[6:7]
	v_mov_b32_e32 v2, s10
	s_xor_b64 exec, exec, s[6:7]
	s_cbranch_execz .LBB10_1258
.LBB10_3308:
	v_mov_b32_e32 v2, 0
	v_cmp_ne_u16_sdwa s[8:9], v3, v2 src0_sel:BYTE_0 src1_sel:DWORD
	s_andn2_b64 s[4:5], s[4:5], exec
	s_and_b64 s[8:9], s[8:9], exec
	s_or_b64 s[4:5], s[4:5], s[8:9]
	s_or_b64 exec, exec, s[6:7]
	s_and_saveexec_b64 s[6:7], s[4:5]
	s_cbranch_execnz .LBB10_1259
	s_branch .LBB10_1260
.LBB10_3309:
	s_movk_i32 s4, 0x80
	v_cmp_eq_u16_sdwa s[12:13], v3, s4 src0_sel:BYTE_0 src1_sel:DWORD
	s_mov_b64 s[4:5], -1
                                        ; implicit-def: $sgpr10
	s_and_saveexec_b64 s[8:9], s[12:13]
; %bb.3310:
	s_mov_b32 s10, 0x7f800001
	s_xor_b64 s[4:5], exec, -1
; %bb.3311:
	s_or_b64 exec, exec, s[8:9]
	s_and_b64 s[4:5], s[4:5], exec
	s_or_saveexec_b64 s[6:7], s[6:7]
	v_mov_b32_e32 v4, s10
	s_xor_b64 exec, exec, s[6:7]
	s_cbranch_execz .LBB10_1262
.LBB10_3312:
	v_mov_b32_e32 v4, 0
	v_cmp_ne_u16_sdwa s[8:9], v3, v4 src0_sel:BYTE_0 src1_sel:DWORD
	s_andn2_b64 s[4:5], s[4:5], exec
	s_and_b64 s[8:9], s[8:9], exec
	s_or_b64 s[4:5], s[4:5], s[8:9]
	s_or_b64 exec, exec, s[6:7]
	s_and_saveexec_b64 s[6:7], s[4:5]
	s_cbranch_execnz .LBB10_1263
	s_branch .LBB10_1264
.LBB10_3313:
	s_movk_i32 s4, 0x80
	v_cmp_eq_u16_e32 vcc, s4, v3
	s_mov_b64 s[4:5], -1
                                        ; implicit-def: $sgpr10
	s_and_saveexec_b64 s[8:9], vcc
; %bb.3314:
	s_mov_b32 s10, 0x7f800001
	s_xor_b64 s[4:5], exec, -1
; %bb.3315:
	s_or_b64 exec, exec, s[8:9]
	s_and_b64 s[4:5], s[4:5], exec
                                        ; implicit-def: $vgpr3
	s_or_saveexec_b64 s[6:7], s[6:7]
	v_mov_b32_e32 v2, s10
	s_xor_b64 exec, exec, s[6:7]
	s_cbranch_execz .LBB10_1266
.LBB10_3316:
	v_cmp_ne_u16_e32 vcc, 0, v3
	s_andn2_b64 s[4:5], s[4:5], exec
	s_and_b64 s[8:9], vcc, exec
	v_mov_b32_e32 v2, 0
	s_or_b64 s[4:5], s[4:5], s[8:9]
	s_or_b64 exec, exec, s[6:7]
	s_and_saveexec_b64 s[6:7], s[4:5]
	s_cbranch_execnz .LBB10_1267
	s_branch .LBB10_1268
.LBB10_3317:
	s_movk_i32 s4, 0x80
	v_cmp_eq_u16_e32 vcc, s4, v3
	s_mov_b64 s[4:5], -1
                                        ; implicit-def: $sgpr10
	s_and_saveexec_b64 s[8:9], vcc
; %bb.3318:
	s_mov_b32 s10, 0x7f800001
	s_xor_b64 s[4:5], exec, -1
; %bb.3319:
	s_or_b64 exec, exec, s[8:9]
	s_and_b64 s[4:5], s[4:5], exec
                                        ; implicit-def: $vgpr3
	s_or_saveexec_b64 s[6:7], s[6:7]
	v_mov_b32_e32 v4, s10
	s_xor_b64 exec, exec, s[6:7]
	s_cbranch_execz .LBB10_1270
.LBB10_3320:
	v_cmp_ne_u16_e32 vcc, 0, v3
	s_andn2_b64 s[4:5], s[4:5], exec
	s_and_b64 s[8:9], vcc, exec
	v_mov_b32_e32 v4, 0
	s_or_b64 s[4:5], s[4:5], s[8:9]
	s_or_b64 exec, exec, s[6:7]
	s_and_saveexec_b64 s[6:7], s[4:5]
	s_cbranch_execnz .LBB10_1271
	s_branch .LBB10_1272
.LBB10_3321:
	s_movk_i32 s4, 0x80
	v_cmp_eq_u16_sdwa s[12:13], v9, s4 src0_sel:BYTE_3 src1_sel:DWORD
	s_mov_b64 s[4:5], -1
                                        ; implicit-def: $sgpr10
	s_and_saveexec_b64 s[8:9], s[12:13]
; %bb.3322:
	s_mov_b32 s10, 0x7f800001
	s_xor_b64 s[4:5], exec, -1
; %bb.3323:
	s_or_b64 exec, exec, s[8:9]
	s_and_b64 s[4:5], s[4:5], exec
	s_or_saveexec_b64 s[6:7], s[6:7]
	v_mov_b32_e32 v2, s10
	s_xor_b64 exec, exec, s[6:7]
	s_cbranch_execz .LBB10_1274
.LBB10_3324:
	v_mov_b32_e32 v2, 0
	v_cmp_ne_u16_sdwa s[8:9], v9, v2 src0_sel:BYTE_3 src1_sel:DWORD
	s_andn2_b64 s[4:5], s[4:5], exec
	s_and_b64 s[8:9], s[8:9], exec
	s_or_b64 s[4:5], s[4:5], s[8:9]
	s_or_b64 exec, exec, s[6:7]
	s_and_saveexec_b64 s[6:7], s[4:5]
	s_cbranch_execnz .LBB10_1275
	s_branch .LBB10_1276
.LBB10_3325:
	s_movk_i32 s4, 0x80
	v_cmp_eq_u16_sdwa s[12:13], v5, s4 src0_sel:BYTE_3 src1_sel:DWORD
	s_mov_b64 s[4:5], -1
                                        ; implicit-def: $sgpr10
	s_and_saveexec_b64 s[8:9], s[12:13]
; %bb.3326:
	s_mov_b32 s10, 0x7f800001
	s_xor_b64 s[4:5], exec, -1
; %bb.3327:
	s_or_b64 exec, exec, s[8:9]
	s_and_b64 s[4:5], s[4:5], exec
	s_or_saveexec_b64 s[6:7], s[6:7]
	v_mov_b32_e32 v3, s10
	s_xor_b64 exec, exec, s[6:7]
	s_cbranch_execz .LBB10_1278
.LBB10_3328:
	v_mov_b32_e32 v3, 0
	v_cmp_ne_u16_sdwa s[8:9], v5, v3 src0_sel:BYTE_3 src1_sel:DWORD
	s_andn2_b64 s[4:5], s[4:5], exec
	s_and_b64 s[8:9], s[8:9], exec
	s_or_b64 s[4:5], s[4:5], s[8:9]
	s_or_b64 exec, exec, s[6:7]
	s_and_saveexec_b64 s[6:7], s[4:5]
	s_cbranch_execnz .LBB10_1279
	s_branch .LBB10_1280
.LBB10_3329:
	s_movk_i32 s4, 0x80
	v_cmp_eq_u16_sdwa s[12:13], v6, s4 src0_sel:BYTE_0 src1_sel:DWORD
	s_mov_b64 s[4:5], -1
                                        ; implicit-def: $sgpr10
	s_and_saveexec_b64 s[8:9], s[12:13]
; %bb.3330:
	s_mov_b32 s10, 0x7f800001
	s_xor_b64 s[4:5], exec, -1
; %bb.3331:
	s_or_b64 exec, exec, s[8:9]
	s_and_b64 s[4:5], s[4:5], exec
	s_or_saveexec_b64 s[6:7], s[6:7]
	v_mov_b32_e32 v12, s10
	s_xor_b64 exec, exec, s[6:7]
	s_cbranch_execz .LBB10_1282
.LBB10_3332:
	v_mov_b32_e32 v12, 0
	v_cmp_ne_u16_sdwa s[8:9], v6, v12 src0_sel:BYTE_0 src1_sel:DWORD
	s_andn2_b64 s[4:5], s[4:5], exec
	s_and_b64 s[8:9], s[8:9], exec
	s_or_b64 s[4:5], s[4:5], s[8:9]
	s_or_b64 exec, exec, s[6:7]
	s_and_saveexec_b64 s[6:7], s[4:5]
	s_cbranch_execnz .LBB10_1283
	s_branch .LBB10_1284
.LBB10_3333:
	s_movk_i32 s4, 0x80
	v_cmp_eq_u16_sdwa s[12:13], v2, s4 src0_sel:BYTE_0 src1_sel:DWORD
	s_mov_b64 s[4:5], -1
                                        ; implicit-def: $sgpr10
	s_and_saveexec_b64 s[8:9], s[12:13]
; %bb.3334:
	s_mov_b32 s10, 0x7f800001
	s_xor_b64 s[4:5], exec, -1
; %bb.3335:
	s_or_b64 exec, exec, s[8:9]
	s_and_b64 s[4:5], s[4:5], exec
	s_or_saveexec_b64 s[6:7], s[6:7]
	v_mov_b32_e32 v13, s10
	s_xor_b64 exec, exec, s[6:7]
	s_cbranch_execz .LBB10_1286
.LBB10_3336:
	v_mov_b32_e32 v13, 0
	v_cmp_ne_u16_sdwa s[8:9], v2, v13 src0_sel:BYTE_0 src1_sel:DWORD
	s_andn2_b64 s[4:5], s[4:5], exec
	s_and_b64 s[8:9], s[8:9], exec
	s_or_b64 s[4:5], s[4:5], s[8:9]
	s_or_b64 exec, exec, s[6:7]
	s_and_saveexec_b64 s[6:7], s[4:5]
	s_cbranch_execnz .LBB10_1287
	s_branch .LBB10_1288
.LBB10_3337:
	s_movk_i32 s4, 0x80
	v_cmp_eq_u16_sdwa s[12:13], v13, s4 src0_sel:BYTE_0 src1_sel:DWORD
	s_mov_b64 s[4:5], -1
                                        ; implicit-def: $sgpr10
	s_and_saveexec_b64 s[8:9], s[12:13]
; %bb.3338:
	s_mov_b32 s10, 0x7f800001
	s_xor_b64 s[4:5], exec, -1
; %bb.3339:
	s_or_b64 exec, exec, s[8:9]
	s_and_b64 s[4:5], s[4:5], exec
	s_or_saveexec_b64 s[6:7], s[6:7]
	v_mov_b32_e32 v12, s10
	s_xor_b64 exec, exec, s[6:7]
	s_cbranch_execz .LBB10_1290
.LBB10_3340:
	v_mov_b32_e32 v12, 0
	v_cmp_ne_u16_sdwa s[8:9], v13, v12 src0_sel:BYTE_0 src1_sel:DWORD
	s_andn2_b64 s[4:5], s[4:5], exec
	s_and_b64 s[8:9], s[8:9], exec
	s_or_b64 s[4:5], s[4:5], s[8:9]
	s_or_b64 exec, exec, s[6:7]
	s_and_saveexec_b64 s[6:7], s[4:5]
	s_cbranch_execnz .LBB10_1291
	s_branch .LBB10_1292
.LBB10_3341:
	s_movk_i32 s4, 0x80
	v_cmp_eq_u16_sdwa s[12:13], v13, s4 src0_sel:BYTE_0 src1_sel:DWORD
	s_mov_b64 s[4:5], -1
                                        ; implicit-def: $sgpr10
	s_and_saveexec_b64 s[8:9], s[12:13]
; %bb.3342:
	s_mov_b32 s10, 0x7f800001
	s_xor_b64 s[4:5], exec, -1
; %bb.3343:
	s_or_b64 exec, exec, s[8:9]
	s_and_b64 s[4:5], s[4:5], exec
	s_or_saveexec_b64 s[6:7], s[6:7]
	v_mov_b32_e32 v14, s10
	s_xor_b64 exec, exec, s[6:7]
	s_cbranch_execz .LBB10_1294
.LBB10_3344:
	v_mov_b32_e32 v14, 0
	v_cmp_ne_u16_sdwa s[8:9], v13, v14 src0_sel:BYTE_0 src1_sel:DWORD
	s_andn2_b64 s[4:5], s[4:5], exec
	s_and_b64 s[8:9], s[8:9], exec
	s_or_b64 s[4:5], s[4:5], s[8:9]
	s_or_b64 exec, exec, s[6:7]
	s_and_saveexec_b64 s[6:7], s[4:5]
	s_cbranch_execnz .LBB10_1295
	s_branch .LBB10_1296
.LBB10_3345:
	s_movk_i32 s4, 0x80
	v_cmp_eq_u16_e32 vcc, s4, v13
	s_mov_b64 s[4:5], -1
                                        ; implicit-def: $sgpr10
	s_and_saveexec_b64 s[8:9], vcc
; %bb.3346:
	s_mov_b32 s10, 0x7f800001
	s_xor_b64 s[4:5], exec, -1
; %bb.3347:
	s_or_b64 exec, exec, s[8:9]
	s_and_b64 s[4:5], s[4:5], exec
                                        ; implicit-def: $vgpr13
	s_or_saveexec_b64 s[6:7], s[6:7]
	v_mov_b32_e32 v12, s10
	s_xor_b64 exec, exec, s[6:7]
	s_cbranch_execz .LBB10_1298
.LBB10_3348:
	v_cmp_ne_u16_e32 vcc, 0, v13
	s_andn2_b64 s[4:5], s[4:5], exec
	s_and_b64 s[8:9], vcc, exec
	v_mov_b32_e32 v12, 0
	s_or_b64 s[4:5], s[4:5], s[8:9]
	s_or_b64 exec, exec, s[6:7]
	s_and_saveexec_b64 s[6:7], s[4:5]
	s_cbranch_execnz .LBB10_1299
	s_branch .LBB10_1300
.LBB10_3349:
	s_movk_i32 s4, 0x80
	v_cmp_eq_u16_e32 vcc, s4, v13
	s_mov_b64 s[4:5], -1
                                        ; implicit-def: $sgpr10
	s_and_saveexec_b64 s[8:9], vcc
; %bb.3350:
	s_mov_b32 s10, 0x7f800001
	s_xor_b64 s[4:5], exec, -1
; %bb.3351:
	s_or_b64 exec, exec, s[8:9]
	s_and_b64 s[4:5], s[4:5], exec
                                        ; implicit-def: $vgpr13
	s_or_saveexec_b64 s[6:7], s[6:7]
	v_mov_b32_e32 v14, s10
	s_xor_b64 exec, exec, s[6:7]
	s_cbranch_execz .LBB10_1302
.LBB10_3352:
	v_cmp_ne_u16_e32 vcc, 0, v13
	s_andn2_b64 s[4:5], s[4:5], exec
	s_and_b64 s[8:9], vcc, exec
	v_mov_b32_e32 v14, 0
	s_or_b64 s[4:5], s[4:5], s[8:9]
	s_or_b64 exec, exec, s[6:7]
	s_and_saveexec_b64 s[6:7], s[4:5]
	s_cbranch_execnz .LBB10_1303
	s_branch .LBB10_1304
.LBB10_3353:
	s_movk_i32 s4, 0x80
	v_cmp_eq_u16_sdwa s[12:13], v6, s4 src0_sel:BYTE_3 src1_sel:DWORD
	s_mov_b64 s[4:5], -1
                                        ; implicit-def: $sgpr10
	s_and_saveexec_b64 s[8:9], s[12:13]
; %bb.3354:
	s_mov_b32 s10, 0x7f800001
	s_xor_b64 s[4:5], exec, -1
; %bb.3355:
	s_or_b64 exec, exec, s[8:9]
	s_and_b64 s[4:5], s[4:5], exec
	s_or_saveexec_b64 s[6:7], s[6:7]
	v_mov_b32_e32 v12, s10
	s_xor_b64 exec, exec, s[6:7]
	s_cbranch_execz .LBB10_1306
.LBB10_3356:
	v_mov_b32_e32 v12, 0
	v_cmp_ne_u16_sdwa s[8:9], v6, v12 src0_sel:BYTE_3 src1_sel:DWORD
	s_andn2_b64 s[4:5], s[4:5], exec
	s_and_b64 s[8:9], s[8:9], exec
	s_or_b64 s[4:5], s[4:5], s[8:9]
	s_or_b64 exec, exec, s[6:7]
	s_and_saveexec_b64 s[6:7], s[4:5]
	s_cbranch_execnz .LBB10_1307
	s_branch .LBB10_1308
.LBB10_3357:
	s_movk_i32 s4, 0x80
	v_cmp_eq_u16_sdwa s[12:13], v2, s4 src0_sel:BYTE_3 src1_sel:DWORD
	s_mov_b64 s[4:5], -1
                                        ; implicit-def: $sgpr10
	s_and_saveexec_b64 s[8:9], s[12:13]
; %bb.3358:
	s_mov_b32 s10, 0x7f800001
	s_xor_b64 s[4:5], exec, -1
; %bb.3359:
	s_or_b64 exec, exec, s[8:9]
	s_and_b64 s[4:5], s[4:5], exec
	s_or_saveexec_b64 s[6:7], s[6:7]
	v_mov_b32_e32 v6, s10
	s_xor_b64 exec, exec, s[6:7]
	s_cbranch_execz .LBB10_1310
.LBB10_3360:
	v_mov_b32_e32 v6, 0
	v_cmp_ne_u16_sdwa s[8:9], v2, v6 src0_sel:BYTE_3 src1_sel:DWORD
	s_andn2_b64 s[4:5], s[4:5], exec
	s_and_b64 s[8:9], s[8:9], exec
	s_or_b64 s[4:5], s[4:5], s[8:9]
	s_or_b64 exec, exec, s[6:7]
	s_and_saveexec_b64 s[6:7], s[4:5]
	s_cbranch_execnz .LBB10_1311
	s_branch .LBB10_1312
.LBB10_3361:
	s_movk_i32 s4, 0x80
	v_cmp_eq_u16_sdwa s[12:13], v7, s4 src0_sel:BYTE_0 src1_sel:DWORD
	s_mov_b64 s[4:5], -1
                                        ; implicit-def: $sgpr10
	s_and_saveexec_b64 s[8:9], s[12:13]
; %bb.3362:
	s_mov_b32 s10, 0x7f800001
	s_xor_b64 s[4:5], exec, -1
; %bb.3363:
	s_or_b64 exec, exec, s[8:9]
	s_and_b64 s[4:5], s[4:5], exec
	s_or_saveexec_b64 s[6:7], s[6:7]
	v_mov_b32_e32 v2, s10
	s_xor_b64 exec, exec, s[6:7]
	s_cbranch_execz .LBB10_1314
.LBB10_3364:
	v_mov_b32_e32 v2, 0
	v_cmp_ne_u16_sdwa s[8:9], v7, v2 src0_sel:BYTE_0 src1_sel:DWORD
	s_andn2_b64 s[4:5], s[4:5], exec
	s_and_b64 s[8:9], s[8:9], exec
	s_or_b64 s[4:5], s[4:5], s[8:9]
	s_or_b64 exec, exec, s[6:7]
	s_and_saveexec_b64 s[6:7], s[4:5]
	s_cbranch_execnz .LBB10_1315
	s_branch .LBB10_1316
.LBB10_3365:
	s_movk_i32 s4, 0x80
	v_cmp_eq_u16_sdwa s[12:13], v3, s4 src0_sel:BYTE_0 src1_sel:DWORD
	s_mov_b64 s[4:5], -1
                                        ; implicit-def: $sgpr10
	s_and_saveexec_b64 s[8:9], s[12:13]
; %bb.3366:
	s_mov_b32 s10, 0x7f800001
	s_xor_b64 s[4:5], exec, -1
; %bb.3367:
	s_or_b64 exec, exec, s[8:9]
	s_and_b64 s[4:5], s[4:5], exec
	s_or_saveexec_b64 s[6:7], s[6:7]
	v_mov_b32_e32 v6, s10
	s_xor_b64 exec, exec, s[6:7]
	s_cbranch_execz .LBB10_1318
.LBB10_3368:
	v_mov_b32_e32 v6, 0
	v_cmp_ne_u16_sdwa s[8:9], v3, v6 src0_sel:BYTE_0 src1_sel:DWORD
	s_andn2_b64 s[4:5], s[4:5], exec
	s_and_b64 s[8:9], s[8:9], exec
	s_or_b64 s[4:5], s[4:5], s[8:9]
	s_or_b64 exec, exec, s[6:7]
	s_and_saveexec_b64 s[6:7], s[4:5]
	s_cbranch_execnz .LBB10_1319
	s_branch .LBB10_1320
.LBB10_3369:
	s_movk_i32 s4, 0x80
	v_cmp_eq_u16_sdwa s[12:13], v6, s4 src0_sel:BYTE_0 src1_sel:DWORD
	s_mov_b64 s[4:5], -1
                                        ; implicit-def: $sgpr10
	s_and_saveexec_b64 s[8:9], s[12:13]
; %bb.3370:
	s_mov_b32 s10, 0x7f800001
	s_xor_b64 s[4:5], exec, -1
; %bb.3371:
	s_or_b64 exec, exec, s[8:9]
	s_and_b64 s[4:5], s[4:5], exec
	s_or_saveexec_b64 s[6:7], s[6:7]
	v_mov_b32_e32 v2, s10
	s_xor_b64 exec, exec, s[6:7]
	s_cbranch_execz .LBB10_1322
.LBB10_3372:
	v_mov_b32_e32 v2, 0
	v_cmp_ne_u16_sdwa s[8:9], v6, v2 src0_sel:BYTE_0 src1_sel:DWORD
	s_andn2_b64 s[4:5], s[4:5], exec
	s_and_b64 s[8:9], s[8:9], exec
	s_or_b64 s[4:5], s[4:5], s[8:9]
	s_or_b64 exec, exec, s[6:7]
	s_and_saveexec_b64 s[6:7], s[4:5]
	s_cbranch_execnz .LBB10_1323
	s_branch .LBB10_1324
.LBB10_3373:
	s_movk_i32 s4, 0x80
	v_cmp_eq_u16_sdwa s[12:13], v6, s4 src0_sel:BYTE_0 src1_sel:DWORD
	s_mov_b64 s[4:5], -1
                                        ; implicit-def: $sgpr10
	s_and_saveexec_b64 s[8:9], s[12:13]
; %bb.3374:
	s_mov_b32 s10, 0x7f800001
	s_xor_b64 s[4:5], exec, -1
; %bb.3375:
	s_or_b64 exec, exec, s[8:9]
	s_and_b64 s[4:5], s[4:5], exec
	s_or_saveexec_b64 s[6:7], s[6:7]
	v_mov_b32_e32 v12, s10
	s_xor_b64 exec, exec, s[6:7]
	s_cbranch_execz .LBB10_1326
.LBB10_3376:
	v_mov_b32_e32 v12, 0
	v_cmp_ne_u16_sdwa s[8:9], v6, v12 src0_sel:BYTE_0 src1_sel:DWORD
	s_andn2_b64 s[4:5], s[4:5], exec
	s_and_b64 s[8:9], s[8:9], exec
	s_or_b64 s[4:5], s[4:5], s[8:9]
	s_or_b64 exec, exec, s[6:7]
	s_and_saveexec_b64 s[6:7], s[4:5]
	s_cbranch_execnz .LBB10_1327
	s_branch .LBB10_1328
.LBB10_3377:
	s_movk_i32 s4, 0x80
	v_cmp_eq_u16_e32 vcc, s4, v6
	s_mov_b64 s[4:5], -1
                                        ; implicit-def: $sgpr10
	s_and_saveexec_b64 s[8:9], vcc
; %bb.3378:
	s_mov_b32 s10, 0x7f800001
	s_xor_b64 s[4:5], exec, -1
; %bb.3379:
	s_or_b64 exec, exec, s[8:9]
	s_and_b64 s[4:5], s[4:5], exec
                                        ; implicit-def: $vgpr6
	s_or_saveexec_b64 s[6:7], s[6:7]
	v_mov_b32_e32 v2, s10
	s_xor_b64 exec, exec, s[6:7]
	s_cbranch_execz .LBB10_1330
.LBB10_3380:
	v_cmp_ne_u16_e32 vcc, 0, v6
	s_andn2_b64 s[4:5], s[4:5], exec
	s_and_b64 s[8:9], vcc, exec
	v_mov_b32_e32 v2, 0
	s_or_b64 s[4:5], s[4:5], s[8:9]
	s_or_b64 exec, exec, s[6:7]
	s_and_saveexec_b64 s[6:7], s[4:5]
	s_cbranch_execnz .LBB10_1331
	s_branch .LBB10_1332
.LBB10_3381:
	s_movk_i32 s4, 0x80
	v_cmp_eq_u16_e32 vcc, s4, v6
	s_mov_b64 s[4:5], -1
                                        ; implicit-def: $sgpr10
	s_and_saveexec_b64 s[8:9], vcc
; %bb.3382:
	s_mov_b32 s10, 0x7f800001
	s_xor_b64 s[4:5], exec, -1
; %bb.3383:
	s_or_b64 exec, exec, s[8:9]
	s_and_b64 s[4:5], s[4:5], exec
                                        ; implicit-def: $vgpr6
	s_or_saveexec_b64 s[6:7], s[6:7]
	v_mov_b32_e32 v12, s10
	s_xor_b64 exec, exec, s[6:7]
	s_cbranch_execz .LBB10_1334
.LBB10_3384:
	v_cmp_ne_u16_e32 vcc, 0, v6
	s_andn2_b64 s[4:5], s[4:5], exec
	s_and_b64 s[8:9], vcc, exec
	v_mov_b32_e32 v12, 0
	s_or_b64 s[4:5], s[4:5], s[8:9]
	s_or_b64 exec, exec, s[6:7]
	s_and_saveexec_b64 s[6:7], s[4:5]
	s_cbranch_execnz .LBB10_1335
	s_branch .LBB10_1336
.LBB10_3385:
	s_movk_i32 s4, 0x80
	v_cmp_eq_u16_sdwa s[12:13], v7, s4 src0_sel:BYTE_3 src1_sel:DWORD
	s_mov_b64 s[4:5], -1
                                        ; implicit-def: $sgpr10
	s_and_saveexec_b64 s[8:9], s[12:13]
; %bb.3386:
	s_mov_b32 s10, 0x7f800001
	s_xor_b64 s[4:5], exec, -1
; %bb.3387:
	s_or_b64 exec, exec, s[8:9]
	s_and_b64 s[4:5], s[4:5], exec
	s_or_saveexec_b64 s[6:7], s[6:7]
	v_mov_b32_e32 v2, s10
	s_xor_b64 exec, exec, s[6:7]
	s_cbranch_execz .LBB10_1338
.LBB10_3388:
	v_mov_b32_e32 v2, 0
	v_cmp_ne_u16_sdwa s[8:9], v7, v2 src0_sel:BYTE_3 src1_sel:DWORD
	s_andn2_b64 s[4:5], s[4:5], exec
	s_and_b64 s[8:9], s[8:9], exec
	s_or_b64 s[4:5], s[4:5], s[8:9]
	s_or_b64 exec, exec, s[6:7]
	s_and_saveexec_b64 s[6:7], s[4:5]
	s_cbranch_execnz .LBB10_1339
	s_branch .LBB10_1340
.LBB10_3389:
	s_movk_i32 s4, 0x80
	v_cmp_eq_u16_sdwa s[12:13], v3, s4 src0_sel:BYTE_3 src1_sel:DWORD
	s_mov_b64 s[4:5], -1
                                        ; implicit-def: $sgpr10
	s_and_saveexec_b64 s[8:9], s[12:13]
; %bb.3390:
	s_mov_b32 s10, 0x7f800001
	s_xor_b64 s[4:5], exec, -1
; %bb.3391:
	s_or_b64 exec, exec, s[8:9]
	s_and_b64 s[4:5], s[4:5], exec
	s_or_saveexec_b64 s[6:7], s[6:7]
	v_mov_b32_e32 v6, s10
	s_xor_b64 exec, exec, s[6:7]
	s_cbranch_execz .LBB10_1342
.LBB10_3392:
	v_mov_b32_e32 v6, 0
	v_cmp_ne_u16_sdwa s[8:9], v3, v6 src0_sel:BYTE_3 src1_sel:DWORD
	s_andn2_b64 s[4:5], s[4:5], exec
	s_and_b64 s[8:9], s[8:9], exec
	s_or_b64 s[4:5], s[4:5], s[8:9]
	s_or_b64 exec, exec, s[6:7]
	s_and_saveexec_b64 s[6:7], s[4:5]
	s_cbranch_execnz .LBB10_1343
	s_branch .LBB10_1344
.LBB10_3393:
	s_movk_i32 s4, 0x80
	v_cmp_eq_u16_sdwa s[12:13], v8, s4 src0_sel:BYTE_0 src1_sel:DWORD
	s_mov_b64 s[4:5], -1
                                        ; implicit-def: $sgpr10
	s_and_saveexec_b64 s[8:9], s[12:13]
; %bb.3394:
	s_mov_b32 s10, 0x7f800001
	s_xor_b64 s[4:5], exec, -1
; %bb.3395:
	s_or_b64 exec, exec, s[8:9]
	s_and_b64 s[4:5], s[4:5], exec
	s_or_saveexec_b64 s[6:7], s[6:7]
	v_mov_b32_e32 v2, s10
	s_xor_b64 exec, exec, s[6:7]
	s_cbranch_execz .LBB10_1346
.LBB10_3396:
	v_mov_b32_e32 v2, 0
	v_cmp_ne_u16_sdwa s[8:9], v8, v2 src0_sel:BYTE_0 src1_sel:DWORD
	s_andn2_b64 s[4:5], s[4:5], exec
	s_and_b64 s[8:9], s[8:9], exec
	s_or_b64 s[4:5], s[4:5], s[8:9]
	s_or_b64 exec, exec, s[6:7]
	s_and_saveexec_b64 s[6:7], s[4:5]
	s_cbranch_execnz .LBB10_1347
	s_branch .LBB10_1348
.LBB10_3397:
	s_movk_i32 s4, 0x80
	v_cmp_eq_u16_sdwa s[12:13], v4, s4 src0_sel:BYTE_0 src1_sel:DWORD
	s_mov_b64 s[4:5], -1
                                        ; implicit-def: $sgpr10
	s_and_saveexec_b64 s[8:9], s[12:13]
; %bb.3398:
	s_mov_b32 s10, 0x7f800001
	s_xor_b64 s[4:5], exec, -1
; %bb.3399:
	s_or_b64 exec, exec, s[8:9]
	s_and_b64 s[4:5], s[4:5], exec
	s_or_saveexec_b64 s[6:7], s[6:7]
	v_mov_b32_e32 v3, s10
	s_xor_b64 exec, exec, s[6:7]
	s_cbranch_execz .LBB10_1350
.LBB10_3400:
	v_mov_b32_e32 v3, 0
	v_cmp_ne_u16_sdwa s[8:9], v4, v3 src0_sel:BYTE_0 src1_sel:DWORD
	s_andn2_b64 s[4:5], s[4:5], exec
	s_and_b64 s[8:9], s[8:9], exec
	s_or_b64 s[4:5], s[4:5], s[8:9]
	s_or_b64 exec, exec, s[6:7]
	s_and_saveexec_b64 s[6:7], s[4:5]
	s_cbranch_execnz .LBB10_1351
	s_branch .LBB10_1352
.LBB10_3401:
	s_movk_i32 s4, 0x80
	v_cmp_eq_u16_sdwa s[12:13], v3, s4 src0_sel:BYTE_0 src1_sel:DWORD
	s_mov_b64 s[4:5], -1
                                        ; implicit-def: $sgpr10
	s_and_saveexec_b64 s[8:9], s[12:13]
; %bb.3402:
	s_mov_b32 s10, 0x7f800001
	s_xor_b64 s[4:5], exec, -1
; %bb.3403:
	s_or_b64 exec, exec, s[8:9]
	s_and_b64 s[4:5], s[4:5], exec
	s_or_saveexec_b64 s[6:7], s[6:7]
	v_mov_b32_e32 v2, s10
	s_xor_b64 exec, exec, s[6:7]
	s_cbranch_execz .LBB10_1354
.LBB10_3404:
	v_mov_b32_e32 v2, 0
	v_cmp_ne_u16_sdwa s[8:9], v3, v2 src0_sel:BYTE_0 src1_sel:DWORD
	s_andn2_b64 s[4:5], s[4:5], exec
	s_and_b64 s[8:9], s[8:9], exec
	s_or_b64 s[4:5], s[4:5], s[8:9]
	s_or_b64 exec, exec, s[6:7]
	s_and_saveexec_b64 s[6:7], s[4:5]
	s_cbranch_execnz .LBB10_1355
	s_branch .LBB10_1356
.LBB10_3405:
	s_movk_i32 s4, 0x80
	v_cmp_eq_u16_sdwa s[12:13], v3, s4 src0_sel:BYTE_0 src1_sel:DWORD
	s_mov_b64 s[4:5], -1
                                        ; implicit-def: $sgpr10
	s_and_saveexec_b64 s[8:9], s[12:13]
; %bb.3406:
	s_mov_b32 s10, 0x7f800001
	s_xor_b64 s[4:5], exec, -1
; %bb.3407:
	s_or_b64 exec, exec, s[8:9]
	s_and_b64 s[4:5], s[4:5], exec
	s_or_saveexec_b64 s[6:7], s[6:7]
	v_mov_b32_e32 v6, s10
	s_xor_b64 exec, exec, s[6:7]
	s_cbranch_execz .LBB10_1358
.LBB10_3408:
	v_mov_b32_e32 v6, 0
	v_cmp_ne_u16_sdwa s[8:9], v3, v6 src0_sel:BYTE_0 src1_sel:DWORD
	s_andn2_b64 s[4:5], s[4:5], exec
	s_and_b64 s[8:9], s[8:9], exec
	s_or_b64 s[4:5], s[4:5], s[8:9]
	s_or_b64 exec, exec, s[6:7]
	s_and_saveexec_b64 s[6:7], s[4:5]
	s_cbranch_execnz .LBB10_1359
	s_branch .LBB10_1360
.LBB10_3409:
	s_movk_i32 s4, 0x80
	v_cmp_eq_u16_e32 vcc, s4, v3
	s_mov_b64 s[4:5], -1
                                        ; implicit-def: $sgpr10
	s_and_saveexec_b64 s[8:9], vcc
; %bb.3410:
	s_mov_b32 s10, 0x7f800001
	s_xor_b64 s[4:5], exec, -1
; %bb.3411:
	s_or_b64 exec, exec, s[8:9]
	s_and_b64 s[4:5], s[4:5], exec
                                        ; implicit-def: $vgpr3
	s_or_saveexec_b64 s[6:7], s[6:7]
	v_mov_b32_e32 v2, s10
	s_xor_b64 exec, exec, s[6:7]
	s_cbranch_execz .LBB10_1362
.LBB10_3412:
	v_cmp_ne_u16_e32 vcc, 0, v3
	s_andn2_b64 s[4:5], s[4:5], exec
	s_and_b64 s[8:9], vcc, exec
	v_mov_b32_e32 v2, 0
	s_or_b64 s[4:5], s[4:5], s[8:9]
	s_or_b64 exec, exec, s[6:7]
	s_and_saveexec_b64 s[6:7], s[4:5]
	s_cbranch_execnz .LBB10_1363
	s_branch .LBB10_1364
.LBB10_3413:
	s_movk_i32 s4, 0x80
	v_cmp_eq_u16_e32 vcc, s4, v3
	s_mov_b64 s[4:5], -1
                                        ; implicit-def: $sgpr10
	s_and_saveexec_b64 s[8:9], vcc
; %bb.3414:
	s_mov_b32 s10, 0x7f800001
	s_xor_b64 s[4:5], exec, -1
; %bb.3415:
	s_or_b64 exec, exec, s[8:9]
	s_and_b64 s[4:5], s[4:5], exec
                                        ; implicit-def: $vgpr3
	s_or_saveexec_b64 s[6:7], s[6:7]
	v_mov_b32_e32 v6, s10
	s_xor_b64 exec, exec, s[6:7]
	s_cbranch_execz .LBB10_1366
.LBB10_3416:
	v_cmp_ne_u16_e32 vcc, 0, v3
	s_andn2_b64 s[4:5], s[4:5], exec
	s_and_b64 s[8:9], vcc, exec
	v_mov_b32_e32 v6, 0
	s_or_b64 s[4:5], s[4:5], s[8:9]
	s_or_b64 exec, exec, s[6:7]
	s_and_saveexec_b64 s[6:7], s[4:5]
	s_cbranch_execnz .LBB10_1367
	s_branch .LBB10_1368
.LBB10_3417:
	s_movk_i32 s4, 0x80
	v_cmp_eq_u16_sdwa s[12:13], v8, s4 src0_sel:BYTE_3 src1_sel:DWORD
	s_mov_b64 s[4:5], -1
                                        ; implicit-def: $sgpr10
	s_and_saveexec_b64 s[8:9], s[12:13]
; %bb.3418:
	s_mov_b32 s10, 0x7f800001
	s_xor_b64 s[4:5], exec, -1
; %bb.3419:
	s_or_b64 exec, exec, s[8:9]
	s_and_b64 s[4:5], s[4:5], exec
	s_or_saveexec_b64 s[6:7], s[6:7]
	v_mov_b32_e32 v2, s10
	s_xor_b64 exec, exec, s[6:7]
	s_cbranch_execz .LBB10_1370
.LBB10_3420:
	v_mov_b32_e32 v2, 0
	v_cmp_ne_u16_sdwa s[8:9], v8, v2 src0_sel:BYTE_3 src1_sel:DWORD
	s_andn2_b64 s[4:5], s[4:5], exec
	s_and_b64 s[8:9], s[8:9], exec
	s_or_b64 s[4:5], s[4:5], s[8:9]
	s_or_b64 exec, exec, s[6:7]
	s_and_saveexec_b64 s[6:7], s[4:5]
	s_cbranch_execnz .LBB10_1371
	s_branch .LBB10_1372
.LBB10_3421:
	s_movk_i32 s4, 0x80
	v_cmp_eq_u16_sdwa s[12:13], v4, s4 src0_sel:BYTE_3 src1_sel:DWORD
	s_mov_b64 s[4:5], -1
                                        ; implicit-def: $sgpr10
	s_and_saveexec_b64 s[8:9], s[12:13]
; %bb.3422:
	s_mov_b32 s10, 0x7f800001
	s_xor_b64 s[4:5], exec, -1
; %bb.3423:
	s_or_b64 exec, exec, s[8:9]
	s_and_b64 s[4:5], s[4:5], exec
	s_or_saveexec_b64 s[6:7], s[6:7]
	v_mov_b32_e32 v3, s10
	s_xor_b64 exec, exec, s[6:7]
	s_cbranch_execz .LBB10_1374
.LBB10_3424:
	v_mov_b32_e32 v3, 0
	v_cmp_ne_u16_sdwa s[8:9], v4, v3 src0_sel:BYTE_3 src1_sel:DWORD
	s_andn2_b64 s[4:5], s[4:5], exec
	s_and_b64 s[8:9], s[8:9], exec
	s_or_b64 s[4:5], s[4:5], s[8:9]
	s_or_b64 exec, exec, s[6:7]
	s_and_saveexec_b64 s[6:7], s[4:5]
	s_cbranch_execnz .LBB10_1375
	s_branch .LBB10_1376
.LBB10_3425:
	s_movk_i32 s4, 0x80
	v_cmp_eq_u16_sdwa s[12:13], v9, s4 src0_sel:BYTE_0 src1_sel:DWORD
	s_mov_b64 s[4:5], -1
                                        ; implicit-def: $sgpr10
	s_and_saveexec_b64 s[8:9], s[12:13]
; %bb.3426:
	s_mov_b32 s10, 0x7f800001
	s_xor_b64 s[4:5], exec, -1
; %bb.3427:
	s_or_b64 exec, exec, s[8:9]
	s_and_b64 s[4:5], s[4:5], exec
	s_or_saveexec_b64 s[6:7], s[6:7]
	v_mov_b32_e32 v2, s10
	s_xor_b64 exec, exec, s[6:7]
	s_cbranch_execz .LBB10_1378
.LBB10_3428:
	v_mov_b32_e32 v2, 0
	v_cmp_ne_u16_sdwa s[8:9], v9, v2 src0_sel:BYTE_0 src1_sel:DWORD
	s_andn2_b64 s[4:5], s[4:5], exec
	s_and_b64 s[8:9], s[8:9], exec
	s_or_b64 s[4:5], s[4:5], s[8:9]
	s_or_b64 exec, exec, s[6:7]
	s_and_saveexec_b64 s[6:7], s[4:5]
	s_cbranch_execnz .LBB10_1379
	s_branch .LBB10_1380
.LBB10_3429:
	s_movk_i32 s4, 0x80
	v_cmp_eq_u16_sdwa s[12:13], v5, s4 src0_sel:BYTE_0 src1_sel:DWORD
	s_mov_b64 s[4:5], -1
                                        ; implicit-def: $sgpr10
	s_and_saveexec_b64 s[8:9], s[12:13]
; %bb.3430:
	s_mov_b32 s10, 0x7f800001
	s_xor_b64 s[4:5], exec, -1
; %bb.3431:
	s_or_b64 exec, exec, s[8:9]
	s_and_b64 s[4:5], s[4:5], exec
	s_or_saveexec_b64 s[6:7], s[6:7]
	v_mov_b32_e32 v3, s10
	s_xor_b64 exec, exec, s[6:7]
	s_cbranch_execz .LBB10_1382
.LBB10_3432:
	v_mov_b32_e32 v3, 0
	v_cmp_ne_u16_sdwa s[8:9], v5, v3 src0_sel:BYTE_0 src1_sel:DWORD
	s_andn2_b64 s[4:5], s[4:5], exec
	s_and_b64 s[8:9], s[8:9], exec
	s_or_b64 s[4:5], s[4:5], s[8:9]
	s_or_b64 exec, exec, s[6:7]
	s_and_saveexec_b64 s[6:7], s[4:5]
	s_cbranch_execnz .LBB10_1383
	s_branch .LBB10_1384
.LBB10_3433:
	s_movk_i32 s4, 0x80
	v_cmp_eq_u16_sdwa s[12:13], v3, s4 src0_sel:BYTE_0 src1_sel:DWORD
	s_mov_b64 s[4:5], -1
                                        ; implicit-def: $sgpr10
	s_and_saveexec_b64 s[8:9], s[12:13]
; %bb.3434:
	s_mov_b32 s10, 0x7f800001
	s_xor_b64 s[4:5], exec, -1
; %bb.3435:
	s_or_b64 exec, exec, s[8:9]
	s_and_b64 s[4:5], s[4:5], exec
	s_or_saveexec_b64 s[6:7], s[6:7]
	v_mov_b32_e32 v2, s10
	s_xor_b64 exec, exec, s[6:7]
	s_cbranch_execz .LBB10_1386
.LBB10_3436:
	v_mov_b32_e32 v2, 0
	v_cmp_ne_u16_sdwa s[8:9], v3, v2 src0_sel:BYTE_0 src1_sel:DWORD
	s_andn2_b64 s[4:5], s[4:5], exec
	s_and_b64 s[8:9], s[8:9], exec
	s_or_b64 s[4:5], s[4:5], s[8:9]
	s_or_b64 exec, exec, s[6:7]
	s_and_saveexec_b64 s[6:7], s[4:5]
	s_cbranch_execnz .LBB10_1387
	s_branch .LBB10_1388
.LBB10_3437:
	s_movk_i32 s4, 0x80
	v_cmp_eq_u16_sdwa s[12:13], v3, s4 src0_sel:BYTE_0 src1_sel:DWORD
	s_mov_b64 s[4:5], -1
                                        ; implicit-def: $sgpr10
	s_and_saveexec_b64 s[8:9], s[12:13]
; %bb.3438:
	s_mov_b32 s10, 0x7f800001
	s_xor_b64 s[4:5], exec, -1
; %bb.3439:
	s_or_b64 exec, exec, s[8:9]
	s_and_b64 s[4:5], s[4:5], exec
	s_or_saveexec_b64 s[6:7], s[6:7]
	v_mov_b32_e32 v4, s10
	s_xor_b64 exec, exec, s[6:7]
	s_cbranch_execz .LBB10_1390
.LBB10_3440:
	v_mov_b32_e32 v4, 0
	v_cmp_ne_u16_sdwa s[8:9], v3, v4 src0_sel:BYTE_0 src1_sel:DWORD
	s_andn2_b64 s[4:5], s[4:5], exec
	s_and_b64 s[8:9], s[8:9], exec
	s_or_b64 s[4:5], s[4:5], s[8:9]
	s_or_b64 exec, exec, s[6:7]
	s_and_saveexec_b64 s[6:7], s[4:5]
	s_cbranch_execnz .LBB10_1391
	s_branch .LBB10_1392
.LBB10_3441:
	s_movk_i32 s4, 0x80
	v_cmp_eq_u16_e32 vcc, s4, v3
	s_mov_b64 s[4:5], -1
                                        ; implicit-def: $sgpr10
	s_and_saveexec_b64 s[8:9], vcc
; %bb.3442:
	s_mov_b32 s10, 0x7f800001
	s_xor_b64 s[4:5], exec, -1
; %bb.3443:
	s_or_b64 exec, exec, s[8:9]
	s_and_b64 s[4:5], s[4:5], exec
                                        ; implicit-def: $vgpr3
	s_or_saveexec_b64 s[6:7], s[6:7]
	v_mov_b32_e32 v2, s10
	s_xor_b64 exec, exec, s[6:7]
	s_cbranch_execz .LBB10_1394
.LBB10_3444:
	v_cmp_ne_u16_e32 vcc, 0, v3
	s_andn2_b64 s[4:5], s[4:5], exec
	s_and_b64 s[8:9], vcc, exec
	v_mov_b32_e32 v2, 0
	s_or_b64 s[4:5], s[4:5], s[8:9]
	s_or_b64 exec, exec, s[6:7]
	s_and_saveexec_b64 s[6:7], s[4:5]
	s_cbranch_execnz .LBB10_1395
	s_branch .LBB10_1396
.LBB10_3445:
	s_movk_i32 s4, 0x80
	v_cmp_eq_u16_e32 vcc, s4, v3
	s_mov_b64 s[4:5], -1
                                        ; implicit-def: $sgpr10
	s_and_saveexec_b64 s[8:9], vcc
; %bb.3446:
	s_mov_b32 s10, 0x7f800001
	s_xor_b64 s[4:5], exec, -1
; %bb.3447:
	s_or_b64 exec, exec, s[8:9]
	s_and_b64 s[4:5], s[4:5], exec
                                        ; implicit-def: $vgpr3
	s_or_saveexec_b64 s[6:7], s[6:7]
	v_mov_b32_e32 v4, s10
	s_xor_b64 exec, exec, s[6:7]
	s_cbranch_execz .LBB10_1398
.LBB10_3448:
	v_cmp_ne_u16_e32 vcc, 0, v3
	s_andn2_b64 s[4:5], s[4:5], exec
	s_and_b64 s[8:9], vcc, exec
	v_mov_b32_e32 v4, 0
	s_or_b64 s[4:5], s[4:5], s[8:9]
	s_or_b64 exec, exec, s[6:7]
	s_and_saveexec_b64 s[6:7], s[4:5]
	s_cbranch_execnz .LBB10_1399
	s_branch .LBB10_1400
.LBB10_3449:
	s_movk_i32 s4, 0x80
	v_cmp_eq_u16_sdwa s[12:13], v9, s4 src0_sel:BYTE_3 src1_sel:DWORD
	s_mov_b64 s[4:5], -1
                                        ; implicit-def: $sgpr10
	s_and_saveexec_b64 s[8:9], s[12:13]
; %bb.3450:
	s_mov_b32 s10, 0x7f800001
	s_xor_b64 s[4:5], exec, -1
; %bb.3451:
	s_or_b64 exec, exec, s[8:9]
	s_and_b64 s[4:5], s[4:5], exec
	s_or_saveexec_b64 s[6:7], s[6:7]
	v_mov_b32_e32 v2, s10
	s_xor_b64 exec, exec, s[6:7]
	s_cbranch_execz .LBB10_1402
.LBB10_3452:
	v_mov_b32_e32 v2, 0
	v_cmp_ne_u16_sdwa s[8:9], v9, v2 src0_sel:BYTE_3 src1_sel:DWORD
	s_andn2_b64 s[4:5], s[4:5], exec
	s_and_b64 s[8:9], s[8:9], exec
	s_or_b64 s[4:5], s[4:5], s[8:9]
	s_or_b64 exec, exec, s[6:7]
	s_and_saveexec_b64 s[6:7], s[4:5]
	s_cbranch_execnz .LBB10_1403
	s_branch .LBB10_1404
.LBB10_3453:
	s_movk_i32 s4, 0x80
	v_cmp_eq_u16_sdwa s[12:13], v5, s4 src0_sel:BYTE_3 src1_sel:DWORD
	s_mov_b64 s[4:5], -1
                                        ; implicit-def: $sgpr10
	s_and_saveexec_b64 s[8:9], s[12:13]
; %bb.3454:
	s_mov_b32 s10, 0x7f800001
	s_xor_b64 s[4:5], exec, -1
; %bb.3455:
	s_or_b64 exec, exec, s[8:9]
	s_and_b64 s[4:5], s[4:5], exec
	s_or_saveexec_b64 s[6:7], s[6:7]
	v_mov_b32_e32 v3, s10
	s_xor_b64 exec, exec, s[6:7]
	s_cbranch_execz .LBB10_1406
.LBB10_3456:
	v_mov_b32_e32 v3, 0
	v_cmp_ne_u16_sdwa s[8:9], v5, v3 src0_sel:BYTE_3 src1_sel:DWORD
	s_andn2_b64 s[4:5], s[4:5], exec
	s_and_b64 s[8:9], s[8:9], exec
	s_or_b64 s[4:5], s[4:5], s[8:9]
	s_or_b64 exec, exec, s[6:7]
	s_and_saveexec_b64 s[6:7], s[4:5]
	s_cbranch_execnz .LBB10_1407
	s_branch .LBB10_1408
.LBB10_3457:
	s_movk_i32 s4, 0x80
	v_cmp_eq_u16_sdwa s[12:13], v6, s4 src0_sel:BYTE_0 src1_sel:DWORD
	s_mov_b64 s[4:5], -1
                                        ; implicit-def: $sgpr10
	s_and_saveexec_b64 s[8:9], s[12:13]
; %bb.3458:
	s_mov_b32 s10, 0x7f800001
	s_xor_b64 s[4:5], exec, -1
; %bb.3459:
	s_or_b64 exec, exec, s[8:9]
	s_and_b64 s[4:5], s[4:5], exec
	s_or_saveexec_b64 s[6:7], s[6:7]
	v_mov_b32_e32 v12, s10
	s_xor_b64 exec, exec, s[6:7]
	s_cbranch_execz .LBB10_1410
.LBB10_3460:
	v_mov_b32_e32 v12, 0
	v_cmp_ne_u16_sdwa s[8:9], v6, v12 src0_sel:BYTE_0 src1_sel:DWORD
	s_andn2_b64 s[4:5], s[4:5], exec
	s_and_b64 s[8:9], s[8:9], exec
	s_or_b64 s[4:5], s[4:5], s[8:9]
	s_or_b64 exec, exec, s[6:7]
	s_and_saveexec_b64 s[6:7], s[4:5]
	s_cbranch_execnz .LBB10_1411
	s_branch .LBB10_1412
.LBB10_3461:
	s_movk_i32 s4, 0x80
	v_cmp_eq_u16_sdwa s[12:13], v2, s4 src0_sel:BYTE_0 src1_sel:DWORD
	s_mov_b64 s[4:5], -1
                                        ; implicit-def: $sgpr10
	s_and_saveexec_b64 s[8:9], s[12:13]
; %bb.3462:
	s_mov_b32 s10, 0x7f800001
	s_xor_b64 s[4:5], exec, -1
; %bb.3463:
	s_or_b64 exec, exec, s[8:9]
	s_and_b64 s[4:5], s[4:5], exec
	s_or_saveexec_b64 s[6:7], s[6:7]
	v_mov_b32_e32 v13, s10
	s_xor_b64 exec, exec, s[6:7]
	s_cbranch_execz .LBB10_1414
.LBB10_3464:
	v_mov_b32_e32 v13, 0
	v_cmp_ne_u16_sdwa s[8:9], v2, v13 src0_sel:BYTE_0 src1_sel:DWORD
	s_andn2_b64 s[4:5], s[4:5], exec
	s_and_b64 s[8:9], s[8:9], exec
	s_or_b64 s[4:5], s[4:5], s[8:9]
	s_or_b64 exec, exec, s[6:7]
	s_and_saveexec_b64 s[6:7], s[4:5]
	s_cbranch_execnz .LBB10_1415
	s_branch .LBB10_1416
.LBB10_3465:
	s_movk_i32 s4, 0x80
	v_cmp_eq_u16_sdwa s[12:13], v13, s4 src0_sel:BYTE_0 src1_sel:DWORD
	s_mov_b64 s[4:5], -1
                                        ; implicit-def: $sgpr10
	s_and_saveexec_b64 s[8:9], s[12:13]
; %bb.3466:
	s_mov_b32 s10, 0x7f800001
	s_xor_b64 s[4:5], exec, -1
; %bb.3467:
	s_or_b64 exec, exec, s[8:9]
	s_and_b64 s[4:5], s[4:5], exec
	s_or_saveexec_b64 s[6:7], s[6:7]
	v_mov_b32_e32 v12, s10
	s_xor_b64 exec, exec, s[6:7]
	s_cbranch_execz .LBB10_1418
.LBB10_3468:
	v_mov_b32_e32 v12, 0
	v_cmp_ne_u16_sdwa s[8:9], v13, v12 src0_sel:BYTE_0 src1_sel:DWORD
	s_andn2_b64 s[4:5], s[4:5], exec
	s_and_b64 s[8:9], s[8:9], exec
	s_or_b64 s[4:5], s[4:5], s[8:9]
	s_or_b64 exec, exec, s[6:7]
	s_and_saveexec_b64 s[6:7], s[4:5]
	s_cbranch_execnz .LBB10_1419
	s_branch .LBB10_1420
.LBB10_3469:
	s_movk_i32 s4, 0x80
	v_cmp_eq_u16_sdwa s[12:13], v13, s4 src0_sel:BYTE_0 src1_sel:DWORD
	s_mov_b64 s[4:5], -1
                                        ; implicit-def: $sgpr10
	s_and_saveexec_b64 s[8:9], s[12:13]
; %bb.3470:
	s_mov_b32 s10, 0x7f800001
	s_xor_b64 s[4:5], exec, -1
; %bb.3471:
	s_or_b64 exec, exec, s[8:9]
	s_and_b64 s[4:5], s[4:5], exec
	s_or_saveexec_b64 s[6:7], s[6:7]
	v_mov_b32_e32 v14, s10
	s_xor_b64 exec, exec, s[6:7]
	s_cbranch_execz .LBB10_1422
.LBB10_3472:
	v_mov_b32_e32 v14, 0
	v_cmp_ne_u16_sdwa s[8:9], v13, v14 src0_sel:BYTE_0 src1_sel:DWORD
	s_andn2_b64 s[4:5], s[4:5], exec
	s_and_b64 s[8:9], s[8:9], exec
	s_or_b64 s[4:5], s[4:5], s[8:9]
	s_or_b64 exec, exec, s[6:7]
	s_and_saveexec_b64 s[6:7], s[4:5]
	s_cbranch_execnz .LBB10_1423
	s_branch .LBB10_1424
.LBB10_3473:
	s_movk_i32 s4, 0x80
	v_cmp_eq_u16_e32 vcc, s4, v13
	s_mov_b64 s[4:5], -1
                                        ; implicit-def: $sgpr10
	s_and_saveexec_b64 s[8:9], vcc
; %bb.3474:
	s_mov_b32 s10, 0x7f800001
	s_xor_b64 s[4:5], exec, -1
; %bb.3475:
	s_or_b64 exec, exec, s[8:9]
	s_and_b64 s[4:5], s[4:5], exec
                                        ; implicit-def: $vgpr13
	s_or_saveexec_b64 s[6:7], s[6:7]
	v_mov_b32_e32 v12, s10
	s_xor_b64 exec, exec, s[6:7]
	s_cbranch_execz .LBB10_1426
.LBB10_3476:
	v_cmp_ne_u16_e32 vcc, 0, v13
	s_andn2_b64 s[4:5], s[4:5], exec
	s_and_b64 s[8:9], vcc, exec
	v_mov_b32_e32 v12, 0
	s_or_b64 s[4:5], s[4:5], s[8:9]
	s_or_b64 exec, exec, s[6:7]
	s_and_saveexec_b64 s[6:7], s[4:5]
	s_cbranch_execnz .LBB10_1427
	s_branch .LBB10_1428
.LBB10_3477:
	s_movk_i32 s4, 0x80
	v_cmp_eq_u16_e32 vcc, s4, v13
	s_mov_b64 s[4:5], -1
                                        ; implicit-def: $sgpr10
	s_and_saveexec_b64 s[8:9], vcc
; %bb.3478:
	s_mov_b32 s10, 0x7f800001
	s_xor_b64 s[4:5], exec, -1
; %bb.3479:
	s_or_b64 exec, exec, s[8:9]
	s_and_b64 s[4:5], s[4:5], exec
                                        ; implicit-def: $vgpr13
	s_or_saveexec_b64 s[6:7], s[6:7]
	v_mov_b32_e32 v14, s10
	s_xor_b64 exec, exec, s[6:7]
	s_cbranch_execz .LBB10_1430
.LBB10_3480:
	v_cmp_ne_u16_e32 vcc, 0, v13
	s_andn2_b64 s[4:5], s[4:5], exec
	s_and_b64 s[8:9], vcc, exec
	v_mov_b32_e32 v14, 0
	s_or_b64 s[4:5], s[4:5], s[8:9]
	s_or_b64 exec, exec, s[6:7]
	s_and_saveexec_b64 s[6:7], s[4:5]
	s_cbranch_execnz .LBB10_1431
	s_branch .LBB10_1432
.LBB10_3481:
	s_movk_i32 s4, 0x80
	v_cmp_eq_u16_sdwa s[12:13], v6, s4 src0_sel:BYTE_3 src1_sel:DWORD
	s_mov_b64 s[4:5], -1
                                        ; implicit-def: $sgpr10
	s_and_saveexec_b64 s[8:9], s[12:13]
; %bb.3482:
	s_mov_b32 s10, 0x7f800001
	s_xor_b64 s[4:5], exec, -1
; %bb.3483:
	s_or_b64 exec, exec, s[8:9]
	s_and_b64 s[4:5], s[4:5], exec
	s_or_saveexec_b64 s[6:7], s[6:7]
	v_mov_b32_e32 v12, s10
	s_xor_b64 exec, exec, s[6:7]
	s_cbranch_execz .LBB10_1434
.LBB10_3484:
	v_mov_b32_e32 v12, 0
	v_cmp_ne_u16_sdwa s[8:9], v6, v12 src0_sel:BYTE_3 src1_sel:DWORD
	s_andn2_b64 s[4:5], s[4:5], exec
	s_and_b64 s[8:9], s[8:9], exec
	s_or_b64 s[4:5], s[4:5], s[8:9]
	s_or_b64 exec, exec, s[6:7]
	s_and_saveexec_b64 s[6:7], s[4:5]
	s_cbranch_execnz .LBB10_1435
	s_branch .LBB10_1436
.LBB10_3485:
	s_movk_i32 s4, 0x80
	v_cmp_eq_u16_sdwa s[12:13], v2, s4 src0_sel:BYTE_3 src1_sel:DWORD
	s_mov_b64 s[4:5], -1
                                        ; implicit-def: $sgpr10
	s_and_saveexec_b64 s[8:9], s[12:13]
; %bb.3486:
	s_mov_b32 s10, 0x7f800001
	s_xor_b64 s[4:5], exec, -1
; %bb.3487:
	s_or_b64 exec, exec, s[8:9]
	s_and_b64 s[4:5], s[4:5], exec
	s_or_saveexec_b64 s[6:7], s[6:7]
	v_mov_b32_e32 v6, s10
	s_xor_b64 exec, exec, s[6:7]
	s_cbranch_execz .LBB10_1438
.LBB10_3488:
	v_mov_b32_e32 v6, 0
	v_cmp_ne_u16_sdwa s[8:9], v2, v6 src0_sel:BYTE_3 src1_sel:DWORD
	s_andn2_b64 s[4:5], s[4:5], exec
	s_and_b64 s[8:9], s[8:9], exec
	s_or_b64 s[4:5], s[4:5], s[8:9]
	s_or_b64 exec, exec, s[6:7]
	s_and_saveexec_b64 s[6:7], s[4:5]
	s_cbranch_execnz .LBB10_1439
	s_branch .LBB10_1440
.LBB10_3489:
	s_movk_i32 s4, 0x80
	v_cmp_eq_u16_sdwa s[12:13], v7, s4 src0_sel:BYTE_0 src1_sel:DWORD
	s_mov_b64 s[4:5], -1
                                        ; implicit-def: $sgpr10
	s_and_saveexec_b64 s[8:9], s[12:13]
; %bb.3490:
	s_mov_b32 s10, 0x7f800001
	s_xor_b64 s[4:5], exec, -1
; %bb.3491:
	s_or_b64 exec, exec, s[8:9]
	s_and_b64 s[4:5], s[4:5], exec
	s_or_saveexec_b64 s[6:7], s[6:7]
	v_mov_b32_e32 v2, s10
	s_xor_b64 exec, exec, s[6:7]
	s_cbranch_execz .LBB10_1442
.LBB10_3492:
	v_mov_b32_e32 v2, 0
	v_cmp_ne_u16_sdwa s[8:9], v7, v2 src0_sel:BYTE_0 src1_sel:DWORD
	s_andn2_b64 s[4:5], s[4:5], exec
	s_and_b64 s[8:9], s[8:9], exec
	s_or_b64 s[4:5], s[4:5], s[8:9]
	s_or_b64 exec, exec, s[6:7]
	s_and_saveexec_b64 s[6:7], s[4:5]
	s_cbranch_execnz .LBB10_1443
	s_branch .LBB10_1444
.LBB10_3493:
	s_movk_i32 s4, 0x80
	v_cmp_eq_u16_sdwa s[12:13], v3, s4 src0_sel:BYTE_0 src1_sel:DWORD
	s_mov_b64 s[4:5], -1
                                        ; implicit-def: $sgpr10
	s_and_saveexec_b64 s[8:9], s[12:13]
; %bb.3494:
	s_mov_b32 s10, 0x7f800001
	s_xor_b64 s[4:5], exec, -1
; %bb.3495:
	s_or_b64 exec, exec, s[8:9]
	s_and_b64 s[4:5], s[4:5], exec
	s_or_saveexec_b64 s[6:7], s[6:7]
	v_mov_b32_e32 v6, s10
	s_xor_b64 exec, exec, s[6:7]
	s_cbranch_execz .LBB10_1446
.LBB10_3496:
	v_mov_b32_e32 v6, 0
	v_cmp_ne_u16_sdwa s[8:9], v3, v6 src0_sel:BYTE_0 src1_sel:DWORD
	s_andn2_b64 s[4:5], s[4:5], exec
	s_and_b64 s[8:9], s[8:9], exec
	s_or_b64 s[4:5], s[4:5], s[8:9]
	s_or_b64 exec, exec, s[6:7]
	s_and_saveexec_b64 s[6:7], s[4:5]
	s_cbranch_execnz .LBB10_1447
	s_branch .LBB10_1448
.LBB10_3497:
	s_movk_i32 s4, 0x80
	v_cmp_eq_u16_sdwa s[12:13], v6, s4 src0_sel:BYTE_0 src1_sel:DWORD
	s_mov_b64 s[4:5], -1
                                        ; implicit-def: $sgpr10
	s_and_saveexec_b64 s[8:9], s[12:13]
; %bb.3498:
	s_mov_b32 s10, 0x7f800001
	s_xor_b64 s[4:5], exec, -1
; %bb.3499:
	s_or_b64 exec, exec, s[8:9]
	s_and_b64 s[4:5], s[4:5], exec
	s_or_saveexec_b64 s[6:7], s[6:7]
	v_mov_b32_e32 v2, s10
	s_xor_b64 exec, exec, s[6:7]
	s_cbranch_execz .LBB10_1450
.LBB10_3500:
	v_mov_b32_e32 v2, 0
	v_cmp_ne_u16_sdwa s[8:9], v6, v2 src0_sel:BYTE_0 src1_sel:DWORD
	s_andn2_b64 s[4:5], s[4:5], exec
	s_and_b64 s[8:9], s[8:9], exec
	s_or_b64 s[4:5], s[4:5], s[8:9]
	s_or_b64 exec, exec, s[6:7]
	s_and_saveexec_b64 s[6:7], s[4:5]
	s_cbranch_execnz .LBB10_1451
	s_branch .LBB10_1452
.LBB10_3501:
	s_movk_i32 s4, 0x80
	v_cmp_eq_u16_sdwa s[12:13], v6, s4 src0_sel:BYTE_0 src1_sel:DWORD
	s_mov_b64 s[4:5], -1
                                        ; implicit-def: $sgpr10
	s_and_saveexec_b64 s[8:9], s[12:13]
; %bb.3502:
	s_mov_b32 s10, 0x7f800001
	s_xor_b64 s[4:5], exec, -1
; %bb.3503:
	s_or_b64 exec, exec, s[8:9]
	s_and_b64 s[4:5], s[4:5], exec
	s_or_saveexec_b64 s[6:7], s[6:7]
	v_mov_b32_e32 v12, s10
	s_xor_b64 exec, exec, s[6:7]
	s_cbranch_execz .LBB10_1454
.LBB10_3504:
	v_mov_b32_e32 v12, 0
	v_cmp_ne_u16_sdwa s[8:9], v6, v12 src0_sel:BYTE_0 src1_sel:DWORD
	s_andn2_b64 s[4:5], s[4:5], exec
	s_and_b64 s[8:9], s[8:9], exec
	s_or_b64 s[4:5], s[4:5], s[8:9]
	s_or_b64 exec, exec, s[6:7]
	s_and_saveexec_b64 s[6:7], s[4:5]
	s_cbranch_execnz .LBB10_1455
	s_branch .LBB10_1456
.LBB10_3505:
	s_movk_i32 s4, 0x80
	v_cmp_eq_u16_e32 vcc, s4, v6
	s_mov_b64 s[4:5], -1
                                        ; implicit-def: $sgpr10
	s_and_saveexec_b64 s[8:9], vcc
; %bb.3506:
	s_mov_b32 s10, 0x7f800001
	s_xor_b64 s[4:5], exec, -1
; %bb.3507:
	s_or_b64 exec, exec, s[8:9]
	s_and_b64 s[4:5], s[4:5], exec
                                        ; implicit-def: $vgpr6
	s_or_saveexec_b64 s[6:7], s[6:7]
	v_mov_b32_e32 v2, s10
	s_xor_b64 exec, exec, s[6:7]
	s_cbranch_execz .LBB10_1458
.LBB10_3508:
	v_cmp_ne_u16_e32 vcc, 0, v6
	s_andn2_b64 s[4:5], s[4:5], exec
	s_and_b64 s[8:9], vcc, exec
	v_mov_b32_e32 v2, 0
	s_or_b64 s[4:5], s[4:5], s[8:9]
	s_or_b64 exec, exec, s[6:7]
	s_and_saveexec_b64 s[6:7], s[4:5]
	s_cbranch_execnz .LBB10_1459
	s_branch .LBB10_1460
.LBB10_3509:
	s_movk_i32 s4, 0x80
	v_cmp_eq_u16_e32 vcc, s4, v6
	s_mov_b64 s[4:5], -1
                                        ; implicit-def: $sgpr10
	s_and_saveexec_b64 s[8:9], vcc
; %bb.3510:
	s_mov_b32 s10, 0x7f800001
	s_xor_b64 s[4:5], exec, -1
; %bb.3511:
	s_or_b64 exec, exec, s[8:9]
	s_and_b64 s[4:5], s[4:5], exec
                                        ; implicit-def: $vgpr6
	s_or_saveexec_b64 s[6:7], s[6:7]
	v_mov_b32_e32 v12, s10
	s_xor_b64 exec, exec, s[6:7]
	s_cbranch_execz .LBB10_1462
.LBB10_3512:
	v_cmp_ne_u16_e32 vcc, 0, v6
	s_andn2_b64 s[4:5], s[4:5], exec
	s_and_b64 s[8:9], vcc, exec
	v_mov_b32_e32 v12, 0
	s_or_b64 s[4:5], s[4:5], s[8:9]
	s_or_b64 exec, exec, s[6:7]
	s_and_saveexec_b64 s[6:7], s[4:5]
	s_cbranch_execnz .LBB10_1463
	s_branch .LBB10_1464
.LBB10_3513:
	s_movk_i32 s4, 0x80
	v_cmp_eq_u16_sdwa s[12:13], v7, s4 src0_sel:BYTE_3 src1_sel:DWORD
	s_mov_b64 s[4:5], -1
                                        ; implicit-def: $sgpr10
	s_and_saveexec_b64 s[8:9], s[12:13]
; %bb.3514:
	s_mov_b32 s10, 0x7f800001
	s_xor_b64 s[4:5], exec, -1
; %bb.3515:
	s_or_b64 exec, exec, s[8:9]
	s_and_b64 s[4:5], s[4:5], exec
	s_or_saveexec_b64 s[6:7], s[6:7]
	v_mov_b32_e32 v2, s10
	s_xor_b64 exec, exec, s[6:7]
	s_cbranch_execz .LBB10_1466
.LBB10_3516:
	v_mov_b32_e32 v2, 0
	v_cmp_ne_u16_sdwa s[8:9], v7, v2 src0_sel:BYTE_3 src1_sel:DWORD
	s_andn2_b64 s[4:5], s[4:5], exec
	s_and_b64 s[8:9], s[8:9], exec
	s_or_b64 s[4:5], s[4:5], s[8:9]
	s_or_b64 exec, exec, s[6:7]
	s_and_saveexec_b64 s[6:7], s[4:5]
	s_cbranch_execnz .LBB10_1467
	s_branch .LBB10_1468
.LBB10_3517:
	s_movk_i32 s4, 0x80
	v_cmp_eq_u16_sdwa s[12:13], v3, s4 src0_sel:BYTE_3 src1_sel:DWORD
	s_mov_b64 s[4:5], -1
                                        ; implicit-def: $sgpr10
	s_and_saveexec_b64 s[8:9], s[12:13]
; %bb.3518:
	s_mov_b32 s10, 0x7f800001
	s_xor_b64 s[4:5], exec, -1
; %bb.3519:
	s_or_b64 exec, exec, s[8:9]
	s_and_b64 s[4:5], s[4:5], exec
	s_or_saveexec_b64 s[6:7], s[6:7]
	v_mov_b32_e32 v6, s10
	s_xor_b64 exec, exec, s[6:7]
	s_cbranch_execz .LBB10_1470
.LBB10_3520:
	v_mov_b32_e32 v6, 0
	v_cmp_ne_u16_sdwa s[8:9], v3, v6 src0_sel:BYTE_3 src1_sel:DWORD
	s_andn2_b64 s[4:5], s[4:5], exec
	s_and_b64 s[8:9], s[8:9], exec
	s_or_b64 s[4:5], s[4:5], s[8:9]
	s_or_b64 exec, exec, s[6:7]
	s_and_saveexec_b64 s[6:7], s[4:5]
	s_cbranch_execnz .LBB10_1471
	s_branch .LBB10_1472
.LBB10_3521:
	s_movk_i32 s4, 0x80
	v_cmp_eq_u16_sdwa s[12:13], v8, s4 src0_sel:BYTE_0 src1_sel:DWORD
	s_mov_b64 s[4:5], -1
                                        ; implicit-def: $sgpr10
	s_and_saveexec_b64 s[8:9], s[12:13]
; %bb.3522:
	s_mov_b32 s10, 0x7f800001
	s_xor_b64 s[4:5], exec, -1
; %bb.3523:
	s_or_b64 exec, exec, s[8:9]
	s_and_b64 s[4:5], s[4:5], exec
	s_or_saveexec_b64 s[6:7], s[6:7]
	v_mov_b32_e32 v2, s10
	s_xor_b64 exec, exec, s[6:7]
	s_cbranch_execz .LBB10_1474
.LBB10_3524:
	v_mov_b32_e32 v2, 0
	v_cmp_ne_u16_sdwa s[8:9], v8, v2 src0_sel:BYTE_0 src1_sel:DWORD
	s_andn2_b64 s[4:5], s[4:5], exec
	s_and_b64 s[8:9], s[8:9], exec
	s_or_b64 s[4:5], s[4:5], s[8:9]
	s_or_b64 exec, exec, s[6:7]
	s_and_saveexec_b64 s[6:7], s[4:5]
	s_cbranch_execnz .LBB10_1475
	s_branch .LBB10_1476
.LBB10_3525:
	s_movk_i32 s4, 0x80
	v_cmp_eq_u16_sdwa s[12:13], v4, s4 src0_sel:BYTE_0 src1_sel:DWORD
	s_mov_b64 s[4:5], -1
                                        ; implicit-def: $sgpr10
	s_and_saveexec_b64 s[8:9], s[12:13]
; %bb.3526:
	s_mov_b32 s10, 0x7f800001
	s_xor_b64 s[4:5], exec, -1
; %bb.3527:
	s_or_b64 exec, exec, s[8:9]
	s_and_b64 s[4:5], s[4:5], exec
	s_or_saveexec_b64 s[6:7], s[6:7]
	v_mov_b32_e32 v3, s10
	s_xor_b64 exec, exec, s[6:7]
	s_cbranch_execz .LBB10_1478
.LBB10_3528:
	v_mov_b32_e32 v3, 0
	v_cmp_ne_u16_sdwa s[8:9], v4, v3 src0_sel:BYTE_0 src1_sel:DWORD
	s_andn2_b64 s[4:5], s[4:5], exec
	s_and_b64 s[8:9], s[8:9], exec
	s_or_b64 s[4:5], s[4:5], s[8:9]
	s_or_b64 exec, exec, s[6:7]
	s_and_saveexec_b64 s[6:7], s[4:5]
	s_cbranch_execnz .LBB10_1479
	s_branch .LBB10_1480
.LBB10_3529:
	s_movk_i32 s4, 0x80
	v_cmp_eq_u16_sdwa s[12:13], v3, s4 src0_sel:BYTE_0 src1_sel:DWORD
	s_mov_b64 s[4:5], -1
                                        ; implicit-def: $sgpr10
	s_and_saveexec_b64 s[8:9], s[12:13]
; %bb.3530:
	s_mov_b32 s10, 0x7f800001
	s_xor_b64 s[4:5], exec, -1
; %bb.3531:
	s_or_b64 exec, exec, s[8:9]
	s_and_b64 s[4:5], s[4:5], exec
	s_or_saveexec_b64 s[6:7], s[6:7]
	v_mov_b32_e32 v2, s10
	s_xor_b64 exec, exec, s[6:7]
	s_cbranch_execz .LBB10_1482
.LBB10_3532:
	v_mov_b32_e32 v2, 0
	v_cmp_ne_u16_sdwa s[8:9], v3, v2 src0_sel:BYTE_0 src1_sel:DWORD
	s_andn2_b64 s[4:5], s[4:5], exec
	s_and_b64 s[8:9], s[8:9], exec
	s_or_b64 s[4:5], s[4:5], s[8:9]
	s_or_b64 exec, exec, s[6:7]
	s_and_saveexec_b64 s[6:7], s[4:5]
	s_cbranch_execnz .LBB10_1483
	s_branch .LBB10_1484
.LBB10_3533:
	s_movk_i32 s4, 0x80
	v_cmp_eq_u16_sdwa s[12:13], v3, s4 src0_sel:BYTE_0 src1_sel:DWORD
	s_mov_b64 s[4:5], -1
                                        ; implicit-def: $sgpr10
	s_and_saveexec_b64 s[8:9], s[12:13]
; %bb.3534:
	s_mov_b32 s10, 0x7f800001
	s_xor_b64 s[4:5], exec, -1
; %bb.3535:
	s_or_b64 exec, exec, s[8:9]
	s_and_b64 s[4:5], s[4:5], exec
	s_or_saveexec_b64 s[6:7], s[6:7]
	v_mov_b32_e32 v6, s10
	s_xor_b64 exec, exec, s[6:7]
	s_cbranch_execz .LBB10_1486
.LBB10_3536:
	v_mov_b32_e32 v6, 0
	v_cmp_ne_u16_sdwa s[8:9], v3, v6 src0_sel:BYTE_0 src1_sel:DWORD
	s_andn2_b64 s[4:5], s[4:5], exec
	s_and_b64 s[8:9], s[8:9], exec
	s_or_b64 s[4:5], s[4:5], s[8:9]
	s_or_b64 exec, exec, s[6:7]
	s_and_saveexec_b64 s[6:7], s[4:5]
	s_cbranch_execnz .LBB10_1487
	s_branch .LBB10_1488
.LBB10_3537:
	s_movk_i32 s4, 0x80
	v_cmp_eq_u16_e32 vcc, s4, v3
	s_mov_b64 s[4:5], -1
                                        ; implicit-def: $sgpr10
	s_and_saveexec_b64 s[8:9], vcc
; %bb.3538:
	s_mov_b32 s10, 0x7f800001
	s_xor_b64 s[4:5], exec, -1
; %bb.3539:
	s_or_b64 exec, exec, s[8:9]
	s_and_b64 s[4:5], s[4:5], exec
                                        ; implicit-def: $vgpr3
	s_or_saveexec_b64 s[6:7], s[6:7]
	v_mov_b32_e32 v2, s10
	s_xor_b64 exec, exec, s[6:7]
	s_cbranch_execz .LBB10_1490
.LBB10_3540:
	v_cmp_ne_u16_e32 vcc, 0, v3
	s_andn2_b64 s[4:5], s[4:5], exec
	s_and_b64 s[8:9], vcc, exec
	v_mov_b32_e32 v2, 0
	s_or_b64 s[4:5], s[4:5], s[8:9]
	s_or_b64 exec, exec, s[6:7]
	s_and_saveexec_b64 s[6:7], s[4:5]
	s_cbranch_execnz .LBB10_1491
	s_branch .LBB10_1492
.LBB10_3541:
	s_movk_i32 s4, 0x80
	v_cmp_eq_u16_e32 vcc, s4, v3
	s_mov_b64 s[4:5], -1
                                        ; implicit-def: $sgpr10
	s_and_saveexec_b64 s[8:9], vcc
; %bb.3542:
	s_mov_b32 s10, 0x7f800001
	s_xor_b64 s[4:5], exec, -1
; %bb.3543:
	s_or_b64 exec, exec, s[8:9]
	s_and_b64 s[4:5], s[4:5], exec
                                        ; implicit-def: $vgpr3
	s_or_saveexec_b64 s[6:7], s[6:7]
	v_mov_b32_e32 v6, s10
	s_xor_b64 exec, exec, s[6:7]
	s_cbranch_execz .LBB10_1494
.LBB10_3544:
	v_cmp_ne_u16_e32 vcc, 0, v3
	s_andn2_b64 s[4:5], s[4:5], exec
	s_and_b64 s[8:9], vcc, exec
	v_mov_b32_e32 v6, 0
	s_or_b64 s[4:5], s[4:5], s[8:9]
	s_or_b64 exec, exec, s[6:7]
	s_and_saveexec_b64 s[6:7], s[4:5]
	s_cbranch_execnz .LBB10_1495
	s_branch .LBB10_1496
.LBB10_3545:
	s_movk_i32 s4, 0x80
	v_cmp_eq_u16_sdwa s[12:13], v8, s4 src0_sel:BYTE_3 src1_sel:DWORD
	s_mov_b64 s[4:5], -1
                                        ; implicit-def: $sgpr10
	s_and_saveexec_b64 s[8:9], s[12:13]
; %bb.3546:
	s_mov_b32 s10, 0x7f800001
	s_xor_b64 s[4:5], exec, -1
; %bb.3547:
	s_or_b64 exec, exec, s[8:9]
	s_and_b64 s[4:5], s[4:5], exec
	s_or_saveexec_b64 s[6:7], s[6:7]
	v_mov_b32_e32 v2, s10
	s_xor_b64 exec, exec, s[6:7]
	s_cbranch_execz .LBB10_1498
.LBB10_3548:
	v_mov_b32_e32 v2, 0
	v_cmp_ne_u16_sdwa s[8:9], v8, v2 src0_sel:BYTE_3 src1_sel:DWORD
	s_andn2_b64 s[4:5], s[4:5], exec
	s_and_b64 s[8:9], s[8:9], exec
	s_or_b64 s[4:5], s[4:5], s[8:9]
	s_or_b64 exec, exec, s[6:7]
	s_and_saveexec_b64 s[6:7], s[4:5]
	s_cbranch_execnz .LBB10_1499
	s_branch .LBB10_1500
.LBB10_3549:
	s_movk_i32 s4, 0x80
	v_cmp_eq_u16_sdwa s[12:13], v4, s4 src0_sel:BYTE_3 src1_sel:DWORD
	s_mov_b64 s[4:5], -1
                                        ; implicit-def: $sgpr10
	s_and_saveexec_b64 s[8:9], s[12:13]
; %bb.3550:
	s_mov_b32 s10, 0x7f800001
	s_xor_b64 s[4:5], exec, -1
; %bb.3551:
	s_or_b64 exec, exec, s[8:9]
	s_and_b64 s[4:5], s[4:5], exec
	s_or_saveexec_b64 s[6:7], s[6:7]
	v_mov_b32_e32 v3, s10
	s_xor_b64 exec, exec, s[6:7]
	s_cbranch_execz .LBB10_1502
.LBB10_3552:
	v_mov_b32_e32 v3, 0
	v_cmp_ne_u16_sdwa s[8:9], v4, v3 src0_sel:BYTE_3 src1_sel:DWORD
	s_andn2_b64 s[4:5], s[4:5], exec
	s_and_b64 s[8:9], s[8:9], exec
	s_or_b64 s[4:5], s[4:5], s[8:9]
	s_or_b64 exec, exec, s[6:7]
	s_and_saveexec_b64 s[6:7], s[4:5]
	s_cbranch_execnz .LBB10_1503
	s_branch .LBB10_1504
.LBB10_3553:
	s_movk_i32 s4, 0x80
	v_cmp_eq_u16_sdwa s[12:13], v9, s4 src0_sel:BYTE_0 src1_sel:DWORD
	s_mov_b64 s[4:5], -1
                                        ; implicit-def: $sgpr10
	s_and_saveexec_b64 s[8:9], s[12:13]
; %bb.3554:
	s_mov_b32 s10, 0x7f800001
	s_xor_b64 s[4:5], exec, -1
; %bb.3555:
	s_or_b64 exec, exec, s[8:9]
	s_and_b64 s[4:5], s[4:5], exec
	s_or_saveexec_b64 s[6:7], s[6:7]
	v_mov_b32_e32 v2, s10
	s_xor_b64 exec, exec, s[6:7]
	s_cbranch_execz .LBB10_1506
.LBB10_3556:
	v_mov_b32_e32 v2, 0
	v_cmp_ne_u16_sdwa s[8:9], v9, v2 src0_sel:BYTE_0 src1_sel:DWORD
	s_andn2_b64 s[4:5], s[4:5], exec
	s_and_b64 s[8:9], s[8:9], exec
	s_or_b64 s[4:5], s[4:5], s[8:9]
	s_or_b64 exec, exec, s[6:7]
	s_and_saveexec_b64 s[6:7], s[4:5]
	s_cbranch_execnz .LBB10_1507
	s_branch .LBB10_1508
.LBB10_3557:
	s_movk_i32 s4, 0x80
	v_cmp_eq_u16_sdwa s[12:13], v5, s4 src0_sel:BYTE_0 src1_sel:DWORD
	s_mov_b64 s[4:5], -1
                                        ; implicit-def: $sgpr10
	s_and_saveexec_b64 s[8:9], s[12:13]
; %bb.3558:
	s_mov_b32 s10, 0x7f800001
	s_xor_b64 s[4:5], exec, -1
; %bb.3559:
	s_or_b64 exec, exec, s[8:9]
	s_and_b64 s[4:5], s[4:5], exec
	s_or_saveexec_b64 s[6:7], s[6:7]
	v_mov_b32_e32 v3, s10
	s_xor_b64 exec, exec, s[6:7]
	s_cbranch_execz .LBB10_1510
.LBB10_3560:
	v_mov_b32_e32 v3, 0
	v_cmp_ne_u16_sdwa s[8:9], v5, v3 src0_sel:BYTE_0 src1_sel:DWORD
	s_andn2_b64 s[4:5], s[4:5], exec
	s_and_b64 s[8:9], s[8:9], exec
	s_or_b64 s[4:5], s[4:5], s[8:9]
	s_or_b64 exec, exec, s[6:7]
	s_and_saveexec_b64 s[6:7], s[4:5]
	s_cbranch_execnz .LBB10_1511
	s_branch .LBB10_1512
.LBB10_3561:
	s_movk_i32 s4, 0x80
	v_cmp_eq_u16_sdwa s[12:13], v3, s4 src0_sel:BYTE_0 src1_sel:DWORD
	s_mov_b64 s[4:5], -1
                                        ; implicit-def: $sgpr10
	s_and_saveexec_b64 s[8:9], s[12:13]
; %bb.3562:
	s_mov_b32 s10, 0x7f800001
	s_xor_b64 s[4:5], exec, -1
; %bb.3563:
	s_or_b64 exec, exec, s[8:9]
	s_and_b64 s[4:5], s[4:5], exec
	s_or_saveexec_b64 s[6:7], s[6:7]
	v_mov_b32_e32 v2, s10
	s_xor_b64 exec, exec, s[6:7]
	s_cbranch_execz .LBB10_1514
.LBB10_3564:
	v_mov_b32_e32 v2, 0
	v_cmp_ne_u16_sdwa s[8:9], v3, v2 src0_sel:BYTE_0 src1_sel:DWORD
	s_andn2_b64 s[4:5], s[4:5], exec
	s_and_b64 s[8:9], s[8:9], exec
	s_or_b64 s[4:5], s[4:5], s[8:9]
	s_or_b64 exec, exec, s[6:7]
	s_and_saveexec_b64 s[6:7], s[4:5]
	s_cbranch_execnz .LBB10_1515
	s_branch .LBB10_1516
.LBB10_3565:
	s_movk_i32 s4, 0x80
	v_cmp_eq_u16_sdwa s[12:13], v3, s4 src0_sel:BYTE_0 src1_sel:DWORD
	s_mov_b64 s[4:5], -1
                                        ; implicit-def: $sgpr10
	s_and_saveexec_b64 s[8:9], s[12:13]
; %bb.3566:
	s_mov_b32 s10, 0x7f800001
	s_xor_b64 s[4:5], exec, -1
; %bb.3567:
	s_or_b64 exec, exec, s[8:9]
	s_and_b64 s[4:5], s[4:5], exec
	s_or_saveexec_b64 s[6:7], s[6:7]
	v_mov_b32_e32 v4, s10
	s_xor_b64 exec, exec, s[6:7]
	s_cbranch_execz .LBB10_1518
.LBB10_3568:
	v_mov_b32_e32 v4, 0
	v_cmp_ne_u16_sdwa s[8:9], v3, v4 src0_sel:BYTE_0 src1_sel:DWORD
	s_andn2_b64 s[4:5], s[4:5], exec
	s_and_b64 s[8:9], s[8:9], exec
	s_or_b64 s[4:5], s[4:5], s[8:9]
	s_or_b64 exec, exec, s[6:7]
	s_and_saveexec_b64 s[6:7], s[4:5]
	s_cbranch_execnz .LBB10_1519
	s_branch .LBB10_1520
.LBB10_3569:
	s_movk_i32 s4, 0x80
	v_cmp_eq_u16_e32 vcc, s4, v3
	s_mov_b64 s[4:5], -1
                                        ; implicit-def: $sgpr10
	s_and_saveexec_b64 s[8:9], vcc
; %bb.3570:
	s_mov_b32 s10, 0x7f800001
	s_xor_b64 s[4:5], exec, -1
; %bb.3571:
	s_or_b64 exec, exec, s[8:9]
	s_and_b64 s[4:5], s[4:5], exec
                                        ; implicit-def: $vgpr3
	s_or_saveexec_b64 s[6:7], s[6:7]
	v_mov_b32_e32 v2, s10
	s_xor_b64 exec, exec, s[6:7]
	s_cbranch_execz .LBB10_1522
.LBB10_3572:
	v_cmp_ne_u16_e32 vcc, 0, v3
	s_andn2_b64 s[4:5], s[4:5], exec
	s_and_b64 s[8:9], vcc, exec
	v_mov_b32_e32 v2, 0
	s_or_b64 s[4:5], s[4:5], s[8:9]
	s_or_b64 exec, exec, s[6:7]
	s_and_saveexec_b64 s[6:7], s[4:5]
	s_cbranch_execnz .LBB10_1523
	s_branch .LBB10_1524
.LBB10_3573:
	s_movk_i32 s4, 0x80
	v_cmp_eq_u16_e32 vcc, s4, v3
	s_mov_b64 s[4:5], -1
                                        ; implicit-def: $sgpr10
	s_and_saveexec_b64 s[8:9], vcc
; %bb.3574:
	s_mov_b32 s10, 0x7f800001
	s_xor_b64 s[4:5], exec, -1
; %bb.3575:
	s_or_b64 exec, exec, s[8:9]
	s_and_b64 s[4:5], s[4:5], exec
                                        ; implicit-def: $vgpr3
	s_or_saveexec_b64 s[6:7], s[6:7]
	v_mov_b32_e32 v4, s10
	s_xor_b64 exec, exec, s[6:7]
	s_cbranch_execz .LBB10_1526
.LBB10_3576:
	v_cmp_ne_u16_e32 vcc, 0, v3
	s_andn2_b64 s[4:5], s[4:5], exec
	s_and_b64 s[8:9], vcc, exec
	v_mov_b32_e32 v4, 0
	s_or_b64 s[4:5], s[4:5], s[8:9]
	s_or_b64 exec, exec, s[6:7]
	s_and_saveexec_b64 s[6:7], s[4:5]
	s_cbranch_execnz .LBB10_1527
	s_branch .LBB10_1528
.LBB10_3577:
	s_movk_i32 s4, 0x80
	v_cmp_eq_u16_sdwa s[12:13], v9, s4 src0_sel:BYTE_3 src1_sel:DWORD
	s_mov_b64 s[4:5], -1
                                        ; implicit-def: $sgpr10
	s_and_saveexec_b64 s[8:9], s[12:13]
; %bb.3578:
	s_mov_b32 s10, 0x7f800001
	s_xor_b64 s[4:5], exec, -1
; %bb.3579:
	s_or_b64 exec, exec, s[8:9]
	s_and_b64 s[4:5], s[4:5], exec
	s_or_saveexec_b64 s[6:7], s[6:7]
	v_mov_b32_e32 v2, s10
	s_xor_b64 exec, exec, s[6:7]
	s_cbranch_execz .LBB10_1530
.LBB10_3580:
	v_mov_b32_e32 v2, 0
	v_cmp_ne_u16_sdwa s[8:9], v9, v2 src0_sel:BYTE_3 src1_sel:DWORD
	s_andn2_b64 s[4:5], s[4:5], exec
	s_and_b64 s[8:9], s[8:9], exec
	s_or_b64 s[4:5], s[4:5], s[8:9]
	s_or_b64 exec, exec, s[6:7]
	s_and_saveexec_b64 s[6:7], s[4:5]
	s_cbranch_execnz .LBB10_1531
	s_branch .LBB10_1532
.LBB10_3581:
	s_movk_i32 s4, 0x80
	v_cmp_eq_u16_sdwa s[12:13], v5, s4 src0_sel:BYTE_3 src1_sel:DWORD
	s_mov_b64 s[4:5], -1
                                        ; implicit-def: $sgpr10
	s_and_saveexec_b64 s[8:9], s[12:13]
; %bb.3582:
	s_mov_b32 s10, 0x7f800001
	s_xor_b64 s[4:5], exec, -1
; %bb.3583:
	s_or_b64 exec, exec, s[8:9]
	s_and_b64 s[4:5], s[4:5], exec
	s_or_saveexec_b64 s[6:7], s[6:7]
	v_mov_b32_e32 v3, s10
	s_xor_b64 exec, exec, s[6:7]
	s_cbranch_execz .LBB10_1534
.LBB10_3584:
	v_mov_b32_e32 v3, 0
	v_cmp_ne_u16_sdwa s[8:9], v5, v3 src0_sel:BYTE_3 src1_sel:DWORD
	s_andn2_b64 s[4:5], s[4:5], exec
	s_and_b64 s[8:9], s[8:9], exec
	s_or_b64 s[4:5], s[4:5], s[8:9]
	s_or_b64 exec, exec, s[6:7]
	s_and_saveexec_b64 s[6:7], s[4:5]
	s_cbranch_execnz .LBB10_1535
	s_branch .LBB10_1536
.LBB10_3585:
	s_movk_i32 s4, 0x80
	v_cmp_eq_u16_sdwa s[12:13], v6, s4 src0_sel:BYTE_0 src1_sel:DWORD
	s_mov_b64 s[4:5], -1
                                        ; implicit-def: $sgpr10
	s_and_saveexec_b64 s[8:9], s[12:13]
; %bb.3586:
	s_mov_b32 s10, 0x7f800001
	s_xor_b64 s[4:5], exec, -1
; %bb.3587:
	s_or_b64 exec, exec, s[8:9]
	s_and_b64 s[4:5], s[4:5], exec
	s_or_saveexec_b64 s[6:7], s[6:7]
	v_mov_b32_e32 v12, s10
	s_xor_b64 exec, exec, s[6:7]
	s_cbranch_execz .LBB10_1538
.LBB10_3588:
	v_mov_b32_e32 v12, 0
	v_cmp_ne_u16_sdwa s[8:9], v6, v12 src0_sel:BYTE_0 src1_sel:DWORD
	s_andn2_b64 s[4:5], s[4:5], exec
	s_and_b64 s[8:9], s[8:9], exec
	s_or_b64 s[4:5], s[4:5], s[8:9]
	s_or_b64 exec, exec, s[6:7]
	s_and_saveexec_b64 s[6:7], s[4:5]
	s_cbranch_execnz .LBB10_1539
	s_branch .LBB10_1540
.LBB10_3589:
	s_movk_i32 s4, 0x80
	v_cmp_eq_u16_sdwa s[12:13], v2, s4 src0_sel:BYTE_0 src1_sel:DWORD
	s_mov_b64 s[4:5], -1
                                        ; implicit-def: $sgpr10
	s_and_saveexec_b64 s[8:9], s[12:13]
; %bb.3590:
	s_mov_b32 s10, 0x7f800001
	s_xor_b64 s[4:5], exec, -1
; %bb.3591:
	s_or_b64 exec, exec, s[8:9]
	s_and_b64 s[4:5], s[4:5], exec
	s_or_saveexec_b64 s[6:7], s[6:7]
	v_mov_b32_e32 v13, s10
	s_xor_b64 exec, exec, s[6:7]
	s_cbranch_execz .LBB10_1542
.LBB10_3592:
	v_mov_b32_e32 v13, 0
	v_cmp_ne_u16_sdwa s[8:9], v2, v13 src0_sel:BYTE_0 src1_sel:DWORD
	s_andn2_b64 s[4:5], s[4:5], exec
	s_and_b64 s[8:9], s[8:9], exec
	s_or_b64 s[4:5], s[4:5], s[8:9]
	s_or_b64 exec, exec, s[6:7]
	s_and_saveexec_b64 s[6:7], s[4:5]
	s_cbranch_execnz .LBB10_1543
	s_branch .LBB10_1544
.LBB10_3593:
	s_movk_i32 s4, 0x80
	v_cmp_eq_u16_sdwa s[12:13], v13, s4 src0_sel:BYTE_0 src1_sel:DWORD
	s_mov_b64 s[4:5], -1
                                        ; implicit-def: $sgpr10
	s_and_saveexec_b64 s[8:9], s[12:13]
; %bb.3594:
	s_mov_b32 s10, 0x7f800001
	s_xor_b64 s[4:5], exec, -1
; %bb.3595:
	s_or_b64 exec, exec, s[8:9]
	s_and_b64 s[4:5], s[4:5], exec
	s_or_saveexec_b64 s[6:7], s[6:7]
	v_mov_b32_e32 v12, s10
	s_xor_b64 exec, exec, s[6:7]
	s_cbranch_execz .LBB10_1546
.LBB10_3596:
	v_mov_b32_e32 v12, 0
	v_cmp_ne_u16_sdwa s[8:9], v13, v12 src0_sel:BYTE_0 src1_sel:DWORD
	s_andn2_b64 s[4:5], s[4:5], exec
	s_and_b64 s[8:9], s[8:9], exec
	s_or_b64 s[4:5], s[4:5], s[8:9]
	s_or_b64 exec, exec, s[6:7]
	s_and_saveexec_b64 s[6:7], s[4:5]
	s_cbranch_execnz .LBB10_1547
	s_branch .LBB10_1548
.LBB10_3597:
	s_movk_i32 s4, 0x80
	v_cmp_eq_u16_sdwa s[12:13], v13, s4 src0_sel:BYTE_0 src1_sel:DWORD
	s_mov_b64 s[4:5], -1
                                        ; implicit-def: $sgpr10
	s_and_saveexec_b64 s[8:9], s[12:13]
; %bb.3598:
	s_mov_b32 s10, 0x7f800001
	s_xor_b64 s[4:5], exec, -1
; %bb.3599:
	s_or_b64 exec, exec, s[8:9]
	s_and_b64 s[4:5], s[4:5], exec
	s_or_saveexec_b64 s[6:7], s[6:7]
	v_mov_b32_e32 v14, s10
	s_xor_b64 exec, exec, s[6:7]
	s_cbranch_execz .LBB10_1550
.LBB10_3600:
	v_mov_b32_e32 v14, 0
	v_cmp_ne_u16_sdwa s[8:9], v13, v14 src0_sel:BYTE_0 src1_sel:DWORD
	s_andn2_b64 s[4:5], s[4:5], exec
	s_and_b64 s[8:9], s[8:9], exec
	s_or_b64 s[4:5], s[4:5], s[8:9]
	s_or_b64 exec, exec, s[6:7]
	s_and_saveexec_b64 s[6:7], s[4:5]
	s_cbranch_execnz .LBB10_1551
	s_branch .LBB10_1552
.LBB10_3601:
	s_movk_i32 s4, 0x80
	v_cmp_eq_u16_e32 vcc, s4, v13
	s_mov_b64 s[4:5], -1
                                        ; implicit-def: $sgpr10
	s_and_saveexec_b64 s[8:9], vcc
; %bb.3602:
	s_mov_b32 s10, 0x7f800001
	s_xor_b64 s[4:5], exec, -1
; %bb.3603:
	s_or_b64 exec, exec, s[8:9]
	s_and_b64 s[4:5], s[4:5], exec
                                        ; implicit-def: $vgpr13
	s_or_saveexec_b64 s[6:7], s[6:7]
	v_mov_b32_e32 v12, s10
	s_xor_b64 exec, exec, s[6:7]
	s_cbranch_execz .LBB10_1554
.LBB10_3604:
	v_cmp_ne_u16_e32 vcc, 0, v13
	s_andn2_b64 s[4:5], s[4:5], exec
	s_and_b64 s[8:9], vcc, exec
	v_mov_b32_e32 v12, 0
	s_or_b64 s[4:5], s[4:5], s[8:9]
	s_or_b64 exec, exec, s[6:7]
	s_and_saveexec_b64 s[6:7], s[4:5]
	s_cbranch_execnz .LBB10_1555
	s_branch .LBB10_1556
.LBB10_3605:
	s_movk_i32 s4, 0x80
	v_cmp_eq_u16_e32 vcc, s4, v13
	s_mov_b64 s[4:5], -1
                                        ; implicit-def: $sgpr10
	s_and_saveexec_b64 s[8:9], vcc
; %bb.3606:
	s_mov_b32 s10, 0x7f800001
	s_xor_b64 s[4:5], exec, -1
; %bb.3607:
	s_or_b64 exec, exec, s[8:9]
	s_and_b64 s[4:5], s[4:5], exec
                                        ; implicit-def: $vgpr13
	s_or_saveexec_b64 s[6:7], s[6:7]
	v_mov_b32_e32 v14, s10
	s_xor_b64 exec, exec, s[6:7]
	s_cbranch_execz .LBB10_1558
.LBB10_3608:
	v_cmp_ne_u16_e32 vcc, 0, v13
	s_andn2_b64 s[4:5], s[4:5], exec
	s_and_b64 s[8:9], vcc, exec
	v_mov_b32_e32 v14, 0
	s_or_b64 s[4:5], s[4:5], s[8:9]
	s_or_b64 exec, exec, s[6:7]
	s_and_saveexec_b64 s[6:7], s[4:5]
	s_cbranch_execnz .LBB10_1559
	s_branch .LBB10_1560
.LBB10_3609:
	s_movk_i32 s4, 0x80
	v_cmp_eq_u16_sdwa s[12:13], v6, s4 src0_sel:BYTE_3 src1_sel:DWORD
	s_mov_b64 s[4:5], -1
                                        ; implicit-def: $sgpr10
	s_and_saveexec_b64 s[8:9], s[12:13]
; %bb.3610:
	s_mov_b32 s10, 0x7f800001
	s_xor_b64 s[4:5], exec, -1
; %bb.3611:
	s_or_b64 exec, exec, s[8:9]
	s_and_b64 s[4:5], s[4:5], exec
	s_or_saveexec_b64 s[6:7], s[6:7]
	v_mov_b32_e32 v12, s10
	s_xor_b64 exec, exec, s[6:7]
	s_cbranch_execz .LBB10_1562
.LBB10_3612:
	v_mov_b32_e32 v12, 0
	v_cmp_ne_u16_sdwa s[8:9], v6, v12 src0_sel:BYTE_3 src1_sel:DWORD
	s_andn2_b64 s[4:5], s[4:5], exec
	s_and_b64 s[8:9], s[8:9], exec
	s_or_b64 s[4:5], s[4:5], s[8:9]
	s_or_b64 exec, exec, s[6:7]
	s_and_saveexec_b64 s[6:7], s[4:5]
	s_cbranch_execnz .LBB10_1563
	s_branch .LBB10_1564
.LBB10_3613:
	s_movk_i32 s4, 0x80
	v_cmp_eq_u16_sdwa s[12:13], v2, s4 src0_sel:BYTE_3 src1_sel:DWORD
	s_mov_b64 s[4:5], -1
                                        ; implicit-def: $sgpr10
	s_and_saveexec_b64 s[8:9], s[12:13]
; %bb.3614:
	s_mov_b32 s10, 0x7f800001
	s_xor_b64 s[4:5], exec, -1
; %bb.3615:
	s_or_b64 exec, exec, s[8:9]
	s_and_b64 s[4:5], s[4:5], exec
	s_or_saveexec_b64 s[6:7], s[6:7]
	v_mov_b32_e32 v6, s10
	s_xor_b64 exec, exec, s[6:7]
	s_cbranch_execz .LBB10_1566
.LBB10_3616:
	v_mov_b32_e32 v6, 0
	v_cmp_ne_u16_sdwa s[8:9], v2, v6 src0_sel:BYTE_3 src1_sel:DWORD
	s_andn2_b64 s[4:5], s[4:5], exec
	s_and_b64 s[8:9], s[8:9], exec
	s_or_b64 s[4:5], s[4:5], s[8:9]
	s_or_b64 exec, exec, s[6:7]
	s_and_saveexec_b64 s[6:7], s[4:5]
	s_cbranch_execnz .LBB10_1567
	s_branch .LBB10_1568
.LBB10_3617:
	s_movk_i32 s4, 0x80
	v_cmp_eq_u16_sdwa s[12:13], v7, s4 src0_sel:BYTE_0 src1_sel:DWORD
	s_mov_b64 s[4:5], -1
                                        ; implicit-def: $sgpr10
	s_and_saveexec_b64 s[8:9], s[12:13]
; %bb.3618:
	s_mov_b32 s10, 0x7f800001
	s_xor_b64 s[4:5], exec, -1
; %bb.3619:
	s_or_b64 exec, exec, s[8:9]
	s_and_b64 s[4:5], s[4:5], exec
	s_or_saveexec_b64 s[6:7], s[6:7]
	v_mov_b32_e32 v2, s10
	s_xor_b64 exec, exec, s[6:7]
	s_cbranch_execz .LBB10_1570
.LBB10_3620:
	v_mov_b32_e32 v2, 0
	v_cmp_ne_u16_sdwa s[8:9], v7, v2 src0_sel:BYTE_0 src1_sel:DWORD
	s_andn2_b64 s[4:5], s[4:5], exec
	s_and_b64 s[8:9], s[8:9], exec
	s_or_b64 s[4:5], s[4:5], s[8:9]
	s_or_b64 exec, exec, s[6:7]
	s_and_saveexec_b64 s[6:7], s[4:5]
	s_cbranch_execnz .LBB10_1571
	s_branch .LBB10_1572
.LBB10_3621:
	s_movk_i32 s4, 0x80
	v_cmp_eq_u16_sdwa s[12:13], v3, s4 src0_sel:BYTE_0 src1_sel:DWORD
	s_mov_b64 s[4:5], -1
                                        ; implicit-def: $sgpr10
	s_and_saveexec_b64 s[8:9], s[12:13]
; %bb.3622:
	s_mov_b32 s10, 0x7f800001
	s_xor_b64 s[4:5], exec, -1
; %bb.3623:
	s_or_b64 exec, exec, s[8:9]
	s_and_b64 s[4:5], s[4:5], exec
	s_or_saveexec_b64 s[6:7], s[6:7]
	v_mov_b32_e32 v6, s10
	s_xor_b64 exec, exec, s[6:7]
	s_cbranch_execz .LBB10_1574
.LBB10_3624:
	v_mov_b32_e32 v6, 0
	v_cmp_ne_u16_sdwa s[8:9], v3, v6 src0_sel:BYTE_0 src1_sel:DWORD
	s_andn2_b64 s[4:5], s[4:5], exec
	s_and_b64 s[8:9], s[8:9], exec
	s_or_b64 s[4:5], s[4:5], s[8:9]
	s_or_b64 exec, exec, s[6:7]
	s_and_saveexec_b64 s[6:7], s[4:5]
	s_cbranch_execnz .LBB10_1575
	s_branch .LBB10_1576
.LBB10_3625:
	s_movk_i32 s4, 0x80
	v_cmp_eq_u16_sdwa s[12:13], v6, s4 src0_sel:BYTE_0 src1_sel:DWORD
	s_mov_b64 s[4:5], -1
                                        ; implicit-def: $sgpr10
	s_and_saveexec_b64 s[8:9], s[12:13]
; %bb.3626:
	s_mov_b32 s10, 0x7f800001
	s_xor_b64 s[4:5], exec, -1
; %bb.3627:
	s_or_b64 exec, exec, s[8:9]
	s_and_b64 s[4:5], s[4:5], exec
	s_or_saveexec_b64 s[6:7], s[6:7]
	v_mov_b32_e32 v2, s10
	s_xor_b64 exec, exec, s[6:7]
	s_cbranch_execz .LBB10_1578
.LBB10_3628:
	v_mov_b32_e32 v2, 0
	v_cmp_ne_u16_sdwa s[8:9], v6, v2 src0_sel:BYTE_0 src1_sel:DWORD
	s_andn2_b64 s[4:5], s[4:5], exec
	s_and_b64 s[8:9], s[8:9], exec
	s_or_b64 s[4:5], s[4:5], s[8:9]
	s_or_b64 exec, exec, s[6:7]
	s_and_saveexec_b64 s[6:7], s[4:5]
	s_cbranch_execnz .LBB10_1579
	s_branch .LBB10_1580
.LBB10_3629:
	s_movk_i32 s4, 0x80
	v_cmp_eq_u16_sdwa s[12:13], v6, s4 src0_sel:BYTE_0 src1_sel:DWORD
	s_mov_b64 s[4:5], -1
                                        ; implicit-def: $sgpr10
	s_and_saveexec_b64 s[8:9], s[12:13]
; %bb.3630:
	s_mov_b32 s10, 0x7f800001
	s_xor_b64 s[4:5], exec, -1
; %bb.3631:
	s_or_b64 exec, exec, s[8:9]
	s_and_b64 s[4:5], s[4:5], exec
	s_or_saveexec_b64 s[6:7], s[6:7]
	v_mov_b32_e32 v12, s10
	s_xor_b64 exec, exec, s[6:7]
	s_cbranch_execz .LBB10_1582
.LBB10_3632:
	v_mov_b32_e32 v12, 0
	v_cmp_ne_u16_sdwa s[8:9], v6, v12 src0_sel:BYTE_0 src1_sel:DWORD
	s_andn2_b64 s[4:5], s[4:5], exec
	s_and_b64 s[8:9], s[8:9], exec
	s_or_b64 s[4:5], s[4:5], s[8:9]
	s_or_b64 exec, exec, s[6:7]
	s_and_saveexec_b64 s[6:7], s[4:5]
	s_cbranch_execnz .LBB10_1583
	s_branch .LBB10_1584
.LBB10_3633:
	s_movk_i32 s4, 0x80
	v_cmp_eq_u16_e32 vcc, s4, v6
	s_mov_b64 s[4:5], -1
                                        ; implicit-def: $sgpr10
	s_and_saveexec_b64 s[8:9], vcc
; %bb.3634:
	s_mov_b32 s10, 0x7f800001
	s_xor_b64 s[4:5], exec, -1
; %bb.3635:
	s_or_b64 exec, exec, s[8:9]
	s_and_b64 s[4:5], s[4:5], exec
                                        ; implicit-def: $vgpr6
	s_or_saveexec_b64 s[6:7], s[6:7]
	v_mov_b32_e32 v2, s10
	s_xor_b64 exec, exec, s[6:7]
	s_cbranch_execz .LBB10_1586
.LBB10_3636:
	v_cmp_ne_u16_e32 vcc, 0, v6
	s_andn2_b64 s[4:5], s[4:5], exec
	s_and_b64 s[8:9], vcc, exec
	v_mov_b32_e32 v2, 0
	s_or_b64 s[4:5], s[4:5], s[8:9]
	s_or_b64 exec, exec, s[6:7]
	s_and_saveexec_b64 s[6:7], s[4:5]
	s_cbranch_execnz .LBB10_1587
	s_branch .LBB10_1588
.LBB10_3637:
	s_movk_i32 s4, 0x80
	v_cmp_eq_u16_e32 vcc, s4, v6
	s_mov_b64 s[4:5], -1
                                        ; implicit-def: $sgpr10
	s_and_saveexec_b64 s[8:9], vcc
; %bb.3638:
	s_mov_b32 s10, 0x7f800001
	s_xor_b64 s[4:5], exec, -1
; %bb.3639:
	s_or_b64 exec, exec, s[8:9]
	s_and_b64 s[4:5], s[4:5], exec
                                        ; implicit-def: $vgpr6
	s_or_saveexec_b64 s[6:7], s[6:7]
	v_mov_b32_e32 v12, s10
	s_xor_b64 exec, exec, s[6:7]
	s_cbranch_execz .LBB10_1590
.LBB10_3640:
	v_cmp_ne_u16_e32 vcc, 0, v6
	s_andn2_b64 s[4:5], s[4:5], exec
	s_and_b64 s[8:9], vcc, exec
	v_mov_b32_e32 v12, 0
	s_or_b64 s[4:5], s[4:5], s[8:9]
	s_or_b64 exec, exec, s[6:7]
	s_and_saveexec_b64 s[6:7], s[4:5]
	s_cbranch_execnz .LBB10_1591
	s_branch .LBB10_1592
.LBB10_3641:
	s_movk_i32 s4, 0x80
	v_cmp_eq_u16_sdwa s[12:13], v7, s4 src0_sel:BYTE_3 src1_sel:DWORD
	s_mov_b64 s[4:5], -1
                                        ; implicit-def: $sgpr10
	s_and_saveexec_b64 s[8:9], s[12:13]
; %bb.3642:
	s_mov_b32 s10, 0x7f800001
	s_xor_b64 s[4:5], exec, -1
; %bb.3643:
	s_or_b64 exec, exec, s[8:9]
	s_and_b64 s[4:5], s[4:5], exec
	s_or_saveexec_b64 s[6:7], s[6:7]
	v_mov_b32_e32 v2, s10
	s_xor_b64 exec, exec, s[6:7]
	s_cbranch_execz .LBB10_1594
.LBB10_3644:
	v_mov_b32_e32 v2, 0
	v_cmp_ne_u16_sdwa s[8:9], v7, v2 src0_sel:BYTE_3 src1_sel:DWORD
	s_andn2_b64 s[4:5], s[4:5], exec
	s_and_b64 s[8:9], s[8:9], exec
	s_or_b64 s[4:5], s[4:5], s[8:9]
	s_or_b64 exec, exec, s[6:7]
	s_and_saveexec_b64 s[6:7], s[4:5]
	s_cbranch_execnz .LBB10_1595
	s_branch .LBB10_1596
.LBB10_3645:
	s_movk_i32 s4, 0x80
	v_cmp_eq_u16_sdwa s[12:13], v3, s4 src0_sel:BYTE_3 src1_sel:DWORD
	s_mov_b64 s[4:5], -1
                                        ; implicit-def: $sgpr10
	s_and_saveexec_b64 s[8:9], s[12:13]
; %bb.3646:
	s_mov_b32 s10, 0x7f800001
	s_xor_b64 s[4:5], exec, -1
; %bb.3647:
	s_or_b64 exec, exec, s[8:9]
	s_and_b64 s[4:5], s[4:5], exec
	s_or_saveexec_b64 s[6:7], s[6:7]
	v_mov_b32_e32 v6, s10
	s_xor_b64 exec, exec, s[6:7]
	s_cbranch_execz .LBB10_1598
.LBB10_3648:
	v_mov_b32_e32 v6, 0
	v_cmp_ne_u16_sdwa s[8:9], v3, v6 src0_sel:BYTE_3 src1_sel:DWORD
	s_andn2_b64 s[4:5], s[4:5], exec
	s_and_b64 s[8:9], s[8:9], exec
	s_or_b64 s[4:5], s[4:5], s[8:9]
	s_or_b64 exec, exec, s[6:7]
	s_and_saveexec_b64 s[6:7], s[4:5]
	s_cbranch_execnz .LBB10_1599
	s_branch .LBB10_1600
.LBB10_3649:
	s_movk_i32 s4, 0x80
	v_cmp_eq_u16_sdwa s[12:13], v8, s4 src0_sel:BYTE_0 src1_sel:DWORD
	s_mov_b64 s[4:5], -1
                                        ; implicit-def: $sgpr10
	s_and_saveexec_b64 s[8:9], s[12:13]
; %bb.3650:
	s_mov_b32 s10, 0x7f800001
	s_xor_b64 s[4:5], exec, -1
; %bb.3651:
	s_or_b64 exec, exec, s[8:9]
	s_and_b64 s[4:5], s[4:5], exec
	s_or_saveexec_b64 s[6:7], s[6:7]
	v_mov_b32_e32 v2, s10
	s_xor_b64 exec, exec, s[6:7]
	s_cbranch_execz .LBB10_1602
.LBB10_3652:
	v_mov_b32_e32 v2, 0
	v_cmp_ne_u16_sdwa s[8:9], v8, v2 src0_sel:BYTE_0 src1_sel:DWORD
	s_andn2_b64 s[4:5], s[4:5], exec
	s_and_b64 s[8:9], s[8:9], exec
	s_or_b64 s[4:5], s[4:5], s[8:9]
	s_or_b64 exec, exec, s[6:7]
	s_and_saveexec_b64 s[6:7], s[4:5]
	s_cbranch_execnz .LBB10_1603
	s_branch .LBB10_1604
.LBB10_3653:
	s_movk_i32 s4, 0x80
	v_cmp_eq_u16_sdwa s[12:13], v4, s4 src0_sel:BYTE_0 src1_sel:DWORD
	s_mov_b64 s[4:5], -1
                                        ; implicit-def: $sgpr10
	s_and_saveexec_b64 s[8:9], s[12:13]
; %bb.3654:
	s_mov_b32 s10, 0x7f800001
	s_xor_b64 s[4:5], exec, -1
; %bb.3655:
	s_or_b64 exec, exec, s[8:9]
	s_and_b64 s[4:5], s[4:5], exec
	s_or_saveexec_b64 s[6:7], s[6:7]
	v_mov_b32_e32 v3, s10
	s_xor_b64 exec, exec, s[6:7]
	s_cbranch_execz .LBB10_1606
.LBB10_3656:
	v_mov_b32_e32 v3, 0
	v_cmp_ne_u16_sdwa s[8:9], v4, v3 src0_sel:BYTE_0 src1_sel:DWORD
	s_andn2_b64 s[4:5], s[4:5], exec
	s_and_b64 s[8:9], s[8:9], exec
	s_or_b64 s[4:5], s[4:5], s[8:9]
	s_or_b64 exec, exec, s[6:7]
	s_and_saveexec_b64 s[6:7], s[4:5]
	s_cbranch_execnz .LBB10_1607
	s_branch .LBB10_1608
.LBB10_3657:
	s_movk_i32 s4, 0x80
	v_cmp_eq_u16_sdwa s[12:13], v3, s4 src0_sel:BYTE_0 src1_sel:DWORD
	s_mov_b64 s[4:5], -1
                                        ; implicit-def: $sgpr10
	s_and_saveexec_b64 s[8:9], s[12:13]
; %bb.3658:
	s_mov_b32 s10, 0x7f800001
	s_xor_b64 s[4:5], exec, -1
; %bb.3659:
	s_or_b64 exec, exec, s[8:9]
	s_and_b64 s[4:5], s[4:5], exec
	s_or_saveexec_b64 s[6:7], s[6:7]
	v_mov_b32_e32 v2, s10
	s_xor_b64 exec, exec, s[6:7]
	s_cbranch_execz .LBB10_1610
.LBB10_3660:
	v_mov_b32_e32 v2, 0
	v_cmp_ne_u16_sdwa s[8:9], v3, v2 src0_sel:BYTE_0 src1_sel:DWORD
	s_andn2_b64 s[4:5], s[4:5], exec
	s_and_b64 s[8:9], s[8:9], exec
	s_or_b64 s[4:5], s[4:5], s[8:9]
	s_or_b64 exec, exec, s[6:7]
	s_and_saveexec_b64 s[6:7], s[4:5]
	s_cbranch_execnz .LBB10_1611
	s_branch .LBB10_1612
.LBB10_3661:
	s_movk_i32 s4, 0x80
	v_cmp_eq_u16_sdwa s[12:13], v3, s4 src0_sel:BYTE_0 src1_sel:DWORD
	s_mov_b64 s[4:5], -1
                                        ; implicit-def: $sgpr10
	s_and_saveexec_b64 s[8:9], s[12:13]
; %bb.3662:
	s_mov_b32 s10, 0x7f800001
	s_xor_b64 s[4:5], exec, -1
; %bb.3663:
	s_or_b64 exec, exec, s[8:9]
	s_and_b64 s[4:5], s[4:5], exec
	s_or_saveexec_b64 s[6:7], s[6:7]
	v_mov_b32_e32 v6, s10
	s_xor_b64 exec, exec, s[6:7]
	s_cbranch_execz .LBB10_1614
.LBB10_3664:
	v_mov_b32_e32 v6, 0
	v_cmp_ne_u16_sdwa s[8:9], v3, v6 src0_sel:BYTE_0 src1_sel:DWORD
	s_andn2_b64 s[4:5], s[4:5], exec
	s_and_b64 s[8:9], s[8:9], exec
	s_or_b64 s[4:5], s[4:5], s[8:9]
	s_or_b64 exec, exec, s[6:7]
	s_and_saveexec_b64 s[6:7], s[4:5]
	s_cbranch_execnz .LBB10_1615
	s_branch .LBB10_1616
.LBB10_3665:
	s_movk_i32 s4, 0x80
	v_cmp_eq_u16_e32 vcc, s4, v3
	s_mov_b64 s[4:5], -1
                                        ; implicit-def: $sgpr10
	s_and_saveexec_b64 s[8:9], vcc
; %bb.3666:
	s_mov_b32 s10, 0x7f800001
	s_xor_b64 s[4:5], exec, -1
; %bb.3667:
	s_or_b64 exec, exec, s[8:9]
	s_and_b64 s[4:5], s[4:5], exec
                                        ; implicit-def: $vgpr3
	s_or_saveexec_b64 s[6:7], s[6:7]
	v_mov_b32_e32 v2, s10
	s_xor_b64 exec, exec, s[6:7]
	s_cbranch_execz .LBB10_1618
.LBB10_3668:
	v_cmp_ne_u16_e32 vcc, 0, v3
	s_andn2_b64 s[4:5], s[4:5], exec
	s_and_b64 s[8:9], vcc, exec
	v_mov_b32_e32 v2, 0
	s_or_b64 s[4:5], s[4:5], s[8:9]
	s_or_b64 exec, exec, s[6:7]
	s_and_saveexec_b64 s[6:7], s[4:5]
	s_cbranch_execnz .LBB10_1619
	s_branch .LBB10_1620
.LBB10_3669:
	s_movk_i32 s4, 0x80
	v_cmp_eq_u16_e32 vcc, s4, v3
	s_mov_b64 s[4:5], -1
                                        ; implicit-def: $sgpr10
	s_and_saveexec_b64 s[8:9], vcc
; %bb.3670:
	s_mov_b32 s10, 0x7f800001
	s_xor_b64 s[4:5], exec, -1
; %bb.3671:
	s_or_b64 exec, exec, s[8:9]
	s_and_b64 s[4:5], s[4:5], exec
                                        ; implicit-def: $vgpr3
	s_or_saveexec_b64 s[6:7], s[6:7]
	v_mov_b32_e32 v6, s10
	s_xor_b64 exec, exec, s[6:7]
	s_cbranch_execz .LBB10_1622
.LBB10_3672:
	v_cmp_ne_u16_e32 vcc, 0, v3
	s_andn2_b64 s[4:5], s[4:5], exec
	s_and_b64 s[8:9], vcc, exec
	v_mov_b32_e32 v6, 0
	s_or_b64 s[4:5], s[4:5], s[8:9]
	s_or_b64 exec, exec, s[6:7]
	s_and_saveexec_b64 s[6:7], s[4:5]
	s_cbranch_execnz .LBB10_1623
	s_branch .LBB10_1624
.LBB10_3673:
	s_movk_i32 s4, 0x80
	v_cmp_eq_u16_sdwa s[12:13], v8, s4 src0_sel:BYTE_3 src1_sel:DWORD
	s_mov_b64 s[4:5], -1
                                        ; implicit-def: $sgpr10
	s_and_saveexec_b64 s[8:9], s[12:13]
; %bb.3674:
	s_mov_b32 s10, 0x7f800001
	s_xor_b64 s[4:5], exec, -1
; %bb.3675:
	s_or_b64 exec, exec, s[8:9]
	s_and_b64 s[4:5], s[4:5], exec
	s_or_saveexec_b64 s[6:7], s[6:7]
	v_mov_b32_e32 v2, s10
	s_xor_b64 exec, exec, s[6:7]
	s_cbranch_execz .LBB10_1626
.LBB10_3676:
	v_mov_b32_e32 v2, 0
	v_cmp_ne_u16_sdwa s[8:9], v8, v2 src0_sel:BYTE_3 src1_sel:DWORD
	s_andn2_b64 s[4:5], s[4:5], exec
	s_and_b64 s[8:9], s[8:9], exec
	s_or_b64 s[4:5], s[4:5], s[8:9]
	s_or_b64 exec, exec, s[6:7]
	s_and_saveexec_b64 s[6:7], s[4:5]
	s_cbranch_execnz .LBB10_1627
	s_branch .LBB10_1628
.LBB10_3677:
	s_movk_i32 s4, 0x80
	v_cmp_eq_u16_sdwa s[12:13], v4, s4 src0_sel:BYTE_3 src1_sel:DWORD
	s_mov_b64 s[4:5], -1
                                        ; implicit-def: $sgpr10
	s_and_saveexec_b64 s[8:9], s[12:13]
; %bb.3678:
	s_mov_b32 s10, 0x7f800001
	s_xor_b64 s[4:5], exec, -1
; %bb.3679:
	s_or_b64 exec, exec, s[8:9]
	s_and_b64 s[4:5], s[4:5], exec
	s_or_saveexec_b64 s[6:7], s[6:7]
	v_mov_b32_e32 v3, s10
	s_xor_b64 exec, exec, s[6:7]
	s_cbranch_execz .LBB10_1630
.LBB10_3680:
	v_mov_b32_e32 v3, 0
	v_cmp_ne_u16_sdwa s[8:9], v4, v3 src0_sel:BYTE_3 src1_sel:DWORD
	s_andn2_b64 s[4:5], s[4:5], exec
	s_and_b64 s[8:9], s[8:9], exec
	s_or_b64 s[4:5], s[4:5], s[8:9]
	s_or_b64 exec, exec, s[6:7]
	s_and_saveexec_b64 s[6:7], s[4:5]
	s_cbranch_execnz .LBB10_1631
	s_branch .LBB10_1632
.LBB10_3681:
	s_movk_i32 s4, 0x80
	v_cmp_eq_u16_sdwa s[12:13], v9, s4 src0_sel:BYTE_0 src1_sel:DWORD
	s_mov_b64 s[4:5], -1
                                        ; implicit-def: $sgpr10
	s_and_saveexec_b64 s[8:9], s[12:13]
; %bb.3682:
	s_mov_b32 s10, 0x7f800001
	s_xor_b64 s[4:5], exec, -1
; %bb.3683:
	s_or_b64 exec, exec, s[8:9]
	s_and_b64 s[4:5], s[4:5], exec
	s_or_saveexec_b64 s[6:7], s[6:7]
	v_mov_b32_e32 v2, s10
	s_xor_b64 exec, exec, s[6:7]
	s_cbranch_execz .LBB10_1634
.LBB10_3684:
	v_mov_b32_e32 v2, 0
	v_cmp_ne_u16_sdwa s[8:9], v9, v2 src0_sel:BYTE_0 src1_sel:DWORD
	s_andn2_b64 s[4:5], s[4:5], exec
	s_and_b64 s[8:9], s[8:9], exec
	s_or_b64 s[4:5], s[4:5], s[8:9]
	s_or_b64 exec, exec, s[6:7]
	s_and_saveexec_b64 s[6:7], s[4:5]
	s_cbranch_execnz .LBB10_1635
	s_branch .LBB10_1636
.LBB10_3685:
	s_movk_i32 s4, 0x80
	v_cmp_eq_u16_sdwa s[12:13], v5, s4 src0_sel:BYTE_0 src1_sel:DWORD
	s_mov_b64 s[4:5], -1
                                        ; implicit-def: $sgpr10
	s_and_saveexec_b64 s[8:9], s[12:13]
; %bb.3686:
	s_mov_b32 s10, 0x7f800001
	s_xor_b64 s[4:5], exec, -1
; %bb.3687:
	s_or_b64 exec, exec, s[8:9]
	s_and_b64 s[4:5], s[4:5], exec
	s_or_saveexec_b64 s[6:7], s[6:7]
	v_mov_b32_e32 v3, s10
	s_xor_b64 exec, exec, s[6:7]
	s_cbranch_execz .LBB10_1638
.LBB10_3688:
	v_mov_b32_e32 v3, 0
	v_cmp_ne_u16_sdwa s[8:9], v5, v3 src0_sel:BYTE_0 src1_sel:DWORD
	s_andn2_b64 s[4:5], s[4:5], exec
	s_and_b64 s[8:9], s[8:9], exec
	s_or_b64 s[4:5], s[4:5], s[8:9]
	s_or_b64 exec, exec, s[6:7]
	s_and_saveexec_b64 s[6:7], s[4:5]
	s_cbranch_execnz .LBB10_1639
	s_branch .LBB10_1640
.LBB10_3689:
	s_movk_i32 s4, 0x80
	v_cmp_eq_u16_sdwa s[12:13], v3, s4 src0_sel:BYTE_0 src1_sel:DWORD
	s_mov_b64 s[4:5], -1
                                        ; implicit-def: $sgpr10
	s_and_saveexec_b64 s[8:9], s[12:13]
; %bb.3690:
	s_mov_b32 s10, 0x7f800001
	s_xor_b64 s[4:5], exec, -1
; %bb.3691:
	s_or_b64 exec, exec, s[8:9]
	s_and_b64 s[4:5], s[4:5], exec
	s_or_saveexec_b64 s[6:7], s[6:7]
	v_mov_b32_e32 v2, s10
	s_xor_b64 exec, exec, s[6:7]
	s_cbranch_execz .LBB10_1642
.LBB10_3692:
	v_mov_b32_e32 v2, 0
	v_cmp_ne_u16_sdwa s[8:9], v3, v2 src0_sel:BYTE_0 src1_sel:DWORD
	s_andn2_b64 s[4:5], s[4:5], exec
	s_and_b64 s[8:9], s[8:9], exec
	s_or_b64 s[4:5], s[4:5], s[8:9]
	s_or_b64 exec, exec, s[6:7]
	s_and_saveexec_b64 s[6:7], s[4:5]
	s_cbranch_execnz .LBB10_1643
	s_branch .LBB10_1644
.LBB10_3693:
	s_movk_i32 s4, 0x80
	v_cmp_eq_u16_sdwa s[12:13], v3, s4 src0_sel:BYTE_0 src1_sel:DWORD
	s_mov_b64 s[4:5], -1
                                        ; implicit-def: $sgpr10
	s_and_saveexec_b64 s[8:9], s[12:13]
; %bb.3694:
	s_mov_b32 s10, 0x7f800001
	s_xor_b64 s[4:5], exec, -1
; %bb.3695:
	s_or_b64 exec, exec, s[8:9]
	s_and_b64 s[4:5], s[4:5], exec
	s_or_saveexec_b64 s[6:7], s[6:7]
	v_mov_b32_e32 v4, s10
	s_xor_b64 exec, exec, s[6:7]
	s_cbranch_execz .LBB10_1646
.LBB10_3696:
	v_mov_b32_e32 v4, 0
	v_cmp_ne_u16_sdwa s[8:9], v3, v4 src0_sel:BYTE_0 src1_sel:DWORD
	s_andn2_b64 s[4:5], s[4:5], exec
	s_and_b64 s[8:9], s[8:9], exec
	s_or_b64 s[4:5], s[4:5], s[8:9]
	s_or_b64 exec, exec, s[6:7]
	s_and_saveexec_b64 s[6:7], s[4:5]
	s_cbranch_execnz .LBB10_1647
	s_branch .LBB10_1648
.LBB10_3697:
	s_movk_i32 s4, 0x80
	v_cmp_eq_u16_e32 vcc, s4, v3
	s_mov_b64 s[4:5], -1
                                        ; implicit-def: $sgpr10
	s_and_saveexec_b64 s[8:9], vcc
; %bb.3698:
	s_mov_b32 s10, 0x7f800001
	s_xor_b64 s[4:5], exec, -1
; %bb.3699:
	s_or_b64 exec, exec, s[8:9]
	s_and_b64 s[4:5], s[4:5], exec
                                        ; implicit-def: $vgpr3
	s_or_saveexec_b64 s[6:7], s[6:7]
	v_mov_b32_e32 v2, s10
	s_xor_b64 exec, exec, s[6:7]
	s_cbranch_execz .LBB10_1650
.LBB10_3700:
	v_cmp_ne_u16_e32 vcc, 0, v3
	s_andn2_b64 s[4:5], s[4:5], exec
	s_and_b64 s[8:9], vcc, exec
	v_mov_b32_e32 v2, 0
	s_or_b64 s[4:5], s[4:5], s[8:9]
	s_or_b64 exec, exec, s[6:7]
	s_and_saveexec_b64 s[6:7], s[4:5]
	s_cbranch_execnz .LBB10_1651
	s_branch .LBB10_1652
.LBB10_3701:
	s_movk_i32 s4, 0x80
	v_cmp_eq_u16_e32 vcc, s4, v3
	s_mov_b64 s[4:5], -1
                                        ; implicit-def: $sgpr10
	s_and_saveexec_b64 s[8:9], vcc
; %bb.3702:
	s_mov_b32 s10, 0x7f800001
	s_xor_b64 s[4:5], exec, -1
; %bb.3703:
	s_or_b64 exec, exec, s[8:9]
	s_and_b64 s[4:5], s[4:5], exec
                                        ; implicit-def: $vgpr3
	s_or_saveexec_b64 s[6:7], s[6:7]
	v_mov_b32_e32 v4, s10
	s_xor_b64 exec, exec, s[6:7]
	s_cbranch_execz .LBB10_1654
.LBB10_3704:
	v_cmp_ne_u16_e32 vcc, 0, v3
	s_andn2_b64 s[4:5], s[4:5], exec
	s_and_b64 s[8:9], vcc, exec
	v_mov_b32_e32 v4, 0
	s_or_b64 s[4:5], s[4:5], s[8:9]
	s_or_b64 exec, exec, s[6:7]
	s_and_saveexec_b64 s[6:7], s[4:5]
	s_cbranch_execnz .LBB10_1655
	s_branch .LBB10_1656
.LBB10_3705:
	s_movk_i32 s4, 0x80
	v_cmp_eq_u16_sdwa s[12:13], v9, s4 src0_sel:BYTE_3 src1_sel:DWORD
	s_mov_b64 s[4:5], -1
                                        ; implicit-def: $sgpr10
	s_and_saveexec_b64 s[8:9], s[12:13]
; %bb.3706:
	s_mov_b32 s10, 0x7f800001
	s_xor_b64 s[4:5], exec, -1
; %bb.3707:
	s_or_b64 exec, exec, s[8:9]
	s_and_b64 s[4:5], s[4:5], exec
	s_or_saveexec_b64 s[6:7], s[6:7]
	v_mov_b32_e32 v2, s10
	s_xor_b64 exec, exec, s[6:7]
	s_cbranch_execz .LBB10_1658
.LBB10_3708:
	v_mov_b32_e32 v2, 0
	v_cmp_ne_u16_sdwa s[8:9], v9, v2 src0_sel:BYTE_3 src1_sel:DWORD
	s_andn2_b64 s[4:5], s[4:5], exec
	s_and_b64 s[8:9], s[8:9], exec
	s_or_b64 s[4:5], s[4:5], s[8:9]
	s_or_b64 exec, exec, s[6:7]
	s_and_saveexec_b64 s[6:7], s[4:5]
	s_cbranch_execnz .LBB10_1659
	s_branch .LBB10_1660
.LBB10_3709:
	s_movk_i32 s4, 0x80
	v_cmp_eq_u16_sdwa s[12:13], v5, s4 src0_sel:BYTE_3 src1_sel:DWORD
	s_mov_b64 s[4:5], -1
                                        ; implicit-def: $sgpr10
	s_and_saveexec_b64 s[8:9], s[12:13]
; %bb.3710:
	s_mov_b32 s10, 0x7f800001
	s_xor_b64 s[4:5], exec, -1
; %bb.3711:
	s_or_b64 exec, exec, s[8:9]
	s_and_b64 s[4:5], s[4:5], exec
	s_or_saveexec_b64 s[6:7], s[6:7]
	v_mov_b32_e32 v3, s10
	s_xor_b64 exec, exec, s[6:7]
	s_cbranch_execz .LBB10_1662
.LBB10_3712:
	v_mov_b32_e32 v3, 0
	v_cmp_ne_u16_sdwa s[8:9], v5, v3 src0_sel:BYTE_3 src1_sel:DWORD
	s_andn2_b64 s[4:5], s[4:5], exec
	s_and_b64 s[8:9], s[8:9], exec
	s_or_b64 s[4:5], s[4:5], s[8:9]
	s_or_b64 exec, exec, s[6:7]
	s_and_saveexec_b64 s[6:7], s[4:5]
	s_cbranch_execnz .LBB10_1663
	s_branch .LBB10_1664
.LBB10_3713:
	s_movk_i32 s4, 0x80
	v_cmp_eq_u16_sdwa s[12:13], v6, s4 src0_sel:BYTE_0 src1_sel:DWORD
	s_mov_b64 s[4:5], -1
                                        ; implicit-def: $sgpr10
	s_and_saveexec_b64 s[8:9], s[12:13]
; %bb.3714:
	s_mov_b32 s10, 0x7f800001
	s_xor_b64 s[4:5], exec, -1
; %bb.3715:
	s_or_b64 exec, exec, s[8:9]
	s_and_b64 s[4:5], s[4:5], exec
	s_or_saveexec_b64 s[6:7], s[6:7]
	v_mov_b32_e32 v12, s10
	s_xor_b64 exec, exec, s[6:7]
	s_cbranch_execz .LBB10_1666
.LBB10_3716:
	v_mov_b32_e32 v12, 0
	v_cmp_ne_u16_sdwa s[8:9], v6, v12 src0_sel:BYTE_0 src1_sel:DWORD
	s_andn2_b64 s[4:5], s[4:5], exec
	s_and_b64 s[8:9], s[8:9], exec
	s_or_b64 s[4:5], s[4:5], s[8:9]
	s_or_b64 exec, exec, s[6:7]
	s_and_saveexec_b64 s[6:7], s[4:5]
	s_cbranch_execnz .LBB10_1667
	s_branch .LBB10_1668
.LBB10_3717:
	s_movk_i32 s4, 0x80
	v_cmp_eq_u16_sdwa s[12:13], v2, s4 src0_sel:BYTE_0 src1_sel:DWORD
	s_mov_b64 s[4:5], -1
                                        ; implicit-def: $sgpr10
	s_and_saveexec_b64 s[8:9], s[12:13]
; %bb.3718:
	s_mov_b32 s10, 0x7f800001
	s_xor_b64 s[4:5], exec, -1
; %bb.3719:
	s_or_b64 exec, exec, s[8:9]
	s_and_b64 s[4:5], s[4:5], exec
	s_or_saveexec_b64 s[6:7], s[6:7]
	v_mov_b32_e32 v13, s10
	s_xor_b64 exec, exec, s[6:7]
	s_cbranch_execz .LBB10_1670
.LBB10_3720:
	v_mov_b32_e32 v13, 0
	v_cmp_ne_u16_sdwa s[8:9], v2, v13 src0_sel:BYTE_0 src1_sel:DWORD
	s_andn2_b64 s[4:5], s[4:5], exec
	s_and_b64 s[8:9], s[8:9], exec
	s_or_b64 s[4:5], s[4:5], s[8:9]
	s_or_b64 exec, exec, s[6:7]
	s_and_saveexec_b64 s[6:7], s[4:5]
	s_cbranch_execnz .LBB10_1671
	s_branch .LBB10_1672
.LBB10_3721:
	s_movk_i32 s4, 0x80
	v_cmp_eq_u16_sdwa s[12:13], v13, s4 src0_sel:BYTE_0 src1_sel:DWORD
	s_mov_b64 s[4:5], -1
                                        ; implicit-def: $sgpr10
	s_and_saveexec_b64 s[8:9], s[12:13]
; %bb.3722:
	s_mov_b32 s10, 0x7f800001
	s_xor_b64 s[4:5], exec, -1
; %bb.3723:
	s_or_b64 exec, exec, s[8:9]
	s_and_b64 s[4:5], s[4:5], exec
	s_or_saveexec_b64 s[6:7], s[6:7]
	v_mov_b32_e32 v12, s10
	s_xor_b64 exec, exec, s[6:7]
	s_cbranch_execz .LBB10_1674
.LBB10_3724:
	v_mov_b32_e32 v12, 0
	v_cmp_ne_u16_sdwa s[8:9], v13, v12 src0_sel:BYTE_0 src1_sel:DWORD
	s_andn2_b64 s[4:5], s[4:5], exec
	s_and_b64 s[8:9], s[8:9], exec
	s_or_b64 s[4:5], s[4:5], s[8:9]
	s_or_b64 exec, exec, s[6:7]
	s_and_saveexec_b64 s[6:7], s[4:5]
	s_cbranch_execnz .LBB10_1675
	s_branch .LBB10_1676
.LBB10_3725:
	s_movk_i32 s4, 0x80
	v_cmp_eq_u16_sdwa s[12:13], v13, s4 src0_sel:BYTE_0 src1_sel:DWORD
	s_mov_b64 s[4:5], -1
                                        ; implicit-def: $sgpr10
	s_and_saveexec_b64 s[8:9], s[12:13]
; %bb.3726:
	s_mov_b32 s10, 0x7f800001
	s_xor_b64 s[4:5], exec, -1
; %bb.3727:
	s_or_b64 exec, exec, s[8:9]
	s_and_b64 s[4:5], s[4:5], exec
	s_or_saveexec_b64 s[6:7], s[6:7]
	v_mov_b32_e32 v14, s10
	s_xor_b64 exec, exec, s[6:7]
	s_cbranch_execz .LBB10_1678
.LBB10_3728:
	v_mov_b32_e32 v14, 0
	v_cmp_ne_u16_sdwa s[8:9], v13, v14 src0_sel:BYTE_0 src1_sel:DWORD
	s_andn2_b64 s[4:5], s[4:5], exec
	s_and_b64 s[8:9], s[8:9], exec
	s_or_b64 s[4:5], s[4:5], s[8:9]
	s_or_b64 exec, exec, s[6:7]
	s_and_saveexec_b64 s[6:7], s[4:5]
	s_cbranch_execnz .LBB10_1679
	s_branch .LBB10_1680
.LBB10_3729:
	s_movk_i32 s4, 0x80
	v_cmp_eq_u16_e32 vcc, s4, v13
	s_mov_b64 s[4:5], -1
                                        ; implicit-def: $sgpr10
	s_and_saveexec_b64 s[8:9], vcc
; %bb.3730:
	s_mov_b32 s10, 0x7f800001
	s_xor_b64 s[4:5], exec, -1
; %bb.3731:
	s_or_b64 exec, exec, s[8:9]
	s_and_b64 s[4:5], s[4:5], exec
                                        ; implicit-def: $vgpr13
	s_or_saveexec_b64 s[6:7], s[6:7]
	v_mov_b32_e32 v12, s10
	s_xor_b64 exec, exec, s[6:7]
	s_cbranch_execz .LBB10_1682
.LBB10_3732:
	v_cmp_ne_u16_e32 vcc, 0, v13
	s_andn2_b64 s[4:5], s[4:5], exec
	s_and_b64 s[8:9], vcc, exec
	v_mov_b32_e32 v12, 0
	s_or_b64 s[4:5], s[4:5], s[8:9]
	s_or_b64 exec, exec, s[6:7]
	s_and_saveexec_b64 s[6:7], s[4:5]
	s_cbranch_execnz .LBB10_1683
	s_branch .LBB10_1684
.LBB10_3733:
	s_movk_i32 s4, 0x80
	v_cmp_eq_u16_e32 vcc, s4, v13
	s_mov_b64 s[4:5], -1
                                        ; implicit-def: $sgpr10
	s_and_saveexec_b64 s[8:9], vcc
; %bb.3734:
	s_mov_b32 s10, 0x7f800001
	s_xor_b64 s[4:5], exec, -1
; %bb.3735:
	s_or_b64 exec, exec, s[8:9]
	s_and_b64 s[4:5], s[4:5], exec
                                        ; implicit-def: $vgpr13
	s_or_saveexec_b64 s[6:7], s[6:7]
	v_mov_b32_e32 v14, s10
	s_xor_b64 exec, exec, s[6:7]
	s_cbranch_execz .LBB10_1686
.LBB10_3736:
	v_cmp_ne_u16_e32 vcc, 0, v13
	s_andn2_b64 s[4:5], s[4:5], exec
	s_and_b64 s[8:9], vcc, exec
	v_mov_b32_e32 v14, 0
	s_or_b64 s[4:5], s[4:5], s[8:9]
	s_or_b64 exec, exec, s[6:7]
	s_and_saveexec_b64 s[6:7], s[4:5]
	s_cbranch_execnz .LBB10_1687
	s_branch .LBB10_1688
.LBB10_3737:
	s_movk_i32 s4, 0x80
	v_cmp_eq_u16_sdwa s[12:13], v6, s4 src0_sel:BYTE_3 src1_sel:DWORD
	s_mov_b64 s[4:5], -1
                                        ; implicit-def: $sgpr10
	s_and_saveexec_b64 s[8:9], s[12:13]
; %bb.3738:
	s_mov_b32 s10, 0x7f800001
	s_xor_b64 s[4:5], exec, -1
; %bb.3739:
	s_or_b64 exec, exec, s[8:9]
	s_and_b64 s[4:5], s[4:5], exec
	s_or_saveexec_b64 s[6:7], s[6:7]
	v_mov_b32_e32 v12, s10
	s_xor_b64 exec, exec, s[6:7]
	s_cbranch_execz .LBB10_1690
.LBB10_3740:
	v_mov_b32_e32 v12, 0
	v_cmp_ne_u16_sdwa s[8:9], v6, v12 src0_sel:BYTE_3 src1_sel:DWORD
	s_andn2_b64 s[4:5], s[4:5], exec
	s_and_b64 s[8:9], s[8:9], exec
	s_or_b64 s[4:5], s[4:5], s[8:9]
	s_or_b64 exec, exec, s[6:7]
	s_and_saveexec_b64 s[6:7], s[4:5]
	s_cbranch_execnz .LBB10_1691
	s_branch .LBB10_1692
.LBB10_3741:
	s_movk_i32 s4, 0x80
	v_cmp_eq_u16_sdwa s[12:13], v2, s4 src0_sel:BYTE_3 src1_sel:DWORD
	s_mov_b64 s[4:5], -1
                                        ; implicit-def: $sgpr10
	s_and_saveexec_b64 s[8:9], s[12:13]
; %bb.3742:
	s_mov_b32 s10, 0x7f800001
	s_xor_b64 s[4:5], exec, -1
; %bb.3743:
	s_or_b64 exec, exec, s[8:9]
	s_and_b64 s[4:5], s[4:5], exec
	s_or_saveexec_b64 s[6:7], s[6:7]
	v_mov_b32_e32 v6, s10
	s_xor_b64 exec, exec, s[6:7]
	s_cbranch_execz .LBB10_1694
.LBB10_3744:
	v_mov_b32_e32 v6, 0
	v_cmp_ne_u16_sdwa s[8:9], v2, v6 src0_sel:BYTE_3 src1_sel:DWORD
	s_andn2_b64 s[4:5], s[4:5], exec
	s_and_b64 s[8:9], s[8:9], exec
	s_or_b64 s[4:5], s[4:5], s[8:9]
	s_or_b64 exec, exec, s[6:7]
	s_and_saveexec_b64 s[6:7], s[4:5]
	s_cbranch_execnz .LBB10_1695
	s_branch .LBB10_1696
.LBB10_3745:
	s_movk_i32 s4, 0x80
	v_cmp_eq_u16_sdwa s[12:13], v7, s4 src0_sel:BYTE_0 src1_sel:DWORD
	s_mov_b64 s[4:5], -1
                                        ; implicit-def: $sgpr10
	s_and_saveexec_b64 s[8:9], s[12:13]
; %bb.3746:
	s_mov_b32 s10, 0x7f800001
	s_xor_b64 s[4:5], exec, -1
; %bb.3747:
	s_or_b64 exec, exec, s[8:9]
	s_and_b64 s[4:5], s[4:5], exec
	s_or_saveexec_b64 s[6:7], s[6:7]
	v_mov_b32_e32 v2, s10
	s_xor_b64 exec, exec, s[6:7]
	s_cbranch_execz .LBB10_1698
.LBB10_3748:
	v_mov_b32_e32 v2, 0
	v_cmp_ne_u16_sdwa s[8:9], v7, v2 src0_sel:BYTE_0 src1_sel:DWORD
	s_andn2_b64 s[4:5], s[4:5], exec
	s_and_b64 s[8:9], s[8:9], exec
	s_or_b64 s[4:5], s[4:5], s[8:9]
	s_or_b64 exec, exec, s[6:7]
	s_and_saveexec_b64 s[6:7], s[4:5]
	s_cbranch_execnz .LBB10_1699
	s_branch .LBB10_1700
.LBB10_3749:
	s_movk_i32 s4, 0x80
	v_cmp_eq_u16_sdwa s[12:13], v3, s4 src0_sel:BYTE_0 src1_sel:DWORD
	s_mov_b64 s[4:5], -1
                                        ; implicit-def: $sgpr10
	s_and_saveexec_b64 s[8:9], s[12:13]
; %bb.3750:
	s_mov_b32 s10, 0x7f800001
	s_xor_b64 s[4:5], exec, -1
; %bb.3751:
	s_or_b64 exec, exec, s[8:9]
	s_and_b64 s[4:5], s[4:5], exec
	s_or_saveexec_b64 s[6:7], s[6:7]
	v_mov_b32_e32 v6, s10
	s_xor_b64 exec, exec, s[6:7]
	s_cbranch_execz .LBB10_1702
.LBB10_3752:
	v_mov_b32_e32 v6, 0
	v_cmp_ne_u16_sdwa s[8:9], v3, v6 src0_sel:BYTE_0 src1_sel:DWORD
	s_andn2_b64 s[4:5], s[4:5], exec
	s_and_b64 s[8:9], s[8:9], exec
	s_or_b64 s[4:5], s[4:5], s[8:9]
	s_or_b64 exec, exec, s[6:7]
	s_and_saveexec_b64 s[6:7], s[4:5]
	s_cbranch_execnz .LBB10_1703
	s_branch .LBB10_1704
.LBB10_3753:
	s_movk_i32 s4, 0x80
	v_cmp_eq_u16_sdwa s[12:13], v6, s4 src0_sel:BYTE_0 src1_sel:DWORD
	s_mov_b64 s[4:5], -1
                                        ; implicit-def: $sgpr10
	s_and_saveexec_b64 s[8:9], s[12:13]
; %bb.3754:
	s_mov_b32 s10, 0x7f800001
	s_xor_b64 s[4:5], exec, -1
; %bb.3755:
	s_or_b64 exec, exec, s[8:9]
	s_and_b64 s[4:5], s[4:5], exec
	s_or_saveexec_b64 s[6:7], s[6:7]
	v_mov_b32_e32 v2, s10
	s_xor_b64 exec, exec, s[6:7]
	s_cbranch_execz .LBB10_1706
.LBB10_3756:
	v_mov_b32_e32 v2, 0
	v_cmp_ne_u16_sdwa s[8:9], v6, v2 src0_sel:BYTE_0 src1_sel:DWORD
	s_andn2_b64 s[4:5], s[4:5], exec
	s_and_b64 s[8:9], s[8:9], exec
	s_or_b64 s[4:5], s[4:5], s[8:9]
	s_or_b64 exec, exec, s[6:7]
	s_and_saveexec_b64 s[6:7], s[4:5]
	s_cbranch_execnz .LBB10_1707
	s_branch .LBB10_1708
.LBB10_3757:
	s_movk_i32 s4, 0x80
	v_cmp_eq_u16_sdwa s[12:13], v6, s4 src0_sel:BYTE_0 src1_sel:DWORD
	s_mov_b64 s[4:5], -1
                                        ; implicit-def: $sgpr10
	s_and_saveexec_b64 s[8:9], s[12:13]
; %bb.3758:
	s_mov_b32 s10, 0x7f800001
	s_xor_b64 s[4:5], exec, -1
; %bb.3759:
	s_or_b64 exec, exec, s[8:9]
	s_and_b64 s[4:5], s[4:5], exec
	s_or_saveexec_b64 s[6:7], s[6:7]
	v_mov_b32_e32 v12, s10
	s_xor_b64 exec, exec, s[6:7]
	s_cbranch_execz .LBB10_1710
.LBB10_3760:
	v_mov_b32_e32 v12, 0
	v_cmp_ne_u16_sdwa s[8:9], v6, v12 src0_sel:BYTE_0 src1_sel:DWORD
	s_andn2_b64 s[4:5], s[4:5], exec
	s_and_b64 s[8:9], s[8:9], exec
	s_or_b64 s[4:5], s[4:5], s[8:9]
	s_or_b64 exec, exec, s[6:7]
	s_and_saveexec_b64 s[6:7], s[4:5]
	s_cbranch_execnz .LBB10_1711
	s_branch .LBB10_1712
.LBB10_3761:
	s_movk_i32 s4, 0x80
	v_cmp_eq_u16_e32 vcc, s4, v6
	s_mov_b64 s[4:5], -1
                                        ; implicit-def: $sgpr10
	s_and_saveexec_b64 s[8:9], vcc
; %bb.3762:
	s_mov_b32 s10, 0x7f800001
	s_xor_b64 s[4:5], exec, -1
; %bb.3763:
	s_or_b64 exec, exec, s[8:9]
	s_and_b64 s[4:5], s[4:5], exec
                                        ; implicit-def: $vgpr6
	s_or_saveexec_b64 s[6:7], s[6:7]
	v_mov_b32_e32 v2, s10
	s_xor_b64 exec, exec, s[6:7]
	s_cbranch_execz .LBB10_1714
.LBB10_3764:
	v_cmp_ne_u16_e32 vcc, 0, v6
	s_andn2_b64 s[4:5], s[4:5], exec
	s_and_b64 s[8:9], vcc, exec
	v_mov_b32_e32 v2, 0
	s_or_b64 s[4:5], s[4:5], s[8:9]
	s_or_b64 exec, exec, s[6:7]
	s_and_saveexec_b64 s[6:7], s[4:5]
	s_cbranch_execnz .LBB10_1715
	s_branch .LBB10_1716
.LBB10_3765:
	s_movk_i32 s4, 0x80
	v_cmp_eq_u16_e32 vcc, s4, v6
	s_mov_b64 s[4:5], -1
                                        ; implicit-def: $sgpr10
	s_and_saveexec_b64 s[8:9], vcc
; %bb.3766:
	s_mov_b32 s10, 0x7f800001
	s_xor_b64 s[4:5], exec, -1
; %bb.3767:
	s_or_b64 exec, exec, s[8:9]
	s_and_b64 s[4:5], s[4:5], exec
                                        ; implicit-def: $vgpr6
	s_or_saveexec_b64 s[6:7], s[6:7]
	v_mov_b32_e32 v12, s10
	s_xor_b64 exec, exec, s[6:7]
	s_cbranch_execz .LBB10_1718
.LBB10_3768:
	v_cmp_ne_u16_e32 vcc, 0, v6
	s_andn2_b64 s[4:5], s[4:5], exec
	s_and_b64 s[8:9], vcc, exec
	v_mov_b32_e32 v12, 0
	s_or_b64 s[4:5], s[4:5], s[8:9]
	s_or_b64 exec, exec, s[6:7]
	s_and_saveexec_b64 s[6:7], s[4:5]
	s_cbranch_execnz .LBB10_1719
	s_branch .LBB10_1720
.LBB10_3769:
	s_movk_i32 s4, 0x80
	v_cmp_eq_u16_sdwa s[12:13], v7, s4 src0_sel:BYTE_3 src1_sel:DWORD
	s_mov_b64 s[4:5], -1
                                        ; implicit-def: $sgpr10
	s_and_saveexec_b64 s[8:9], s[12:13]
; %bb.3770:
	s_mov_b32 s10, 0x7f800001
	s_xor_b64 s[4:5], exec, -1
; %bb.3771:
	s_or_b64 exec, exec, s[8:9]
	s_and_b64 s[4:5], s[4:5], exec
	s_or_saveexec_b64 s[6:7], s[6:7]
	v_mov_b32_e32 v2, s10
	s_xor_b64 exec, exec, s[6:7]
	s_cbranch_execz .LBB10_1722
.LBB10_3772:
	v_mov_b32_e32 v2, 0
	v_cmp_ne_u16_sdwa s[8:9], v7, v2 src0_sel:BYTE_3 src1_sel:DWORD
	s_andn2_b64 s[4:5], s[4:5], exec
	s_and_b64 s[8:9], s[8:9], exec
	s_or_b64 s[4:5], s[4:5], s[8:9]
	s_or_b64 exec, exec, s[6:7]
	s_and_saveexec_b64 s[6:7], s[4:5]
	s_cbranch_execnz .LBB10_1723
	s_branch .LBB10_1724
.LBB10_3773:
	s_movk_i32 s4, 0x80
	v_cmp_eq_u16_sdwa s[12:13], v3, s4 src0_sel:BYTE_3 src1_sel:DWORD
	s_mov_b64 s[4:5], -1
                                        ; implicit-def: $sgpr10
	s_and_saveexec_b64 s[8:9], s[12:13]
; %bb.3774:
	s_mov_b32 s10, 0x7f800001
	s_xor_b64 s[4:5], exec, -1
; %bb.3775:
	s_or_b64 exec, exec, s[8:9]
	s_and_b64 s[4:5], s[4:5], exec
	s_or_saveexec_b64 s[6:7], s[6:7]
	v_mov_b32_e32 v6, s10
	s_xor_b64 exec, exec, s[6:7]
	s_cbranch_execz .LBB10_1726
.LBB10_3776:
	v_mov_b32_e32 v6, 0
	v_cmp_ne_u16_sdwa s[8:9], v3, v6 src0_sel:BYTE_3 src1_sel:DWORD
	s_andn2_b64 s[4:5], s[4:5], exec
	s_and_b64 s[8:9], s[8:9], exec
	s_or_b64 s[4:5], s[4:5], s[8:9]
	s_or_b64 exec, exec, s[6:7]
	s_and_saveexec_b64 s[6:7], s[4:5]
	s_cbranch_execnz .LBB10_1727
	s_branch .LBB10_1728
.LBB10_3777:
	s_movk_i32 s4, 0x80
	v_cmp_eq_u16_sdwa s[12:13], v8, s4 src0_sel:BYTE_0 src1_sel:DWORD
	s_mov_b64 s[4:5], -1
                                        ; implicit-def: $sgpr10
	s_and_saveexec_b64 s[8:9], s[12:13]
; %bb.3778:
	s_mov_b32 s10, 0x7f800001
	s_xor_b64 s[4:5], exec, -1
; %bb.3779:
	s_or_b64 exec, exec, s[8:9]
	s_and_b64 s[4:5], s[4:5], exec
	s_or_saveexec_b64 s[6:7], s[6:7]
	v_mov_b32_e32 v2, s10
	s_xor_b64 exec, exec, s[6:7]
	s_cbranch_execz .LBB10_1730
.LBB10_3780:
	v_mov_b32_e32 v2, 0
	v_cmp_ne_u16_sdwa s[8:9], v8, v2 src0_sel:BYTE_0 src1_sel:DWORD
	s_andn2_b64 s[4:5], s[4:5], exec
	s_and_b64 s[8:9], s[8:9], exec
	s_or_b64 s[4:5], s[4:5], s[8:9]
	s_or_b64 exec, exec, s[6:7]
	s_and_saveexec_b64 s[6:7], s[4:5]
	s_cbranch_execnz .LBB10_1731
	s_branch .LBB10_1732
.LBB10_3781:
	s_movk_i32 s4, 0x80
	v_cmp_eq_u16_sdwa s[12:13], v4, s4 src0_sel:BYTE_0 src1_sel:DWORD
	s_mov_b64 s[4:5], -1
                                        ; implicit-def: $sgpr10
	s_and_saveexec_b64 s[8:9], s[12:13]
; %bb.3782:
	s_mov_b32 s10, 0x7f800001
	s_xor_b64 s[4:5], exec, -1
; %bb.3783:
	s_or_b64 exec, exec, s[8:9]
	s_and_b64 s[4:5], s[4:5], exec
	s_or_saveexec_b64 s[6:7], s[6:7]
	v_mov_b32_e32 v3, s10
	s_xor_b64 exec, exec, s[6:7]
	s_cbranch_execz .LBB10_1734
.LBB10_3784:
	v_mov_b32_e32 v3, 0
	v_cmp_ne_u16_sdwa s[8:9], v4, v3 src0_sel:BYTE_0 src1_sel:DWORD
	s_andn2_b64 s[4:5], s[4:5], exec
	s_and_b64 s[8:9], s[8:9], exec
	s_or_b64 s[4:5], s[4:5], s[8:9]
	s_or_b64 exec, exec, s[6:7]
	s_and_saveexec_b64 s[6:7], s[4:5]
	s_cbranch_execnz .LBB10_1735
	s_branch .LBB10_1736
.LBB10_3785:
	s_movk_i32 s4, 0x80
	v_cmp_eq_u16_sdwa s[12:13], v3, s4 src0_sel:BYTE_0 src1_sel:DWORD
	s_mov_b64 s[4:5], -1
                                        ; implicit-def: $sgpr10
	s_and_saveexec_b64 s[8:9], s[12:13]
; %bb.3786:
	s_mov_b32 s10, 0x7f800001
	s_xor_b64 s[4:5], exec, -1
; %bb.3787:
	s_or_b64 exec, exec, s[8:9]
	s_and_b64 s[4:5], s[4:5], exec
	s_or_saveexec_b64 s[6:7], s[6:7]
	v_mov_b32_e32 v2, s10
	s_xor_b64 exec, exec, s[6:7]
	s_cbranch_execz .LBB10_1738
.LBB10_3788:
	v_mov_b32_e32 v2, 0
	v_cmp_ne_u16_sdwa s[8:9], v3, v2 src0_sel:BYTE_0 src1_sel:DWORD
	s_andn2_b64 s[4:5], s[4:5], exec
	s_and_b64 s[8:9], s[8:9], exec
	s_or_b64 s[4:5], s[4:5], s[8:9]
	s_or_b64 exec, exec, s[6:7]
	s_and_saveexec_b64 s[6:7], s[4:5]
	s_cbranch_execnz .LBB10_1739
	s_branch .LBB10_1740
.LBB10_3789:
	s_movk_i32 s4, 0x80
	v_cmp_eq_u16_sdwa s[12:13], v3, s4 src0_sel:BYTE_0 src1_sel:DWORD
	s_mov_b64 s[4:5], -1
                                        ; implicit-def: $sgpr10
	s_and_saveexec_b64 s[8:9], s[12:13]
; %bb.3790:
	s_mov_b32 s10, 0x7f800001
	s_xor_b64 s[4:5], exec, -1
; %bb.3791:
	s_or_b64 exec, exec, s[8:9]
	s_and_b64 s[4:5], s[4:5], exec
	s_or_saveexec_b64 s[6:7], s[6:7]
	v_mov_b32_e32 v6, s10
	s_xor_b64 exec, exec, s[6:7]
	s_cbranch_execz .LBB10_1742
.LBB10_3792:
	v_mov_b32_e32 v6, 0
	v_cmp_ne_u16_sdwa s[8:9], v3, v6 src0_sel:BYTE_0 src1_sel:DWORD
	s_andn2_b64 s[4:5], s[4:5], exec
	s_and_b64 s[8:9], s[8:9], exec
	s_or_b64 s[4:5], s[4:5], s[8:9]
	s_or_b64 exec, exec, s[6:7]
	s_and_saveexec_b64 s[6:7], s[4:5]
	s_cbranch_execnz .LBB10_1743
	s_branch .LBB10_1744
.LBB10_3793:
	s_movk_i32 s4, 0x80
	v_cmp_eq_u16_e32 vcc, s4, v3
	s_mov_b64 s[4:5], -1
                                        ; implicit-def: $sgpr10
	s_and_saveexec_b64 s[8:9], vcc
; %bb.3794:
	s_mov_b32 s10, 0x7f800001
	s_xor_b64 s[4:5], exec, -1
; %bb.3795:
	s_or_b64 exec, exec, s[8:9]
	s_and_b64 s[4:5], s[4:5], exec
                                        ; implicit-def: $vgpr3
	s_or_saveexec_b64 s[6:7], s[6:7]
	v_mov_b32_e32 v2, s10
	s_xor_b64 exec, exec, s[6:7]
	s_cbranch_execz .LBB10_1746
.LBB10_3796:
	v_cmp_ne_u16_e32 vcc, 0, v3
	s_andn2_b64 s[4:5], s[4:5], exec
	s_and_b64 s[8:9], vcc, exec
	v_mov_b32_e32 v2, 0
	s_or_b64 s[4:5], s[4:5], s[8:9]
	s_or_b64 exec, exec, s[6:7]
	s_and_saveexec_b64 s[6:7], s[4:5]
	s_cbranch_execnz .LBB10_1747
	s_branch .LBB10_1748
.LBB10_3797:
	s_movk_i32 s4, 0x80
	v_cmp_eq_u16_e32 vcc, s4, v3
	s_mov_b64 s[4:5], -1
                                        ; implicit-def: $sgpr10
	s_and_saveexec_b64 s[8:9], vcc
; %bb.3798:
	s_mov_b32 s10, 0x7f800001
	s_xor_b64 s[4:5], exec, -1
; %bb.3799:
	s_or_b64 exec, exec, s[8:9]
	s_and_b64 s[4:5], s[4:5], exec
                                        ; implicit-def: $vgpr3
	s_or_saveexec_b64 s[6:7], s[6:7]
	v_mov_b32_e32 v6, s10
	s_xor_b64 exec, exec, s[6:7]
	s_cbranch_execz .LBB10_1750
.LBB10_3800:
	v_cmp_ne_u16_e32 vcc, 0, v3
	s_andn2_b64 s[4:5], s[4:5], exec
	s_and_b64 s[8:9], vcc, exec
	v_mov_b32_e32 v6, 0
	s_or_b64 s[4:5], s[4:5], s[8:9]
	s_or_b64 exec, exec, s[6:7]
	s_and_saveexec_b64 s[6:7], s[4:5]
	s_cbranch_execnz .LBB10_1751
	s_branch .LBB10_1752
.LBB10_3801:
	s_movk_i32 s4, 0x80
	v_cmp_eq_u16_sdwa s[12:13], v8, s4 src0_sel:BYTE_3 src1_sel:DWORD
	s_mov_b64 s[4:5], -1
                                        ; implicit-def: $sgpr10
	s_and_saveexec_b64 s[8:9], s[12:13]
; %bb.3802:
	s_mov_b32 s10, 0x7f800001
	s_xor_b64 s[4:5], exec, -1
; %bb.3803:
	s_or_b64 exec, exec, s[8:9]
	s_and_b64 s[4:5], s[4:5], exec
	s_or_saveexec_b64 s[6:7], s[6:7]
	v_mov_b32_e32 v2, s10
	s_xor_b64 exec, exec, s[6:7]
	s_cbranch_execz .LBB10_1754
.LBB10_3804:
	v_mov_b32_e32 v2, 0
	v_cmp_ne_u16_sdwa s[8:9], v8, v2 src0_sel:BYTE_3 src1_sel:DWORD
	s_andn2_b64 s[4:5], s[4:5], exec
	s_and_b64 s[8:9], s[8:9], exec
	s_or_b64 s[4:5], s[4:5], s[8:9]
	s_or_b64 exec, exec, s[6:7]
	s_and_saveexec_b64 s[6:7], s[4:5]
	s_cbranch_execnz .LBB10_1755
	s_branch .LBB10_1756
.LBB10_3805:
	s_movk_i32 s4, 0x80
	v_cmp_eq_u16_sdwa s[12:13], v4, s4 src0_sel:BYTE_3 src1_sel:DWORD
	s_mov_b64 s[4:5], -1
                                        ; implicit-def: $sgpr10
	s_and_saveexec_b64 s[8:9], s[12:13]
; %bb.3806:
	s_mov_b32 s10, 0x7f800001
	s_xor_b64 s[4:5], exec, -1
; %bb.3807:
	s_or_b64 exec, exec, s[8:9]
	s_and_b64 s[4:5], s[4:5], exec
	s_or_saveexec_b64 s[6:7], s[6:7]
	v_mov_b32_e32 v3, s10
	s_xor_b64 exec, exec, s[6:7]
	s_cbranch_execz .LBB10_1758
.LBB10_3808:
	v_mov_b32_e32 v3, 0
	v_cmp_ne_u16_sdwa s[8:9], v4, v3 src0_sel:BYTE_3 src1_sel:DWORD
	s_andn2_b64 s[4:5], s[4:5], exec
	s_and_b64 s[8:9], s[8:9], exec
	s_or_b64 s[4:5], s[4:5], s[8:9]
	s_or_b64 exec, exec, s[6:7]
	s_and_saveexec_b64 s[6:7], s[4:5]
	s_cbranch_execnz .LBB10_1759
	s_branch .LBB10_1760
.LBB10_3809:
	s_movk_i32 s4, 0x80
	v_cmp_eq_u16_sdwa s[12:13], v9, s4 src0_sel:BYTE_0 src1_sel:DWORD
	s_mov_b64 s[4:5], -1
                                        ; implicit-def: $sgpr10
	s_and_saveexec_b64 s[8:9], s[12:13]
; %bb.3810:
	s_mov_b32 s10, 0x7f800001
	s_xor_b64 s[4:5], exec, -1
; %bb.3811:
	s_or_b64 exec, exec, s[8:9]
	s_and_b64 s[4:5], s[4:5], exec
	s_or_saveexec_b64 s[6:7], s[6:7]
	v_mov_b32_e32 v2, s10
	s_xor_b64 exec, exec, s[6:7]
	s_cbranch_execz .LBB10_1762
.LBB10_3812:
	v_mov_b32_e32 v2, 0
	v_cmp_ne_u16_sdwa s[8:9], v9, v2 src0_sel:BYTE_0 src1_sel:DWORD
	s_andn2_b64 s[4:5], s[4:5], exec
	s_and_b64 s[8:9], s[8:9], exec
	s_or_b64 s[4:5], s[4:5], s[8:9]
	s_or_b64 exec, exec, s[6:7]
	s_and_saveexec_b64 s[6:7], s[4:5]
	s_cbranch_execnz .LBB10_1763
	s_branch .LBB10_1764
.LBB10_3813:
	s_movk_i32 s4, 0x80
	v_cmp_eq_u16_sdwa s[12:13], v5, s4 src0_sel:BYTE_0 src1_sel:DWORD
	s_mov_b64 s[4:5], -1
                                        ; implicit-def: $sgpr10
	s_and_saveexec_b64 s[8:9], s[12:13]
; %bb.3814:
	s_mov_b32 s10, 0x7f800001
	s_xor_b64 s[4:5], exec, -1
; %bb.3815:
	s_or_b64 exec, exec, s[8:9]
	s_and_b64 s[4:5], s[4:5], exec
	s_or_saveexec_b64 s[6:7], s[6:7]
	v_mov_b32_e32 v3, s10
	s_xor_b64 exec, exec, s[6:7]
	s_cbranch_execz .LBB10_1766
.LBB10_3816:
	v_mov_b32_e32 v3, 0
	v_cmp_ne_u16_sdwa s[8:9], v5, v3 src0_sel:BYTE_0 src1_sel:DWORD
	s_andn2_b64 s[4:5], s[4:5], exec
	s_and_b64 s[8:9], s[8:9], exec
	s_or_b64 s[4:5], s[4:5], s[8:9]
	s_or_b64 exec, exec, s[6:7]
	s_and_saveexec_b64 s[6:7], s[4:5]
	s_cbranch_execnz .LBB10_1767
	s_branch .LBB10_1768
.LBB10_3817:
	s_movk_i32 s4, 0x80
	v_cmp_eq_u16_sdwa s[12:13], v3, s4 src0_sel:BYTE_0 src1_sel:DWORD
	s_mov_b64 s[4:5], -1
                                        ; implicit-def: $sgpr10
	s_and_saveexec_b64 s[8:9], s[12:13]
; %bb.3818:
	s_mov_b32 s10, 0x7f800001
	s_xor_b64 s[4:5], exec, -1
; %bb.3819:
	s_or_b64 exec, exec, s[8:9]
	s_and_b64 s[4:5], s[4:5], exec
	s_or_saveexec_b64 s[6:7], s[6:7]
	v_mov_b32_e32 v2, s10
	s_xor_b64 exec, exec, s[6:7]
	s_cbranch_execz .LBB10_1770
.LBB10_3820:
	v_mov_b32_e32 v2, 0
	v_cmp_ne_u16_sdwa s[8:9], v3, v2 src0_sel:BYTE_0 src1_sel:DWORD
	s_andn2_b64 s[4:5], s[4:5], exec
	s_and_b64 s[8:9], s[8:9], exec
	s_or_b64 s[4:5], s[4:5], s[8:9]
	s_or_b64 exec, exec, s[6:7]
	s_and_saveexec_b64 s[6:7], s[4:5]
	s_cbranch_execnz .LBB10_1771
	s_branch .LBB10_1772
.LBB10_3821:
	s_movk_i32 s4, 0x80
	v_cmp_eq_u16_sdwa s[12:13], v3, s4 src0_sel:BYTE_0 src1_sel:DWORD
	s_mov_b64 s[4:5], -1
                                        ; implicit-def: $sgpr10
	s_and_saveexec_b64 s[8:9], s[12:13]
; %bb.3822:
	s_mov_b32 s10, 0x7f800001
	s_xor_b64 s[4:5], exec, -1
; %bb.3823:
	s_or_b64 exec, exec, s[8:9]
	s_and_b64 s[4:5], s[4:5], exec
	s_or_saveexec_b64 s[6:7], s[6:7]
	v_mov_b32_e32 v4, s10
	s_xor_b64 exec, exec, s[6:7]
	s_cbranch_execz .LBB10_1774
.LBB10_3824:
	v_mov_b32_e32 v4, 0
	v_cmp_ne_u16_sdwa s[8:9], v3, v4 src0_sel:BYTE_0 src1_sel:DWORD
	s_andn2_b64 s[4:5], s[4:5], exec
	s_and_b64 s[8:9], s[8:9], exec
	s_or_b64 s[4:5], s[4:5], s[8:9]
	s_or_b64 exec, exec, s[6:7]
	s_and_saveexec_b64 s[6:7], s[4:5]
	s_cbranch_execnz .LBB10_1775
	s_branch .LBB10_1776
.LBB10_3825:
	s_movk_i32 s4, 0x80
	v_cmp_eq_u16_e32 vcc, s4, v3
	s_mov_b64 s[4:5], -1
                                        ; implicit-def: $sgpr10
	s_and_saveexec_b64 s[8:9], vcc
; %bb.3826:
	s_mov_b32 s10, 0x7f800001
	s_xor_b64 s[4:5], exec, -1
; %bb.3827:
	s_or_b64 exec, exec, s[8:9]
	s_and_b64 s[4:5], s[4:5], exec
                                        ; implicit-def: $vgpr3
	s_or_saveexec_b64 s[6:7], s[6:7]
	v_mov_b32_e32 v2, s10
	s_xor_b64 exec, exec, s[6:7]
	s_cbranch_execz .LBB10_1778
.LBB10_3828:
	v_cmp_ne_u16_e32 vcc, 0, v3
	s_andn2_b64 s[4:5], s[4:5], exec
	s_and_b64 s[8:9], vcc, exec
	v_mov_b32_e32 v2, 0
	s_or_b64 s[4:5], s[4:5], s[8:9]
	s_or_b64 exec, exec, s[6:7]
	s_and_saveexec_b64 s[6:7], s[4:5]
	s_cbranch_execnz .LBB10_1779
	s_branch .LBB10_1780
.LBB10_3829:
	s_movk_i32 s4, 0x80
	v_cmp_eq_u16_e32 vcc, s4, v3
	s_mov_b64 s[4:5], -1
                                        ; implicit-def: $sgpr10
	s_and_saveexec_b64 s[8:9], vcc
; %bb.3830:
	s_mov_b32 s10, 0x7f800001
	s_xor_b64 s[4:5], exec, -1
; %bb.3831:
	s_or_b64 exec, exec, s[8:9]
	s_and_b64 s[4:5], s[4:5], exec
                                        ; implicit-def: $vgpr3
	s_or_saveexec_b64 s[6:7], s[6:7]
	v_mov_b32_e32 v4, s10
	s_xor_b64 exec, exec, s[6:7]
	s_cbranch_execz .LBB10_1782
.LBB10_3832:
	v_cmp_ne_u16_e32 vcc, 0, v3
	s_andn2_b64 s[4:5], s[4:5], exec
	s_and_b64 s[8:9], vcc, exec
	v_mov_b32_e32 v4, 0
	s_or_b64 s[4:5], s[4:5], s[8:9]
	s_or_b64 exec, exec, s[6:7]
	s_and_saveexec_b64 s[6:7], s[4:5]
	s_cbranch_execnz .LBB10_1783
	s_branch .LBB10_1784
.LBB10_3833:
	s_movk_i32 s4, 0x80
	v_cmp_eq_u16_sdwa s[12:13], v9, s4 src0_sel:BYTE_3 src1_sel:DWORD
	s_mov_b64 s[4:5], -1
                                        ; implicit-def: $sgpr10
	s_and_saveexec_b64 s[8:9], s[12:13]
; %bb.3834:
	s_mov_b32 s10, 0x7f800001
	s_xor_b64 s[4:5], exec, -1
; %bb.3835:
	s_or_b64 exec, exec, s[8:9]
	s_and_b64 s[4:5], s[4:5], exec
	s_or_saveexec_b64 s[6:7], s[6:7]
	v_mov_b32_e32 v2, s10
	s_xor_b64 exec, exec, s[6:7]
	s_cbranch_execz .LBB10_1786
.LBB10_3836:
	v_mov_b32_e32 v2, 0
	v_cmp_ne_u16_sdwa s[8:9], v9, v2 src0_sel:BYTE_3 src1_sel:DWORD
	s_andn2_b64 s[4:5], s[4:5], exec
	s_and_b64 s[8:9], s[8:9], exec
	s_or_b64 s[4:5], s[4:5], s[8:9]
	s_or_b64 exec, exec, s[6:7]
	s_and_saveexec_b64 s[6:7], s[4:5]
	s_cbranch_execnz .LBB10_1787
	s_branch .LBB10_1788
.LBB10_3837:
	s_movk_i32 s4, 0x80
	v_cmp_eq_u16_sdwa s[12:13], v5, s4 src0_sel:BYTE_3 src1_sel:DWORD
	s_mov_b64 s[4:5], -1
                                        ; implicit-def: $sgpr10
	s_and_saveexec_b64 s[8:9], s[12:13]
; %bb.3838:
	s_mov_b32 s10, 0x7f800001
	s_xor_b64 s[4:5], exec, -1
; %bb.3839:
	s_or_b64 exec, exec, s[8:9]
	s_and_b64 s[4:5], s[4:5], exec
	s_or_saveexec_b64 s[6:7], s[6:7]
	v_mov_b32_e32 v3, s10
	s_xor_b64 exec, exec, s[6:7]
	s_cbranch_execz .LBB10_1790
.LBB10_3840:
	v_mov_b32_e32 v3, 0
	v_cmp_ne_u16_sdwa s[8:9], v5, v3 src0_sel:BYTE_3 src1_sel:DWORD
	s_andn2_b64 s[4:5], s[4:5], exec
	s_and_b64 s[8:9], s[8:9], exec
	s_or_b64 s[4:5], s[4:5], s[8:9]
	s_or_b64 exec, exec, s[6:7]
	s_and_saveexec_b64 s[6:7], s[4:5]
	s_cbranch_execnz .LBB10_1791
	s_branch .LBB10_1792
.LBB10_3841:
	s_movk_i32 s4, 0x80
	v_cmp_eq_u16_sdwa s[12:13], v6, s4 src0_sel:BYTE_0 src1_sel:DWORD
	s_mov_b64 s[4:5], -1
                                        ; implicit-def: $sgpr10
	s_and_saveexec_b64 s[8:9], s[12:13]
; %bb.3842:
	s_mov_b32 s10, 0x7f800001
	s_xor_b64 s[4:5], exec, -1
; %bb.3843:
	s_or_b64 exec, exec, s[8:9]
	s_and_b64 s[4:5], s[4:5], exec
	s_or_saveexec_b64 s[6:7], s[6:7]
	v_mov_b32_e32 v12, s10
	s_xor_b64 exec, exec, s[6:7]
	s_cbranch_execz .LBB10_1794
.LBB10_3844:
	v_mov_b32_e32 v12, 0
	v_cmp_ne_u16_sdwa s[8:9], v6, v12 src0_sel:BYTE_0 src1_sel:DWORD
	s_andn2_b64 s[4:5], s[4:5], exec
	s_and_b64 s[8:9], s[8:9], exec
	s_or_b64 s[4:5], s[4:5], s[8:9]
	s_or_b64 exec, exec, s[6:7]
	s_and_saveexec_b64 s[6:7], s[4:5]
	s_cbranch_execnz .LBB10_1795
	s_branch .LBB10_1796
.LBB10_3845:
	s_movk_i32 s4, 0x80
	v_cmp_eq_u16_sdwa s[12:13], v2, s4 src0_sel:BYTE_0 src1_sel:DWORD
	s_mov_b64 s[4:5], -1
                                        ; implicit-def: $sgpr10
	s_and_saveexec_b64 s[8:9], s[12:13]
; %bb.3846:
	s_mov_b32 s10, 0x7f800001
	s_xor_b64 s[4:5], exec, -1
; %bb.3847:
	s_or_b64 exec, exec, s[8:9]
	s_and_b64 s[4:5], s[4:5], exec
	s_or_saveexec_b64 s[6:7], s[6:7]
	v_mov_b32_e32 v13, s10
	s_xor_b64 exec, exec, s[6:7]
	s_cbranch_execz .LBB10_1798
.LBB10_3848:
	v_mov_b32_e32 v13, 0
	v_cmp_ne_u16_sdwa s[8:9], v2, v13 src0_sel:BYTE_0 src1_sel:DWORD
	s_andn2_b64 s[4:5], s[4:5], exec
	s_and_b64 s[8:9], s[8:9], exec
	s_or_b64 s[4:5], s[4:5], s[8:9]
	s_or_b64 exec, exec, s[6:7]
	s_and_saveexec_b64 s[6:7], s[4:5]
	s_cbranch_execnz .LBB10_1799
	s_branch .LBB10_1800
.LBB10_3849:
	s_movk_i32 s4, 0x80
	v_cmp_eq_u16_sdwa s[12:13], v13, s4 src0_sel:BYTE_0 src1_sel:DWORD
	s_mov_b64 s[4:5], -1
                                        ; implicit-def: $sgpr10
	s_and_saveexec_b64 s[8:9], s[12:13]
; %bb.3850:
	s_mov_b32 s10, 0x7f800001
	s_xor_b64 s[4:5], exec, -1
; %bb.3851:
	s_or_b64 exec, exec, s[8:9]
	s_and_b64 s[4:5], s[4:5], exec
	s_or_saveexec_b64 s[6:7], s[6:7]
	v_mov_b32_e32 v12, s10
	s_xor_b64 exec, exec, s[6:7]
	s_cbranch_execz .LBB10_1802
.LBB10_3852:
	v_mov_b32_e32 v12, 0
	v_cmp_ne_u16_sdwa s[8:9], v13, v12 src0_sel:BYTE_0 src1_sel:DWORD
	s_andn2_b64 s[4:5], s[4:5], exec
	s_and_b64 s[8:9], s[8:9], exec
	s_or_b64 s[4:5], s[4:5], s[8:9]
	s_or_b64 exec, exec, s[6:7]
	s_and_saveexec_b64 s[6:7], s[4:5]
	s_cbranch_execnz .LBB10_1803
	s_branch .LBB10_1804
.LBB10_3853:
	s_movk_i32 s4, 0x80
	v_cmp_eq_u16_sdwa s[12:13], v13, s4 src0_sel:BYTE_0 src1_sel:DWORD
	s_mov_b64 s[4:5], -1
                                        ; implicit-def: $sgpr10
	s_and_saveexec_b64 s[8:9], s[12:13]
; %bb.3854:
	s_mov_b32 s10, 0x7f800001
	s_xor_b64 s[4:5], exec, -1
; %bb.3855:
	s_or_b64 exec, exec, s[8:9]
	s_and_b64 s[4:5], s[4:5], exec
	s_or_saveexec_b64 s[6:7], s[6:7]
	v_mov_b32_e32 v14, s10
	s_xor_b64 exec, exec, s[6:7]
	s_cbranch_execz .LBB10_1806
.LBB10_3856:
	v_mov_b32_e32 v14, 0
	v_cmp_ne_u16_sdwa s[8:9], v13, v14 src0_sel:BYTE_0 src1_sel:DWORD
	s_andn2_b64 s[4:5], s[4:5], exec
	s_and_b64 s[8:9], s[8:9], exec
	s_or_b64 s[4:5], s[4:5], s[8:9]
	s_or_b64 exec, exec, s[6:7]
	s_and_saveexec_b64 s[6:7], s[4:5]
	s_cbranch_execnz .LBB10_1807
	s_branch .LBB10_1808
.LBB10_3857:
	s_movk_i32 s4, 0x80
	v_cmp_eq_u16_e32 vcc, s4, v13
	s_mov_b64 s[4:5], -1
                                        ; implicit-def: $sgpr10
	s_and_saveexec_b64 s[8:9], vcc
; %bb.3858:
	s_mov_b32 s10, 0x7f800001
	s_xor_b64 s[4:5], exec, -1
; %bb.3859:
	s_or_b64 exec, exec, s[8:9]
	s_and_b64 s[4:5], s[4:5], exec
                                        ; implicit-def: $vgpr13
	s_or_saveexec_b64 s[6:7], s[6:7]
	v_mov_b32_e32 v12, s10
	s_xor_b64 exec, exec, s[6:7]
	s_cbranch_execz .LBB10_1810
.LBB10_3860:
	v_cmp_ne_u16_e32 vcc, 0, v13
	s_andn2_b64 s[4:5], s[4:5], exec
	s_and_b64 s[8:9], vcc, exec
	v_mov_b32_e32 v12, 0
	s_or_b64 s[4:5], s[4:5], s[8:9]
	s_or_b64 exec, exec, s[6:7]
	s_and_saveexec_b64 s[6:7], s[4:5]
	s_cbranch_execnz .LBB10_1811
	s_branch .LBB10_1812
.LBB10_3861:
	s_movk_i32 s4, 0x80
	v_cmp_eq_u16_e32 vcc, s4, v13
	s_mov_b64 s[4:5], -1
                                        ; implicit-def: $sgpr10
	s_and_saveexec_b64 s[8:9], vcc
; %bb.3862:
	s_mov_b32 s10, 0x7f800001
	s_xor_b64 s[4:5], exec, -1
; %bb.3863:
	s_or_b64 exec, exec, s[8:9]
	s_and_b64 s[4:5], s[4:5], exec
                                        ; implicit-def: $vgpr13
	s_or_saveexec_b64 s[6:7], s[6:7]
	v_mov_b32_e32 v14, s10
	s_xor_b64 exec, exec, s[6:7]
	s_cbranch_execz .LBB10_1814
.LBB10_3864:
	v_cmp_ne_u16_e32 vcc, 0, v13
	s_andn2_b64 s[4:5], s[4:5], exec
	s_and_b64 s[8:9], vcc, exec
	v_mov_b32_e32 v14, 0
	s_or_b64 s[4:5], s[4:5], s[8:9]
	s_or_b64 exec, exec, s[6:7]
	s_and_saveexec_b64 s[6:7], s[4:5]
	s_cbranch_execnz .LBB10_1815
	s_branch .LBB10_1816
.LBB10_3865:
	s_movk_i32 s4, 0x80
	v_cmp_eq_u16_sdwa s[12:13], v6, s4 src0_sel:BYTE_3 src1_sel:DWORD
	s_mov_b64 s[4:5], -1
                                        ; implicit-def: $sgpr10
	s_and_saveexec_b64 s[8:9], s[12:13]
; %bb.3866:
	s_mov_b32 s10, 0x7f800001
	s_xor_b64 s[4:5], exec, -1
; %bb.3867:
	s_or_b64 exec, exec, s[8:9]
	s_and_b64 s[4:5], s[4:5], exec
	s_or_saveexec_b64 s[6:7], s[6:7]
	v_mov_b32_e32 v12, s10
	s_xor_b64 exec, exec, s[6:7]
	s_cbranch_execz .LBB10_1818
.LBB10_3868:
	v_mov_b32_e32 v12, 0
	v_cmp_ne_u16_sdwa s[8:9], v6, v12 src0_sel:BYTE_3 src1_sel:DWORD
	s_andn2_b64 s[4:5], s[4:5], exec
	s_and_b64 s[8:9], s[8:9], exec
	s_or_b64 s[4:5], s[4:5], s[8:9]
	s_or_b64 exec, exec, s[6:7]
	s_and_saveexec_b64 s[6:7], s[4:5]
	s_cbranch_execnz .LBB10_1819
	s_branch .LBB10_1820
.LBB10_3869:
	s_movk_i32 s4, 0x80
	v_cmp_eq_u16_sdwa s[12:13], v2, s4 src0_sel:BYTE_3 src1_sel:DWORD
	s_mov_b64 s[4:5], -1
                                        ; implicit-def: $sgpr10
	s_and_saveexec_b64 s[8:9], s[12:13]
; %bb.3870:
	s_mov_b32 s10, 0x7f800001
	s_xor_b64 s[4:5], exec, -1
; %bb.3871:
	s_or_b64 exec, exec, s[8:9]
	s_and_b64 s[4:5], s[4:5], exec
	s_or_saveexec_b64 s[6:7], s[6:7]
	v_mov_b32_e32 v6, s10
	s_xor_b64 exec, exec, s[6:7]
	s_cbranch_execz .LBB10_1822
.LBB10_3872:
	v_mov_b32_e32 v6, 0
	v_cmp_ne_u16_sdwa s[8:9], v2, v6 src0_sel:BYTE_3 src1_sel:DWORD
	s_andn2_b64 s[4:5], s[4:5], exec
	s_and_b64 s[8:9], s[8:9], exec
	s_or_b64 s[4:5], s[4:5], s[8:9]
	s_or_b64 exec, exec, s[6:7]
	s_and_saveexec_b64 s[6:7], s[4:5]
	s_cbranch_execnz .LBB10_1823
	s_branch .LBB10_1824
.LBB10_3873:
	s_movk_i32 s4, 0x80
	v_cmp_eq_u16_sdwa s[12:13], v7, s4 src0_sel:BYTE_0 src1_sel:DWORD
	s_mov_b64 s[4:5], -1
                                        ; implicit-def: $sgpr10
	s_and_saveexec_b64 s[8:9], s[12:13]
; %bb.3874:
	s_mov_b32 s10, 0x7f800001
	s_xor_b64 s[4:5], exec, -1
; %bb.3875:
	s_or_b64 exec, exec, s[8:9]
	s_and_b64 s[4:5], s[4:5], exec
	s_or_saveexec_b64 s[6:7], s[6:7]
	v_mov_b32_e32 v2, s10
	s_xor_b64 exec, exec, s[6:7]
	s_cbranch_execz .LBB10_1826
.LBB10_3876:
	v_mov_b32_e32 v2, 0
	v_cmp_ne_u16_sdwa s[8:9], v7, v2 src0_sel:BYTE_0 src1_sel:DWORD
	s_andn2_b64 s[4:5], s[4:5], exec
	s_and_b64 s[8:9], s[8:9], exec
	s_or_b64 s[4:5], s[4:5], s[8:9]
	s_or_b64 exec, exec, s[6:7]
	s_and_saveexec_b64 s[6:7], s[4:5]
	s_cbranch_execnz .LBB10_1827
	s_branch .LBB10_1828
.LBB10_3877:
	s_movk_i32 s4, 0x80
	v_cmp_eq_u16_sdwa s[12:13], v3, s4 src0_sel:BYTE_0 src1_sel:DWORD
	s_mov_b64 s[4:5], -1
                                        ; implicit-def: $sgpr10
	s_and_saveexec_b64 s[8:9], s[12:13]
; %bb.3878:
	s_mov_b32 s10, 0x7f800001
	s_xor_b64 s[4:5], exec, -1
; %bb.3879:
	s_or_b64 exec, exec, s[8:9]
	s_and_b64 s[4:5], s[4:5], exec
	s_or_saveexec_b64 s[6:7], s[6:7]
	v_mov_b32_e32 v6, s10
	s_xor_b64 exec, exec, s[6:7]
	s_cbranch_execz .LBB10_1830
.LBB10_3880:
	v_mov_b32_e32 v6, 0
	v_cmp_ne_u16_sdwa s[8:9], v3, v6 src0_sel:BYTE_0 src1_sel:DWORD
	s_andn2_b64 s[4:5], s[4:5], exec
	s_and_b64 s[8:9], s[8:9], exec
	s_or_b64 s[4:5], s[4:5], s[8:9]
	s_or_b64 exec, exec, s[6:7]
	s_and_saveexec_b64 s[6:7], s[4:5]
	s_cbranch_execnz .LBB10_1831
	s_branch .LBB10_1832
.LBB10_3881:
	s_movk_i32 s4, 0x80
	v_cmp_eq_u16_sdwa s[12:13], v6, s4 src0_sel:BYTE_0 src1_sel:DWORD
	s_mov_b64 s[4:5], -1
                                        ; implicit-def: $sgpr10
	s_and_saveexec_b64 s[8:9], s[12:13]
; %bb.3882:
	s_mov_b32 s10, 0x7f800001
	s_xor_b64 s[4:5], exec, -1
; %bb.3883:
	s_or_b64 exec, exec, s[8:9]
	s_and_b64 s[4:5], s[4:5], exec
	s_or_saveexec_b64 s[6:7], s[6:7]
	v_mov_b32_e32 v2, s10
	s_xor_b64 exec, exec, s[6:7]
	s_cbranch_execz .LBB10_1834
.LBB10_3884:
	v_mov_b32_e32 v2, 0
	v_cmp_ne_u16_sdwa s[8:9], v6, v2 src0_sel:BYTE_0 src1_sel:DWORD
	s_andn2_b64 s[4:5], s[4:5], exec
	s_and_b64 s[8:9], s[8:9], exec
	s_or_b64 s[4:5], s[4:5], s[8:9]
	s_or_b64 exec, exec, s[6:7]
	s_and_saveexec_b64 s[6:7], s[4:5]
	s_cbranch_execnz .LBB10_1835
	s_branch .LBB10_1836
.LBB10_3885:
	s_movk_i32 s4, 0x80
	v_cmp_eq_u16_sdwa s[12:13], v6, s4 src0_sel:BYTE_0 src1_sel:DWORD
	s_mov_b64 s[4:5], -1
                                        ; implicit-def: $sgpr10
	s_and_saveexec_b64 s[8:9], s[12:13]
; %bb.3886:
	s_mov_b32 s10, 0x7f800001
	s_xor_b64 s[4:5], exec, -1
; %bb.3887:
	s_or_b64 exec, exec, s[8:9]
	s_and_b64 s[4:5], s[4:5], exec
	s_or_saveexec_b64 s[6:7], s[6:7]
	v_mov_b32_e32 v12, s10
	s_xor_b64 exec, exec, s[6:7]
	s_cbranch_execz .LBB10_1838
.LBB10_3888:
	v_mov_b32_e32 v12, 0
	v_cmp_ne_u16_sdwa s[8:9], v6, v12 src0_sel:BYTE_0 src1_sel:DWORD
	s_andn2_b64 s[4:5], s[4:5], exec
	s_and_b64 s[8:9], s[8:9], exec
	s_or_b64 s[4:5], s[4:5], s[8:9]
	s_or_b64 exec, exec, s[6:7]
	s_and_saveexec_b64 s[6:7], s[4:5]
	s_cbranch_execnz .LBB10_1839
	s_branch .LBB10_1840
.LBB10_3889:
	s_movk_i32 s4, 0x80
	v_cmp_eq_u16_e32 vcc, s4, v6
	s_mov_b64 s[4:5], -1
                                        ; implicit-def: $sgpr10
	s_and_saveexec_b64 s[8:9], vcc
; %bb.3890:
	s_mov_b32 s10, 0x7f800001
	s_xor_b64 s[4:5], exec, -1
; %bb.3891:
	s_or_b64 exec, exec, s[8:9]
	s_and_b64 s[4:5], s[4:5], exec
                                        ; implicit-def: $vgpr6
	s_or_saveexec_b64 s[6:7], s[6:7]
	v_mov_b32_e32 v2, s10
	s_xor_b64 exec, exec, s[6:7]
	s_cbranch_execz .LBB10_1842
.LBB10_3892:
	v_cmp_ne_u16_e32 vcc, 0, v6
	s_andn2_b64 s[4:5], s[4:5], exec
	s_and_b64 s[8:9], vcc, exec
	v_mov_b32_e32 v2, 0
	s_or_b64 s[4:5], s[4:5], s[8:9]
	s_or_b64 exec, exec, s[6:7]
	s_and_saveexec_b64 s[6:7], s[4:5]
	s_cbranch_execnz .LBB10_1843
	s_branch .LBB10_1844
.LBB10_3893:
	s_movk_i32 s4, 0x80
	v_cmp_eq_u16_e32 vcc, s4, v6
	s_mov_b64 s[4:5], -1
                                        ; implicit-def: $sgpr10
	s_and_saveexec_b64 s[8:9], vcc
; %bb.3894:
	s_mov_b32 s10, 0x7f800001
	s_xor_b64 s[4:5], exec, -1
; %bb.3895:
	s_or_b64 exec, exec, s[8:9]
	s_and_b64 s[4:5], s[4:5], exec
                                        ; implicit-def: $vgpr6
	s_or_saveexec_b64 s[6:7], s[6:7]
	v_mov_b32_e32 v12, s10
	s_xor_b64 exec, exec, s[6:7]
	s_cbranch_execz .LBB10_1846
.LBB10_3896:
	v_cmp_ne_u16_e32 vcc, 0, v6
	s_andn2_b64 s[4:5], s[4:5], exec
	s_and_b64 s[8:9], vcc, exec
	v_mov_b32_e32 v12, 0
	s_or_b64 s[4:5], s[4:5], s[8:9]
	s_or_b64 exec, exec, s[6:7]
	s_and_saveexec_b64 s[6:7], s[4:5]
	s_cbranch_execnz .LBB10_1847
	s_branch .LBB10_1848
.LBB10_3897:
	s_movk_i32 s4, 0x80
	v_cmp_eq_u16_sdwa s[12:13], v7, s4 src0_sel:BYTE_3 src1_sel:DWORD
	s_mov_b64 s[4:5], -1
                                        ; implicit-def: $sgpr10
	s_and_saveexec_b64 s[8:9], s[12:13]
; %bb.3898:
	s_mov_b32 s10, 0x7f800001
	s_xor_b64 s[4:5], exec, -1
; %bb.3899:
	s_or_b64 exec, exec, s[8:9]
	s_and_b64 s[4:5], s[4:5], exec
	s_or_saveexec_b64 s[6:7], s[6:7]
	v_mov_b32_e32 v2, s10
	s_xor_b64 exec, exec, s[6:7]
	s_cbranch_execz .LBB10_1850
.LBB10_3900:
	v_mov_b32_e32 v2, 0
	v_cmp_ne_u16_sdwa s[8:9], v7, v2 src0_sel:BYTE_3 src1_sel:DWORD
	s_andn2_b64 s[4:5], s[4:5], exec
	s_and_b64 s[8:9], s[8:9], exec
	s_or_b64 s[4:5], s[4:5], s[8:9]
	s_or_b64 exec, exec, s[6:7]
	s_and_saveexec_b64 s[6:7], s[4:5]
	s_cbranch_execnz .LBB10_1851
	s_branch .LBB10_1852
.LBB10_3901:
	s_movk_i32 s4, 0x80
	v_cmp_eq_u16_sdwa s[12:13], v3, s4 src0_sel:BYTE_3 src1_sel:DWORD
	s_mov_b64 s[4:5], -1
                                        ; implicit-def: $sgpr10
	s_and_saveexec_b64 s[8:9], s[12:13]
; %bb.3902:
	s_mov_b32 s10, 0x7f800001
	s_xor_b64 s[4:5], exec, -1
; %bb.3903:
	s_or_b64 exec, exec, s[8:9]
	s_and_b64 s[4:5], s[4:5], exec
	s_or_saveexec_b64 s[6:7], s[6:7]
	v_mov_b32_e32 v6, s10
	s_xor_b64 exec, exec, s[6:7]
	s_cbranch_execz .LBB10_1854
.LBB10_3904:
	v_mov_b32_e32 v6, 0
	v_cmp_ne_u16_sdwa s[8:9], v3, v6 src0_sel:BYTE_3 src1_sel:DWORD
	s_andn2_b64 s[4:5], s[4:5], exec
	s_and_b64 s[8:9], s[8:9], exec
	s_or_b64 s[4:5], s[4:5], s[8:9]
	s_or_b64 exec, exec, s[6:7]
	s_and_saveexec_b64 s[6:7], s[4:5]
	s_cbranch_execnz .LBB10_1855
	s_branch .LBB10_1856
.LBB10_3905:
	s_movk_i32 s4, 0x80
	v_cmp_eq_u16_sdwa s[12:13], v8, s4 src0_sel:BYTE_0 src1_sel:DWORD
	s_mov_b64 s[4:5], -1
                                        ; implicit-def: $sgpr10
	s_and_saveexec_b64 s[8:9], s[12:13]
; %bb.3906:
	s_mov_b32 s10, 0x7f800001
	s_xor_b64 s[4:5], exec, -1
; %bb.3907:
	s_or_b64 exec, exec, s[8:9]
	s_and_b64 s[4:5], s[4:5], exec
	s_or_saveexec_b64 s[6:7], s[6:7]
	v_mov_b32_e32 v2, s10
	s_xor_b64 exec, exec, s[6:7]
	s_cbranch_execz .LBB10_1858
.LBB10_3908:
	v_mov_b32_e32 v2, 0
	v_cmp_ne_u16_sdwa s[8:9], v8, v2 src0_sel:BYTE_0 src1_sel:DWORD
	s_andn2_b64 s[4:5], s[4:5], exec
	s_and_b64 s[8:9], s[8:9], exec
	s_or_b64 s[4:5], s[4:5], s[8:9]
	s_or_b64 exec, exec, s[6:7]
	s_and_saveexec_b64 s[6:7], s[4:5]
	s_cbranch_execnz .LBB10_1859
	s_branch .LBB10_1860
.LBB10_3909:
	s_movk_i32 s4, 0x80
	v_cmp_eq_u16_sdwa s[12:13], v4, s4 src0_sel:BYTE_0 src1_sel:DWORD
	s_mov_b64 s[4:5], -1
                                        ; implicit-def: $sgpr10
	s_and_saveexec_b64 s[8:9], s[12:13]
; %bb.3910:
	s_mov_b32 s10, 0x7f800001
	s_xor_b64 s[4:5], exec, -1
; %bb.3911:
	s_or_b64 exec, exec, s[8:9]
	s_and_b64 s[4:5], s[4:5], exec
	s_or_saveexec_b64 s[6:7], s[6:7]
	v_mov_b32_e32 v3, s10
	s_xor_b64 exec, exec, s[6:7]
	s_cbranch_execz .LBB10_1862
.LBB10_3912:
	v_mov_b32_e32 v3, 0
	v_cmp_ne_u16_sdwa s[8:9], v4, v3 src0_sel:BYTE_0 src1_sel:DWORD
	s_andn2_b64 s[4:5], s[4:5], exec
	s_and_b64 s[8:9], s[8:9], exec
	s_or_b64 s[4:5], s[4:5], s[8:9]
	s_or_b64 exec, exec, s[6:7]
	s_and_saveexec_b64 s[6:7], s[4:5]
	s_cbranch_execnz .LBB10_1863
	s_branch .LBB10_1864
.LBB10_3913:
	s_movk_i32 s4, 0x80
	v_cmp_eq_u16_sdwa s[12:13], v3, s4 src0_sel:BYTE_0 src1_sel:DWORD
	s_mov_b64 s[4:5], -1
                                        ; implicit-def: $sgpr10
	s_and_saveexec_b64 s[8:9], s[12:13]
; %bb.3914:
	s_mov_b32 s10, 0x7f800001
	s_xor_b64 s[4:5], exec, -1
; %bb.3915:
	s_or_b64 exec, exec, s[8:9]
	s_and_b64 s[4:5], s[4:5], exec
	s_or_saveexec_b64 s[6:7], s[6:7]
	v_mov_b32_e32 v2, s10
	s_xor_b64 exec, exec, s[6:7]
	s_cbranch_execz .LBB10_1866
.LBB10_3916:
	v_mov_b32_e32 v2, 0
	v_cmp_ne_u16_sdwa s[8:9], v3, v2 src0_sel:BYTE_0 src1_sel:DWORD
	s_andn2_b64 s[4:5], s[4:5], exec
	s_and_b64 s[8:9], s[8:9], exec
	s_or_b64 s[4:5], s[4:5], s[8:9]
	s_or_b64 exec, exec, s[6:7]
	s_and_saveexec_b64 s[6:7], s[4:5]
	s_cbranch_execnz .LBB10_1867
	s_branch .LBB10_1868
.LBB10_3917:
	s_movk_i32 s4, 0x80
	v_cmp_eq_u16_sdwa s[12:13], v3, s4 src0_sel:BYTE_0 src1_sel:DWORD
	s_mov_b64 s[4:5], -1
                                        ; implicit-def: $sgpr10
	s_and_saveexec_b64 s[8:9], s[12:13]
; %bb.3918:
	s_mov_b32 s10, 0x7f800001
	s_xor_b64 s[4:5], exec, -1
; %bb.3919:
	s_or_b64 exec, exec, s[8:9]
	s_and_b64 s[4:5], s[4:5], exec
	s_or_saveexec_b64 s[6:7], s[6:7]
	v_mov_b32_e32 v6, s10
	s_xor_b64 exec, exec, s[6:7]
	s_cbranch_execz .LBB10_1870
.LBB10_3920:
	v_mov_b32_e32 v6, 0
	v_cmp_ne_u16_sdwa s[8:9], v3, v6 src0_sel:BYTE_0 src1_sel:DWORD
	s_andn2_b64 s[4:5], s[4:5], exec
	s_and_b64 s[8:9], s[8:9], exec
	s_or_b64 s[4:5], s[4:5], s[8:9]
	s_or_b64 exec, exec, s[6:7]
	s_and_saveexec_b64 s[6:7], s[4:5]
	s_cbranch_execnz .LBB10_1871
	s_branch .LBB10_1872
.LBB10_3921:
	s_movk_i32 s4, 0x80
	v_cmp_eq_u16_e32 vcc, s4, v3
	s_mov_b64 s[4:5], -1
                                        ; implicit-def: $sgpr10
	s_and_saveexec_b64 s[8:9], vcc
; %bb.3922:
	s_mov_b32 s10, 0x7f800001
	s_xor_b64 s[4:5], exec, -1
; %bb.3923:
	s_or_b64 exec, exec, s[8:9]
	s_and_b64 s[4:5], s[4:5], exec
                                        ; implicit-def: $vgpr3
	s_or_saveexec_b64 s[6:7], s[6:7]
	v_mov_b32_e32 v2, s10
	s_xor_b64 exec, exec, s[6:7]
	s_cbranch_execz .LBB10_1874
.LBB10_3924:
	v_cmp_ne_u16_e32 vcc, 0, v3
	s_andn2_b64 s[4:5], s[4:5], exec
	s_and_b64 s[8:9], vcc, exec
	v_mov_b32_e32 v2, 0
	s_or_b64 s[4:5], s[4:5], s[8:9]
	s_or_b64 exec, exec, s[6:7]
	s_and_saveexec_b64 s[6:7], s[4:5]
	s_cbranch_execnz .LBB10_1875
	s_branch .LBB10_1876
.LBB10_3925:
	s_movk_i32 s4, 0x80
	v_cmp_eq_u16_e32 vcc, s4, v3
	s_mov_b64 s[4:5], -1
                                        ; implicit-def: $sgpr10
	s_and_saveexec_b64 s[8:9], vcc
; %bb.3926:
	s_mov_b32 s10, 0x7f800001
	s_xor_b64 s[4:5], exec, -1
; %bb.3927:
	s_or_b64 exec, exec, s[8:9]
	s_and_b64 s[4:5], s[4:5], exec
                                        ; implicit-def: $vgpr3
	s_or_saveexec_b64 s[6:7], s[6:7]
	v_mov_b32_e32 v6, s10
	s_xor_b64 exec, exec, s[6:7]
	s_cbranch_execz .LBB10_1878
.LBB10_3928:
	v_cmp_ne_u16_e32 vcc, 0, v3
	s_andn2_b64 s[4:5], s[4:5], exec
	s_and_b64 s[8:9], vcc, exec
	v_mov_b32_e32 v6, 0
	s_or_b64 s[4:5], s[4:5], s[8:9]
	s_or_b64 exec, exec, s[6:7]
	s_and_saveexec_b64 s[6:7], s[4:5]
	s_cbranch_execnz .LBB10_1879
	s_branch .LBB10_1880
.LBB10_3929:
	s_movk_i32 s4, 0x80
	v_cmp_eq_u16_sdwa s[12:13], v8, s4 src0_sel:BYTE_3 src1_sel:DWORD
	s_mov_b64 s[4:5], -1
                                        ; implicit-def: $sgpr10
	s_and_saveexec_b64 s[8:9], s[12:13]
; %bb.3930:
	s_mov_b32 s10, 0x7f800001
	s_xor_b64 s[4:5], exec, -1
; %bb.3931:
	s_or_b64 exec, exec, s[8:9]
	s_and_b64 s[4:5], s[4:5], exec
	s_or_saveexec_b64 s[6:7], s[6:7]
	v_mov_b32_e32 v2, s10
	s_xor_b64 exec, exec, s[6:7]
	s_cbranch_execz .LBB10_1882
.LBB10_3932:
	v_mov_b32_e32 v2, 0
	v_cmp_ne_u16_sdwa s[8:9], v8, v2 src0_sel:BYTE_3 src1_sel:DWORD
	s_andn2_b64 s[4:5], s[4:5], exec
	s_and_b64 s[8:9], s[8:9], exec
	s_or_b64 s[4:5], s[4:5], s[8:9]
	s_or_b64 exec, exec, s[6:7]
	s_and_saveexec_b64 s[6:7], s[4:5]
	s_cbranch_execnz .LBB10_1883
	s_branch .LBB10_1884
.LBB10_3933:
	s_movk_i32 s4, 0x80
	v_cmp_eq_u16_sdwa s[12:13], v4, s4 src0_sel:BYTE_3 src1_sel:DWORD
	s_mov_b64 s[4:5], -1
                                        ; implicit-def: $sgpr10
	s_and_saveexec_b64 s[8:9], s[12:13]
; %bb.3934:
	s_mov_b32 s10, 0x7f800001
	s_xor_b64 s[4:5], exec, -1
; %bb.3935:
	s_or_b64 exec, exec, s[8:9]
	s_and_b64 s[4:5], s[4:5], exec
	s_or_saveexec_b64 s[6:7], s[6:7]
	v_mov_b32_e32 v3, s10
	s_xor_b64 exec, exec, s[6:7]
	s_cbranch_execz .LBB10_1886
.LBB10_3936:
	v_mov_b32_e32 v3, 0
	v_cmp_ne_u16_sdwa s[8:9], v4, v3 src0_sel:BYTE_3 src1_sel:DWORD
	s_andn2_b64 s[4:5], s[4:5], exec
	s_and_b64 s[8:9], s[8:9], exec
	s_or_b64 s[4:5], s[4:5], s[8:9]
	s_or_b64 exec, exec, s[6:7]
	s_and_saveexec_b64 s[6:7], s[4:5]
	s_cbranch_execnz .LBB10_1887
	s_branch .LBB10_1888
.LBB10_3937:
	s_movk_i32 s4, 0x80
	v_cmp_eq_u16_sdwa s[12:13], v9, s4 src0_sel:BYTE_0 src1_sel:DWORD
	s_mov_b64 s[4:5], -1
                                        ; implicit-def: $sgpr10
	s_and_saveexec_b64 s[8:9], s[12:13]
; %bb.3938:
	s_mov_b32 s10, 0x7f800001
	s_xor_b64 s[4:5], exec, -1
; %bb.3939:
	s_or_b64 exec, exec, s[8:9]
	s_and_b64 s[4:5], s[4:5], exec
	s_or_saveexec_b64 s[6:7], s[6:7]
	v_mov_b32_e32 v2, s10
	s_xor_b64 exec, exec, s[6:7]
	s_cbranch_execz .LBB10_1890
.LBB10_3940:
	v_mov_b32_e32 v2, 0
	v_cmp_ne_u16_sdwa s[8:9], v9, v2 src0_sel:BYTE_0 src1_sel:DWORD
	s_andn2_b64 s[4:5], s[4:5], exec
	s_and_b64 s[8:9], s[8:9], exec
	s_or_b64 s[4:5], s[4:5], s[8:9]
	s_or_b64 exec, exec, s[6:7]
	s_and_saveexec_b64 s[6:7], s[4:5]
	s_cbranch_execnz .LBB10_1891
	s_branch .LBB10_1892
.LBB10_3941:
	s_movk_i32 s4, 0x80
	v_cmp_eq_u16_sdwa s[12:13], v5, s4 src0_sel:BYTE_0 src1_sel:DWORD
	s_mov_b64 s[4:5], -1
                                        ; implicit-def: $sgpr10
	s_and_saveexec_b64 s[8:9], s[12:13]
; %bb.3942:
	s_mov_b32 s10, 0x7f800001
	s_xor_b64 s[4:5], exec, -1
; %bb.3943:
	s_or_b64 exec, exec, s[8:9]
	s_and_b64 s[4:5], s[4:5], exec
	s_or_saveexec_b64 s[6:7], s[6:7]
	v_mov_b32_e32 v3, s10
	s_xor_b64 exec, exec, s[6:7]
	s_cbranch_execz .LBB10_1894
.LBB10_3944:
	v_mov_b32_e32 v3, 0
	v_cmp_ne_u16_sdwa s[8:9], v5, v3 src0_sel:BYTE_0 src1_sel:DWORD
	s_andn2_b64 s[4:5], s[4:5], exec
	s_and_b64 s[8:9], s[8:9], exec
	s_or_b64 s[4:5], s[4:5], s[8:9]
	s_or_b64 exec, exec, s[6:7]
	s_and_saveexec_b64 s[6:7], s[4:5]
	s_cbranch_execnz .LBB10_1895
	s_branch .LBB10_1896
.LBB10_3945:
	s_movk_i32 s4, 0x80
	v_cmp_eq_u16_sdwa s[12:13], v3, s4 src0_sel:BYTE_0 src1_sel:DWORD
	s_mov_b64 s[4:5], -1
                                        ; implicit-def: $sgpr10
	s_and_saveexec_b64 s[8:9], s[12:13]
; %bb.3946:
	s_mov_b32 s10, 0x7f800001
	s_xor_b64 s[4:5], exec, -1
; %bb.3947:
	s_or_b64 exec, exec, s[8:9]
	s_and_b64 s[4:5], s[4:5], exec
	s_or_saveexec_b64 s[6:7], s[6:7]
	v_mov_b32_e32 v2, s10
	s_xor_b64 exec, exec, s[6:7]
	s_cbranch_execz .LBB10_1898
.LBB10_3948:
	v_mov_b32_e32 v2, 0
	v_cmp_ne_u16_sdwa s[8:9], v3, v2 src0_sel:BYTE_0 src1_sel:DWORD
	s_andn2_b64 s[4:5], s[4:5], exec
	s_and_b64 s[8:9], s[8:9], exec
	s_or_b64 s[4:5], s[4:5], s[8:9]
	s_or_b64 exec, exec, s[6:7]
	s_and_saveexec_b64 s[6:7], s[4:5]
	s_cbranch_execnz .LBB10_1899
	s_branch .LBB10_1900
.LBB10_3949:
	s_movk_i32 s4, 0x80
	v_cmp_eq_u16_sdwa s[12:13], v3, s4 src0_sel:BYTE_0 src1_sel:DWORD
	s_mov_b64 s[4:5], -1
                                        ; implicit-def: $sgpr10
	s_and_saveexec_b64 s[8:9], s[12:13]
; %bb.3950:
	s_mov_b32 s10, 0x7f800001
	s_xor_b64 s[4:5], exec, -1
; %bb.3951:
	s_or_b64 exec, exec, s[8:9]
	s_and_b64 s[4:5], s[4:5], exec
	s_or_saveexec_b64 s[6:7], s[6:7]
	v_mov_b32_e32 v4, s10
	s_xor_b64 exec, exec, s[6:7]
	s_cbranch_execz .LBB10_1902
.LBB10_3952:
	v_mov_b32_e32 v4, 0
	v_cmp_ne_u16_sdwa s[8:9], v3, v4 src0_sel:BYTE_0 src1_sel:DWORD
	s_andn2_b64 s[4:5], s[4:5], exec
	s_and_b64 s[8:9], s[8:9], exec
	s_or_b64 s[4:5], s[4:5], s[8:9]
	s_or_b64 exec, exec, s[6:7]
	s_and_saveexec_b64 s[6:7], s[4:5]
	s_cbranch_execnz .LBB10_1903
	s_branch .LBB10_1904
.LBB10_3953:
	s_movk_i32 s4, 0x80
	v_cmp_eq_u16_e32 vcc, s4, v3
	s_mov_b64 s[4:5], -1
                                        ; implicit-def: $sgpr10
	s_and_saveexec_b64 s[8:9], vcc
; %bb.3954:
	s_mov_b32 s10, 0x7f800001
	s_xor_b64 s[4:5], exec, -1
; %bb.3955:
	s_or_b64 exec, exec, s[8:9]
	s_and_b64 s[4:5], s[4:5], exec
                                        ; implicit-def: $vgpr3
	s_or_saveexec_b64 s[6:7], s[6:7]
	v_mov_b32_e32 v2, s10
	s_xor_b64 exec, exec, s[6:7]
	s_cbranch_execz .LBB10_1906
.LBB10_3956:
	v_cmp_ne_u16_e32 vcc, 0, v3
	s_andn2_b64 s[4:5], s[4:5], exec
	s_and_b64 s[8:9], vcc, exec
	v_mov_b32_e32 v2, 0
	s_or_b64 s[4:5], s[4:5], s[8:9]
	s_or_b64 exec, exec, s[6:7]
	s_and_saveexec_b64 s[6:7], s[4:5]
	s_cbranch_execnz .LBB10_1907
	s_branch .LBB10_1908
.LBB10_3957:
	s_movk_i32 s4, 0x80
	v_cmp_eq_u16_e32 vcc, s4, v3
	s_mov_b64 s[4:5], -1
                                        ; implicit-def: $sgpr10
	s_and_saveexec_b64 s[8:9], vcc
; %bb.3958:
	s_mov_b32 s10, 0x7f800001
	s_xor_b64 s[4:5], exec, -1
; %bb.3959:
	s_or_b64 exec, exec, s[8:9]
	s_and_b64 s[4:5], s[4:5], exec
                                        ; implicit-def: $vgpr3
	s_or_saveexec_b64 s[6:7], s[6:7]
	v_mov_b32_e32 v4, s10
	s_xor_b64 exec, exec, s[6:7]
	s_cbranch_execz .LBB10_1910
.LBB10_3960:
	v_cmp_ne_u16_e32 vcc, 0, v3
	s_andn2_b64 s[4:5], s[4:5], exec
	s_and_b64 s[8:9], vcc, exec
	v_mov_b32_e32 v4, 0
	s_or_b64 s[4:5], s[4:5], s[8:9]
	s_or_b64 exec, exec, s[6:7]
	s_and_saveexec_b64 s[6:7], s[4:5]
	s_cbranch_execnz .LBB10_1911
	s_branch .LBB10_1912
.LBB10_3961:
	s_movk_i32 s4, 0x80
	v_cmp_eq_u16_sdwa s[12:13], v9, s4 src0_sel:BYTE_3 src1_sel:DWORD
	s_mov_b64 s[4:5], -1
                                        ; implicit-def: $sgpr10
	s_and_saveexec_b64 s[8:9], s[12:13]
; %bb.3962:
	s_mov_b32 s10, 0x7f800001
	s_xor_b64 s[4:5], exec, -1
; %bb.3963:
	s_or_b64 exec, exec, s[8:9]
	s_and_b64 s[4:5], s[4:5], exec
	s_or_saveexec_b64 s[6:7], s[6:7]
	v_mov_b32_e32 v2, s10
	s_xor_b64 exec, exec, s[6:7]
	s_cbranch_execz .LBB10_1914
.LBB10_3964:
	v_mov_b32_e32 v2, 0
	v_cmp_ne_u16_sdwa s[8:9], v9, v2 src0_sel:BYTE_3 src1_sel:DWORD
	s_andn2_b64 s[4:5], s[4:5], exec
	s_and_b64 s[8:9], s[8:9], exec
	s_or_b64 s[4:5], s[4:5], s[8:9]
	s_or_b64 exec, exec, s[6:7]
	s_and_saveexec_b64 s[6:7], s[4:5]
	s_cbranch_execnz .LBB10_1915
	s_branch .LBB10_1916
.LBB10_3965:
	s_movk_i32 s4, 0x80
	v_cmp_eq_u16_sdwa s[12:13], v5, s4 src0_sel:BYTE_3 src1_sel:DWORD
	s_mov_b64 s[4:5], -1
                                        ; implicit-def: $sgpr10
	s_and_saveexec_b64 s[8:9], s[12:13]
; %bb.3966:
	s_mov_b32 s10, 0x7f800001
	s_xor_b64 s[4:5], exec, -1
; %bb.3967:
	s_or_b64 exec, exec, s[8:9]
	s_and_b64 s[4:5], s[4:5], exec
	s_or_saveexec_b64 s[6:7], s[6:7]
	v_mov_b32_e32 v3, s10
	s_xor_b64 exec, exec, s[6:7]
	s_cbranch_execz .LBB10_1918
.LBB10_3968:
	v_mov_b32_e32 v3, 0
	v_cmp_ne_u16_sdwa s[8:9], v5, v3 src0_sel:BYTE_3 src1_sel:DWORD
	s_andn2_b64 s[4:5], s[4:5], exec
	s_and_b64 s[8:9], s[8:9], exec
	s_or_b64 s[4:5], s[4:5], s[8:9]
	s_or_b64 exec, exec, s[6:7]
	s_and_saveexec_b64 s[6:7], s[4:5]
	s_cbranch_execnz .LBB10_1919
	s_branch .LBB10_1920
.LBB10_3969:
	s_movk_i32 s4, 0x80
	v_cmp_eq_u16_sdwa s[12:13], v4, s4 src0_sel:BYTE_0 src1_sel:DWORD
	s_mov_b64 s[4:5], -1
                                        ; implicit-def: $sgpr10
	s_and_saveexec_b64 s[8:9], s[12:13]
; %bb.3970:
	s_mov_b32 s10, 0x7f800001
	s_xor_b64 s[4:5], exec, -1
; %bb.3971:
	s_or_b64 exec, exec, s[8:9]
	s_and_b64 s[4:5], s[4:5], exec
	s_or_saveexec_b64 s[6:7], s[6:7]
	v_mov_b32_e32 v10, s10
	s_xor_b64 exec, exec, s[6:7]
	s_cbranch_execz .LBB10_1922
.LBB10_3972:
	v_mov_b32_e32 v10, 0
	v_cmp_ne_u16_sdwa s[8:9], v4, v10 src0_sel:BYTE_0 src1_sel:DWORD
	s_andn2_b64 s[4:5], s[4:5], exec
	s_and_b64 s[8:9], s[8:9], exec
	s_or_b64 s[4:5], s[4:5], s[8:9]
	s_or_b64 exec, exec, s[6:7]
	s_and_saveexec_b64 s[6:7], s[4:5]
	s_cbranch_execnz .LBB10_1923
	s_branch .LBB10_1924
.LBB10_3973:
	s_movk_i32 s4, 0x80
	v_cmp_eq_u16_sdwa s[12:13], v0, s4 src0_sel:BYTE_0 src1_sel:DWORD
	s_mov_b64 s[4:5], -1
                                        ; implicit-def: $sgpr10
	s_and_saveexec_b64 s[8:9], s[12:13]
; %bb.3974:
	s_mov_b32 s10, 0x7f800001
	s_xor_b64 s[4:5], exec, -1
; %bb.3975:
	s_or_b64 exec, exec, s[8:9]
	s_and_b64 s[4:5], s[4:5], exec
	s_or_saveexec_b64 s[6:7], s[6:7]
	v_mov_b32_e32 v11, s10
	s_xor_b64 exec, exec, s[6:7]
	s_cbranch_execz .LBB10_1926
.LBB10_3976:
	v_mov_b32_e32 v11, 0
	v_cmp_ne_u16_sdwa s[8:9], v0, v11 src0_sel:BYTE_0 src1_sel:DWORD
	s_andn2_b64 s[4:5], s[4:5], exec
	s_and_b64 s[8:9], s[8:9], exec
	s_or_b64 s[4:5], s[4:5], s[8:9]
	s_or_b64 exec, exec, s[6:7]
	s_and_saveexec_b64 s[6:7], s[4:5]
	s_cbranch_execnz .LBB10_1927
	s_branch .LBB10_1928
.LBB10_3977:
	s_movk_i32 s4, 0x80
	v_cmp_eq_u16_sdwa s[12:13], v11, s4 src0_sel:BYTE_0 src1_sel:DWORD
	s_mov_b64 s[4:5], -1
                                        ; implicit-def: $sgpr10
	s_and_saveexec_b64 s[8:9], s[12:13]
; %bb.3978:
	s_mov_b32 s10, 0x7f800001
	s_xor_b64 s[4:5], exec, -1
; %bb.3979:
	s_or_b64 exec, exec, s[8:9]
	s_and_b64 s[4:5], s[4:5], exec
	s_or_saveexec_b64 s[6:7], s[6:7]
	v_mov_b32_e32 v10, s10
	s_xor_b64 exec, exec, s[6:7]
	s_cbranch_execz .LBB10_1930
.LBB10_3980:
	v_mov_b32_e32 v10, 0
	v_cmp_ne_u16_sdwa s[8:9], v11, v10 src0_sel:BYTE_0 src1_sel:DWORD
	s_andn2_b64 s[4:5], s[4:5], exec
	s_and_b64 s[8:9], s[8:9], exec
	s_or_b64 s[4:5], s[4:5], s[8:9]
	s_or_b64 exec, exec, s[6:7]
	s_and_saveexec_b64 s[6:7], s[4:5]
	s_cbranch_execnz .LBB10_1931
	s_branch .LBB10_1932
.LBB10_3981:
	s_movk_i32 s4, 0x80
	v_cmp_eq_u16_sdwa s[12:13], v11, s4 src0_sel:BYTE_0 src1_sel:DWORD
	s_mov_b64 s[4:5], -1
                                        ; implicit-def: $sgpr10
	s_and_saveexec_b64 s[8:9], s[12:13]
; %bb.3982:
	s_mov_b32 s10, 0x7f800001
	s_xor_b64 s[4:5], exec, -1
; %bb.3983:
	s_or_b64 exec, exec, s[8:9]
	s_and_b64 s[4:5], s[4:5], exec
	s_or_saveexec_b64 s[6:7], s[6:7]
	v_mov_b32_e32 v12, s10
	s_xor_b64 exec, exec, s[6:7]
	s_cbranch_execz .LBB10_1934
.LBB10_3984:
	v_mov_b32_e32 v12, 0
	v_cmp_ne_u16_sdwa s[8:9], v11, v12 src0_sel:BYTE_0 src1_sel:DWORD
	s_andn2_b64 s[4:5], s[4:5], exec
	s_and_b64 s[8:9], s[8:9], exec
	s_or_b64 s[4:5], s[4:5], s[8:9]
	s_or_b64 exec, exec, s[6:7]
	s_and_saveexec_b64 s[6:7], s[4:5]
	s_cbranch_execnz .LBB10_1935
	s_branch .LBB10_1936
.LBB10_3985:
	s_movk_i32 s4, 0x80
	v_cmp_eq_u16_e32 vcc, s4, v11
	s_mov_b64 s[4:5], -1
                                        ; implicit-def: $sgpr10
	s_and_saveexec_b64 s[8:9], vcc
; %bb.3986:
	s_mov_b32 s10, 0x7f800001
	s_xor_b64 s[4:5], exec, -1
; %bb.3987:
	s_or_b64 exec, exec, s[8:9]
	s_and_b64 s[4:5], s[4:5], exec
                                        ; implicit-def: $vgpr11
	s_or_saveexec_b64 s[6:7], s[6:7]
	v_mov_b32_e32 v10, s10
	s_xor_b64 exec, exec, s[6:7]
	s_cbranch_execz .LBB10_1938
.LBB10_3988:
	v_cmp_ne_u16_e32 vcc, 0, v11
	s_andn2_b64 s[4:5], s[4:5], exec
	s_and_b64 s[8:9], vcc, exec
	v_mov_b32_e32 v10, 0
	s_or_b64 s[4:5], s[4:5], s[8:9]
	s_or_b64 exec, exec, s[6:7]
	s_and_saveexec_b64 s[6:7], s[4:5]
	s_cbranch_execnz .LBB10_1939
	s_branch .LBB10_1940
.LBB10_3989:
	s_movk_i32 s4, 0x80
	v_cmp_eq_u16_e32 vcc, s4, v11
	s_mov_b64 s[4:5], -1
                                        ; implicit-def: $sgpr10
	s_and_saveexec_b64 s[8:9], vcc
; %bb.3990:
	s_mov_b32 s10, 0x7f800001
	s_xor_b64 s[4:5], exec, -1
; %bb.3991:
	s_or_b64 exec, exec, s[8:9]
	s_and_b64 s[4:5], s[4:5], exec
                                        ; implicit-def: $vgpr11
	s_or_saveexec_b64 s[6:7], s[6:7]
	v_mov_b32_e32 v12, s10
	s_xor_b64 exec, exec, s[6:7]
	s_cbranch_execz .LBB10_1942
.LBB10_3992:
	v_cmp_ne_u16_e32 vcc, 0, v11
	s_andn2_b64 s[4:5], s[4:5], exec
	s_and_b64 s[8:9], vcc, exec
	v_mov_b32_e32 v12, 0
	s_or_b64 s[4:5], s[4:5], s[8:9]
	s_or_b64 exec, exec, s[6:7]
	s_and_saveexec_b64 s[6:7], s[4:5]
	s_cbranch_execnz .LBB10_1943
	s_branch .LBB10_1944
.LBB10_3993:
	s_movk_i32 s4, 0x80
	v_cmp_eq_u16_sdwa s[12:13], v4, s4 src0_sel:BYTE_3 src1_sel:DWORD
	s_mov_b64 s[4:5], -1
                                        ; implicit-def: $sgpr10
	s_and_saveexec_b64 s[8:9], s[12:13]
; %bb.3994:
	s_mov_b32 s10, 0x7f800001
	s_xor_b64 s[4:5], exec, -1
; %bb.3995:
	s_or_b64 exec, exec, s[8:9]
	s_and_b64 s[4:5], s[4:5], exec
	s_or_saveexec_b64 s[6:7], s[6:7]
	v_mov_b32_e32 v10, s10
	s_xor_b64 exec, exec, s[6:7]
	s_cbranch_execz .LBB10_1946
.LBB10_3996:
	v_mov_b32_e32 v10, 0
	v_cmp_ne_u16_sdwa s[8:9], v4, v10 src0_sel:BYTE_3 src1_sel:DWORD
	s_andn2_b64 s[4:5], s[4:5], exec
	s_and_b64 s[8:9], s[8:9], exec
	s_or_b64 s[4:5], s[4:5], s[8:9]
	s_or_b64 exec, exec, s[6:7]
	s_and_saveexec_b64 s[6:7], s[4:5]
	s_cbranch_execnz .LBB10_1947
	s_branch .LBB10_1948
.LBB10_3997:
	s_movk_i32 s4, 0x80
	v_cmp_eq_u16_sdwa s[12:13], v0, s4 src0_sel:BYTE_3 src1_sel:DWORD
	s_mov_b64 s[4:5], -1
                                        ; implicit-def: $sgpr10
	s_and_saveexec_b64 s[8:9], s[12:13]
; %bb.3998:
	s_mov_b32 s10, 0x7f800001
	s_xor_b64 s[4:5], exec, -1
; %bb.3999:
	s_or_b64 exec, exec, s[8:9]
	s_and_b64 s[4:5], s[4:5], exec
	s_or_saveexec_b64 s[6:7], s[6:7]
	v_mov_b32_e32 v4, s10
	s_xor_b64 exec, exec, s[6:7]
	s_cbranch_execz .LBB10_1950
.LBB10_4000:
	v_mov_b32_e32 v4, 0
	v_cmp_ne_u16_sdwa s[8:9], v0, v4 src0_sel:BYTE_3 src1_sel:DWORD
	s_andn2_b64 s[4:5], s[4:5], exec
	s_and_b64 s[8:9], s[8:9], exec
	s_or_b64 s[4:5], s[4:5], s[8:9]
	s_or_b64 exec, exec, s[6:7]
	s_and_saveexec_b64 s[6:7], s[4:5]
	s_cbranch_execnz .LBB10_1951
	s_branch .LBB10_1952
.LBB10_4001:
	s_movk_i32 s4, 0x80
	v_cmp_eq_u16_sdwa s[12:13], v5, s4 src0_sel:BYTE_0 src1_sel:DWORD
	s_mov_b64 s[4:5], -1
                                        ; implicit-def: $sgpr10
	s_and_saveexec_b64 s[8:9], s[12:13]
; %bb.4002:
	s_mov_b32 s10, 0x7f800001
	s_xor_b64 s[4:5], exec, -1
; %bb.4003:
	s_or_b64 exec, exec, s[8:9]
	s_and_b64 s[4:5], s[4:5], exec
	s_or_saveexec_b64 s[6:7], s[6:7]
	v_mov_b32_e32 v0, s10
	s_xor_b64 exec, exec, s[6:7]
	s_cbranch_execz .LBB10_1954
.LBB10_4004:
	v_mov_b32_e32 v0, 0
	v_cmp_ne_u16_sdwa s[8:9], v5, v0 src0_sel:BYTE_0 src1_sel:DWORD
	s_andn2_b64 s[4:5], s[4:5], exec
	s_and_b64 s[8:9], s[8:9], exec
	s_or_b64 s[4:5], s[4:5], s[8:9]
	s_or_b64 exec, exec, s[6:7]
	s_and_saveexec_b64 s[6:7], s[4:5]
	s_cbranch_execnz .LBB10_1955
	s_branch .LBB10_1956
.LBB10_4005:
	s_movk_i32 s4, 0x80
	v_cmp_eq_u16_sdwa s[12:13], v1, s4 src0_sel:BYTE_0 src1_sel:DWORD
	s_mov_b64 s[4:5], -1
                                        ; implicit-def: $sgpr10
	s_and_saveexec_b64 s[8:9], s[12:13]
; %bb.4006:
	s_mov_b32 s10, 0x7f800001
	s_xor_b64 s[4:5], exec, -1
; %bb.4007:
	s_or_b64 exec, exec, s[8:9]
	s_and_b64 s[4:5], s[4:5], exec
	s_or_saveexec_b64 s[6:7], s[6:7]
	v_mov_b32_e32 v4, s10
	s_xor_b64 exec, exec, s[6:7]
	s_cbranch_execz .LBB10_1958
.LBB10_4008:
	v_mov_b32_e32 v4, 0
	v_cmp_ne_u16_sdwa s[8:9], v1, v4 src0_sel:BYTE_0 src1_sel:DWORD
	s_andn2_b64 s[4:5], s[4:5], exec
	s_and_b64 s[8:9], s[8:9], exec
	s_or_b64 s[4:5], s[4:5], s[8:9]
	s_or_b64 exec, exec, s[6:7]
	s_and_saveexec_b64 s[6:7], s[4:5]
	s_cbranch_execnz .LBB10_1959
	s_branch .LBB10_1960
.LBB10_4009:
	s_movk_i32 s4, 0x80
	v_cmp_eq_u16_sdwa s[12:13], v4, s4 src0_sel:BYTE_0 src1_sel:DWORD
	s_mov_b64 s[4:5], -1
                                        ; implicit-def: $sgpr10
	s_and_saveexec_b64 s[8:9], s[12:13]
; %bb.4010:
	s_mov_b32 s10, 0x7f800001
	s_xor_b64 s[4:5], exec, -1
; %bb.4011:
	s_or_b64 exec, exec, s[8:9]
	s_and_b64 s[4:5], s[4:5], exec
	s_or_saveexec_b64 s[6:7], s[6:7]
	v_mov_b32_e32 v0, s10
	s_xor_b64 exec, exec, s[6:7]
	s_cbranch_execz .LBB10_1962
.LBB10_4012:
	v_mov_b32_e32 v0, 0
	v_cmp_ne_u16_sdwa s[8:9], v4, v0 src0_sel:BYTE_0 src1_sel:DWORD
	s_andn2_b64 s[4:5], s[4:5], exec
	s_and_b64 s[8:9], s[8:9], exec
	s_or_b64 s[4:5], s[4:5], s[8:9]
	s_or_b64 exec, exec, s[6:7]
	s_and_saveexec_b64 s[6:7], s[4:5]
	s_cbranch_execnz .LBB10_1963
	s_branch .LBB10_1964
.LBB10_4013:
	s_movk_i32 s4, 0x80
	v_cmp_eq_u16_sdwa s[12:13], v4, s4 src0_sel:BYTE_0 src1_sel:DWORD
	s_mov_b64 s[4:5], -1
                                        ; implicit-def: $sgpr10
	s_and_saveexec_b64 s[8:9], s[12:13]
; %bb.4014:
	s_mov_b32 s10, 0x7f800001
	s_xor_b64 s[4:5], exec, -1
; %bb.4015:
	s_or_b64 exec, exec, s[8:9]
	s_and_b64 s[4:5], s[4:5], exec
	s_or_saveexec_b64 s[6:7], s[6:7]
	v_mov_b32_e32 v10, s10
	s_xor_b64 exec, exec, s[6:7]
	s_cbranch_execz .LBB10_1966
.LBB10_4016:
	v_mov_b32_e32 v10, 0
	v_cmp_ne_u16_sdwa s[8:9], v4, v10 src0_sel:BYTE_0 src1_sel:DWORD
	s_andn2_b64 s[4:5], s[4:5], exec
	s_and_b64 s[8:9], s[8:9], exec
	s_or_b64 s[4:5], s[4:5], s[8:9]
	s_or_b64 exec, exec, s[6:7]
	s_and_saveexec_b64 s[6:7], s[4:5]
	s_cbranch_execnz .LBB10_1967
	s_branch .LBB10_1968
.LBB10_4017:
	s_movk_i32 s4, 0x80
	v_cmp_eq_u16_e32 vcc, s4, v4
	s_mov_b64 s[4:5], -1
                                        ; implicit-def: $sgpr10
	s_and_saveexec_b64 s[8:9], vcc
; %bb.4018:
	s_mov_b32 s10, 0x7f800001
	s_xor_b64 s[4:5], exec, -1
; %bb.4019:
	s_or_b64 exec, exec, s[8:9]
	s_and_b64 s[4:5], s[4:5], exec
                                        ; implicit-def: $vgpr4
	s_or_saveexec_b64 s[6:7], s[6:7]
	v_mov_b32_e32 v0, s10
	s_xor_b64 exec, exec, s[6:7]
	s_cbranch_execz .LBB10_1970
.LBB10_4020:
	v_cmp_ne_u16_e32 vcc, 0, v4
	s_andn2_b64 s[4:5], s[4:5], exec
	s_and_b64 s[8:9], vcc, exec
	v_mov_b32_e32 v0, 0
	s_or_b64 s[4:5], s[4:5], s[8:9]
	s_or_b64 exec, exec, s[6:7]
	s_and_saveexec_b64 s[6:7], s[4:5]
	s_cbranch_execnz .LBB10_1971
	s_branch .LBB10_1972
.LBB10_4021:
	s_movk_i32 s4, 0x80
	v_cmp_eq_u16_e32 vcc, s4, v4
	s_mov_b64 s[4:5], -1
                                        ; implicit-def: $sgpr10
	s_and_saveexec_b64 s[8:9], vcc
; %bb.4022:
	s_mov_b32 s10, 0x7f800001
	s_xor_b64 s[4:5], exec, -1
; %bb.4023:
	s_or_b64 exec, exec, s[8:9]
	s_and_b64 s[4:5], s[4:5], exec
                                        ; implicit-def: $vgpr4
	s_or_saveexec_b64 s[6:7], s[6:7]
	v_mov_b32_e32 v10, s10
	s_xor_b64 exec, exec, s[6:7]
	s_cbranch_execz .LBB10_1974
.LBB10_4024:
	v_cmp_ne_u16_e32 vcc, 0, v4
	s_andn2_b64 s[4:5], s[4:5], exec
	s_and_b64 s[8:9], vcc, exec
	v_mov_b32_e32 v10, 0
	s_or_b64 s[4:5], s[4:5], s[8:9]
	s_or_b64 exec, exec, s[6:7]
	s_and_saveexec_b64 s[6:7], s[4:5]
	s_cbranch_execnz .LBB10_1975
	s_branch .LBB10_1976
.LBB10_4025:
	s_movk_i32 s4, 0x80
	v_cmp_eq_u16_sdwa s[12:13], v5, s4 src0_sel:BYTE_3 src1_sel:DWORD
	s_mov_b64 s[4:5], -1
                                        ; implicit-def: $sgpr10
	s_and_saveexec_b64 s[8:9], s[12:13]
; %bb.4026:
	s_mov_b32 s10, 0x7f800001
	s_xor_b64 s[4:5], exec, -1
; %bb.4027:
	s_or_b64 exec, exec, s[8:9]
	s_and_b64 s[4:5], s[4:5], exec
	s_or_saveexec_b64 s[6:7], s[6:7]
	v_mov_b32_e32 v0, s10
	s_xor_b64 exec, exec, s[6:7]
	s_cbranch_execz .LBB10_1978
.LBB10_4028:
	v_mov_b32_e32 v0, 0
	v_cmp_ne_u16_sdwa s[8:9], v5, v0 src0_sel:BYTE_3 src1_sel:DWORD
	s_andn2_b64 s[4:5], s[4:5], exec
	s_and_b64 s[8:9], s[8:9], exec
	s_or_b64 s[4:5], s[4:5], s[8:9]
	s_or_b64 exec, exec, s[6:7]
	s_and_saveexec_b64 s[6:7], s[4:5]
	s_cbranch_execnz .LBB10_1979
	s_branch .LBB10_1980
.LBB10_4029:
	s_movk_i32 s4, 0x80
	v_cmp_eq_u16_sdwa s[12:13], v1, s4 src0_sel:BYTE_3 src1_sel:DWORD
	s_mov_b64 s[4:5], -1
                                        ; implicit-def: $sgpr10
	s_and_saveexec_b64 s[8:9], s[12:13]
; %bb.4030:
	s_mov_b32 s10, 0x7f800001
	s_xor_b64 s[4:5], exec, -1
; %bb.4031:
	s_or_b64 exec, exec, s[8:9]
	s_and_b64 s[4:5], s[4:5], exec
	s_or_saveexec_b64 s[6:7], s[6:7]
	v_mov_b32_e32 v4, s10
	s_xor_b64 exec, exec, s[6:7]
	s_cbranch_execz .LBB10_1982
.LBB10_4032:
	v_mov_b32_e32 v4, 0
	v_cmp_ne_u16_sdwa s[8:9], v1, v4 src0_sel:BYTE_3 src1_sel:DWORD
	s_andn2_b64 s[4:5], s[4:5], exec
	s_and_b64 s[8:9], s[8:9], exec
	s_or_b64 s[4:5], s[4:5], s[8:9]
	s_or_b64 exec, exec, s[6:7]
	s_and_saveexec_b64 s[6:7], s[4:5]
	s_cbranch_execnz .LBB10_1983
	s_branch .LBB10_1984
.LBB10_4033:
	s_movk_i32 s4, 0x80
	v_cmp_eq_u16_sdwa s[12:13], v6, s4 src0_sel:BYTE_0 src1_sel:DWORD
	s_mov_b64 s[4:5], -1
                                        ; implicit-def: $sgpr10
	s_and_saveexec_b64 s[8:9], s[12:13]
; %bb.4034:
	s_mov_b32 s10, 0x7f800001
	s_xor_b64 s[4:5], exec, -1
; %bb.4035:
	s_or_b64 exec, exec, s[8:9]
	s_and_b64 s[4:5], s[4:5], exec
	s_or_saveexec_b64 s[6:7], s[6:7]
	v_mov_b32_e32 v0, s10
	s_xor_b64 exec, exec, s[6:7]
	s_cbranch_execz .LBB10_1986
.LBB10_4036:
	v_mov_b32_e32 v0, 0
	v_cmp_ne_u16_sdwa s[8:9], v6, v0 src0_sel:BYTE_0 src1_sel:DWORD
	s_andn2_b64 s[4:5], s[4:5], exec
	s_and_b64 s[8:9], s[8:9], exec
	s_or_b64 s[4:5], s[4:5], s[8:9]
	s_or_b64 exec, exec, s[6:7]
	s_and_saveexec_b64 s[6:7], s[4:5]
	s_cbranch_execnz .LBB10_1987
	s_branch .LBB10_1988
.LBB10_4037:
	s_movk_i32 s4, 0x80
	v_cmp_eq_u16_sdwa s[12:13], v2, s4 src0_sel:BYTE_0 src1_sel:DWORD
	s_mov_b64 s[4:5], -1
                                        ; implicit-def: $sgpr10
	s_and_saveexec_b64 s[8:9], s[12:13]
; %bb.4038:
	s_mov_b32 s10, 0x7f800001
	s_xor_b64 s[4:5], exec, -1
; %bb.4039:
	s_or_b64 exec, exec, s[8:9]
	s_and_b64 s[4:5], s[4:5], exec
	s_or_saveexec_b64 s[6:7], s[6:7]
	v_mov_b32_e32 v1, s10
	s_xor_b64 exec, exec, s[6:7]
	s_cbranch_execz .LBB10_1990
.LBB10_4040:
	v_mov_b32_e32 v1, 0
	v_cmp_ne_u16_sdwa s[8:9], v2, v1 src0_sel:BYTE_0 src1_sel:DWORD
	s_andn2_b64 s[4:5], s[4:5], exec
	s_and_b64 s[8:9], s[8:9], exec
	s_or_b64 s[4:5], s[4:5], s[8:9]
	s_or_b64 exec, exec, s[6:7]
	s_and_saveexec_b64 s[6:7], s[4:5]
	s_cbranch_execnz .LBB10_1991
	s_branch .LBB10_1992
.LBB10_4041:
	s_movk_i32 s4, 0x80
	v_cmp_eq_u16_sdwa s[12:13], v1, s4 src0_sel:BYTE_0 src1_sel:DWORD
	s_mov_b64 s[4:5], -1
                                        ; implicit-def: $sgpr10
	s_and_saveexec_b64 s[8:9], s[12:13]
; %bb.4042:
	s_mov_b32 s10, 0x7f800001
	s_xor_b64 s[4:5], exec, -1
; %bb.4043:
	s_or_b64 exec, exec, s[8:9]
	s_and_b64 s[4:5], s[4:5], exec
	s_or_saveexec_b64 s[6:7], s[6:7]
	v_mov_b32_e32 v0, s10
	s_xor_b64 exec, exec, s[6:7]
	s_cbranch_execz .LBB10_1994
.LBB10_4044:
	v_mov_b32_e32 v0, 0
	v_cmp_ne_u16_sdwa s[8:9], v1, v0 src0_sel:BYTE_0 src1_sel:DWORD
	s_andn2_b64 s[4:5], s[4:5], exec
	s_and_b64 s[8:9], s[8:9], exec
	s_or_b64 s[4:5], s[4:5], s[8:9]
	s_or_b64 exec, exec, s[6:7]
	s_and_saveexec_b64 s[6:7], s[4:5]
	s_cbranch_execnz .LBB10_1995
	s_branch .LBB10_1996
.LBB10_4045:
	s_movk_i32 s4, 0x80
	v_cmp_eq_u16_sdwa s[12:13], v1, s4 src0_sel:BYTE_0 src1_sel:DWORD
	s_mov_b64 s[4:5], -1
                                        ; implicit-def: $sgpr10
	s_and_saveexec_b64 s[8:9], s[12:13]
; %bb.4046:
	s_mov_b32 s10, 0x7f800001
	s_xor_b64 s[4:5], exec, -1
; %bb.4047:
	s_or_b64 exec, exec, s[8:9]
	s_and_b64 s[4:5], s[4:5], exec
	s_or_saveexec_b64 s[6:7], s[6:7]
	v_mov_b32_e32 v4, s10
	s_xor_b64 exec, exec, s[6:7]
	s_cbranch_execz .LBB10_1998
.LBB10_4048:
	v_mov_b32_e32 v4, 0
	v_cmp_ne_u16_sdwa s[8:9], v1, v4 src0_sel:BYTE_0 src1_sel:DWORD
	s_andn2_b64 s[4:5], s[4:5], exec
	s_and_b64 s[8:9], s[8:9], exec
	s_or_b64 s[4:5], s[4:5], s[8:9]
	s_or_b64 exec, exec, s[6:7]
	s_and_saveexec_b64 s[6:7], s[4:5]
	s_cbranch_execnz .LBB10_1999
	s_branch .LBB10_2000
.LBB10_4049:
	s_movk_i32 s4, 0x80
	v_cmp_eq_u16_e32 vcc, s4, v1
	s_mov_b64 s[4:5], -1
                                        ; implicit-def: $sgpr10
	s_and_saveexec_b64 s[8:9], vcc
; %bb.4050:
	s_mov_b32 s10, 0x7f800001
	s_xor_b64 s[4:5], exec, -1
; %bb.4051:
	s_or_b64 exec, exec, s[8:9]
	s_and_b64 s[4:5], s[4:5], exec
                                        ; implicit-def: $vgpr1
	s_or_saveexec_b64 s[6:7], s[6:7]
	v_mov_b32_e32 v0, s10
	s_xor_b64 exec, exec, s[6:7]
	s_cbranch_execz .LBB10_2002
.LBB10_4052:
	v_cmp_ne_u16_e32 vcc, 0, v1
	s_andn2_b64 s[4:5], s[4:5], exec
	s_and_b64 s[8:9], vcc, exec
	v_mov_b32_e32 v0, 0
	s_or_b64 s[4:5], s[4:5], s[8:9]
	s_or_b64 exec, exec, s[6:7]
	s_and_saveexec_b64 s[6:7], s[4:5]
	s_cbranch_execnz .LBB10_2003
	s_branch .LBB10_2004
.LBB10_4053:
	s_movk_i32 s4, 0x80
	v_cmp_eq_u16_e32 vcc, s4, v1
	s_mov_b64 s[4:5], -1
                                        ; implicit-def: $sgpr10
	s_and_saveexec_b64 s[8:9], vcc
; %bb.4054:
	s_mov_b32 s10, 0x7f800001
	s_xor_b64 s[4:5], exec, -1
; %bb.4055:
	s_or_b64 exec, exec, s[8:9]
	s_and_b64 s[4:5], s[4:5], exec
                                        ; implicit-def: $vgpr1
	s_or_saveexec_b64 s[6:7], s[6:7]
	v_mov_b32_e32 v4, s10
	s_xor_b64 exec, exec, s[6:7]
	s_cbranch_execz .LBB10_2006
.LBB10_4056:
	v_cmp_ne_u16_e32 vcc, 0, v1
	s_andn2_b64 s[4:5], s[4:5], exec
	s_and_b64 s[8:9], vcc, exec
	v_mov_b32_e32 v4, 0
	s_or_b64 s[4:5], s[4:5], s[8:9]
	s_or_b64 exec, exec, s[6:7]
	s_and_saveexec_b64 s[6:7], s[4:5]
	s_cbranch_execnz .LBB10_2007
	s_branch .LBB10_2008
.LBB10_4057:
	s_movk_i32 s4, 0x80
	v_cmp_eq_u16_sdwa s[12:13], v6, s4 src0_sel:BYTE_3 src1_sel:DWORD
	s_mov_b64 s[4:5], -1
                                        ; implicit-def: $sgpr10
	s_and_saveexec_b64 s[8:9], s[12:13]
; %bb.4058:
	s_mov_b32 s10, 0x7f800001
	s_xor_b64 s[4:5], exec, -1
; %bb.4059:
	s_or_b64 exec, exec, s[8:9]
	s_and_b64 s[4:5], s[4:5], exec
	s_or_saveexec_b64 s[6:7], s[6:7]
	v_mov_b32_e32 v0, s10
	s_xor_b64 exec, exec, s[6:7]
	s_cbranch_execz .LBB10_2010
.LBB10_4060:
	v_mov_b32_e32 v0, 0
	v_cmp_ne_u16_sdwa s[8:9], v6, v0 src0_sel:BYTE_3 src1_sel:DWORD
	s_andn2_b64 s[4:5], s[4:5], exec
	s_and_b64 s[8:9], s[8:9], exec
	s_or_b64 s[4:5], s[4:5], s[8:9]
	s_or_b64 exec, exec, s[6:7]
	s_and_saveexec_b64 s[6:7], s[4:5]
	s_cbranch_execnz .LBB10_2011
	s_branch .LBB10_2012
.LBB10_4061:
	s_movk_i32 s4, 0x80
	v_cmp_eq_u16_sdwa s[12:13], v2, s4 src0_sel:BYTE_3 src1_sel:DWORD
	s_mov_b64 s[4:5], -1
                                        ; implicit-def: $sgpr10
	s_and_saveexec_b64 s[8:9], s[12:13]
; %bb.4062:
	s_mov_b32 s10, 0x7f800001
	s_xor_b64 s[4:5], exec, -1
; %bb.4063:
	s_or_b64 exec, exec, s[8:9]
	s_and_b64 s[4:5], s[4:5], exec
	s_or_saveexec_b64 s[6:7], s[6:7]
	v_mov_b32_e32 v1, s10
	s_xor_b64 exec, exec, s[6:7]
	s_cbranch_execz .LBB10_2014
.LBB10_4064:
	v_mov_b32_e32 v1, 0
	v_cmp_ne_u16_sdwa s[8:9], v2, v1 src0_sel:BYTE_3 src1_sel:DWORD
	s_andn2_b64 s[4:5], s[4:5], exec
	s_and_b64 s[8:9], s[8:9], exec
	s_or_b64 s[4:5], s[4:5], s[8:9]
	s_or_b64 exec, exec, s[6:7]
	s_and_saveexec_b64 s[6:7], s[4:5]
	s_cbranch_execnz .LBB10_2015
	s_branch .LBB10_2016
.LBB10_4065:
	s_movk_i32 s4, 0x80
	v_cmp_eq_u16_sdwa s[12:13], v7, s4 src0_sel:BYTE_0 src1_sel:DWORD
	s_mov_b64 s[4:5], -1
                                        ; implicit-def: $sgpr10
	s_and_saveexec_b64 s[8:9], s[12:13]
; %bb.4066:
	s_mov_b32 s10, 0x7f800001
	s_xor_b64 s[4:5], exec, -1
; %bb.4067:
	s_or_b64 exec, exec, s[8:9]
	s_and_b64 s[4:5], s[4:5], exec
	s_or_saveexec_b64 s[6:7], s[6:7]
	v_mov_b32_e32 v0, s10
	s_xor_b64 exec, exec, s[6:7]
	s_cbranch_execz .LBB10_2018
.LBB10_4068:
	v_mov_b32_e32 v0, 0
	v_cmp_ne_u16_sdwa s[8:9], v7, v0 src0_sel:BYTE_0 src1_sel:DWORD
	s_andn2_b64 s[4:5], s[4:5], exec
	s_and_b64 s[8:9], s[8:9], exec
	s_or_b64 s[4:5], s[4:5], s[8:9]
	s_or_b64 exec, exec, s[6:7]
	s_and_saveexec_b64 s[6:7], s[4:5]
	s_cbranch_execnz .LBB10_2019
	s_branch .LBB10_2020
.LBB10_4069:
	s_movk_i32 s4, 0x80
	v_cmp_eq_u16_sdwa s[12:13], v3, s4 src0_sel:BYTE_0 src1_sel:DWORD
	s_mov_b64 s[4:5], -1
                                        ; implicit-def: $sgpr10
	s_and_saveexec_b64 s[8:9], s[12:13]
; %bb.4070:
	s_mov_b32 s10, 0x7f800001
	s_xor_b64 s[4:5], exec, -1
; %bb.4071:
	s_or_b64 exec, exec, s[8:9]
	s_and_b64 s[4:5], s[4:5], exec
	s_or_saveexec_b64 s[6:7], s[6:7]
	v_mov_b32_e32 v1, s10
	s_xor_b64 exec, exec, s[6:7]
	s_cbranch_execz .LBB10_2022
.LBB10_4072:
	v_mov_b32_e32 v1, 0
	v_cmp_ne_u16_sdwa s[8:9], v3, v1 src0_sel:BYTE_0 src1_sel:DWORD
	s_andn2_b64 s[4:5], s[4:5], exec
	s_and_b64 s[8:9], s[8:9], exec
	s_or_b64 s[4:5], s[4:5], s[8:9]
	s_or_b64 exec, exec, s[6:7]
	s_and_saveexec_b64 s[6:7], s[4:5]
	s_cbranch_execnz .LBB10_2023
	s_branch .LBB10_2024
.LBB10_4073:
	s_movk_i32 s4, 0x80
	v_cmp_eq_u16_sdwa s[12:13], v1, s4 src0_sel:BYTE_0 src1_sel:DWORD
	s_mov_b64 s[4:5], -1
                                        ; implicit-def: $sgpr10
	s_and_saveexec_b64 s[8:9], s[12:13]
; %bb.4074:
	s_mov_b32 s10, 0x7f800001
	s_xor_b64 s[4:5], exec, -1
; %bb.4075:
	s_or_b64 exec, exec, s[8:9]
	s_and_b64 s[4:5], s[4:5], exec
	s_or_saveexec_b64 s[6:7], s[6:7]
	v_mov_b32_e32 v0, s10
	s_xor_b64 exec, exec, s[6:7]
	s_cbranch_execz .LBB10_2026
.LBB10_4076:
	v_mov_b32_e32 v0, 0
	v_cmp_ne_u16_sdwa s[8:9], v1, v0 src0_sel:BYTE_0 src1_sel:DWORD
	s_andn2_b64 s[4:5], s[4:5], exec
	s_and_b64 s[8:9], s[8:9], exec
	s_or_b64 s[4:5], s[4:5], s[8:9]
	s_or_b64 exec, exec, s[6:7]
	s_and_saveexec_b64 s[6:7], s[4:5]
	s_cbranch_execnz .LBB10_2027
	s_branch .LBB10_2028
.LBB10_4077:
	s_movk_i32 s4, 0x80
	v_cmp_eq_u16_sdwa s[12:13], v1, s4 src0_sel:BYTE_0 src1_sel:DWORD
	s_mov_b64 s[4:5], -1
                                        ; implicit-def: $sgpr10
	s_and_saveexec_b64 s[8:9], s[12:13]
; %bb.4078:
	s_mov_b32 s10, 0x7f800001
	s_xor_b64 s[4:5], exec, -1
; %bb.4079:
	s_or_b64 exec, exec, s[8:9]
	s_and_b64 s[4:5], s[4:5], exec
	s_or_saveexec_b64 s[6:7], s[6:7]
	v_mov_b32_e32 v2, s10
	s_xor_b64 exec, exec, s[6:7]
	s_cbranch_execz .LBB10_2030
.LBB10_4080:
	v_mov_b32_e32 v2, 0
	v_cmp_ne_u16_sdwa s[8:9], v1, v2 src0_sel:BYTE_0 src1_sel:DWORD
	s_andn2_b64 s[4:5], s[4:5], exec
	s_and_b64 s[8:9], s[8:9], exec
	s_or_b64 s[4:5], s[4:5], s[8:9]
	s_or_b64 exec, exec, s[6:7]
	s_and_saveexec_b64 s[6:7], s[4:5]
	s_cbranch_execnz .LBB10_2031
	s_branch .LBB10_2032
.LBB10_4081:
	s_movk_i32 s4, 0x80
	v_cmp_eq_u16_e32 vcc, s4, v1
	s_mov_b64 s[4:5], -1
                                        ; implicit-def: $sgpr10
	s_and_saveexec_b64 s[8:9], vcc
; %bb.4082:
	s_mov_b32 s10, 0x7f800001
	s_xor_b64 s[4:5], exec, -1
; %bb.4083:
	s_or_b64 exec, exec, s[8:9]
	s_and_b64 s[4:5], s[4:5], exec
                                        ; implicit-def: $vgpr1
	s_or_saveexec_b64 s[6:7], s[6:7]
	v_mov_b32_e32 v0, s10
	s_xor_b64 exec, exec, s[6:7]
	s_cbranch_execz .LBB10_2034
.LBB10_4084:
	v_cmp_ne_u16_e32 vcc, 0, v1
	s_andn2_b64 s[4:5], s[4:5], exec
	s_and_b64 s[8:9], vcc, exec
	v_mov_b32_e32 v0, 0
	s_or_b64 s[4:5], s[4:5], s[8:9]
	s_or_b64 exec, exec, s[6:7]
	s_and_saveexec_b64 s[6:7], s[4:5]
	s_cbranch_execnz .LBB10_2035
	s_branch .LBB10_2036
.LBB10_4085:
	s_movk_i32 s4, 0x80
	v_cmp_eq_u16_e32 vcc, s4, v1
	s_mov_b64 s[4:5], -1
                                        ; implicit-def: $sgpr10
	s_and_saveexec_b64 s[8:9], vcc
; %bb.4086:
	s_mov_b32 s10, 0x7f800001
	s_xor_b64 s[4:5], exec, -1
; %bb.4087:
	s_or_b64 exec, exec, s[8:9]
	s_and_b64 s[4:5], s[4:5], exec
                                        ; implicit-def: $vgpr1
	s_or_saveexec_b64 s[6:7], s[6:7]
	v_mov_b32_e32 v2, s10
	s_xor_b64 exec, exec, s[6:7]
	s_cbranch_execz .LBB10_2038
.LBB10_4088:
	v_cmp_ne_u16_e32 vcc, 0, v1
	s_andn2_b64 s[4:5], s[4:5], exec
	s_and_b64 s[8:9], vcc, exec
	v_mov_b32_e32 v2, 0
	s_or_b64 s[4:5], s[4:5], s[8:9]
	s_or_b64 exec, exec, s[6:7]
	s_and_saveexec_b64 s[6:7], s[4:5]
	s_cbranch_execnz .LBB10_2039
	s_branch .LBB10_2040
.LBB10_4089:
	s_movk_i32 s4, 0x80
	v_cmp_eq_u16_sdwa s[12:13], v7, s4 src0_sel:BYTE_3 src1_sel:DWORD
	s_mov_b64 s[4:5], -1
                                        ; implicit-def: $sgpr10
	s_and_saveexec_b64 s[8:9], s[12:13]
; %bb.4090:
	s_mov_b32 s10, 0x7f800001
	s_xor_b64 s[4:5], exec, -1
; %bb.4091:
	s_or_b64 exec, exec, s[8:9]
	s_and_b64 s[4:5], s[4:5], exec
	s_or_saveexec_b64 s[6:7], s[6:7]
	v_mov_b32_e32 v0, s10
	s_xor_b64 exec, exec, s[6:7]
	s_cbranch_execz .LBB10_2042
.LBB10_4092:
	v_mov_b32_e32 v0, 0
	v_cmp_ne_u16_sdwa s[8:9], v7, v0 src0_sel:BYTE_3 src1_sel:DWORD
	s_andn2_b64 s[4:5], s[4:5], exec
	s_and_b64 s[8:9], s[8:9], exec
	s_or_b64 s[4:5], s[4:5], s[8:9]
	s_or_b64 exec, exec, s[6:7]
	s_and_saveexec_b64 s[6:7], s[4:5]
	s_cbranch_execnz .LBB10_2043
	s_branch .LBB10_2044
.LBB10_4093:
	s_movk_i32 s4, 0x80
	v_cmp_eq_u16_sdwa s[12:13], v3, s4 src0_sel:BYTE_3 src1_sel:DWORD
	s_mov_b64 s[4:5], -1
                                        ; implicit-def: $sgpr10
	s_and_saveexec_b64 s[8:9], s[12:13]
; %bb.4094:
	s_mov_b32 s10, 0x7f800001
	s_xor_b64 s[4:5], exec, -1
; %bb.4095:
	s_or_b64 exec, exec, s[8:9]
	s_and_b64 s[4:5], s[4:5], exec
	s_or_saveexec_b64 s[6:7], s[6:7]
	v_mov_b32_e32 v1, s10
	s_xor_b64 exec, exec, s[6:7]
	s_cbranch_execz .LBB10_2046
.LBB10_4096:
	v_mov_b32_e32 v1, 0
	v_cmp_ne_u16_sdwa s[8:9], v3, v1 src0_sel:BYTE_3 src1_sel:DWORD
	s_andn2_b64 s[4:5], s[4:5], exec
	s_and_b64 s[8:9], s[8:9], exec
	s_or_b64 s[4:5], s[4:5], s[8:9]
	s_or_b64 exec, exec, s[6:7]
	s_and_saveexec_b64 s[6:7], s[4:5]
	s_cbranch_execnz .LBB10_2047
	s_branch .LBB10_2048
.Lfunc_end10:
	.size	_ZNK2ck6detail7applierIiJLi0ELi1ELi2ELi3ELi4ELi5ELi6ELi7ELi8ELi9ELi10ELi11ELi12ELi13ELi14ELi15EEEclIZNKS_11static_fordINS_8SequenceIJLi4ELi4EEEENS5_IJLi0ELi1EEEEEclIZZZZNKS_31BlockwiseGemmXdlops_pipeline_v2ILNS_26BlockGemmPipelineSchedulerE1ELi256ENS_9f8_fnuz_tENS_7pk_i4_tESC_fNS_16TensorDescriptorINS_5TupleIJNS_5EmbedINSF_IJNS_17integral_constantIiLi8EEENSH_IiLi128EEENSH_IiLi16EEEEEENSF_IJSK_SJ_NSH_IiLi1EEEEEELb0EEENS_3XorINSF_IJSJ_SI_EEELb1EEENS_11PassThroughISK_EENS_7UnMergeINSF_IJSI_SM_EEELb0EEENSS_ISJ_EEST_NSS_ISI_EENS_21Merge_v3_division_modINSF_IJSJ_SM_EEEEEST_EEENSF_IJNS5_IJLi0EEEENS5_IJLi2ELi1EEEENS5_IJLi3EEEENS5_IJLi5EEEENS5_IJLi4EEEENS5_IJLi6EEEENS5_IJLi7EEEENS5_IJLi9ELi8EEEENS5_IJLi10EEEEEEENSF_IJNS5_IJLi1ELi2ELi3EEEENS5_IJLi4ELi5EEEES18_NS5_IJLi7ELi8EEEENS5_IJLi9EEEES1B_NS5_IJLi11EEEENS5_IJLi12EEEENS5_IJLi13EEEEEEENS5_IJLi11ELi12ELi13EEEENSH_IlLl16384EEEEENSE_INSF_IJNSG_INSF_IJSK_NSH_IiLi64EEESK_EEENSF_IJSK_NSH_IiLi256EEESM_EEELb0EEENSP_INSF_IJS1O_SK_EEELb1EEEST_NSU_INSF_IJSI_NSH_IiLi2EEEEEELb0EEENSS_IS1O_EEST_SY_NSZ_INSF_IJS1O_S1V_EEEEEST_EEES1C_S1K_S1L_S1M_EENSE_INSF_IJSO_SR_ST_SW_SX_ST_SY_S11_ST_NSZ_INSF_IJSI_SK_EEEEENSU_INSF_IJNSH_IiLi4EEES1V_SK_EEELb0EEEEEENSF_IJS13_S14_S15_S16_S17_S18_S19_S1A_S1B_NS5_IJLi11ELi13EEEES1I_EEENSF_IJS1D_S1E_S18_S1F_S1G_S1B_S1H_S1I_S1J_NS5_IJLi14EEEENS5_IJLi15ELi16ELi17EEEEEEENS5_IJLi15ELi16ELi17ELi14EEEES1M_EENSE_INSF_IJS1S_S1U_ST_S1X_S1Y_ST_SY_S20_ST_S24_S27_EEES2A_S2D_S2E_S1M_EELi16ELi16ELi128ELi128ELi128ELi16ELi16ELi4ELi4ELi16ELb0EE3RunILb1ELNS_10TailNumberE10ENSE_INSF_IJNSG_INSF_IJiiEEENSF_IJiSM_EEELb0EEENSU_IS2L_Lb0EEENSS_IiEEEEENSF_IJS13_NS5_IJLi2EEEENS5_IJLi1EEEEEEENSF_IJNS5_IJLi1ELi2EEEENS5_IJLi3ELi4EEEES16_EEENS5_IJLi3ELi5ELi4EEEElEES1N_NS_35ThreadGroupTensorSliceTransfer_v4r1INS_15ThisThreadBlockILi256EEENS_16tensor_operation12element_wise11PassThroughES34_LNS_25InMemoryDataOperationEnumE0ENS5_IJLi8ELi128ELi16EEEENS5_IJLi8ELi32ELi1EEEENS5_IJLi1ELi0ELi2EEEESC_SC_RKS2Y_KS1N_S38_NS5_IJLi0ELi1ELi2EEEELi2ELi2ELi16ELi16ELi1ELi1ELb0ELb1ELi2EiEENS_13DynamicBufferILNS_16AddressSpaceEnumE1EKSC_lLb1ELNS_22AmdBufferCoherenceEnumE0EiEENS3E_ILS3F_2ESC_S1M_Lb1ELS3H_0EiEENSF_IJiiiEEENSE_INSF_IJNSU_INSF_IJiiiiEEELb0EEENS_23Merge_v2_magic_divisionIS2L_EENSS_INSF_IJiEEEEES2P_EEENSF_IJS13_NS5_IJLi1ELi3EEEES2R_S17_EEENSF_IJNS5_IJLi1ELi2ELi3ELi4EEEES16_S18_S19_EEENS5_IJLi5ELi6ELi7EEEElEES22_NS2Z_IS31_S34_S34_LS35_0ES36_NS5_IJLi4ELi64ELi1EEEES38_SD_SD_RKS3X_KS22_S38_S3C_Li2ELi2ELi16ELi16ELi1ELi1ELb0ELb1ELi2EiEENS3E_ILS3F_1EKSD_lLb1ELS3H_0EiEENS3E_ILS3F_2ESD_S1M_Lb1ELS3H_0EiEES3K_NS_25StaticBufferTupleOfVectorILS3F_4EfLi16ELi4ELb1ELb0EEEEEvRKT1_RKT2_RT3_RKT4_RT5_RKT6_RKT7_RKT8_RT9_RKT10_RT11_RKT12_RT13_iENKUlT_E0_clISM_EEDaS56_ENKUlS56_E_clINSH_IiLi0EEEEEDaS56_ENKUlS56_E1_clIS5B_EEDaS56_EUlS56_E_EEvS56_EUlS56_E_EEvS56_, .Lfunc_end10-_ZNK2ck6detail7applierIiJLi0ELi1ELi2ELi3ELi4ELi5ELi6ELi7ELi8ELi9ELi10ELi11ELi12ELi13ELi14ELi15EEEclIZNKS_11static_fordINS_8SequenceIJLi4ELi4EEEENS5_IJLi0ELi1EEEEEclIZZZZNKS_31BlockwiseGemmXdlops_pipeline_v2ILNS_26BlockGemmPipelineSchedulerE1ELi256ENS_9f8_fnuz_tENS_7pk_i4_tESC_fNS_16TensorDescriptorINS_5TupleIJNS_5EmbedINSF_IJNS_17integral_constantIiLi8EEENSH_IiLi128EEENSH_IiLi16EEEEEENSF_IJSK_SJ_NSH_IiLi1EEEEEELb0EEENS_3XorINSF_IJSJ_SI_EEELb1EEENS_11PassThroughISK_EENS_7UnMergeINSF_IJSI_SM_EEELb0EEENSS_ISJ_EEST_NSS_ISI_EENS_21Merge_v3_division_modINSF_IJSJ_SM_EEEEEST_EEENSF_IJNS5_IJLi0EEEENS5_IJLi2ELi1EEEENS5_IJLi3EEEENS5_IJLi5EEEENS5_IJLi4EEEENS5_IJLi6EEEENS5_IJLi7EEEENS5_IJLi9ELi8EEEENS5_IJLi10EEEEEEENSF_IJNS5_IJLi1ELi2ELi3EEEENS5_IJLi4ELi5EEEES18_NS5_IJLi7ELi8EEEENS5_IJLi9EEEES1B_NS5_IJLi11EEEENS5_IJLi12EEEENS5_IJLi13EEEEEEENS5_IJLi11ELi12ELi13EEEENSH_IlLl16384EEEEENSE_INSF_IJNSG_INSF_IJSK_NSH_IiLi64EEESK_EEENSF_IJSK_NSH_IiLi256EEESM_EEELb0EEENSP_INSF_IJS1O_SK_EEELb1EEEST_NSU_INSF_IJSI_NSH_IiLi2EEEEEELb0EEENSS_IS1O_EEST_SY_NSZ_INSF_IJS1O_S1V_EEEEEST_EEES1C_S1K_S1L_S1M_EENSE_INSF_IJSO_SR_ST_SW_SX_ST_SY_S11_ST_NSZ_INSF_IJSI_SK_EEEEENSU_INSF_IJNSH_IiLi4EEES1V_SK_EEELb0EEEEEENSF_IJS13_S14_S15_S16_S17_S18_S19_S1A_S1B_NS5_IJLi11ELi13EEEES1I_EEENSF_IJS1D_S1E_S18_S1F_S1G_S1B_S1H_S1I_S1J_NS5_IJLi14EEEENS5_IJLi15ELi16ELi17EEEEEEENS5_IJLi15ELi16ELi17ELi14EEEES1M_EENSE_INSF_IJS1S_S1U_ST_S1X_S1Y_ST_SY_S20_ST_S24_S27_EEES2A_S2D_S2E_S1M_EELi16ELi16ELi128ELi128ELi128ELi16ELi16ELi4ELi4ELi16ELb0EE3RunILb1ELNS_10TailNumberE10ENSE_INSF_IJNSG_INSF_IJiiEEENSF_IJiSM_EEELb0EEENSU_IS2L_Lb0EEENSS_IiEEEEENSF_IJS13_NS5_IJLi2EEEENS5_IJLi1EEEEEEENSF_IJNS5_IJLi1ELi2EEEENS5_IJLi3ELi4EEEES16_EEENS5_IJLi3ELi5ELi4EEEElEES1N_NS_35ThreadGroupTensorSliceTransfer_v4r1INS_15ThisThreadBlockILi256EEENS_16tensor_operation12element_wise11PassThroughES34_LNS_25InMemoryDataOperationEnumE0ENS5_IJLi8ELi128ELi16EEEENS5_IJLi8ELi32ELi1EEEENS5_IJLi1ELi0ELi2EEEESC_SC_RKS2Y_KS1N_S38_NS5_IJLi0ELi1ELi2EEEELi2ELi2ELi16ELi16ELi1ELi1ELb0ELb1ELi2EiEENS_13DynamicBufferILNS_16AddressSpaceEnumE1EKSC_lLb1ELNS_22AmdBufferCoherenceEnumE0EiEENS3E_ILS3F_2ESC_S1M_Lb1ELS3H_0EiEENSF_IJiiiEEENSE_INSF_IJNSU_INSF_IJiiiiEEELb0EEENS_23Merge_v2_magic_divisionIS2L_EENSS_INSF_IJiEEEEES2P_EEENSF_IJS13_NS5_IJLi1ELi3EEEES2R_S17_EEENSF_IJNS5_IJLi1ELi2ELi3ELi4EEEES16_S18_S19_EEENS5_IJLi5ELi6ELi7EEEElEES22_NS2Z_IS31_S34_S34_LS35_0ES36_NS5_IJLi4ELi64ELi1EEEES38_SD_SD_RKS3X_KS22_S38_S3C_Li2ELi2ELi16ELi16ELi1ELi1ELb0ELb1ELi2EiEENS3E_ILS3F_1EKSD_lLb1ELS3H_0EiEENS3E_ILS3F_2ESD_S1M_Lb1ELS3H_0EiEES3K_NS_25StaticBufferTupleOfVectorILS3F_4EfLi16ELi4ELb1ELb0EEEEEvRKT1_RKT2_RT3_RKT4_RT5_RKT6_RKT7_RKT8_RT9_RKT10_RT11_RKT12_RT13_iENKUlT_E0_clISM_EEDaS56_ENKUlS56_E_clINSH_IiLi0EEEEEDaS56_ENKUlS56_E1_clIS5B_EEDaS56_EUlS56_E_EEvS56_EUlS56_E_EEvS56_
                                        ; -- End function
	.section	.AMDGPU.csdata,"",@progbits
; Function info:
; codeLenInByte = 134344
; NumSgprs: 36
; NumVgprs: 18
; NumAgprs: 4
; TotalNumVgprs: 24
; ScratchSize: 0
; MemoryBound: 1
	.text
	.p2align	2                               ; -- Begin function _ZNK2ck6detail7applierIiJLi0ELi1ELi2ELi3ELi4ELi5ELi6ELi7ELi8ELi9ELi10ELi11ELi12ELi13ELi14ELi15EEEclIZNKS_11static_fordINS_8SequenceIJLi4ELi4EEEENS5_IJLi0ELi1EEEEEclIZZZZNKS_31BlockwiseGemmXdlops_pipeline_v2ILNS_26BlockGemmPipelineSchedulerE1ELi256ENS_9f8_fnuz_tENS_7pk_i4_tESC_fNS_16TensorDescriptorINS_5TupleIJNS_5EmbedINSF_IJNS_17integral_constantIiLi8EEENSH_IiLi128EEENSH_IiLi16EEEEEENSF_IJSK_SJ_NSH_IiLi1EEEEEELb0EEENS_3XorINSF_IJSJ_SI_EEELb1EEENS_11PassThroughISK_EENS_7UnMergeINSF_IJSI_SM_EEELb0EEENSS_ISJ_EEST_NSS_ISI_EENS_21Merge_v3_division_modINSF_IJSJ_SM_EEEEEST_EEENSF_IJNS5_IJLi0EEEENS5_IJLi2ELi1EEEENS5_IJLi3EEEENS5_IJLi5EEEENS5_IJLi4EEEENS5_IJLi6EEEENS5_IJLi7EEEENS5_IJLi9ELi8EEEENS5_IJLi10EEEEEEENSF_IJNS5_IJLi1ELi2ELi3EEEENS5_IJLi4ELi5EEEES18_NS5_IJLi7ELi8EEEENS5_IJLi9EEEES1B_NS5_IJLi11EEEENS5_IJLi12EEEENS5_IJLi13EEEEEEENS5_IJLi11ELi12ELi13EEEENSH_IlLl16384EEEEENSE_INSF_IJNSG_INSF_IJSK_NSH_IiLi64EEESK_EEENSF_IJSK_NSH_IiLi256EEESM_EEELb0EEENSP_INSF_IJS1O_SK_EEELb1EEEST_NSU_INSF_IJSI_NSH_IiLi2EEEEEELb0EEENSS_IS1O_EEST_SY_NSZ_INSF_IJS1O_S1V_EEEEEST_EEES1C_S1K_S1L_S1M_EENSE_INSF_IJSO_SR_ST_SW_SX_ST_SY_S11_ST_NSZ_INSF_IJSI_SK_EEEEENSU_INSF_IJNSH_IiLi4EEES1V_SK_EEELb0EEEEEENSF_IJS13_S14_S15_S16_S17_S18_S19_S1A_S1B_NS5_IJLi11ELi13EEEES1I_EEENSF_IJS1D_S1E_S18_S1F_S1G_S1B_S1H_S1I_S1J_NS5_IJLi14EEEENS5_IJLi15ELi16ELi17EEEEEEENS5_IJLi15ELi16ELi17ELi14EEEES1M_EENSE_INSF_IJS1S_S1U_ST_S1X_S1Y_ST_SY_S20_ST_S24_S27_EEES2A_S2D_S2E_S1M_EELi16ELi16ELi128ELi128ELi128ELi16ELi16ELi4ELi4ELi16ELb0EE3RunILb1ELNS_10TailNumberE10ENSE_INSF_IJNSG_INSF_IJiiEEENSF_IJiSM_EEELb0EEENSU_IS2L_Lb0EEENSS_IiEEEEENSF_IJS13_NS5_IJLi2EEEENS5_IJLi1EEEEEEENSF_IJNS5_IJLi1ELi2EEEENS5_IJLi3ELi4EEEES16_EEENS5_IJLi3ELi5ELi4EEEElEES1N_NS_35ThreadGroupTensorSliceTransfer_v4r1INS_15ThisThreadBlockILi256EEENS_16tensor_operation12element_wise11PassThroughES34_LNS_25InMemoryDataOperationEnumE0ENS5_IJLi8ELi128ELi16EEEENS5_IJLi8ELi32ELi1EEEENS5_IJLi1ELi0ELi2EEEESC_SC_RKS2Y_KS1N_S38_NS5_IJLi0ELi1ELi2EEEELi2ELi2ELi16ELi16ELi1ELi1ELb0ELb1ELi2EiEENS_13DynamicBufferILNS_16AddressSpaceEnumE1EKSC_lLb1ELNS_22AmdBufferCoherenceEnumE0EiEENS3E_ILS3F_2ESC_S1M_Lb1ELS3H_0EiEENSF_IJiiiEEENSE_INSF_IJNSU_INSF_IJiiiiEEELb0EEENS_23Merge_v2_magic_divisionIS2L_EENSS_INSF_IJiEEEEES2P_EEENSF_IJS13_NS5_IJLi1ELi3EEEES2R_S17_EEENSF_IJNS5_IJLi1ELi2ELi3ELi4EEEES16_S18_S19_EEENS5_IJLi5ELi6ELi7EEEElEES22_NS2Z_IS31_S34_S34_LS35_0ES36_NS5_IJLi4ELi64ELi1EEEES38_SD_SD_RKS3X_KS22_S38_S3C_Li2ELi2ELi16ELi16ELi1ELi1ELb0ELb1ELi2EiEENS3E_ILS3F_1EKSD_lLb1ELS3H_0EiEENS3E_ILS3F_2ESD_S1M_Lb1ELS3H_0EiEES3K_NS_25StaticBufferTupleOfVectorILS3F_4EfLi16ELi4ELb1ELb0EEEEEvRKT1_RKT2_RT3_RKT4_RT5_RKT6_RKT7_RKT8_RT9_RKT10_RT11_RKT12_RT13_iENKUlT_E0_clISM_EEDaS56_ENKUlS56_E_clINSH_IiLi0EEEEEDaS56_ENKUlS56_E1_clISK_EEDaS56_EUlS56_E_EEvS56_EUlS56_E_EEvS56_
	.type	_ZNK2ck6detail7applierIiJLi0ELi1ELi2ELi3ELi4ELi5ELi6ELi7ELi8ELi9ELi10ELi11ELi12ELi13ELi14ELi15EEEclIZNKS_11static_fordINS_8SequenceIJLi4ELi4EEEENS5_IJLi0ELi1EEEEEclIZZZZNKS_31BlockwiseGemmXdlops_pipeline_v2ILNS_26BlockGemmPipelineSchedulerE1ELi256ENS_9f8_fnuz_tENS_7pk_i4_tESC_fNS_16TensorDescriptorINS_5TupleIJNS_5EmbedINSF_IJNS_17integral_constantIiLi8EEENSH_IiLi128EEENSH_IiLi16EEEEEENSF_IJSK_SJ_NSH_IiLi1EEEEEELb0EEENS_3XorINSF_IJSJ_SI_EEELb1EEENS_11PassThroughISK_EENS_7UnMergeINSF_IJSI_SM_EEELb0EEENSS_ISJ_EEST_NSS_ISI_EENS_21Merge_v3_division_modINSF_IJSJ_SM_EEEEEST_EEENSF_IJNS5_IJLi0EEEENS5_IJLi2ELi1EEEENS5_IJLi3EEEENS5_IJLi5EEEENS5_IJLi4EEEENS5_IJLi6EEEENS5_IJLi7EEEENS5_IJLi9ELi8EEEENS5_IJLi10EEEEEEENSF_IJNS5_IJLi1ELi2ELi3EEEENS5_IJLi4ELi5EEEES18_NS5_IJLi7ELi8EEEENS5_IJLi9EEEES1B_NS5_IJLi11EEEENS5_IJLi12EEEENS5_IJLi13EEEEEEENS5_IJLi11ELi12ELi13EEEENSH_IlLl16384EEEEENSE_INSF_IJNSG_INSF_IJSK_NSH_IiLi64EEESK_EEENSF_IJSK_NSH_IiLi256EEESM_EEELb0EEENSP_INSF_IJS1O_SK_EEELb1EEEST_NSU_INSF_IJSI_NSH_IiLi2EEEEEELb0EEENSS_IS1O_EEST_SY_NSZ_INSF_IJS1O_S1V_EEEEEST_EEES1C_S1K_S1L_S1M_EENSE_INSF_IJSO_SR_ST_SW_SX_ST_SY_S11_ST_NSZ_INSF_IJSI_SK_EEEEENSU_INSF_IJNSH_IiLi4EEES1V_SK_EEELb0EEEEEENSF_IJS13_S14_S15_S16_S17_S18_S19_S1A_S1B_NS5_IJLi11ELi13EEEES1I_EEENSF_IJS1D_S1E_S18_S1F_S1G_S1B_S1H_S1I_S1J_NS5_IJLi14EEEENS5_IJLi15ELi16ELi17EEEEEEENS5_IJLi15ELi16ELi17ELi14EEEES1M_EENSE_INSF_IJS1S_S1U_ST_S1X_S1Y_ST_SY_S20_ST_S24_S27_EEES2A_S2D_S2E_S1M_EELi16ELi16ELi128ELi128ELi128ELi16ELi16ELi4ELi4ELi16ELb0EE3RunILb1ELNS_10TailNumberE10ENSE_INSF_IJNSG_INSF_IJiiEEENSF_IJiSM_EEELb0EEENSU_IS2L_Lb0EEENSS_IiEEEEENSF_IJS13_NS5_IJLi2EEEENS5_IJLi1EEEEEEENSF_IJNS5_IJLi1ELi2EEEENS5_IJLi3ELi4EEEES16_EEENS5_IJLi3ELi5ELi4EEEElEES1N_NS_35ThreadGroupTensorSliceTransfer_v4r1INS_15ThisThreadBlockILi256EEENS_16tensor_operation12element_wise11PassThroughES34_LNS_25InMemoryDataOperationEnumE0ENS5_IJLi8ELi128ELi16EEEENS5_IJLi8ELi32ELi1EEEENS5_IJLi1ELi0ELi2EEEESC_SC_RKS2Y_KS1N_S38_NS5_IJLi0ELi1ELi2EEEELi2ELi2ELi16ELi16ELi1ELi1ELb0ELb1ELi2EiEENS_13DynamicBufferILNS_16AddressSpaceEnumE1EKSC_lLb1ELNS_22AmdBufferCoherenceEnumE0EiEENS3E_ILS3F_2ESC_S1M_Lb1ELS3H_0EiEENSF_IJiiiEEENSE_INSF_IJNSU_INSF_IJiiiiEEELb0EEENS_23Merge_v2_magic_divisionIS2L_EENSS_INSF_IJiEEEEES2P_EEENSF_IJS13_NS5_IJLi1ELi3EEEES2R_S17_EEENSF_IJNS5_IJLi1ELi2ELi3ELi4EEEES16_S18_S19_EEENS5_IJLi5ELi6ELi7EEEElEES22_NS2Z_IS31_S34_S34_LS35_0ES36_NS5_IJLi4ELi64ELi1EEEES38_SD_SD_RKS3X_KS22_S38_S3C_Li2ELi2ELi16ELi16ELi1ELi1ELb0ELb1ELi2EiEENS3E_ILS3F_1EKSD_lLb1ELS3H_0EiEENS3E_ILS3F_2ESD_S1M_Lb1ELS3H_0EiEES3K_NS_25StaticBufferTupleOfVectorILS3F_4EfLi16ELi4ELb1ELb0EEEEEvRKT1_RKT2_RT3_RKT4_RT5_RKT6_RKT7_RKT8_RT9_RKT10_RT11_RKT12_RT13_iENKUlT_E0_clISM_EEDaS56_ENKUlS56_E_clINSH_IiLi0EEEEEDaS56_ENKUlS56_E1_clISK_EEDaS56_EUlS56_E_EEvS56_EUlS56_E_EEvS56_,@function
_ZNK2ck6detail7applierIiJLi0ELi1ELi2ELi3ELi4ELi5ELi6ELi7ELi8ELi9ELi10ELi11ELi12ELi13ELi14ELi15EEEclIZNKS_11static_fordINS_8SequenceIJLi4ELi4EEEENS5_IJLi0ELi1EEEEEclIZZZZNKS_31BlockwiseGemmXdlops_pipeline_v2ILNS_26BlockGemmPipelineSchedulerE1ELi256ENS_9f8_fnuz_tENS_7pk_i4_tESC_fNS_16TensorDescriptorINS_5TupleIJNS_5EmbedINSF_IJNS_17integral_constantIiLi8EEENSH_IiLi128EEENSH_IiLi16EEEEEENSF_IJSK_SJ_NSH_IiLi1EEEEEELb0EEENS_3XorINSF_IJSJ_SI_EEELb1EEENS_11PassThroughISK_EENS_7UnMergeINSF_IJSI_SM_EEELb0EEENSS_ISJ_EEST_NSS_ISI_EENS_21Merge_v3_division_modINSF_IJSJ_SM_EEEEEST_EEENSF_IJNS5_IJLi0EEEENS5_IJLi2ELi1EEEENS5_IJLi3EEEENS5_IJLi5EEEENS5_IJLi4EEEENS5_IJLi6EEEENS5_IJLi7EEEENS5_IJLi9ELi8EEEENS5_IJLi10EEEEEEENSF_IJNS5_IJLi1ELi2ELi3EEEENS5_IJLi4ELi5EEEES18_NS5_IJLi7ELi8EEEENS5_IJLi9EEEES1B_NS5_IJLi11EEEENS5_IJLi12EEEENS5_IJLi13EEEEEEENS5_IJLi11ELi12ELi13EEEENSH_IlLl16384EEEEENSE_INSF_IJNSG_INSF_IJSK_NSH_IiLi64EEESK_EEENSF_IJSK_NSH_IiLi256EEESM_EEELb0EEENSP_INSF_IJS1O_SK_EEELb1EEEST_NSU_INSF_IJSI_NSH_IiLi2EEEEEELb0EEENSS_IS1O_EEST_SY_NSZ_INSF_IJS1O_S1V_EEEEEST_EEES1C_S1K_S1L_S1M_EENSE_INSF_IJSO_SR_ST_SW_SX_ST_SY_S11_ST_NSZ_INSF_IJSI_SK_EEEEENSU_INSF_IJNSH_IiLi4EEES1V_SK_EEELb0EEEEEENSF_IJS13_S14_S15_S16_S17_S18_S19_S1A_S1B_NS5_IJLi11ELi13EEEES1I_EEENSF_IJS1D_S1E_S18_S1F_S1G_S1B_S1H_S1I_S1J_NS5_IJLi14EEEENS5_IJLi15ELi16ELi17EEEEEEENS5_IJLi15ELi16ELi17ELi14EEEES1M_EENSE_INSF_IJS1S_S1U_ST_S1X_S1Y_ST_SY_S20_ST_S24_S27_EEES2A_S2D_S2E_S1M_EELi16ELi16ELi128ELi128ELi128ELi16ELi16ELi4ELi4ELi16ELb0EE3RunILb1ELNS_10TailNumberE10ENSE_INSF_IJNSG_INSF_IJiiEEENSF_IJiSM_EEELb0EEENSU_IS2L_Lb0EEENSS_IiEEEEENSF_IJS13_NS5_IJLi2EEEENS5_IJLi1EEEEEEENSF_IJNS5_IJLi1ELi2EEEENS5_IJLi3ELi4EEEES16_EEENS5_IJLi3ELi5ELi4EEEElEES1N_NS_35ThreadGroupTensorSliceTransfer_v4r1INS_15ThisThreadBlockILi256EEENS_16tensor_operation12element_wise11PassThroughES34_LNS_25InMemoryDataOperationEnumE0ENS5_IJLi8ELi128ELi16EEEENS5_IJLi8ELi32ELi1EEEENS5_IJLi1ELi0ELi2EEEESC_SC_RKS2Y_KS1N_S38_NS5_IJLi0ELi1ELi2EEEELi2ELi2ELi16ELi16ELi1ELi1ELb0ELb1ELi2EiEENS_13DynamicBufferILNS_16AddressSpaceEnumE1EKSC_lLb1ELNS_22AmdBufferCoherenceEnumE0EiEENS3E_ILS3F_2ESC_S1M_Lb1ELS3H_0EiEENSF_IJiiiEEENSE_INSF_IJNSU_INSF_IJiiiiEEELb0EEENS_23Merge_v2_magic_divisionIS2L_EENSS_INSF_IJiEEEEES2P_EEENSF_IJS13_NS5_IJLi1ELi3EEEES2R_S17_EEENSF_IJNS5_IJLi1ELi2ELi3ELi4EEEES16_S18_S19_EEENS5_IJLi5ELi6ELi7EEEElEES22_NS2Z_IS31_S34_S34_LS35_0ES36_NS5_IJLi4ELi64ELi1EEEES38_SD_SD_RKS3X_KS22_S38_S3C_Li2ELi2ELi16ELi16ELi1ELi1ELb0ELb1ELi2EiEENS3E_ILS3F_1EKSD_lLb1ELS3H_0EiEENS3E_ILS3F_2ESD_S1M_Lb1ELS3H_0EiEES3K_NS_25StaticBufferTupleOfVectorILS3F_4EfLi16ELi4ELb1ELb0EEEEEvRKT1_RKT2_RT3_RKT4_RT5_RKT6_RKT7_RKT8_RT9_RKT10_RT11_RKT12_RT13_iENKUlT_E0_clISM_EEDaS56_ENKUlS56_E_clINSH_IiLi0EEEEEDaS56_ENKUlS56_E1_clISK_EEDaS56_EUlS56_E_EEvS56_EUlS56_E_EEvS56_: ; @_ZNK2ck6detail7applierIiJLi0ELi1ELi2ELi3ELi4ELi5ELi6ELi7ELi8ELi9ELi10ELi11ELi12ELi13ELi14ELi15EEEclIZNKS_11static_fordINS_8SequenceIJLi4ELi4EEEENS5_IJLi0ELi1EEEEEclIZZZZNKS_31BlockwiseGemmXdlops_pipeline_v2ILNS_26BlockGemmPipelineSchedulerE1ELi256ENS_9f8_fnuz_tENS_7pk_i4_tESC_fNS_16TensorDescriptorINS_5TupleIJNS_5EmbedINSF_IJNS_17integral_constantIiLi8EEENSH_IiLi128EEENSH_IiLi16EEEEEENSF_IJSK_SJ_NSH_IiLi1EEEEEELb0EEENS_3XorINSF_IJSJ_SI_EEELb1EEENS_11PassThroughISK_EENS_7UnMergeINSF_IJSI_SM_EEELb0EEENSS_ISJ_EEST_NSS_ISI_EENS_21Merge_v3_division_modINSF_IJSJ_SM_EEEEEST_EEENSF_IJNS5_IJLi0EEEENS5_IJLi2ELi1EEEENS5_IJLi3EEEENS5_IJLi5EEEENS5_IJLi4EEEENS5_IJLi6EEEENS5_IJLi7EEEENS5_IJLi9ELi8EEEENS5_IJLi10EEEEEEENSF_IJNS5_IJLi1ELi2ELi3EEEENS5_IJLi4ELi5EEEES18_NS5_IJLi7ELi8EEEENS5_IJLi9EEEES1B_NS5_IJLi11EEEENS5_IJLi12EEEENS5_IJLi13EEEEEEENS5_IJLi11ELi12ELi13EEEENSH_IlLl16384EEEEENSE_INSF_IJNSG_INSF_IJSK_NSH_IiLi64EEESK_EEENSF_IJSK_NSH_IiLi256EEESM_EEELb0EEENSP_INSF_IJS1O_SK_EEELb1EEEST_NSU_INSF_IJSI_NSH_IiLi2EEEEEELb0EEENSS_IS1O_EEST_SY_NSZ_INSF_IJS1O_S1V_EEEEEST_EEES1C_S1K_S1L_S1M_EENSE_INSF_IJSO_SR_ST_SW_SX_ST_SY_S11_ST_NSZ_INSF_IJSI_SK_EEEEENSU_INSF_IJNSH_IiLi4EEES1V_SK_EEELb0EEEEEENSF_IJS13_S14_S15_S16_S17_S18_S19_S1A_S1B_NS5_IJLi11ELi13EEEES1I_EEENSF_IJS1D_S1E_S18_S1F_S1G_S1B_S1H_S1I_S1J_NS5_IJLi14EEEENS5_IJLi15ELi16ELi17EEEEEEENS5_IJLi15ELi16ELi17ELi14EEEES1M_EENSE_INSF_IJS1S_S1U_ST_S1X_S1Y_ST_SY_S20_ST_S24_S27_EEES2A_S2D_S2E_S1M_EELi16ELi16ELi128ELi128ELi128ELi16ELi16ELi4ELi4ELi16ELb0EE3RunILb1ELNS_10TailNumberE10ENSE_INSF_IJNSG_INSF_IJiiEEENSF_IJiSM_EEELb0EEENSU_IS2L_Lb0EEENSS_IiEEEEENSF_IJS13_NS5_IJLi2EEEENS5_IJLi1EEEEEEENSF_IJNS5_IJLi1ELi2EEEENS5_IJLi3ELi4EEEES16_EEENS5_IJLi3ELi5ELi4EEEElEES1N_NS_35ThreadGroupTensorSliceTransfer_v4r1INS_15ThisThreadBlockILi256EEENS_16tensor_operation12element_wise11PassThroughES34_LNS_25InMemoryDataOperationEnumE0ENS5_IJLi8ELi128ELi16EEEENS5_IJLi8ELi32ELi1EEEENS5_IJLi1ELi0ELi2EEEESC_SC_RKS2Y_KS1N_S38_NS5_IJLi0ELi1ELi2EEEELi2ELi2ELi16ELi16ELi1ELi1ELb0ELb1ELi2EiEENS_13DynamicBufferILNS_16AddressSpaceEnumE1EKSC_lLb1ELNS_22AmdBufferCoherenceEnumE0EiEENS3E_ILS3F_2ESC_S1M_Lb1ELS3H_0EiEENSF_IJiiiEEENSE_INSF_IJNSU_INSF_IJiiiiEEELb0EEENS_23Merge_v2_magic_divisionIS2L_EENSS_INSF_IJiEEEEES2P_EEENSF_IJS13_NS5_IJLi1ELi3EEEES2R_S17_EEENSF_IJNS5_IJLi1ELi2ELi3ELi4EEEES16_S18_S19_EEENS5_IJLi5ELi6ELi7EEEElEES22_NS2Z_IS31_S34_S34_LS35_0ES36_NS5_IJLi4ELi64ELi1EEEES38_SD_SD_RKS3X_KS22_S38_S3C_Li2ELi2ELi16ELi16ELi1ELi1ELb0ELb1ELi2EiEENS3E_ILS3F_1EKSD_lLb1ELS3H_0EiEENS3E_ILS3F_2ESD_S1M_Lb1ELS3H_0EiEES3K_NS_25StaticBufferTupleOfVectorILS3F_4EfLi16ELi4ELb1ELb0EEEEEvRKT1_RKT2_RT3_RKT4_RT5_RKT6_RKT7_RKT8_RT9_RKT10_RT11_RKT12_RT13_iENKUlT_E0_clISM_EEDaS56_ENKUlS56_E_clINSH_IiLi0EEEEEDaS56_ENKUlS56_E1_clISK_EEDaS56_EUlS56_E_EEvS56_EUlS56_E_EEvS56_
; %bb.0:
	s_waitcnt vmcnt(0) expcnt(0) lgkmcnt(0)
	flat_load_dwordx4 v[12:15], v[0:1] offset:8
	flat_load_dwordx2 v[10:11], v[0:1] offset:32
	s_movk_i32 s4, 0x7f
                                        ; implicit-def: $sgpr10
	s_waitcnt vmcnt(0) lgkmcnt(0)
	flat_load_dwordx4 v[6:9], v[12:13] offset:16
	flat_load_dwordx4 v[2:5], v[14:15] offset:16
	s_waitcnt vmcnt(0) lgkmcnt(0)
	v_cmp_gt_i16_sdwa s[6:7], v6, s4 src0_sel:BYTE_0 src1_sel:DWORD
	s_mov_b64 s[4:5], 0
	s_and_saveexec_b64 s[8:9], s[6:7]
	s_xor_b64 s[6:7], exec, s[8:9]
	s_cbranch_execnz .LBB11_2049
; %bb.1:
	s_or_saveexec_b64 s[6:7], s[6:7]
	v_mov_b32_e32 v12, s10
	s_xor_b64 exec, exec, s[6:7]
	s_cbranch_execnz .LBB11_2052
.LBB11_2:
	s_or_b64 exec, exec, s[6:7]
	s_and_saveexec_b64 s[6:7], s[4:5]
	s_cbranch_execz .LBB11_4
.LBB11_3:
	v_and_b32_e32 v12, 7, v6
	v_ffbh_u32_e32 v14, v12
	v_min_u32_e32 v14, 32, v14
	v_lshrrev_b16_e32 v13, 3, v6
	v_subrev_u32_e32 v15, 28, v14
	v_and_b32_e32 v13, 15, v13
	v_lshlrev_b32_e32 v15, v15, v6
	v_sub_u32_e32 v14, 29, v14
	v_and_b32_e32 v15, 7, v15
	v_cmp_eq_u16_e32 vcc, 0, v13
	v_cndmask_b32_e32 v12, v12, v15, vcc
	v_cndmask_b32_e32 v13, v13, v14, vcc
	v_lshlrev_b32_e32 v14, 24, v6
	v_mov_b32_e32 v15, 0x3b800000
	v_lshlrev_b32_e32 v12, 20, v12
	v_and_b32_e32 v14, 0x80000000, v14
	v_lshl_add_u32 v13, v13, 23, v15
	v_or3_b32 v12, v14, v13, v12
.LBB11_4:
	s_or_b64 exec, exec, s[6:7]
	s_movk_i32 s4, 0x7f
	v_cmp_gt_i16_sdwa s[6:7], v2, s4 src0_sel:BYTE_0 src1_sel:DWORD
	s_mov_b64 s[4:5], 0
                                        ; implicit-def: $sgpr10
	s_and_saveexec_b64 s[8:9], s[6:7]
	s_xor_b64 s[6:7], exec, s[8:9]
	s_cbranch_execnz .LBB11_2053
; %bb.5:
	s_or_saveexec_b64 s[6:7], s[6:7]
	v_mov_b32_e32 v13, s10
	s_xor_b64 exec, exec, s[6:7]
	s_cbranch_execnz .LBB11_2056
.LBB11_6:
	s_or_b64 exec, exec, s[6:7]
	s_and_saveexec_b64 s[6:7], s[4:5]
	s_cbranch_execz .LBB11_8
.LBB11_7:
	v_and_b32_e32 v13, 7, v2
	v_ffbh_u32_e32 v15, v13
	v_min_u32_e32 v15, 32, v15
	v_lshrrev_b16_e32 v14, 3, v2
	v_subrev_u32_e32 v16, 28, v15
	v_and_b32_e32 v14, 15, v14
	v_lshlrev_b32_e32 v16, v16, v2
	v_sub_u32_e32 v15, 29, v15
	v_and_b32_e32 v16, 7, v16
	v_cmp_eq_u16_e32 vcc, 0, v14
	v_cndmask_b32_e32 v13, v13, v16, vcc
	v_cndmask_b32_e32 v14, v14, v15, vcc
	v_lshlrev_b32_e32 v15, 24, v2
	v_mov_b32_e32 v16, 0x3b800000
	v_lshlrev_b32_e32 v13, 20, v13
	v_and_b32_e32 v15, 0x80000000, v15
	v_lshl_add_u32 v14, v14, 23, v16
	v_or3_b32 v13, v15, v14, v13
.LBB11_8:
	s_or_b64 exec, exec, s[6:7]
	flat_load_dwordx4 a[0:3], v[10:11]
	s_movk_i32 s4, 0x7f
                                        ; implicit-def: $sgpr10
	s_waitcnt vmcnt(0) lgkmcnt(0)
	v_mfma_f32_16x16x4f32 a[0:3], v12, v13, a[0:3]
	v_lshrrev_b32_e32 v13, 8, v6
	v_cmp_gt_i16_sdwa s[6:7], v13, s4 src0_sel:BYTE_0 src1_sel:DWORD
	s_mov_b64 s[4:5], 0
	s_and_saveexec_b64 s[8:9], s[6:7]
	s_xor_b64 s[6:7], exec, s[8:9]
	s_cbranch_execnz .LBB11_2057
; %bb.9:
	s_or_saveexec_b64 s[6:7], s[6:7]
	v_mov_b32_e32 v12, s10
	s_xor_b64 exec, exec, s[6:7]
	s_cbranch_execnz .LBB11_2060
.LBB11_10:
	s_or_b64 exec, exec, s[6:7]
	s_and_saveexec_b64 s[6:7], s[4:5]
	s_cbranch_execz .LBB11_12
.LBB11_11:
	v_bfe_u32 v12, v6, 8, 3
	v_ffbh_u32_e32 v15, v12
	v_min_u32_e32 v15, 32, v15
	v_lshrrev_b16_e32 v14, 3, v13
	v_subrev_u32_e32 v16, 28, v15
	v_and_b32_e32 v14, 15, v14
	v_lshlrev_b32_e32 v13, v16, v13
	v_sub_u32_e32 v15, 29, v15
	v_and_b32_e32 v13, 7, v13
	v_cmp_eq_u16_e32 vcc, 0, v14
	v_cndmask_b32_e32 v12, v12, v13, vcc
	v_cndmask_b32_e32 v13, v14, v15, vcc
	v_lshlrev_b32_e32 v14, 16, v6
	v_mov_b32_e32 v15, 0x3b800000
	v_lshlrev_b32_e32 v12, 20, v12
	v_and_b32_e32 v14, 0x80000000, v14
	v_lshl_add_u32 v13, v13, 23, v15
	v_or3_b32 v12, v14, v13, v12
.LBB11_12:
	s_or_b64 exec, exec, s[6:7]
	v_lshrrev_b32_e32 v13, 8, v2
	s_movk_i32 s4, 0x7f
	v_cmp_gt_i16_sdwa s[6:7], v13, s4 src0_sel:BYTE_0 src1_sel:DWORD
	s_mov_b64 s[4:5], 0
                                        ; implicit-def: $sgpr10
	s_and_saveexec_b64 s[8:9], s[6:7]
	s_xor_b64 s[6:7], exec, s[8:9]
	s_cbranch_execnz .LBB11_2061
; %bb.13:
	s_or_saveexec_b64 s[6:7], s[6:7]
	v_mov_b32_e32 v14, s10
	s_xor_b64 exec, exec, s[6:7]
	s_cbranch_execnz .LBB11_2064
.LBB11_14:
	s_or_b64 exec, exec, s[6:7]
	s_and_saveexec_b64 s[6:7], s[4:5]
	s_cbranch_execz .LBB11_16
.LBB11_15:
	v_bfe_u32 v14, v2, 8, 3
	v_ffbh_u32_e32 v16, v14
	v_min_u32_e32 v16, 32, v16
	v_lshrrev_b16_e32 v15, 3, v13
	v_subrev_u32_e32 v17, 28, v16
	v_and_b32_e32 v15, 15, v15
	v_lshlrev_b32_e32 v13, v17, v13
	v_sub_u32_e32 v16, 29, v16
	v_and_b32_e32 v13, 7, v13
	v_cmp_eq_u16_e32 vcc, 0, v15
	v_cndmask_b32_e32 v13, v14, v13, vcc
	v_cndmask_b32_e32 v14, v15, v16, vcc
	v_lshlrev_b32_e32 v15, 16, v2
	v_mov_b32_e32 v16, 0x3b800000
	v_lshlrev_b32_e32 v13, 20, v13
	v_and_b32_e32 v15, 0x80000000, v15
	v_lshl_add_u32 v14, v14, 23, v16
	v_or3_b32 v14, v15, v14, v13
.LBB11_16:
	s_or_b64 exec, exec, s[6:7]
	s_nop 0
	v_mfma_f32_16x16x4f32 a[0:3], v12, v14, a[0:3]
	s_movk_i32 s4, 0xff
	v_and_b32_sdwa v13, v6, s4 dst_sel:DWORD dst_unused:UNUSED_PAD src0_sel:WORD_1 src1_sel:DWORD
	s_movk_i32 s4, 0x7f
	v_cmp_lt_i16_e32 vcc, s4, v13
	s_mov_b64 s[4:5], 0
                                        ; implicit-def: $sgpr10
	s_and_saveexec_b64 s[6:7], vcc
	s_xor_b64 s[6:7], exec, s[6:7]
	s_cbranch_execnz .LBB11_2065
; %bb.17:
	s_or_saveexec_b64 s[6:7], s[6:7]
	v_mov_b32_e32 v12, s10
	s_xor_b64 exec, exec, s[6:7]
	s_cbranch_execnz .LBB11_2068
.LBB11_18:
	s_or_b64 exec, exec, s[6:7]
	s_and_saveexec_b64 s[6:7], s[4:5]
	s_cbranch_execz .LBB11_20
.LBB11_19:
	v_bfe_u32 v12, v6, 16, 3
	v_ffbh_u32_e32 v15, v12
	v_min_u32_e32 v15, 32, v15
	v_lshrrev_b32_e32 v13, 19, v6
	v_subrev_u32_e32 v16, 28, v15
	v_and_b32_e32 v13, 15, v13
	v_lshlrev_b32_sdwa v16, v16, v6 dst_sel:DWORD dst_unused:UNUSED_PAD src0_sel:DWORD src1_sel:WORD_1
	v_bfe_u32 v14, v6, 19, 4
	v_sub_u32_e32 v15, 29, v15
	v_and_b32_e32 v16, 7, v16
	v_cmp_eq_u16_e32 vcc, 0, v13
	v_cndmask_b32_e32 v12, v12, v16, vcc
	v_cndmask_b32_e32 v13, v14, v15, vcc
	v_lshlrev_b32_e32 v14, 8, v6
	v_mov_b32_e32 v15, 0x3b800000
	v_lshlrev_b32_e32 v12, 20, v12
	v_and_b32_e32 v14, 0x80000000, v14
	v_lshl_add_u32 v13, v13, 23, v15
	v_or3_b32 v12, v14, v13, v12
.LBB11_20:
	s_or_b64 exec, exec, s[6:7]
	s_movk_i32 s4, 0xff
	v_and_b32_sdwa v13, v2, s4 dst_sel:DWORD dst_unused:UNUSED_PAD src0_sel:WORD_1 src1_sel:DWORD
	s_movk_i32 s4, 0x7f
	v_cmp_lt_i16_e32 vcc, s4, v13
	s_mov_b64 s[4:5], 0
                                        ; implicit-def: $sgpr10
	s_and_saveexec_b64 s[6:7], vcc
	s_xor_b64 s[6:7], exec, s[6:7]
	s_cbranch_execnz .LBB11_2069
; %bb.21:
	s_or_saveexec_b64 s[6:7], s[6:7]
	v_mov_b32_e32 v14, s10
	s_xor_b64 exec, exec, s[6:7]
	s_cbranch_execnz .LBB11_2072
.LBB11_22:
	s_or_b64 exec, exec, s[6:7]
	s_and_saveexec_b64 s[6:7], s[4:5]
	s_cbranch_execz .LBB11_24
.LBB11_23:
	v_bfe_u32 v13, v2, 16, 3
	v_ffbh_u32_e32 v16, v13
	v_min_u32_e32 v16, 32, v16
	v_lshrrev_b32_e32 v14, 19, v2
	v_subrev_u32_e32 v17, 28, v16
	v_and_b32_e32 v14, 15, v14
	v_lshlrev_b32_sdwa v17, v17, v2 dst_sel:DWORD dst_unused:UNUSED_PAD src0_sel:DWORD src1_sel:WORD_1
	v_bfe_u32 v15, v2, 19, 4
	v_sub_u32_e32 v16, 29, v16
	v_and_b32_e32 v17, 7, v17
	v_cmp_eq_u16_e32 vcc, 0, v14
	v_cndmask_b32_e32 v13, v13, v17, vcc
	v_cndmask_b32_e32 v14, v15, v16, vcc
	v_lshlrev_b32_e32 v15, 8, v2
	v_mov_b32_e32 v16, 0x3b800000
	v_lshlrev_b32_e32 v13, 20, v13
	v_and_b32_e32 v15, 0x80000000, v15
	v_lshl_add_u32 v14, v14, 23, v16
	v_or3_b32 v14, v15, v14, v13
.LBB11_24:
	s_or_b64 exec, exec, s[6:7]
	s_nop 0
	v_mfma_f32_16x16x4f32 a[0:3], v12, v14, a[0:3]
	s_movk_i32 s4, 0x7f
	v_cmp_gt_i16_sdwa s[6:7], v6, s4 src0_sel:BYTE_3 src1_sel:DWORD
	s_mov_b64 s[4:5], 0
                                        ; implicit-def: $sgpr10
	s_and_saveexec_b64 s[8:9], s[6:7]
	s_xor_b64 s[6:7], exec, s[8:9]
	s_cbranch_execnz .LBB11_2073
; %bb.25:
	s_or_saveexec_b64 s[6:7], s[6:7]
	v_mov_b32_e32 v12, s10
	s_xor_b64 exec, exec, s[6:7]
	s_cbranch_execnz .LBB11_2076
.LBB11_26:
	s_or_b64 exec, exec, s[6:7]
	s_and_saveexec_b64 s[6:7], s[4:5]
	s_cbranch_execz .LBB11_28
.LBB11_27:
	v_bfe_u32 v12, v6, 24, 3
	v_ffbh_u32_e32 v16, v12
	v_min_u32_e32 v16, 32, v16
	v_lshrrev_b32_e32 v14, 27, v6
	v_subrev_u32_e32 v17, 28, v16
	v_and_b32_e32 v13, 0x80000000, v6
	v_and_b32_e32 v14, 15, v14
	v_bfe_u32 v15, v6, 27, 4
	v_lshlrev_b32_sdwa v6, v17, v6 dst_sel:DWORD dst_unused:UNUSED_PAD src0_sel:DWORD src1_sel:BYTE_3
	v_sub_u32_e32 v16, 29, v16
	v_and_b32_e32 v6, 7, v6
	v_cmp_eq_u16_e32 vcc, 0, v14
	v_cndmask_b32_e32 v6, v12, v6, vcc
	v_cndmask_b32_e32 v12, v15, v16, vcc
	v_mov_b32_e32 v14, 0x3b800000
	v_lshlrev_b32_e32 v6, 20, v6
	v_lshl_add_u32 v12, v12, 23, v14
	v_or3_b32 v12, v13, v12, v6
.LBB11_28:
	s_or_b64 exec, exec, s[6:7]
	s_movk_i32 s4, 0x7f
	v_cmp_gt_i16_sdwa s[6:7], v2, s4 src0_sel:BYTE_3 src1_sel:DWORD
	s_mov_b64 s[4:5], 0
                                        ; implicit-def: $sgpr10
	s_and_saveexec_b64 s[8:9], s[6:7]
	s_xor_b64 s[6:7], exec, s[8:9]
	s_cbranch_execnz .LBB11_2077
; %bb.29:
	s_or_saveexec_b64 s[6:7], s[6:7]
	v_mov_b32_e32 v6, s10
	s_xor_b64 exec, exec, s[6:7]
	s_cbranch_execnz .LBB11_2080
.LBB11_30:
	s_or_b64 exec, exec, s[6:7]
	s_and_saveexec_b64 s[6:7], s[4:5]
	s_cbranch_execz .LBB11_32
.LBB11_31:
	v_bfe_u32 v6, v2, 24, 3
	v_ffbh_u32_e32 v16, v6
	v_min_u32_e32 v16, 32, v16
	v_lshrrev_b32_e32 v14, 27, v2
	v_subrev_u32_e32 v17, 28, v16
	v_and_b32_e32 v13, 0x80000000, v2
	v_and_b32_e32 v14, 15, v14
	v_bfe_u32 v15, v2, 27, 4
	v_lshlrev_b32_sdwa v2, v17, v2 dst_sel:DWORD dst_unused:UNUSED_PAD src0_sel:DWORD src1_sel:BYTE_3
	v_sub_u32_e32 v16, 29, v16
	v_and_b32_e32 v2, 7, v2
	v_cmp_eq_u16_e32 vcc, 0, v14
	v_cndmask_b32_e32 v2, v6, v2, vcc
	v_cndmask_b32_e32 v6, v15, v16, vcc
	v_mov_b32_e32 v14, 0x3b800000
	v_lshlrev_b32_e32 v2, 20, v2
	v_lshl_add_u32 v6, v6, 23, v14
	v_or3_b32 v6, v13, v6, v2
.LBB11_32:
	s_or_b64 exec, exec, s[6:7]
	s_nop 0
	v_mfma_f32_16x16x4f32 a[0:3], v12, v6, a[0:3]
	s_movk_i32 s4, 0x7f
	v_cmp_gt_i16_sdwa s[6:7], v7, s4 src0_sel:BYTE_0 src1_sel:DWORD
	s_mov_b64 s[4:5], 0
                                        ; implicit-def: $sgpr10
	s_and_saveexec_b64 s[8:9], s[6:7]
	s_xor_b64 s[6:7], exec, s[8:9]
	s_cbranch_execnz .LBB11_2081
; %bb.33:
	s_or_saveexec_b64 s[6:7], s[6:7]
	v_mov_b32_e32 v2, s10
	s_xor_b64 exec, exec, s[6:7]
	s_cbranch_execnz .LBB11_2084
.LBB11_34:
	s_or_b64 exec, exec, s[6:7]
	s_and_saveexec_b64 s[6:7], s[4:5]
	s_cbranch_execz .LBB11_36
.LBB11_35:
	v_and_b32_e32 v2, 7, v7
	v_ffbh_u32_e32 v12, v2
	v_min_u32_e32 v12, 32, v12
	v_lshrrev_b16_e32 v6, 3, v7
	v_subrev_u32_e32 v13, 28, v12
	v_and_b32_e32 v6, 15, v6
	v_lshlrev_b32_e32 v13, v13, v7
	v_sub_u32_e32 v12, 29, v12
	v_and_b32_e32 v13, 7, v13
	v_cmp_eq_u16_e32 vcc, 0, v6
	v_cndmask_b32_e32 v2, v2, v13, vcc
	v_cndmask_b32_e32 v6, v6, v12, vcc
	v_lshlrev_b32_e32 v12, 24, v7
	v_mov_b32_e32 v13, 0x3b800000
	v_lshlrev_b32_e32 v2, 20, v2
	v_and_b32_e32 v12, 0x80000000, v12
	v_lshl_add_u32 v6, v6, 23, v13
	v_or3_b32 v2, v12, v6, v2
.LBB11_36:
	s_or_b64 exec, exec, s[6:7]
	s_movk_i32 s4, 0x7f
	v_cmp_gt_i16_sdwa s[6:7], v3, s4 src0_sel:BYTE_0 src1_sel:DWORD
	s_mov_b64 s[4:5], 0
                                        ; implicit-def: $sgpr10
	s_and_saveexec_b64 s[8:9], s[6:7]
	s_xor_b64 s[6:7], exec, s[8:9]
	s_cbranch_execnz .LBB11_2085
; %bb.37:
	s_or_saveexec_b64 s[6:7], s[6:7]
	v_mov_b32_e32 v6, s10
	s_xor_b64 exec, exec, s[6:7]
	s_cbranch_execnz .LBB11_2088
.LBB11_38:
	s_or_b64 exec, exec, s[6:7]
	s_and_saveexec_b64 s[6:7], s[4:5]
	s_cbranch_execz .LBB11_40
.LBB11_39:
	v_and_b32_e32 v6, 7, v3
	v_ffbh_u32_e32 v13, v6
	v_min_u32_e32 v13, 32, v13
	v_lshrrev_b16_e32 v12, 3, v3
	v_subrev_u32_e32 v14, 28, v13
	v_and_b32_e32 v12, 15, v12
	v_lshlrev_b32_e32 v14, v14, v3
	v_sub_u32_e32 v13, 29, v13
	v_and_b32_e32 v14, 7, v14
	v_cmp_eq_u16_e32 vcc, 0, v12
	v_cndmask_b32_e32 v6, v6, v14, vcc
	v_cndmask_b32_e32 v12, v12, v13, vcc
	v_lshlrev_b32_e32 v13, 24, v3
	v_mov_b32_e32 v14, 0x3b800000
	v_lshlrev_b32_e32 v6, 20, v6
	v_and_b32_e32 v13, 0x80000000, v13
	v_lshl_add_u32 v12, v12, 23, v14
	v_or3_b32 v6, v13, v12, v6
.LBB11_40:
	s_or_b64 exec, exec, s[6:7]
	s_nop 0
	v_mfma_f32_16x16x4f32 a[0:3], v2, v6, a[0:3]
	v_lshrrev_b32_e32 v6, 8, v7
	s_movk_i32 s4, 0x7f
	v_cmp_gt_i16_sdwa s[6:7], v6, s4 src0_sel:BYTE_0 src1_sel:DWORD
	s_mov_b64 s[4:5], 0
                                        ; implicit-def: $sgpr10
	s_and_saveexec_b64 s[8:9], s[6:7]
	s_xor_b64 s[6:7], exec, s[8:9]
	s_cbranch_execnz .LBB11_2089
; %bb.41:
	s_or_saveexec_b64 s[6:7], s[6:7]
	v_mov_b32_e32 v2, s10
	s_xor_b64 exec, exec, s[6:7]
	s_cbranch_execnz .LBB11_2092
.LBB11_42:
	s_or_b64 exec, exec, s[6:7]
	s_and_saveexec_b64 s[6:7], s[4:5]
	s_cbranch_execz .LBB11_44
.LBB11_43:
	v_bfe_u32 v2, v7, 8, 3
	v_ffbh_u32_e32 v13, v2
	v_min_u32_e32 v13, 32, v13
	v_lshrrev_b16_e32 v12, 3, v6
	v_subrev_u32_e32 v14, 28, v13
	v_and_b32_e32 v12, 15, v12
	v_lshlrev_b32_e32 v6, v14, v6
	v_sub_u32_e32 v13, 29, v13
	v_and_b32_e32 v6, 7, v6
	v_cmp_eq_u16_e32 vcc, 0, v12
	v_cndmask_b32_e32 v2, v2, v6, vcc
	v_cndmask_b32_e32 v6, v12, v13, vcc
	v_lshlrev_b32_e32 v12, 16, v7
	v_mov_b32_e32 v13, 0x3b800000
	v_lshlrev_b32_e32 v2, 20, v2
	v_and_b32_e32 v12, 0x80000000, v12
	v_lshl_add_u32 v6, v6, 23, v13
	v_or3_b32 v2, v12, v6, v2
.LBB11_44:
	s_or_b64 exec, exec, s[6:7]
	v_lshrrev_b32_e32 v6, 8, v3
	s_movk_i32 s4, 0x7f
	v_cmp_gt_i16_sdwa s[6:7], v6, s4 src0_sel:BYTE_0 src1_sel:DWORD
	s_mov_b64 s[4:5], 0
                                        ; implicit-def: $sgpr10
	s_and_saveexec_b64 s[8:9], s[6:7]
	s_xor_b64 s[6:7], exec, s[8:9]
	s_cbranch_execnz .LBB11_2093
; %bb.45:
	s_or_saveexec_b64 s[6:7], s[6:7]
	v_mov_b32_e32 v12, s10
	s_xor_b64 exec, exec, s[6:7]
	s_cbranch_execnz .LBB11_2096
.LBB11_46:
	s_or_b64 exec, exec, s[6:7]
	s_and_saveexec_b64 s[6:7], s[4:5]
	s_cbranch_execz .LBB11_48
.LBB11_47:
	v_bfe_u32 v12, v3, 8, 3
	v_ffbh_u32_e32 v14, v12
	v_min_u32_e32 v14, 32, v14
	v_lshrrev_b16_e32 v13, 3, v6
	v_subrev_u32_e32 v15, 28, v14
	v_and_b32_e32 v13, 15, v13
	v_lshlrev_b32_e32 v6, v15, v6
	v_sub_u32_e32 v14, 29, v14
	v_and_b32_e32 v6, 7, v6
	v_cmp_eq_u16_e32 vcc, 0, v13
	v_cndmask_b32_e32 v6, v12, v6, vcc
	v_cndmask_b32_e32 v12, v13, v14, vcc
	v_lshlrev_b32_e32 v13, 16, v3
	v_mov_b32_e32 v14, 0x3b800000
	v_lshlrev_b32_e32 v6, 20, v6
	v_and_b32_e32 v13, 0x80000000, v13
	v_lshl_add_u32 v12, v12, 23, v14
	v_or3_b32 v12, v13, v12, v6
.LBB11_48:
	s_or_b64 exec, exec, s[6:7]
	s_nop 0
	v_mfma_f32_16x16x4f32 a[0:3], v2, v12, a[0:3]
	s_movk_i32 s4, 0xff
	v_and_b32_sdwa v6, v7, s4 dst_sel:DWORD dst_unused:UNUSED_PAD src0_sel:WORD_1 src1_sel:DWORD
	s_movk_i32 s4, 0x7f
	v_cmp_lt_i16_e32 vcc, s4, v6
	s_mov_b64 s[4:5], 0
                                        ; implicit-def: $sgpr10
	s_and_saveexec_b64 s[6:7], vcc
	s_xor_b64 s[6:7], exec, s[6:7]
	s_cbranch_execnz .LBB11_2097
; %bb.49:
	s_or_saveexec_b64 s[6:7], s[6:7]
	v_mov_b32_e32 v2, s10
	s_xor_b64 exec, exec, s[6:7]
	s_cbranch_execnz .LBB11_2100
.LBB11_50:
	s_or_b64 exec, exec, s[6:7]
	s_and_saveexec_b64 s[6:7], s[4:5]
	s_cbranch_execz .LBB11_52
.LBB11_51:
	v_bfe_u32 v2, v7, 16, 3
	v_ffbh_u32_e32 v13, v2
	v_min_u32_e32 v13, 32, v13
	v_lshrrev_b32_e32 v6, 19, v7
	v_subrev_u32_e32 v14, 28, v13
	v_and_b32_e32 v6, 15, v6
	v_lshlrev_b32_sdwa v14, v14, v7 dst_sel:DWORD dst_unused:UNUSED_PAD src0_sel:DWORD src1_sel:WORD_1
	v_bfe_u32 v12, v7, 19, 4
	v_sub_u32_e32 v13, 29, v13
	v_and_b32_e32 v14, 7, v14
	v_cmp_eq_u16_e32 vcc, 0, v6
	v_cndmask_b32_e32 v2, v2, v14, vcc
	v_cndmask_b32_e32 v6, v12, v13, vcc
	v_lshlrev_b32_e32 v12, 8, v7
	v_mov_b32_e32 v13, 0x3b800000
	v_lshlrev_b32_e32 v2, 20, v2
	v_and_b32_e32 v12, 0x80000000, v12
	v_lshl_add_u32 v6, v6, 23, v13
	v_or3_b32 v2, v12, v6, v2
.LBB11_52:
	s_or_b64 exec, exec, s[6:7]
	s_movk_i32 s4, 0xff
	v_and_b32_sdwa v6, v3, s4 dst_sel:DWORD dst_unused:UNUSED_PAD src0_sel:WORD_1 src1_sel:DWORD
	s_movk_i32 s4, 0x7f
	v_cmp_lt_i16_e32 vcc, s4, v6
	s_mov_b64 s[4:5], 0
                                        ; implicit-def: $sgpr10
	s_and_saveexec_b64 s[6:7], vcc
	s_xor_b64 s[6:7], exec, s[6:7]
	s_cbranch_execnz .LBB11_2101
; %bb.53:
	s_or_saveexec_b64 s[6:7], s[6:7]
	v_mov_b32_e32 v12, s10
	s_xor_b64 exec, exec, s[6:7]
	s_cbranch_execnz .LBB11_2104
.LBB11_54:
	s_or_b64 exec, exec, s[6:7]
	s_and_saveexec_b64 s[6:7], s[4:5]
	s_cbranch_execz .LBB11_56
.LBB11_55:
	v_bfe_u32 v6, v3, 16, 3
	v_ffbh_u32_e32 v14, v6
	v_min_u32_e32 v14, 32, v14
	v_lshrrev_b32_e32 v12, 19, v3
	v_subrev_u32_e32 v15, 28, v14
	v_and_b32_e32 v12, 15, v12
	v_lshlrev_b32_sdwa v15, v15, v3 dst_sel:DWORD dst_unused:UNUSED_PAD src0_sel:DWORD src1_sel:WORD_1
	v_bfe_u32 v13, v3, 19, 4
	v_sub_u32_e32 v14, 29, v14
	v_and_b32_e32 v15, 7, v15
	v_cmp_eq_u16_e32 vcc, 0, v12
	v_cndmask_b32_e32 v6, v6, v15, vcc
	v_cndmask_b32_e32 v12, v13, v14, vcc
	v_lshlrev_b32_e32 v13, 8, v3
	v_mov_b32_e32 v14, 0x3b800000
	v_lshlrev_b32_e32 v6, 20, v6
	v_and_b32_e32 v13, 0x80000000, v13
	v_lshl_add_u32 v12, v12, 23, v14
	v_or3_b32 v12, v13, v12, v6
.LBB11_56:
	s_or_b64 exec, exec, s[6:7]
	s_nop 0
	v_mfma_f32_16x16x4f32 a[0:3], v2, v12, a[0:3]
	s_movk_i32 s4, 0x7f
	v_cmp_gt_i16_sdwa s[6:7], v7, s4 src0_sel:BYTE_3 src1_sel:DWORD
	s_mov_b64 s[4:5], 0
                                        ; implicit-def: $sgpr10
	s_and_saveexec_b64 s[8:9], s[6:7]
	s_xor_b64 s[6:7], exec, s[8:9]
	s_cbranch_execnz .LBB11_2105
; %bb.57:
	s_or_saveexec_b64 s[6:7], s[6:7]
	v_mov_b32_e32 v2, s10
	s_xor_b64 exec, exec, s[6:7]
	s_cbranch_execnz .LBB11_2108
.LBB11_58:
	s_or_b64 exec, exec, s[6:7]
	s_and_saveexec_b64 s[6:7], s[4:5]
	s_cbranch_execz .LBB11_60
.LBB11_59:
	v_bfe_u32 v2, v7, 24, 3
	v_ffbh_u32_e32 v14, v2
	v_min_u32_e32 v14, 32, v14
	v_lshrrev_b32_e32 v12, 27, v7
	v_subrev_u32_e32 v15, 28, v14
	v_and_b32_e32 v6, 0x80000000, v7
	v_and_b32_e32 v12, 15, v12
	v_bfe_u32 v13, v7, 27, 4
	v_lshlrev_b32_sdwa v7, v15, v7 dst_sel:DWORD dst_unused:UNUSED_PAD src0_sel:DWORD src1_sel:BYTE_3
	v_sub_u32_e32 v14, 29, v14
	v_and_b32_e32 v7, 7, v7
	v_cmp_eq_u16_e32 vcc, 0, v12
	v_cndmask_b32_e32 v2, v2, v7, vcc
	v_cndmask_b32_e32 v7, v13, v14, vcc
	v_mov_b32_e32 v12, 0x3b800000
	v_lshlrev_b32_e32 v2, 20, v2
	v_lshl_add_u32 v7, v7, 23, v12
	v_or3_b32 v2, v6, v7, v2
.LBB11_60:
	s_or_b64 exec, exec, s[6:7]
	s_movk_i32 s4, 0x7f
	v_cmp_gt_i16_sdwa s[6:7], v3, s4 src0_sel:BYTE_3 src1_sel:DWORD
	s_mov_b64 s[4:5], 0
                                        ; implicit-def: $sgpr10
	s_and_saveexec_b64 s[8:9], s[6:7]
	s_xor_b64 s[6:7], exec, s[8:9]
	s_cbranch_execnz .LBB11_2109
; %bb.61:
	s_or_saveexec_b64 s[6:7], s[6:7]
	v_mov_b32_e32 v6, s10
	s_xor_b64 exec, exec, s[6:7]
	s_cbranch_execnz .LBB11_2112
.LBB11_62:
	s_or_b64 exec, exec, s[6:7]
	s_and_saveexec_b64 s[6:7], s[4:5]
	s_cbranch_execz .LBB11_64
.LBB11_63:
	v_bfe_u32 v6, v3, 24, 3
	v_ffbh_u32_e32 v14, v6
	v_min_u32_e32 v14, 32, v14
	v_lshrrev_b32_e32 v12, 27, v3
	v_subrev_u32_e32 v15, 28, v14
	v_and_b32_e32 v7, 0x80000000, v3
	v_and_b32_e32 v12, 15, v12
	v_bfe_u32 v13, v3, 27, 4
	v_lshlrev_b32_sdwa v3, v15, v3 dst_sel:DWORD dst_unused:UNUSED_PAD src0_sel:DWORD src1_sel:BYTE_3
	v_sub_u32_e32 v14, 29, v14
	v_and_b32_e32 v3, 7, v3
	v_cmp_eq_u16_e32 vcc, 0, v12
	v_cndmask_b32_e32 v3, v6, v3, vcc
	v_cndmask_b32_e32 v6, v13, v14, vcc
	v_mov_b32_e32 v12, 0x3b800000
	v_lshlrev_b32_e32 v3, 20, v3
	v_lshl_add_u32 v6, v6, 23, v12
	v_or3_b32 v6, v7, v6, v3
.LBB11_64:
	s_or_b64 exec, exec, s[6:7]
	s_nop 0
	v_mfma_f32_16x16x4f32 a[0:3], v2, v6, a[0:3]
	s_movk_i32 s4, 0x7f
	v_cmp_gt_i16_sdwa s[6:7], v8, s4 src0_sel:BYTE_0 src1_sel:DWORD
	s_mov_b64 s[4:5], 0
                                        ; implicit-def: $sgpr10
	s_and_saveexec_b64 s[8:9], s[6:7]
	s_xor_b64 s[6:7], exec, s[8:9]
	s_cbranch_execnz .LBB11_2113
; %bb.65:
	s_or_saveexec_b64 s[6:7], s[6:7]
	v_mov_b32_e32 v2, s10
	s_xor_b64 exec, exec, s[6:7]
	s_cbranch_execnz .LBB11_2116
.LBB11_66:
	s_or_b64 exec, exec, s[6:7]
	s_and_saveexec_b64 s[6:7], s[4:5]
	s_cbranch_execz .LBB11_68
.LBB11_67:
	v_and_b32_e32 v2, 7, v8
	v_ffbh_u32_e32 v6, v2
	v_min_u32_e32 v6, 32, v6
	v_lshrrev_b16_e32 v3, 3, v8
	v_subrev_u32_e32 v7, 28, v6
	v_and_b32_e32 v3, 15, v3
	v_lshlrev_b32_e32 v7, v7, v8
	v_sub_u32_e32 v6, 29, v6
	v_and_b32_e32 v7, 7, v7
	v_cmp_eq_u16_e32 vcc, 0, v3
	v_cndmask_b32_e32 v2, v2, v7, vcc
	v_cndmask_b32_e32 v3, v3, v6, vcc
	v_lshlrev_b32_e32 v6, 24, v8
	v_mov_b32_e32 v7, 0x3b800000
	v_lshlrev_b32_e32 v2, 20, v2
	v_and_b32_e32 v6, 0x80000000, v6
	v_lshl_add_u32 v3, v3, 23, v7
	v_or3_b32 v2, v6, v3, v2
.LBB11_68:
	s_or_b64 exec, exec, s[6:7]
	s_movk_i32 s4, 0x7f
	v_cmp_gt_i16_sdwa s[6:7], v4, s4 src0_sel:BYTE_0 src1_sel:DWORD
	s_mov_b64 s[4:5], 0
                                        ; implicit-def: $sgpr10
	s_and_saveexec_b64 s[8:9], s[6:7]
	s_xor_b64 s[6:7], exec, s[8:9]
	s_cbranch_execnz .LBB11_2117
; %bb.69:
	s_or_saveexec_b64 s[6:7], s[6:7]
	v_mov_b32_e32 v3, s10
	s_xor_b64 exec, exec, s[6:7]
	s_cbranch_execnz .LBB11_2120
.LBB11_70:
	s_or_b64 exec, exec, s[6:7]
	s_and_saveexec_b64 s[6:7], s[4:5]
	s_cbranch_execz .LBB11_72
.LBB11_71:
	v_and_b32_e32 v3, 7, v4
	v_ffbh_u32_e32 v7, v3
	v_min_u32_e32 v7, 32, v7
	v_lshrrev_b16_e32 v6, 3, v4
	v_subrev_u32_e32 v12, 28, v7
	v_and_b32_e32 v6, 15, v6
	v_lshlrev_b32_e32 v12, v12, v4
	v_sub_u32_e32 v7, 29, v7
	v_and_b32_e32 v12, 7, v12
	v_cmp_eq_u16_e32 vcc, 0, v6
	v_cndmask_b32_e32 v3, v3, v12, vcc
	v_cndmask_b32_e32 v6, v6, v7, vcc
	v_lshlrev_b32_e32 v7, 24, v4
	v_mov_b32_e32 v12, 0x3b800000
	v_lshlrev_b32_e32 v3, 20, v3
	v_and_b32_e32 v7, 0x80000000, v7
	v_lshl_add_u32 v6, v6, 23, v12
	v_or3_b32 v3, v7, v6, v3
.LBB11_72:
	s_or_b64 exec, exec, s[6:7]
	s_nop 0
	v_mfma_f32_16x16x4f32 a[0:3], v2, v3, a[0:3]
	v_lshrrev_b32_e32 v3, 8, v8
	s_movk_i32 s4, 0x7f
	v_cmp_gt_i16_sdwa s[6:7], v3, s4 src0_sel:BYTE_0 src1_sel:DWORD
	s_mov_b64 s[4:5], 0
                                        ; implicit-def: $sgpr10
	s_and_saveexec_b64 s[8:9], s[6:7]
	s_xor_b64 s[6:7], exec, s[8:9]
	s_cbranch_execnz .LBB11_2121
; %bb.73:
	s_or_saveexec_b64 s[6:7], s[6:7]
	v_mov_b32_e32 v2, s10
	s_xor_b64 exec, exec, s[6:7]
	s_cbranch_execnz .LBB11_2124
.LBB11_74:
	s_or_b64 exec, exec, s[6:7]
	s_and_saveexec_b64 s[6:7], s[4:5]
	s_cbranch_execz .LBB11_76
.LBB11_75:
	v_bfe_u32 v2, v8, 8, 3
	v_ffbh_u32_e32 v7, v2
	v_min_u32_e32 v7, 32, v7
	v_lshrrev_b16_e32 v6, 3, v3
	v_subrev_u32_e32 v12, 28, v7
	v_and_b32_e32 v6, 15, v6
	v_lshlrev_b32_e32 v3, v12, v3
	v_sub_u32_e32 v7, 29, v7
	v_and_b32_e32 v3, 7, v3
	v_cmp_eq_u16_e32 vcc, 0, v6
	v_cndmask_b32_e32 v2, v2, v3, vcc
	v_cndmask_b32_e32 v3, v6, v7, vcc
	v_lshlrev_b32_e32 v6, 16, v8
	v_mov_b32_e32 v7, 0x3b800000
	v_lshlrev_b32_e32 v2, 20, v2
	v_and_b32_e32 v6, 0x80000000, v6
	v_lshl_add_u32 v3, v3, 23, v7
	v_or3_b32 v2, v6, v3, v2
.LBB11_76:
	s_or_b64 exec, exec, s[6:7]
	v_lshrrev_b32_e32 v3, 8, v4
	s_movk_i32 s4, 0x7f
	v_cmp_gt_i16_sdwa s[6:7], v3, s4 src0_sel:BYTE_0 src1_sel:DWORD
	s_mov_b64 s[4:5], 0
                                        ; implicit-def: $sgpr10
	s_and_saveexec_b64 s[8:9], s[6:7]
	s_xor_b64 s[6:7], exec, s[8:9]
	s_cbranch_execnz .LBB11_2125
; %bb.77:
	s_or_saveexec_b64 s[6:7], s[6:7]
	v_mov_b32_e32 v6, s10
	s_xor_b64 exec, exec, s[6:7]
	s_cbranch_execnz .LBB11_2128
.LBB11_78:
	s_or_b64 exec, exec, s[6:7]
	s_and_saveexec_b64 s[6:7], s[4:5]
	s_cbranch_execz .LBB11_80
.LBB11_79:
	v_bfe_u32 v6, v4, 8, 3
	v_ffbh_u32_e32 v12, v6
	v_min_u32_e32 v12, 32, v12
	v_lshrrev_b16_e32 v7, 3, v3
	v_subrev_u32_e32 v13, 28, v12
	v_and_b32_e32 v7, 15, v7
	v_lshlrev_b32_e32 v3, v13, v3
	v_sub_u32_e32 v12, 29, v12
	v_and_b32_e32 v3, 7, v3
	v_cmp_eq_u16_e32 vcc, 0, v7
	v_cndmask_b32_e32 v3, v6, v3, vcc
	v_cndmask_b32_e32 v6, v7, v12, vcc
	v_lshlrev_b32_e32 v7, 16, v4
	v_mov_b32_e32 v12, 0x3b800000
	v_lshlrev_b32_e32 v3, 20, v3
	v_and_b32_e32 v7, 0x80000000, v7
	v_lshl_add_u32 v6, v6, 23, v12
	v_or3_b32 v6, v7, v6, v3
.LBB11_80:
	s_or_b64 exec, exec, s[6:7]
	s_nop 0
	v_mfma_f32_16x16x4f32 a[0:3], v2, v6, a[0:3]
	s_movk_i32 s4, 0xff
	v_and_b32_sdwa v3, v8, s4 dst_sel:DWORD dst_unused:UNUSED_PAD src0_sel:WORD_1 src1_sel:DWORD
	s_movk_i32 s4, 0x7f
	v_cmp_lt_i16_e32 vcc, s4, v3
	s_mov_b64 s[4:5], 0
                                        ; implicit-def: $sgpr10
	s_and_saveexec_b64 s[6:7], vcc
	s_xor_b64 s[6:7], exec, s[6:7]
	s_cbranch_execnz .LBB11_2129
; %bb.81:
	s_or_saveexec_b64 s[6:7], s[6:7]
	v_mov_b32_e32 v2, s10
	s_xor_b64 exec, exec, s[6:7]
	s_cbranch_execnz .LBB11_2132
.LBB11_82:
	s_or_b64 exec, exec, s[6:7]
	s_and_saveexec_b64 s[6:7], s[4:5]
	s_cbranch_execz .LBB11_84
.LBB11_83:
	v_bfe_u32 v2, v8, 16, 3
	v_ffbh_u32_e32 v7, v2
	v_min_u32_e32 v7, 32, v7
	v_lshrrev_b32_e32 v3, 19, v8
	v_subrev_u32_e32 v12, 28, v7
	v_and_b32_e32 v3, 15, v3
	v_lshlrev_b32_sdwa v12, v12, v8 dst_sel:DWORD dst_unused:UNUSED_PAD src0_sel:DWORD src1_sel:WORD_1
	v_bfe_u32 v6, v8, 19, 4
	v_sub_u32_e32 v7, 29, v7
	v_and_b32_e32 v12, 7, v12
	v_cmp_eq_u16_e32 vcc, 0, v3
	v_cndmask_b32_e32 v2, v2, v12, vcc
	v_cndmask_b32_e32 v3, v6, v7, vcc
	v_lshlrev_b32_e32 v6, 8, v8
	v_mov_b32_e32 v7, 0x3b800000
	v_lshlrev_b32_e32 v2, 20, v2
	v_and_b32_e32 v6, 0x80000000, v6
	v_lshl_add_u32 v3, v3, 23, v7
	v_or3_b32 v2, v6, v3, v2
.LBB11_84:
	s_or_b64 exec, exec, s[6:7]
	s_movk_i32 s4, 0xff
	v_and_b32_sdwa v3, v4, s4 dst_sel:DWORD dst_unused:UNUSED_PAD src0_sel:WORD_1 src1_sel:DWORD
	s_movk_i32 s4, 0x7f
	v_cmp_lt_i16_e32 vcc, s4, v3
	s_mov_b64 s[4:5], 0
                                        ; implicit-def: $sgpr10
	s_and_saveexec_b64 s[6:7], vcc
	s_xor_b64 s[6:7], exec, s[6:7]
	s_cbranch_execnz .LBB11_2133
; %bb.85:
	s_or_saveexec_b64 s[6:7], s[6:7]
	v_mov_b32_e32 v6, s10
	s_xor_b64 exec, exec, s[6:7]
	s_cbranch_execnz .LBB11_2136
.LBB11_86:
	s_or_b64 exec, exec, s[6:7]
	s_and_saveexec_b64 s[6:7], s[4:5]
	s_cbranch_execz .LBB11_88
.LBB11_87:
	v_bfe_u32 v3, v4, 16, 3
	v_ffbh_u32_e32 v12, v3
	v_min_u32_e32 v12, 32, v12
	v_lshrrev_b32_e32 v6, 19, v4
	v_subrev_u32_e32 v13, 28, v12
	v_and_b32_e32 v6, 15, v6
	v_lshlrev_b32_sdwa v13, v13, v4 dst_sel:DWORD dst_unused:UNUSED_PAD src0_sel:DWORD src1_sel:WORD_1
	v_bfe_u32 v7, v4, 19, 4
	v_sub_u32_e32 v12, 29, v12
	v_and_b32_e32 v13, 7, v13
	v_cmp_eq_u16_e32 vcc, 0, v6
	v_cndmask_b32_e32 v3, v3, v13, vcc
	v_cndmask_b32_e32 v6, v7, v12, vcc
	v_lshlrev_b32_e32 v7, 8, v4
	v_mov_b32_e32 v12, 0x3b800000
	v_lshlrev_b32_e32 v3, 20, v3
	v_and_b32_e32 v7, 0x80000000, v7
	v_lshl_add_u32 v6, v6, 23, v12
	v_or3_b32 v6, v7, v6, v3
.LBB11_88:
	s_or_b64 exec, exec, s[6:7]
	s_nop 0
	v_mfma_f32_16x16x4f32 a[0:3], v2, v6, a[0:3]
	s_movk_i32 s4, 0x7f
	v_cmp_gt_i16_sdwa s[6:7], v8, s4 src0_sel:BYTE_3 src1_sel:DWORD
	s_mov_b64 s[4:5], 0
                                        ; implicit-def: $sgpr10
	s_and_saveexec_b64 s[8:9], s[6:7]
	s_xor_b64 s[6:7], exec, s[8:9]
	s_cbranch_execnz .LBB11_2137
; %bb.89:
	s_or_saveexec_b64 s[6:7], s[6:7]
	v_mov_b32_e32 v2, s10
	s_xor_b64 exec, exec, s[6:7]
	s_cbranch_execnz .LBB11_2140
.LBB11_90:
	s_or_b64 exec, exec, s[6:7]
	s_and_saveexec_b64 s[6:7], s[4:5]
	s_cbranch_execz .LBB11_92
.LBB11_91:
	v_bfe_u32 v2, v8, 24, 3
	v_ffbh_u32_e32 v12, v2
	v_min_u32_e32 v12, 32, v12
	v_lshrrev_b32_e32 v6, 27, v8
	v_subrev_u32_e32 v13, 28, v12
	v_and_b32_e32 v3, 0x80000000, v8
	v_and_b32_e32 v6, 15, v6
	v_bfe_u32 v7, v8, 27, 4
	v_lshlrev_b32_sdwa v8, v13, v8 dst_sel:DWORD dst_unused:UNUSED_PAD src0_sel:DWORD src1_sel:BYTE_3
	v_sub_u32_e32 v12, 29, v12
	v_and_b32_e32 v8, 7, v8
	v_cmp_eq_u16_e32 vcc, 0, v6
	v_cndmask_b32_e32 v2, v2, v8, vcc
	v_cndmask_b32_e32 v6, v7, v12, vcc
	v_mov_b32_e32 v7, 0x3b800000
	v_lshlrev_b32_e32 v2, 20, v2
	v_lshl_add_u32 v6, v6, 23, v7
	v_or3_b32 v2, v3, v6, v2
.LBB11_92:
	s_or_b64 exec, exec, s[6:7]
	s_movk_i32 s4, 0x7f
	v_cmp_gt_i16_sdwa s[6:7], v4, s4 src0_sel:BYTE_3 src1_sel:DWORD
	s_mov_b64 s[4:5], 0
                                        ; implicit-def: $sgpr10
	s_and_saveexec_b64 s[8:9], s[6:7]
	s_xor_b64 s[6:7], exec, s[8:9]
	s_cbranch_execnz .LBB11_2141
; %bb.93:
	s_or_saveexec_b64 s[6:7], s[6:7]
	v_mov_b32_e32 v3, s10
	s_xor_b64 exec, exec, s[6:7]
	s_cbranch_execnz .LBB11_2144
.LBB11_94:
	s_or_b64 exec, exec, s[6:7]
	s_and_saveexec_b64 s[6:7], s[4:5]
	s_cbranch_execz .LBB11_96
.LBB11_95:
	v_bfe_u32 v3, v4, 24, 3
	v_ffbh_u32_e32 v12, v3
	v_min_u32_e32 v12, 32, v12
	v_lshrrev_b32_e32 v7, 27, v4
	v_subrev_u32_e32 v13, 28, v12
	v_and_b32_e32 v6, 0x80000000, v4
	v_and_b32_e32 v7, 15, v7
	v_bfe_u32 v8, v4, 27, 4
	v_lshlrev_b32_sdwa v4, v13, v4 dst_sel:DWORD dst_unused:UNUSED_PAD src0_sel:DWORD src1_sel:BYTE_3
	v_sub_u32_e32 v12, 29, v12
	v_and_b32_e32 v4, 7, v4
	v_cmp_eq_u16_e32 vcc, 0, v7
	v_cndmask_b32_e32 v3, v3, v4, vcc
	v_cndmask_b32_e32 v4, v8, v12, vcc
	v_mov_b32_e32 v7, 0x3b800000
	v_lshlrev_b32_e32 v3, 20, v3
	v_lshl_add_u32 v4, v4, 23, v7
	v_or3_b32 v3, v6, v4, v3
.LBB11_96:
	s_or_b64 exec, exec, s[6:7]
	s_nop 0
	v_mfma_f32_16x16x4f32 a[0:3], v2, v3, a[0:3]
	s_movk_i32 s4, 0x7f
	v_cmp_gt_i16_sdwa s[6:7], v9, s4 src0_sel:BYTE_0 src1_sel:DWORD
	s_mov_b64 s[4:5], 0
                                        ; implicit-def: $sgpr10
	s_and_saveexec_b64 s[8:9], s[6:7]
	s_xor_b64 s[6:7], exec, s[8:9]
	s_cbranch_execnz .LBB11_2145
; %bb.97:
	s_or_saveexec_b64 s[6:7], s[6:7]
	v_mov_b32_e32 v2, s10
	s_xor_b64 exec, exec, s[6:7]
	s_cbranch_execnz .LBB11_2148
.LBB11_98:
	s_or_b64 exec, exec, s[6:7]
	s_and_saveexec_b64 s[6:7], s[4:5]
	s_cbranch_execz .LBB11_100
.LBB11_99:
	v_mov_b32_e32 v2, 8
	v_and_b32_e32 v3, 7, v9
	v_lshrrev_b32_sdwa v2, v2, v9 dst_sel:BYTE_1 dst_unused:UNUSED_PAD src0_sel:DWORD src1_sel:DWORD
	v_ffbh_u32_e32 v4, v3
	v_or_b32_sdwa v2, v9, v2 dst_sel:DWORD dst_unused:UNUSED_PAD src0_sel:BYTE_0 src1_sel:DWORD
	v_min_u32_e32 v4, 32, v4
	v_lshrrev_b16_e32 v2, 3, v2
	v_subrev_u32_e32 v6, 28, v4
	v_and_b32_e32 v2, 15, v2
	v_lshlrev_b32_e32 v6, v6, v9
	v_sub_u32_e32 v4, 29, v4
	v_and_b32_e32 v6, 7, v6
	v_cmp_eq_u16_e32 vcc, 0, v2
	v_cndmask_b32_e32 v3, v3, v6, vcc
	v_cndmask_b32_e32 v2, v2, v4, vcc
	v_lshlrev_b32_e32 v4, 24, v9
	v_mov_b32_e32 v6, 0x3b800000
	v_lshlrev_b32_e32 v3, 20, v3
	v_and_b32_e32 v4, 0x80000000, v4
	v_lshl_add_u32 v2, v2, 23, v6
	v_or3_b32 v2, v4, v2, v3
.LBB11_100:
	s_or_b64 exec, exec, s[6:7]
	s_movk_i32 s4, 0x7f
	v_cmp_gt_i16_sdwa s[6:7], v5, s4 src0_sel:BYTE_0 src1_sel:DWORD
	s_mov_b64 s[4:5], 0
                                        ; implicit-def: $sgpr10
	s_and_saveexec_b64 s[8:9], s[6:7]
	s_xor_b64 s[6:7], exec, s[8:9]
	s_cbranch_execnz .LBB11_2149
; %bb.101:
	s_or_saveexec_b64 s[6:7], s[6:7]
	v_mov_b32_e32 v3, s10
	s_xor_b64 exec, exec, s[6:7]
	s_cbranch_execnz .LBB11_2152
.LBB11_102:
	s_or_b64 exec, exec, s[6:7]
	s_and_saveexec_b64 s[6:7], s[4:5]
	s_cbranch_execz .LBB11_104
.LBB11_103:
	v_mov_b32_e32 v3, 8
	v_and_b32_e32 v4, 7, v5
	v_lshrrev_b32_sdwa v3, v3, v5 dst_sel:BYTE_1 dst_unused:UNUSED_PAD src0_sel:DWORD src1_sel:DWORD
	v_ffbh_u32_e32 v6, v4
	v_or_b32_sdwa v3, v5, v3 dst_sel:DWORD dst_unused:UNUSED_PAD src0_sel:BYTE_0 src1_sel:DWORD
	v_min_u32_e32 v6, 32, v6
	v_lshrrev_b16_e32 v3, 3, v3
	v_subrev_u32_e32 v7, 28, v6
	v_and_b32_e32 v3, 15, v3
	v_lshlrev_b32_e32 v7, v7, v5
	v_sub_u32_e32 v6, 29, v6
	v_and_b32_e32 v7, 7, v7
	v_cmp_eq_u16_e32 vcc, 0, v3
	v_cndmask_b32_e32 v4, v4, v7, vcc
	v_cndmask_b32_e32 v3, v3, v6, vcc
	v_lshlrev_b32_e32 v6, 24, v5
	v_mov_b32_e32 v7, 0x3b800000
	v_lshlrev_b32_e32 v4, 20, v4
	v_and_b32_e32 v6, 0x80000000, v6
	v_lshl_add_u32 v3, v3, 23, v7
	v_or3_b32 v3, v6, v3, v4
.LBB11_104:
	s_or_b64 exec, exec, s[6:7]
	s_nop 0
	v_mfma_f32_16x16x4f32 a[0:3], v2, v3, a[0:3]
	v_lshrrev_b32_e32 v3, 8, v9
	s_movk_i32 s4, 0x7f
	v_cmp_gt_i16_sdwa s[6:7], v3, s4 src0_sel:BYTE_0 src1_sel:DWORD
	s_mov_b64 s[4:5], 0
                                        ; implicit-def: $sgpr10
	s_and_saveexec_b64 s[8:9], s[6:7]
	s_xor_b64 s[6:7], exec, s[8:9]
	s_cbranch_execnz .LBB11_2153
; %bb.105:
	s_or_saveexec_b64 s[6:7], s[6:7]
	v_mov_b32_e32 v2, s10
	s_xor_b64 exec, exec, s[6:7]
	s_cbranch_execnz .LBB11_2156
.LBB11_106:
	s_or_b64 exec, exec, s[6:7]
	s_and_saveexec_b64 s[6:7], s[4:5]
	s_cbranch_execz .LBB11_108
.LBB11_107:
	v_bfe_u32 v2, v9, 8, 3
	v_ffbh_u32_e32 v6, v2
	v_min_u32_e32 v6, 32, v6
	v_lshrrev_b16_e32 v4, 3, v3
	v_subrev_u32_e32 v7, 28, v6
	v_and_b32_e32 v4, 15, v4
	v_lshlrev_b32_e32 v3, v7, v3
	v_sub_u32_e32 v6, 29, v6
	v_and_b32_e32 v3, 7, v3
	v_cmp_eq_u16_e32 vcc, 0, v4
	v_cndmask_b32_e32 v2, v2, v3, vcc
	v_cndmask_b32_e32 v3, v4, v6, vcc
	v_lshlrev_b32_e32 v4, 16, v9
	v_mov_b32_e32 v6, 0x3b800000
	v_lshlrev_b32_e32 v2, 20, v2
	v_and_b32_e32 v4, 0x80000000, v4
	v_lshl_add_u32 v3, v3, 23, v6
	v_or3_b32 v2, v4, v3, v2
.LBB11_108:
	s_or_b64 exec, exec, s[6:7]
	v_lshrrev_b32_e32 v3, 8, v5
	s_movk_i32 s4, 0x7f
	v_cmp_gt_i16_sdwa s[6:7], v3, s4 src0_sel:BYTE_0 src1_sel:DWORD
	s_mov_b64 s[4:5], 0
                                        ; implicit-def: $sgpr10
	s_and_saveexec_b64 s[8:9], s[6:7]
	s_xor_b64 s[6:7], exec, s[8:9]
	s_cbranch_execnz .LBB11_2157
; %bb.109:
	s_or_saveexec_b64 s[6:7], s[6:7]
	v_mov_b32_e32 v4, s10
	s_xor_b64 exec, exec, s[6:7]
	s_cbranch_execnz .LBB11_2160
.LBB11_110:
	s_or_b64 exec, exec, s[6:7]
	s_and_saveexec_b64 s[6:7], s[4:5]
	s_cbranch_execz .LBB11_112
.LBB11_111:
	v_bfe_u32 v4, v5, 8, 3
	v_ffbh_u32_e32 v7, v4
	v_min_u32_e32 v7, 32, v7
	v_lshrrev_b16_e32 v6, 3, v3
	v_subrev_u32_e32 v8, 28, v7
	v_and_b32_e32 v6, 15, v6
	v_lshlrev_b32_e32 v3, v8, v3
	v_sub_u32_e32 v7, 29, v7
	v_and_b32_e32 v3, 7, v3
	v_cmp_eq_u16_e32 vcc, 0, v6
	v_cndmask_b32_e32 v3, v4, v3, vcc
	v_cndmask_b32_e32 v4, v6, v7, vcc
	v_lshlrev_b32_e32 v6, 16, v5
	v_mov_b32_e32 v7, 0x3b800000
	v_lshlrev_b32_e32 v3, 20, v3
	v_and_b32_e32 v6, 0x80000000, v6
	v_lshl_add_u32 v4, v4, 23, v7
	v_or3_b32 v4, v6, v4, v3
.LBB11_112:
	s_or_b64 exec, exec, s[6:7]
	s_nop 0
	v_mfma_f32_16x16x4f32 a[0:3], v2, v4, a[0:3]
	s_movk_i32 s4, 0xff
	v_and_b32_sdwa v3, v9, s4 dst_sel:DWORD dst_unused:UNUSED_PAD src0_sel:WORD_1 src1_sel:DWORD
	s_movk_i32 s4, 0x7f
	v_cmp_lt_i16_e32 vcc, s4, v3
	s_mov_b64 s[4:5], 0
                                        ; implicit-def: $sgpr10
	s_and_saveexec_b64 s[6:7], vcc
	s_xor_b64 s[6:7], exec, s[6:7]
	s_cbranch_execnz .LBB11_2161
; %bb.113:
	s_or_saveexec_b64 s[6:7], s[6:7]
	v_mov_b32_e32 v2, s10
	s_xor_b64 exec, exec, s[6:7]
	s_cbranch_execnz .LBB11_2164
.LBB11_114:
	s_or_b64 exec, exec, s[6:7]
	s_and_saveexec_b64 s[6:7], s[4:5]
	s_cbranch_execz .LBB11_116
.LBB11_115:
	v_bfe_u32 v2, v9, 16, 3
	v_ffbh_u32_e32 v6, v2
	v_min_u32_e32 v6, 32, v6
	v_lshrrev_b32_e32 v3, 19, v9
	v_subrev_u32_e32 v7, 28, v6
	v_and_b32_e32 v3, 15, v3
	v_lshlrev_b32_sdwa v7, v7, v9 dst_sel:DWORD dst_unused:UNUSED_PAD src0_sel:DWORD src1_sel:WORD_1
	v_bfe_u32 v4, v9, 19, 4
	v_sub_u32_e32 v6, 29, v6
	v_and_b32_e32 v7, 7, v7
	v_cmp_eq_u16_e32 vcc, 0, v3
	v_cndmask_b32_e32 v2, v2, v7, vcc
	v_cndmask_b32_e32 v3, v4, v6, vcc
	v_lshlrev_b32_e32 v4, 8, v9
	v_mov_b32_e32 v6, 0x3b800000
	v_lshlrev_b32_e32 v2, 20, v2
	v_and_b32_e32 v4, 0x80000000, v4
	v_lshl_add_u32 v3, v3, 23, v6
	v_or3_b32 v2, v4, v3, v2
.LBB11_116:
	s_or_b64 exec, exec, s[6:7]
	s_movk_i32 s4, 0xff
	v_and_b32_sdwa v3, v5, s4 dst_sel:DWORD dst_unused:UNUSED_PAD src0_sel:WORD_1 src1_sel:DWORD
	s_movk_i32 s4, 0x7f
	v_cmp_lt_i16_e32 vcc, s4, v3
	s_mov_b64 s[4:5], 0
                                        ; implicit-def: $sgpr10
	s_and_saveexec_b64 s[6:7], vcc
	s_xor_b64 s[6:7], exec, s[6:7]
	s_cbranch_execnz .LBB11_2165
; %bb.117:
	s_or_saveexec_b64 s[6:7], s[6:7]
	v_mov_b32_e32 v4, s10
	s_xor_b64 exec, exec, s[6:7]
	s_cbranch_execnz .LBB11_2168
.LBB11_118:
	s_or_b64 exec, exec, s[6:7]
	s_and_saveexec_b64 s[6:7], s[4:5]
	s_cbranch_execz .LBB11_120
.LBB11_119:
	v_bfe_u32 v3, v5, 16, 3
	v_ffbh_u32_e32 v7, v3
	v_min_u32_e32 v7, 32, v7
	v_lshrrev_b32_e32 v4, 19, v5
	v_subrev_u32_e32 v8, 28, v7
	v_and_b32_e32 v4, 15, v4
	v_lshlrev_b32_sdwa v8, v8, v5 dst_sel:DWORD dst_unused:UNUSED_PAD src0_sel:DWORD src1_sel:WORD_1
	v_bfe_u32 v6, v5, 19, 4
	v_sub_u32_e32 v7, 29, v7
	v_and_b32_e32 v8, 7, v8
	v_cmp_eq_u16_e32 vcc, 0, v4
	v_cndmask_b32_e32 v3, v3, v8, vcc
	v_cndmask_b32_e32 v4, v6, v7, vcc
	v_lshlrev_b32_e32 v6, 8, v5
	v_mov_b32_e32 v7, 0x3b800000
	v_lshlrev_b32_e32 v3, 20, v3
	v_and_b32_e32 v6, 0x80000000, v6
	v_lshl_add_u32 v4, v4, 23, v7
	v_or3_b32 v4, v6, v4, v3
.LBB11_120:
	s_or_b64 exec, exec, s[6:7]
	s_nop 0
	v_mfma_f32_16x16x4f32 a[0:3], v2, v4, a[0:3]
	s_movk_i32 s4, 0x7f
	v_cmp_gt_i16_sdwa s[6:7], v9, s4 src0_sel:BYTE_3 src1_sel:DWORD
	s_mov_b64 s[4:5], 0
                                        ; implicit-def: $sgpr10
	s_and_saveexec_b64 s[8:9], s[6:7]
	s_xor_b64 s[6:7], exec, s[8:9]
	s_cbranch_execnz .LBB11_2169
; %bb.121:
	s_or_saveexec_b64 s[6:7], s[6:7]
	v_mov_b32_e32 v2, s10
	s_xor_b64 exec, exec, s[6:7]
	s_cbranch_execnz .LBB11_2172
.LBB11_122:
	s_or_b64 exec, exec, s[6:7]
	s_and_saveexec_b64 s[6:7], s[4:5]
	s_cbranch_execz .LBB11_124
.LBB11_123:
	v_bfe_u32 v2, v9, 24, 3
	v_ffbh_u32_e32 v7, v2
	v_min_u32_e32 v7, 32, v7
	v_lshrrev_b32_e32 v4, 27, v9
	v_subrev_u32_e32 v8, 28, v7
	v_and_b32_e32 v4, 15, v4
	v_lshlrev_b32_sdwa v8, v8, v9 dst_sel:DWORD dst_unused:UNUSED_PAD src0_sel:DWORD src1_sel:BYTE_3
	v_bfe_u32 v6, v9, 27, 4
	v_sub_u32_e32 v7, 29, v7
	v_and_b32_e32 v8, 7, v8
	v_cmp_eq_u16_e32 vcc, 0, v4
	v_cndmask_b32_e32 v2, v2, v8, vcc
	v_cndmask_b32_e32 v4, v6, v7, vcc
	v_mov_b32_e32 v6, 0x3b800000
	v_and_b32_e32 v3, 0x80000000, v9
	v_lshlrev_b32_e32 v2, 20, v2
	v_lshl_add_u32 v4, v4, 23, v6
	v_or3_b32 v2, v3, v4, v2
.LBB11_124:
	s_or_b64 exec, exec, s[6:7]
	s_movk_i32 s4, 0x7f
	v_cmp_gt_i16_sdwa s[6:7], v5, s4 src0_sel:BYTE_3 src1_sel:DWORD
	s_mov_b64 s[4:5], 0
                                        ; implicit-def: $sgpr10
	s_and_saveexec_b64 s[8:9], s[6:7]
	s_xor_b64 s[6:7], exec, s[8:9]
	s_cbranch_execnz .LBB11_2173
; %bb.125:
	s_or_saveexec_b64 s[6:7], s[6:7]
	v_mov_b32_e32 v3, s10
	s_xor_b64 exec, exec, s[6:7]
	s_cbranch_execnz .LBB11_2176
.LBB11_126:
	s_or_b64 exec, exec, s[6:7]
	s_and_saveexec_b64 s[6:7], s[4:5]
	s_cbranch_execz .LBB11_128
.LBB11_127:
	v_bfe_u32 v3, v5, 24, 3
	v_ffbh_u32_e32 v8, v3
	v_min_u32_e32 v8, 32, v8
	v_lshrrev_b32_e32 v6, 27, v5
	v_subrev_u32_e32 v9, 28, v8
	v_and_b32_e32 v4, 0x80000000, v5
	v_and_b32_e32 v6, 15, v6
	v_bfe_u32 v7, v5, 27, 4
	v_lshlrev_b32_sdwa v5, v9, v5 dst_sel:DWORD dst_unused:UNUSED_PAD src0_sel:DWORD src1_sel:BYTE_3
	v_sub_u32_e32 v8, 29, v8
	v_and_b32_e32 v5, 7, v5
	v_cmp_eq_u16_e32 vcc, 0, v6
	v_cndmask_b32_e32 v3, v3, v5, vcc
	v_cndmask_b32_e32 v5, v7, v8, vcc
	v_mov_b32_e32 v6, 0x3b800000
	v_lshlrev_b32_e32 v3, 20, v3
	v_lshl_add_u32 v5, v5, 23, v6
	v_or3_b32 v3, v4, v5, v3
.LBB11_128:
	s_or_b64 exec, exec, s[6:7]
	s_nop 0
	v_mfma_f32_16x16x4f32 a[0:3], v2, v3, a[0:3]
	s_movk_i32 s4, 0x7f
                                        ; implicit-def: $sgpr10
	s_nop 7
	s_nop 1
	flat_store_dwordx4 v[10:11], a[0:3]
	flat_load_dwordx4 v[12:15], v[0:1] offset:8
	s_nop 0
	flat_load_dwordx2 v[10:11], v[0:1] offset:32
	s_waitcnt vmcnt(0) lgkmcnt(0)
	flat_load_dwordx4 v[6:9], v[12:13] offset:16
	flat_load_dwordx4 v[2:5], v[14:15] offset:48
	s_waitcnt vmcnt(0) lgkmcnt(0)
	v_cmp_gt_i16_sdwa s[6:7], v6, s4 src0_sel:BYTE_0 src1_sel:DWORD
	s_mov_b64 s[4:5], 0
	s_and_saveexec_b64 s[8:9], s[6:7]
	s_xor_b64 s[6:7], exec, s[8:9]
	s_cbranch_execnz .LBB11_2177
; %bb.129:
	s_or_saveexec_b64 s[6:7], s[6:7]
	v_mov_b32_e32 v12, s10
	s_xor_b64 exec, exec, s[6:7]
	s_cbranch_execnz .LBB11_2180
.LBB11_130:
	s_or_b64 exec, exec, s[6:7]
	s_and_saveexec_b64 s[6:7], s[4:5]
	s_cbranch_execz .LBB11_132
.LBB11_131:
	v_and_b32_e32 v12, 7, v6
	v_ffbh_u32_e32 v14, v12
	v_min_u32_e32 v14, 32, v14
	v_lshrrev_b16_e32 v13, 3, v6
	v_subrev_u32_e32 v15, 28, v14
	v_and_b32_e32 v13, 15, v13
	v_lshlrev_b32_e32 v15, v15, v6
	v_sub_u32_e32 v14, 29, v14
	v_and_b32_e32 v15, 7, v15
	v_cmp_eq_u16_e32 vcc, 0, v13
	v_cndmask_b32_e32 v12, v12, v15, vcc
	v_cndmask_b32_e32 v13, v13, v14, vcc
	v_lshlrev_b32_e32 v14, 24, v6
	v_mov_b32_e32 v15, 0x3b800000
	v_lshlrev_b32_e32 v12, 20, v12
	v_and_b32_e32 v14, 0x80000000, v14
	v_lshl_add_u32 v13, v13, 23, v15
	v_or3_b32 v12, v14, v13, v12
.LBB11_132:
	s_or_b64 exec, exec, s[6:7]
	s_movk_i32 s4, 0x7f
	v_cmp_gt_i16_sdwa s[6:7], v2, s4 src0_sel:BYTE_0 src1_sel:DWORD
	s_mov_b64 s[4:5], 0
                                        ; implicit-def: $sgpr10
	s_and_saveexec_b64 s[8:9], s[6:7]
	s_xor_b64 s[6:7], exec, s[8:9]
	s_cbranch_execnz .LBB11_2181
; %bb.133:
	s_or_saveexec_b64 s[6:7], s[6:7]
	v_mov_b32_e32 v13, s10
	s_xor_b64 exec, exec, s[6:7]
	s_cbranch_execnz .LBB11_2184
.LBB11_134:
	s_or_b64 exec, exec, s[6:7]
	s_and_saveexec_b64 s[6:7], s[4:5]
	s_cbranch_execz .LBB11_136
.LBB11_135:
	v_and_b32_e32 v13, 7, v2
	v_ffbh_u32_e32 v15, v13
	v_min_u32_e32 v15, 32, v15
	v_lshrrev_b16_e32 v14, 3, v2
	v_subrev_u32_e32 v16, 28, v15
	v_and_b32_e32 v14, 15, v14
	v_lshlrev_b32_e32 v16, v16, v2
	v_sub_u32_e32 v15, 29, v15
	v_and_b32_e32 v16, 7, v16
	v_cmp_eq_u16_e32 vcc, 0, v14
	v_cndmask_b32_e32 v13, v13, v16, vcc
	v_cndmask_b32_e32 v14, v14, v15, vcc
	v_lshlrev_b32_e32 v15, 24, v2
	v_mov_b32_e32 v16, 0x3b800000
	v_lshlrev_b32_e32 v13, 20, v13
	v_and_b32_e32 v15, 0x80000000, v15
	v_lshl_add_u32 v14, v14, 23, v16
	v_or3_b32 v13, v15, v14, v13
.LBB11_136:
	s_or_b64 exec, exec, s[6:7]
	flat_load_dwordx4 a[0:3], v[10:11] offset:16
	s_movk_i32 s4, 0x7f
                                        ; implicit-def: $sgpr10
	s_waitcnt vmcnt(0) lgkmcnt(0)
	v_mfma_f32_16x16x4f32 a[0:3], v12, v13, a[0:3]
	v_lshrrev_b32_e32 v13, 8, v6
	v_cmp_gt_i16_sdwa s[6:7], v13, s4 src0_sel:BYTE_0 src1_sel:DWORD
	s_mov_b64 s[4:5], 0
	s_and_saveexec_b64 s[8:9], s[6:7]
	s_xor_b64 s[6:7], exec, s[8:9]
	s_cbranch_execnz .LBB11_2185
; %bb.137:
	s_or_saveexec_b64 s[6:7], s[6:7]
	v_mov_b32_e32 v12, s10
	s_xor_b64 exec, exec, s[6:7]
	s_cbranch_execnz .LBB11_2188
.LBB11_138:
	s_or_b64 exec, exec, s[6:7]
	s_and_saveexec_b64 s[6:7], s[4:5]
	s_cbranch_execz .LBB11_140
.LBB11_139:
	v_bfe_u32 v12, v6, 8, 3
	v_ffbh_u32_e32 v15, v12
	v_min_u32_e32 v15, 32, v15
	v_lshrrev_b16_e32 v14, 3, v13
	v_subrev_u32_e32 v16, 28, v15
	v_and_b32_e32 v14, 15, v14
	v_lshlrev_b32_e32 v13, v16, v13
	v_sub_u32_e32 v15, 29, v15
	v_and_b32_e32 v13, 7, v13
	v_cmp_eq_u16_e32 vcc, 0, v14
	v_cndmask_b32_e32 v12, v12, v13, vcc
	v_cndmask_b32_e32 v13, v14, v15, vcc
	v_lshlrev_b32_e32 v14, 16, v6
	v_mov_b32_e32 v15, 0x3b800000
	v_lshlrev_b32_e32 v12, 20, v12
	v_and_b32_e32 v14, 0x80000000, v14
	v_lshl_add_u32 v13, v13, 23, v15
	v_or3_b32 v12, v14, v13, v12
.LBB11_140:
	s_or_b64 exec, exec, s[6:7]
	v_lshrrev_b32_e32 v13, 8, v2
	s_movk_i32 s4, 0x7f
	v_cmp_gt_i16_sdwa s[6:7], v13, s4 src0_sel:BYTE_0 src1_sel:DWORD
	s_mov_b64 s[4:5], 0
                                        ; implicit-def: $sgpr10
	s_and_saveexec_b64 s[8:9], s[6:7]
	s_xor_b64 s[6:7], exec, s[8:9]
	s_cbranch_execnz .LBB11_2189
; %bb.141:
	s_or_saveexec_b64 s[6:7], s[6:7]
	v_mov_b32_e32 v14, s10
	s_xor_b64 exec, exec, s[6:7]
	s_cbranch_execnz .LBB11_2192
.LBB11_142:
	s_or_b64 exec, exec, s[6:7]
	s_and_saveexec_b64 s[6:7], s[4:5]
	s_cbranch_execz .LBB11_144
.LBB11_143:
	v_bfe_u32 v14, v2, 8, 3
	v_ffbh_u32_e32 v16, v14
	v_min_u32_e32 v16, 32, v16
	v_lshrrev_b16_e32 v15, 3, v13
	v_subrev_u32_e32 v17, 28, v16
	v_and_b32_e32 v15, 15, v15
	v_lshlrev_b32_e32 v13, v17, v13
	v_sub_u32_e32 v16, 29, v16
	v_and_b32_e32 v13, 7, v13
	v_cmp_eq_u16_e32 vcc, 0, v15
	v_cndmask_b32_e32 v13, v14, v13, vcc
	v_cndmask_b32_e32 v14, v15, v16, vcc
	v_lshlrev_b32_e32 v15, 16, v2
	v_mov_b32_e32 v16, 0x3b800000
	v_lshlrev_b32_e32 v13, 20, v13
	v_and_b32_e32 v15, 0x80000000, v15
	v_lshl_add_u32 v14, v14, 23, v16
	v_or3_b32 v14, v15, v14, v13
.LBB11_144:
	s_or_b64 exec, exec, s[6:7]
	s_nop 0
	v_mfma_f32_16x16x4f32 a[0:3], v12, v14, a[0:3]
	s_movk_i32 s4, 0xff
	v_and_b32_sdwa v13, v6, s4 dst_sel:DWORD dst_unused:UNUSED_PAD src0_sel:WORD_1 src1_sel:DWORD
	s_movk_i32 s4, 0x7f
	v_cmp_lt_i16_e32 vcc, s4, v13
	s_mov_b64 s[4:5], 0
                                        ; implicit-def: $sgpr10
	s_and_saveexec_b64 s[6:7], vcc
	s_xor_b64 s[6:7], exec, s[6:7]
	s_cbranch_execnz .LBB11_2193
; %bb.145:
	s_or_saveexec_b64 s[6:7], s[6:7]
	v_mov_b32_e32 v12, s10
	s_xor_b64 exec, exec, s[6:7]
	s_cbranch_execnz .LBB11_2196
.LBB11_146:
	s_or_b64 exec, exec, s[6:7]
	s_and_saveexec_b64 s[6:7], s[4:5]
	s_cbranch_execz .LBB11_148
.LBB11_147:
	v_bfe_u32 v12, v6, 16, 3
	v_ffbh_u32_e32 v15, v12
	v_min_u32_e32 v15, 32, v15
	v_lshrrev_b32_e32 v13, 19, v6
	v_subrev_u32_e32 v16, 28, v15
	v_and_b32_e32 v13, 15, v13
	v_lshlrev_b32_sdwa v16, v16, v6 dst_sel:DWORD dst_unused:UNUSED_PAD src0_sel:DWORD src1_sel:WORD_1
	v_bfe_u32 v14, v6, 19, 4
	v_sub_u32_e32 v15, 29, v15
	v_and_b32_e32 v16, 7, v16
	v_cmp_eq_u16_e32 vcc, 0, v13
	v_cndmask_b32_e32 v12, v12, v16, vcc
	v_cndmask_b32_e32 v13, v14, v15, vcc
	v_lshlrev_b32_e32 v14, 8, v6
	v_mov_b32_e32 v15, 0x3b800000
	v_lshlrev_b32_e32 v12, 20, v12
	v_and_b32_e32 v14, 0x80000000, v14
	v_lshl_add_u32 v13, v13, 23, v15
	v_or3_b32 v12, v14, v13, v12
.LBB11_148:
	s_or_b64 exec, exec, s[6:7]
	s_movk_i32 s4, 0xff
	v_and_b32_sdwa v13, v2, s4 dst_sel:DWORD dst_unused:UNUSED_PAD src0_sel:WORD_1 src1_sel:DWORD
	s_movk_i32 s4, 0x7f
	v_cmp_lt_i16_e32 vcc, s4, v13
	s_mov_b64 s[4:5], 0
                                        ; implicit-def: $sgpr10
	s_and_saveexec_b64 s[6:7], vcc
	s_xor_b64 s[6:7], exec, s[6:7]
	s_cbranch_execnz .LBB11_2197
; %bb.149:
	s_or_saveexec_b64 s[6:7], s[6:7]
	v_mov_b32_e32 v14, s10
	s_xor_b64 exec, exec, s[6:7]
	s_cbranch_execnz .LBB11_2200
.LBB11_150:
	s_or_b64 exec, exec, s[6:7]
	s_and_saveexec_b64 s[6:7], s[4:5]
	s_cbranch_execz .LBB11_152
.LBB11_151:
	v_bfe_u32 v13, v2, 16, 3
	v_ffbh_u32_e32 v16, v13
	v_min_u32_e32 v16, 32, v16
	v_lshrrev_b32_e32 v14, 19, v2
	v_subrev_u32_e32 v17, 28, v16
	v_and_b32_e32 v14, 15, v14
	v_lshlrev_b32_sdwa v17, v17, v2 dst_sel:DWORD dst_unused:UNUSED_PAD src0_sel:DWORD src1_sel:WORD_1
	v_bfe_u32 v15, v2, 19, 4
	v_sub_u32_e32 v16, 29, v16
	v_and_b32_e32 v17, 7, v17
	v_cmp_eq_u16_e32 vcc, 0, v14
	v_cndmask_b32_e32 v13, v13, v17, vcc
	v_cndmask_b32_e32 v14, v15, v16, vcc
	v_lshlrev_b32_e32 v15, 8, v2
	v_mov_b32_e32 v16, 0x3b800000
	v_lshlrev_b32_e32 v13, 20, v13
	v_and_b32_e32 v15, 0x80000000, v15
	v_lshl_add_u32 v14, v14, 23, v16
	v_or3_b32 v14, v15, v14, v13
.LBB11_152:
	s_or_b64 exec, exec, s[6:7]
	s_nop 0
	v_mfma_f32_16x16x4f32 a[0:3], v12, v14, a[0:3]
	s_movk_i32 s4, 0x7f
	v_cmp_gt_i16_sdwa s[6:7], v6, s4 src0_sel:BYTE_3 src1_sel:DWORD
	s_mov_b64 s[4:5], 0
                                        ; implicit-def: $sgpr10
	s_and_saveexec_b64 s[8:9], s[6:7]
	s_xor_b64 s[6:7], exec, s[8:9]
	s_cbranch_execnz .LBB11_2201
; %bb.153:
	s_or_saveexec_b64 s[6:7], s[6:7]
	v_mov_b32_e32 v12, s10
	s_xor_b64 exec, exec, s[6:7]
	s_cbranch_execnz .LBB11_2204
.LBB11_154:
	s_or_b64 exec, exec, s[6:7]
	s_and_saveexec_b64 s[6:7], s[4:5]
	s_cbranch_execz .LBB11_156
.LBB11_155:
	v_bfe_u32 v12, v6, 24, 3
	v_ffbh_u32_e32 v16, v12
	v_min_u32_e32 v16, 32, v16
	v_lshrrev_b32_e32 v14, 27, v6
	v_subrev_u32_e32 v17, 28, v16
	v_and_b32_e32 v13, 0x80000000, v6
	v_and_b32_e32 v14, 15, v14
	v_bfe_u32 v15, v6, 27, 4
	v_lshlrev_b32_sdwa v6, v17, v6 dst_sel:DWORD dst_unused:UNUSED_PAD src0_sel:DWORD src1_sel:BYTE_3
	v_sub_u32_e32 v16, 29, v16
	v_and_b32_e32 v6, 7, v6
	v_cmp_eq_u16_e32 vcc, 0, v14
	v_cndmask_b32_e32 v6, v12, v6, vcc
	v_cndmask_b32_e32 v12, v15, v16, vcc
	v_mov_b32_e32 v14, 0x3b800000
	v_lshlrev_b32_e32 v6, 20, v6
	v_lshl_add_u32 v12, v12, 23, v14
	v_or3_b32 v12, v13, v12, v6
.LBB11_156:
	s_or_b64 exec, exec, s[6:7]
	s_movk_i32 s4, 0x7f
	v_cmp_gt_i16_sdwa s[6:7], v2, s4 src0_sel:BYTE_3 src1_sel:DWORD
	s_mov_b64 s[4:5], 0
                                        ; implicit-def: $sgpr10
	s_and_saveexec_b64 s[8:9], s[6:7]
	s_xor_b64 s[6:7], exec, s[8:9]
	s_cbranch_execnz .LBB11_2205
; %bb.157:
	s_or_saveexec_b64 s[6:7], s[6:7]
	v_mov_b32_e32 v6, s10
	s_xor_b64 exec, exec, s[6:7]
	s_cbranch_execnz .LBB11_2208
.LBB11_158:
	s_or_b64 exec, exec, s[6:7]
	s_and_saveexec_b64 s[6:7], s[4:5]
	s_cbranch_execz .LBB11_160
.LBB11_159:
	v_bfe_u32 v6, v2, 24, 3
	v_ffbh_u32_e32 v16, v6
	v_min_u32_e32 v16, 32, v16
	v_lshrrev_b32_e32 v14, 27, v2
	v_subrev_u32_e32 v17, 28, v16
	v_and_b32_e32 v13, 0x80000000, v2
	v_and_b32_e32 v14, 15, v14
	v_bfe_u32 v15, v2, 27, 4
	v_lshlrev_b32_sdwa v2, v17, v2 dst_sel:DWORD dst_unused:UNUSED_PAD src0_sel:DWORD src1_sel:BYTE_3
	v_sub_u32_e32 v16, 29, v16
	v_and_b32_e32 v2, 7, v2
	v_cmp_eq_u16_e32 vcc, 0, v14
	v_cndmask_b32_e32 v2, v6, v2, vcc
	v_cndmask_b32_e32 v6, v15, v16, vcc
	v_mov_b32_e32 v14, 0x3b800000
	v_lshlrev_b32_e32 v2, 20, v2
	v_lshl_add_u32 v6, v6, 23, v14
	v_or3_b32 v6, v13, v6, v2
.LBB11_160:
	s_or_b64 exec, exec, s[6:7]
	s_nop 0
	v_mfma_f32_16x16x4f32 a[0:3], v12, v6, a[0:3]
	s_movk_i32 s4, 0x7f
	v_cmp_gt_i16_sdwa s[6:7], v7, s4 src0_sel:BYTE_0 src1_sel:DWORD
	s_mov_b64 s[4:5], 0
                                        ; implicit-def: $sgpr10
	s_and_saveexec_b64 s[8:9], s[6:7]
	s_xor_b64 s[6:7], exec, s[8:9]
	s_cbranch_execnz .LBB11_2209
; %bb.161:
	s_or_saveexec_b64 s[6:7], s[6:7]
	v_mov_b32_e32 v2, s10
	s_xor_b64 exec, exec, s[6:7]
	s_cbranch_execnz .LBB11_2212
.LBB11_162:
	s_or_b64 exec, exec, s[6:7]
	s_and_saveexec_b64 s[6:7], s[4:5]
	s_cbranch_execz .LBB11_164
.LBB11_163:
	v_and_b32_e32 v2, 7, v7
	v_ffbh_u32_e32 v12, v2
	v_min_u32_e32 v12, 32, v12
	v_lshrrev_b16_e32 v6, 3, v7
	v_subrev_u32_e32 v13, 28, v12
	v_and_b32_e32 v6, 15, v6
	v_lshlrev_b32_e32 v13, v13, v7
	v_sub_u32_e32 v12, 29, v12
	v_and_b32_e32 v13, 7, v13
	v_cmp_eq_u16_e32 vcc, 0, v6
	v_cndmask_b32_e32 v2, v2, v13, vcc
	v_cndmask_b32_e32 v6, v6, v12, vcc
	v_lshlrev_b32_e32 v12, 24, v7
	v_mov_b32_e32 v13, 0x3b800000
	v_lshlrev_b32_e32 v2, 20, v2
	v_and_b32_e32 v12, 0x80000000, v12
	v_lshl_add_u32 v6, v6, 23, v13
	v_or3_b32 v2, v12, v6, v2
.LBB11_164:
	s_or_b64 exec, exec, s[6:7]
	s_movk_i32 s4, 0x7f
	v_cmp_gt_i16_sdwa s[6:7], v3, s4 src0_sel:BYTE_0 src1_sel:DWORD
	s_mov_b64 s[4:5], 0
                                        ; implicit-def: $sgpr10
	s_and_saveexec_b64 s[8:9], s[6:7]
	s_xor_b64 s[6:7], exec, s[8:9]
	s_cbranch_execnz .LBB11_2213
; %bb.165:
	s_or_saveexec_b64 s[6:7], s[6:7]
	v_mov_b32_e32 v6, s10
	s_xor_b64 exec, exec, s[6:7]
	s_cbranch_execnz .LBB11_2216
.LBB11_166:
	s_or_b64 exec, exec, s[6:7]
	s_and_saveexec_b64 s[6:7], s[4:5]
	s_cbranch_execz .LBB11_168
.LBB11_167:
	v_and_b32_e32 v6, 7, v3
	v_ffbh_u32_e32 v13, v6
	v_min_u32_e32 v13, 32, v13
	v_lshrrev_b16_e32 v12, 3, v3
	v_subrev_u32_e32 v14, 28, v13
	v_and_b32_e32 v12, 15, v12
	v_lshlrev_b32_e32 v14, v14, v3
	v_sub_u32_e32 v13, 29, v13
	v_and_b32_e32 v14, 7, v14
	v_cmp_eq_u16_e32 vcc, 0, v12
	v_cndmask_b32_e32 v6, v6, v14, vcc
	v_cndmask_b32_e32 v12, v12, v13, vcc
	v_lshlrev_b32_e32 v13, 24, v3
	v_mov_b32_e32 v14, 0x3b800000
	v_lshlrev_b32_e32 v6, 20, v6
	v_and_b32_e32 v13, 0x80000000, v13
	v_lshl_add_u32 v12, v12, 23, v14
	v_or3_b32 v6, v13, v12, v6
.LBB11_168:
	s_or_b64 exec, exec, s[6:7]
	s_nop 0
	v_mfma_f32_16x16x4f32 a[0:3], v2, v6, a[0:3]
	v_lshrrev_b32_e32 v6, 8, v7
	s_movk_i32 s4, 0x7f
	v_cmp_gt_i16_sdwa s[6:7], v6, s4 src0_sel:BYTE_0 src1_sel:DWORD
	s_mov_b64 s[4:5], 0
                                        ; implicit-def: $sgpr10
	s_and_saveexec_b64 s[8:9], s[6:7]
	s_xor_b64 s[6:7], exec, s[8:9]
	s_cbranch_execnz .LBB11_2217
; %bb.169:
	s_or_saveexec_b64 s[6:7], s[6:7]
	v_mov_b32_e32 v2, s10
	s_xor_b64 exec, exec, s[6:7]
	s_cbranch_execnz .LBB11_2220
.LBB11_170:
	s_or_b64 exec, exec, s[6:7]
	s_and_saveexec_b64 s[6:7], s[4:5]
	s_cbranch_execz .LBB11_172
.LBB11_171:
	v_bfe_u32 v2, v7, 8, 3
	v_ffbh_u32_e32 v13, v2
	v_min_u32_e32 v13, 32, v13
	v_lshrrev_b16_e32 v12, 3, v6
	v_subrev_u32_e32 v14, 28, v13
	v_and_b32_e32 v12, 15, v12
	v_lshlrev_b32_e32 v6, v14, v6
	v_sub_u32_e32 v13, 29, v13
	v_and_b32_e32 v6, 7, v6
	v_cmp_eq_u16_e32 vcc, 0, v12
	v_cndmask_b32_e32 v2, v2, v6, vcc
	v_cndmask_b32_e32 v6, v12, v13, vcc
	v_lshlrev_b32_e32 v12, 16, v7
	v_mov_b32_e32 v13, 0x3b800000
	v_lshlrev_b32_e32 v2, 20, v2
	v_and_b32_e32 v12, 0x80000000, v12
	v_lshl_add_u32 v6, v6, 23, v13
	v_or3_b32 v2, v12, v6, v2
.LBB11_172:
	s_or_b64 exec, exec, s[6:7]
	v_lshrrev_b32_e32 v6, 8, v3
	s_movk_i32 s4, 0x7f
	v_cmp_gt_i16_sdwa s[6:7], v6, s4 src0_sel:BYTE_0 src1_sel:DWORD
	s_mov_b64 s[4:5], 0
                                        ; implicit-def: $sgpr10
	s_and_saveexec_b64 s[8:9], s[6:7]
	s_xor_b64 s[6:7], exec, s[8:9]
	s_cbranch_execnz .LBB11_2221
; %bb.173:
	s_or_saveexec_b64 s[6:7], s[6:7]
	v_mov_b32_e32 v12, s10
	s_xor_b64 exec, exec, s[6:7]
	s_cbranch_execnz .LBB11_2224
.LBB11_174:
	s_or_b64 exec, exec, s[6:7]
	s_and_saveexec_b64 s[6:7], s[4:5]
	s_cbranch_execz .LBB11_176
.LBB11_175:
	v_bfe_u32 v12, v3, 8, 3
	v_ffbh_u32_e32 v14, v12
	v_min_u32_e32 v14, 32, v14
	v_lshrrev_b16_e32 v13, 3, v6
	v_subrev_u32_e32 v15, 28, v14
	v_and_b32_e32 v13, 15, v13
	v_lshlrev_b32_e32 v6, v15, v6
	v_sub_u32_e32 v14, 29, v14
	v_and_b32_e32 v6, 7, v6
	v_cmp_eq_u16_e32 vcc, 0, v13
	v_cndmask_b32_e32 v6, v12, v6, vcc
	v_cndmask_b32_e32 v12, v13, v14, vcc
	v_lshlrev_b32_e32 v13, 16, v3
	v_mov_b32_e32 v14, 0x3b800000
	v_lshlrev_b32_e32 v6, 20, v6
	v_and_b32_e32 v13, 0x80000000, v13
	v_lshl_add_u32 v12, v12, 23, v14
	v_or3_b32 v12, v13, v12, v6
.LBB11_176:
	s_or_b64 exec, exec, s[6:7]
	s_nop 0
	v_mfma_f32_16x16x4f32 a[0:3], v2, v12, a[0:3]
	s_movk_i32 s4, 0xff
	v_and_b32_sdwa v6, v7, s4 dst_sel:DWORD dst_unused:UNUSED_PAD src0_sel:WORD_1 src1_sel:DWORD
	s_movk_i32 s4, 0x7f
	v_cmp_lt_i16_e32 vcc, s4, v6
	s_mov_b64 s[4:5], 0
                                        ; implicit-def: $sgpr10
	s_and_saveexec_b64 s[6:7], vcc
	s_xor_b64 s[6:7], exec, s[6:7]
	s_cbranch_execnz .LBB11_2225
; %bb.177:
	s_or_saveexec_b64 s[6:7], s[6:7]
	v_mov_b32_e32 v2, s10
	s_xor_b64 exec, exec, s[6:7]
	s_cbranch_execnz .LBB11_2228
.LBB11_178:
	s_or_b64 exec, exec, s[6:7]
	s_and_saveexec_b64 s[6:7], s[4:5]
	s_cbranch_execz .LBB11_180
.LBB11_179:
	v_bfe_u32 v2, v7, 16, 3
	v_ffbh_u32_e32 v13, v2
	v_min_u32_e32 v13, 32, v13
	v_lshrrev_b32_e32 v6, 19, v7
	v_subrev_u32_e32 v14, 28, v13
	v_and_b32_e32 v6, 15, v6
	v_lshlrev_b32_sdwa v14, v14, v7 dst_sel:DWORD dst_unused:UNUSED_PAD src0_sel:DWORD src1_sel:WORD_1
	v_bfe_u32 v12, v7, 19, 4
	v_sub_u32_e32 v13, 29, v13
	v_and_b32_e32 v14, 7, v14
	v_cmp_eq_u16_e32 vcc, 0, v6
	v_cndmask_b32_e32 v2, v2, v14, vcc
	v_cndmask_b32_e32 v6, v12, v13, vcc
	v_lshlrev_b32_e32 v12, 8, v7
	v_mov_b32_e32 v13, 0x3b800000
	v_lshlrev_b32_e32 v2, 20, v2
	v_and_b32_e32 v12, 0x80000000, v12
	v_lshl_add_u32 v6, v6, 23, v13
	v_or3_b32 v2, v12, v6, v2
.LBB11_180:
	s_or_b64 exec, exec, s[6:7]
	s_movk_i32 s4, 0xff
	v_and_b32_sdwa v6, v3, s4 dst_sel:DWORD dst_unused:UNUSED_PAD src0_sel:WORD_1 src1_sel:DWORD
	s_movk_i32 s4, 0x7f
	v_cmp_lt_i16_e32 vcc, s4, v6
	s_mov_b64 s[4:5], 0
                                        ; implicit-def: $sgpr10
	s_and_saveexec_b64 s[6:7], vcc
	s_xor_b64 s[6:7], exec, s[6:7]
	s_cbranch_execnz .LBB11_2229
; %bb.181:
	s_or_saveexec_b64 s[6:7], s[6:7]
	v_mov_b32_e32 v12, s10
	s_xor_b64 exec, exec, s[6:7]
	s_cbranch_execnz .LBB11_2232
.LBB11_182:
	s_or_b64 exec, exec, s[6:7]
	s_and_saveexec_b64 s[6:7], s[4:5]
	s_cbranch_execz .LBB11_184
.LBB11_183:
	v_bfe_u32 v6, v3, 16, 3
	v_ffbh_u32_e32 v14, v6
	v_min_u32_e32 v14, 32, v14
	v_lshrrev_b32_e32 v12, 19, v3
	v_subrev_u32_e32 v15, 28, v14
	v_and_b32_e32 v12, 15, v12
	v_lshlrev_b32_sdwa v15, v15, v3 dst_sel:DWORD dst_unused:UNUSED_PAD src0_sel:DWORD src1_sel:WORD_1
	v_bfe_u32 v13, v3, 19, 4
	v_sub_u32_e32 v14, 29, v14
	v_and_b32_e32 v15, 7, v15
	v_cmp_eq_u16_e32 vcc, 0, v12
	v_cndmask_b32_e32 v6, v6, v15, vcc
	v_cndmask_b32_e32 v12, v13, v14, vcc
	v_lshlrev_b32_e32 v13, 8, v3
	v_mov_b32_e32 v14, 0x3b800000
	v_lshlrev_b32_e32 v6, 20, v6
	v_and_b32_e32 v13, 0x80000000, v13
	v_lshl_add_u32 v12, v12, 23, v14
	v_or3_b32 v12, v13, v12, v6
.LBB11_184:
	s_or_b64 exec, exec, s[6:7]
	s_nop 0
	v_mfma_f32_16x16x4f32 a[0:3], v2, v12, a[0:3]
	s_movk_i32 s4, 0x7f
	v_cmp_gt_i16_sdwa s[6:7], v7, s4 src0_sel:BYTE_3 src1_sel:DWORD
	s_mov_b64 s[4:5], 0
                                        ; implicit-def: $sgpr10
	s_and_saveexec_b64 s[8:9], s[6:7]
	s_xor_b64 s[6:7], exec, s[8:9]
	s_cbranch_execnz .LBB11_2233
; %bb.185:
	s_or_saveexec_b64 s[6:7], s[6:7]
	v_mov_b32_e32 v2, s10
	s_xor_b64 exec, exec, s[6:7]
	s_cbranch_execnz .LBB11_2236
.LBB11_186:
	s_or_b64 exec, exec, s[6:7]
	s_and_saveexec_b64 s[6:7], s[4:5]
	s_cbranch_execz .LBB11_188
.LBB11_187:
	v_bfe_u32 v2, v7, 24, 3
	v_ffbh_u32_e32 v14, v2
	v_min_u32_e32 v14, 32, v14
	v_lshrrev_b32_e32 v12, 27, v7
	v_subrev_u32_e32 v15, 28, v14
	v_and_b32_e32 v6, 0x80000000, v7
	v_and_b32_e32 v12, 15, v12
	v_bfe_u32 v13, v7, 27, 4
	v_lshlrev_b32_sdwa v7, v15, v7 dst_sel:DWORD dst_unused:UNUSED_PAD src0_sel:DWORD src1_sel:BYTE_3
	v_sub_u32_e32 v14, 29, v14
	v_and_b32_e32 v7, 7, v7
	v_cmp_eq_u16_e32 vcc, 0, v12
	v_cndmask_b32_e32 v2, v2, v7, vcc
	v_cndmask_b32_e32 v7, v13, v14, vcc
	v_mov_b32_e32 v12, 0x3b800000
	v_lshlrev_b32_e32 v2, 20, v2
	v_lshl_add_u32 v7, v7, 23, v12
	v_or3_b32 v2, v6, v7, v2
.LBB11_188:
	s_or_b64 exec, exec, s[6:7]
	s_movk_i32 s4, 0x7f
	v_cmp_gt_i16_sdwa s[6:7], v3, s4 src0_sel:BYTE_3 src1_sel:DWORD
	s_mov_b64 s[4:5], 0
                                        ; implicit-def: $sgpr10
	s_and_saveexec_b64 s[8:9], s[6:7]
	s_xor_b64 s[6:7], exec, s[8:9]
	s_cbranch_execnz .LBB11_2237
; %bb.189:
	s_or_saveexec_b64 s[6:7], s[6:7]
	v_mov_b32_e32 v6, s10
	s_xor_b64 exec, exec, s[6:7]
	s_cbranch_execnz .LBB11_2240
.LBB11_190:
	s_or_b64 exec, exec, s[6:7]
	s_and_saveexec_b64 s[6:7], s[4:5]
	s_cbranch_execz .LBB11_192
.LBB11_191:
	v_bfe_u32 v6, v3, 24, 3
	v_ffbh_u32_e32 v14, v6
	v_min_u32_e32 v14, 32, v14
	v_lshrrev_b32_e32 v12, 27, v3
	v_subrev_u32_e32 v15, 28, v14
	v_and_b32_e32 v7, 0x80000000, v3
	v_and_b32_e32 v12, 15, v12
	v_bfe_u32 v13, v3, 27, 4
	v_lshlrev_b32_sdwa v3, v15, v3 dst_sel:DWORD dst_unused:UNUSED_PAD src0_sel:DWORD src1_sel:BYTE_3
	v_sub_u32_e32 v14, 29, v14
	v_and_b32_e32 v3, 7, v3
	v_cmp_eq_u16_e32 vcc, 0, v12
	v_cndmask_b32_e32 v3, v6, v3, vcc
	v_cndmask_b32_e32 v6, v13, v14, vcc
	v_mov_b32_e32 v12, 0x3b800000
	v_lshlrev_b32_e32 v3, 20, v3
	v_lshl_add_u32 v6, v6, 23, v12
	v_or3_b32 v6, v7, v6, v3
.LBB11_192:
	s_or_b64 exec, exec, s[6:7]
	s_nop 0
	v_mfma_f32_16x16x4f32 a[0:3], v2, v6, a[0:3]
	s_movk_i32 s4, 0x7f
	v_cmp_gt_i16_sdwa s[6:7], v8, s4 src0_sel:BYTE_0 src1_sel:DWORD
	s_mov_b64 s[4:5], 0
                                        ; implicit-def: $sgpr10
	s_and_saveexec_b64 s[8:9], s[6:7]
	s_xor_b64 s[6:7], exec, s[8:9]
	s_cbranch_execnz .LBB11_2241
; %bb.193:
	s_or_saveexec_b64 s[6:7], s[6:7]
	v_mov_b32_e32 v2, s10
	s_xor_b64 exec, exec, s[6:7]
	s_cbranch_execnz .LBB11_2244
.LBB11_194:
	s_or_b64 exec, exec, s[6:7]
	s_and_saveexec_b64 s[6:7], s[4:5]
	s_cbranch_execz .LBB11_196
.LBB11_195:
	v_and_b32_e32 v2, 7, v8
	v_ffbh_u32_e32 v6, v2
	v_min_u32_e32 v6, 32, v6
	v_lshrrev_b16_e32 v3, 3, v8
	v_subrev_u32_e32 v7, 28, v6
	v_and_b32_e32 v3, 15, v3
	v_lshlrev_b32_e32 v7, v7, v8
	v_sub_u32_e32 v6, 29, v6
	v_and_b32_e32 v7, 7, v7
	v_cmp_eq_u16_e32 vcc, 0, v3
	v_cndmask_b32_e32 v2, v2, v7, vcc
	v_cndmask_b32_e32 v3, v3, v6, vcc
	v_lshlrev_b32_e32 v6, 24, v8
	v_mov_b32_e32 v7, 0x3b800000
	v_lshlrev_b32_e32 v2, 20, v2
	v_and_b32_e32 v6, 0x80000000, v6
	v_lshl_add_u32 v3, v3, 23, v7
	v_or3_b32 v2, v6, v3, v2
.LBB11_196:
	s_or_b64 exec, exec, s[6:7]
	s_movk_i32 s4, 0x7f
	v_cmp_gt_i16_sdwa s[6:7], v4, s4 src0_sel:BYTE_0 src1_sel:DWORD
	s_mov_b64 s[4:5], 0
                                        ; implicit-def: $sgpr10
	s_and_saveexec_b64 s[8:9], s[6:7]
	s_xor_b64 s[6:7], exec, s[8:9]
	s_cbranch_execnz .LBB11_2245
; %bb.197:
	s_or_saveexec_b64 s[6:7], s[6:7]
	v_mov_b32_e32 v3, s10
	s_xor_b64 exec, exec, s[6:7]
	s_cbranch_execnz .LBB11_2248
.LBB11_198:
	s_or_b64 exec, exec, s[6:7]
	s_and_saveexec_b64 s[6:7], s[4:5]
	s_cbranch_execz .LBB11_200
.LBB11_199:
	v_and_b32_e32 v3, 7, v4
	v_ffbh_u32_e32 v7, v3
	v_min_u32_e32 v7, 32, v7
	v_lshrrev_b16_e32 v6, 3, v4
	v_subrev_u32_e32 v12, 28, v7
	v_and_b32_e32 v6, 15, v6
	v_lshlrev_b32_e32 v12, v12, v4
	v_sub_u32_e32 v7, 29, v7
	v_and_b32_e32 v12, 7, v12
	v_cmp_eq_u16_e32 vcc, 0, v6
	v_cndmask_b32_e32 v3, v3, v12, vcc
	v_cndmask_b32_e32 v6, v6, v7, vcc
	v_lshlrev_b32_e32 v7, 24, v4
	v_mov_b32_e32 v12, 0x3b800000
	v_lshlrev_b32_e32 v3, 20, v3
	v_and_b32_e32 v7, 0x80000000, v7
	v_lshl_add_u32 v6, v6, 23, v12
	v_or3_b32 v3, v7, v6, v3
.LBB11_200:
	s_or_b64 exec, exec, s[6:7]
	s_nop 0
	v_mfma_f32_16x16x4f32 a[0:3], v2, v3, a[0:3]
	v_lshrrev_b32_e32 v3, 8, v8
	s_movk_i32 s4, 0x7f
	v_cmp_gt_i16_sdwa s[6:7], v3, s4 src0_sel:BYTE_0 src1_sel:DWORD
	s_mov_b64 s[4:5], 0
                                        ; implicit-def: $sgpr10
	s_and_saveexec_b64 s[8:9], s[6:7]
	s_xor_b64 s[6:7], exec, s[8:9]
	s_cbranch_execnz .LBB11_2249
; %bb.201:
	s_or_saveexec_b64 s[6:7], s[6:7]
	v_mov_b32_e32 v2, s10
	s_xor_b64 exec, exec, s[6:7]
	s_cbranch_execnz .LBB11_2252
.LBB11_202:
	s_or_b64 exec, exec, s[6:7]
	s_and_saveexec_b64 s[6:7], s[4:5]
	s_cbranch_execz .LBB11_204
.LBB11_203:
	v_bfe_u32 v2, v8, 8, 3
	v_ffbh_u32_e32 v7, v2
	v_min_u32_e32 v7, 32, v7
	v_lshrrev_b16_e32 v6, 3, v3
	v_subrev_u32_e32 v12, 28, v7
	v_and_b32_e32 v6, 15, v6
	v_lshlrev_b32_e32 v3, v12, v3
	v_sub_u32_e32 v7, 29, v7
	v_and_b32_e32 v3, 7, v3
	v_cmp_eq_u16_e32 vcc, 0, v6
	v_cndmask_b32_e32 v2, v2, v3, vcc
	v_cndmask_b32_e32 v3, v6, v7, vcc
	v_lshlrev_b32_e32 v6, 16, v8
	v_mov_b32_e32 v7, 0x3b800000
	v_lshlrev_b32_e32 v2, 20, v2
	v_and_b32_e32 v6, 0x80000000, v6
	v_lshl_add_u32 v3, v3, 23, v7
	v_or3_b32 v2, v6, v3, v2
.LBB11_204:
	s_or_b64 exec, exec, s[6:7]
	v_lshrrev_b32_e32 v3, 8, v4
	s_movk_i32 s4, 0x7f
	v_cmp_gt_i16_sdwa s[6:7], v3, s4 src0_sel:BYTE_0 src1_sel:DWORD
	s_mov_b64 s[4:5], 0
                                        ; implicit-def: $sgpr10
	s_and_saveexec_b64 s[8:9], s[6:7]
	s_xor_b64 s[6:7], exec, s[8:9]
	s_cbranch_execnz .LBB11_2253
; %bb.205:
	s_or_saveexec_b64 s[6:7], s[6:7]
	v_mov_b32_e32 v6, s10
	s_xor_b64 exec, exec, s[6:7]
	s_cbranch_execnz .LBB11_2256
.LBB11_206:
	s_or_b64 exec, exec, s[6:7]
	s_and_saveexec_b64 s[6:7], s[4:5]
	s_cbranch_execz .LBB11_208
.LBB11_207:
	v_bfe_u32 v6, v4, 8, 3
	v_ffbh_u32_e32 v12, v6
	v_min_u32_e32 v12, 32, v12
	v_lshrrev_b16_e32 v7, 3, v3
	v_subrev_u32_e32 v13, 28, v12
	v_and_b32_e32 v7, 15, v7
	v_lshlrev_b32_e32 v3, v13, v3
	v_sub_u32_e32 v12, 29, v12
	v_and_b32_e32 v3, 7, v3
	v_cmp_eq_u16_e32 vcc, 0, v7
	v_cndmask_b32_e32 v3, v6, v3, vcc
	v_cndmask_b32_e32 v6, v7, v12, vcc
	v_lshlrev_b32_e32 v7, 16, v4
	v_mov_b32_e32 v12, 0x3b800000
	v_lshlrev_b32_e32 v3, 20, v3
	v_and_b32_e32 v7, 0x80000000, v7
	v_lshl_add_u32 v6, v6, 23, v12
	v_or3_b32 v6, v7, v6, v3
.LBB11_208:
	s_or_b64 exec, exec, s[6:7]
	s_nop 0
	v_mfma_f32_16x16x4f32 a[0:3], v2, v6, a[0:3]
	s_movk_i32 s4, 0xff
	v_and_b32_sdwa v3, v8, s4 dst_sel:DWORD dst_unused:UNUSED_PAD src0_sel:WORD_1 src1_sel:DWORD
	s_movk_i32 s4, 0x7f
	v_cmp_lt_i16_e32 vcc, s4, v3
	s_mov_b64 s[4:5], 0
                                        ; implicit-def: $sgpr10
	s_and_saveexec_b64 s[6:7], vcc
	s_xor_b64 s[6:7], exec, s[6:7]
	s_cbranch_execnz .LBB11_2257
; %bb.209:
	s_or_saveexec_b64 s[6:7], s[6:7]
	v_mov_b32_e32 v2, s10
	s_xor_b64 exec, exec, s[6:7]
	s_cbranch_execnz .LBB11_2260
.LBB11_210:
	s_or_b64 exec, exec, s[6:7]
	s_and_saveexec_b64 s[6:7], s[4:5]
	s_cbranch_execz .LBB11_212
.LBB11_211:
	v_bfe_u32 v2, v8, 16, 3
	v_ffbh_u32_e32 v7, v2
	v_min_u32_e32 v7, 32, v7
	v_lshrrev_b32_e32 v3, 19, v8
	v_subrev_u32_e32 v12, 28, v7
	v_and_b32_e32 v3, 15, v3
	v_lshlrev_b32_sdwa v12, v12, v8 dst_sel:DWORD dst_unused:UNUSED_PAD src0_sel:DWORD src1_sel:WORD_1
	v_bfe_u32 v6, v8, 19, 4
	v_sub_u32_e32 v7, 29, v7
	v_and_b32_e32 v12, 7, v12
	v_cmp_eq_u16_e32 vcc, 0, v3
	v_cndmask_b32_e32 v2, v2, v12, vcc
	v_cndmask_b32_e32 v3, v6, v7, vcc
	v_lshlrev_b32_e32 v6, 8, v8
	v_mov_b32_e32 v7, 0x3b800000
	v_lshlrev_b32_e32 v2, 20, v2
	v_and_b32_e32 v6, 0x80000000, v6
	v_lshl_add_u32 v3, v3, 23, v7
	v_or3_b32 v2, v6, v3, v2
.LBB11_212:
	s_or_b64 exec, exec, s[6:7]
	s_movk_i32 s4, 0xff
	v_and_b32_sdwa v3, v4, s4 dst_sel:DWORD dst_unused:UNUSED_PAD src0_sel:WORD_1 src1_sel:DWORD
	s_movk_i32 s4, 0x7f
	v_cmp_lt_i16_e32 vcc, s4, v3
	s_mov_b64 s[4:5], 0
                                        ; implicit-def: $sgpr10
	s_and_saveexec_b64 s[6:7], vcc
	s_xor_b64 s[6:7], exec, s[6:7]
	s_cbranch_execnz .LBB11_2261
; %bb.213:
	s_or_saveexec_b64 s[6:7], s[6:7]
	v_mov_b32_e32 v6, s10
	s_xor_b64 exec, exec, s[6:7]
	s_cbranch_execnz .LBB11_2264
.LBB11_214:
	s_or_b64 exec, exec, s[6:7]
	s_and_saveexec_b64 s[6:7], s[4:5]
	s_cbranch_execz .LBB11_216
.LBB11_215:
	v_bfe_u32 v3, v4, 16, 3
	v_ffbh_u32_e32 v12, v3
	v_min_u32_e32 v12, 32, v12
	v_lshrrev_b32_e32 v6, 19, v4
	v_subrev_u32_e32 v13, 28, v12
	v_and_b32_e32 v6, 15, v6
	v_lshlrev_b32_sdwa v13, v13, v4 dst_sel:DWORD dst_unused:UNUSED_PAD src0_sel:DWORD src1_sel:WORD_1
	v_bfe_u32 v7, v4, 19, 4
	v_sub_u32_e32 v12, 29, v12
	v_and_b32_e32 v13, 7, v13
	v_cmp_eq_u16_e32 vcc, 0, v6
	v_cndmask_b32_e32 v3, v3, v13, vcc
	v_cndmask_b32_e32 v6, v7, v12, vcc
	v_lshlrev_b32_e32 v7, 8, v4
	v_mov_b32_e32 v12, 0x3b800000
	v_lshlrev_b32_e32 v3, 20, v3
	v_and_b32_e32 v7, 0x80000000, v7
	v_lshl_add_u32 v6, v6, 23, v12
	v_or3_b32 v6, v7, v6, v3
.LBB11_216:
	s_or_b64 exec, exec, s[6:7]
	s_nop 0
	v_mfma_f32_16x16x4f32 a[0:3], v2, v6, a[0:3]
	s_movk_i32 s4, 0x7f
	v_cmp_gt_i16_sdwa s[6:7], v8, s4 src0_sel:BYTE_3 src1_sel:DWORD
	s_mov_b64 s[4:5], 0
                                        ; implicit-def: $sgpr10
	s_and_saveexec_b64 s[8:9], s[6:7]
	s_xor_b64 s[6:7], exec, s[8:9]
	s_cbranch_execnz .LBB11_2265
; %bb.217:
	s_or_saveexec_b64 s[6:7], s[6:7]
	v_mov_b32_e32 v2, s10
	s_xor_b64 exec, exec, s[6:7]
	s_cbranch_execnz .LBB11_2268
.LBB11_218:
	s_or_b64 exec, exec, s[6:7]
	s_and_saveexec_b64 s[6:7], s[4:5]
	s_cbranch_execz .LBB11_220
.LBB11_219:
	v_bfe_u32 v2, v8, 24, 3
	v_ffbh_u32_e32 v12, v2
	v_min_u32_e32 v12, 32, v12
	v_lshrrev_b32_e32 v6, 27, v8
	v_subrev_u32_e32 v13, 28, v12
	v_and_b32_e32 v3, 0x80000000, v8
	v_and_b32_e32 v6, 15, v6
	v_bfe_u32 v7, v8, 27, 4
	v_lshlrev_b32_sdwa v8, v13, v8 dst_sel:DWORD dst_unused:UNUSED_PAD src0_sel:DWORD src1_sel:BYTE_3
	v_sub_u32_e32 v12, 29, v12
	v_and_b32_e32 v8, 7, v8
	v_cmp_eq_u16_e32 vcc, 0, v6
	v_cndmask_b32_e32 v2, v2, v8, vcc
	v_cndmask_b32_e32 v6, v7, v12, vcc
	v_mov_b32_e32 v7, 0x3b800000
	v_lshlrev_b32_e32 v2, 20, v2
	v_lshl_add_u32 v6, v6, 23, v7
	v_or3_b32 v2, v3, v6, v2
.LBB11_220:
	s_or_b64 exec, exec, s[6:7]
	s_movk_i32 s4, 0x7f
	v_cmp_gt_i16_sdwa s[6:7], v4, s4 src0_sel:BYTE_3 src1_sel:DWORD
	s_mov_b64 s[4:5], 0
                                        ; implicit-def: $sgpr10
	s_and_saveexec_b64 s[8:9], s[6:7]
	s_xor_b64 s[6:7], exec, s[8:9]
	s_cbranch_execnz .LBB11_2269
; %bb.221:
	s_or_saveexec_b64 s[6:7], s[6:7]
	v_mov_b32_e32 v3, s10
	s_xor_b64 exec, exec, s[6:7]
	s_cbranch_execnz .LBB11_2272
.LBB11_222:
	s_or_b64 exec, exec, s[6:7]
	s_and_saveexec_b64 s[6:7], s[4:5]
	s_cbranch_execz .LBB11_224
.LBB11_223:
	v_bfe_u32 v3, v4, 24, 3
	v_ffbh_u32_e32 v12, v3
	v_min_u32_e32 v12, 32, v12
	v_lshrrev_b32_e32 v7, 27, v4
	v_subrev_u32_e32 v13, 28, v12
	v_and_b32_e32 v6, 0x80000000, v4
	v_and_b32_e32 v7, 15, v7
	v_bfe_u32 v8, v4, 27, 4
	v_lshlrev_b32_sdwa v4, v13, v4 dst_sel:DWORD dst_unused:UNUSED_PAD src0_sel:DWORD src1_sel:BYTE_3
	v_sub_u32_e32 v12, 29, v12
	v_and_b32_e32 v4, 7, v4
	v_cmp_eq_u16_e32 vcc, 0, v7
	v_cndmask_b32_e32 v3, v3, v4, vcc
	v_cndmask_b32_e32 v4, v8, v12, vcc
	v_mov_b32_e32 v7, 0x3b800000
	v_lshlrev_b32_e32 v3, 20, v3
	v_lshl_add_u32 v4, v4, 23, v7
	v_or3_b32 v3, v6, v4, v3
.LBB11_224:
	s_or_b64 exec, exec, s[6:7]
	s_nop 0
	v_mfma_f32_16x16x4f32 a[0:3], v2, v3, a[0:3]
	s_movk_i32 s4, 0x7f
	v_cmp_gt_i16_sdwa s[6:7], v9, s4 src0_sel:BYTE_0 src1_sel:DWORD
	s_mov_b64 s[4:5], 0
                                        ; implicit-def: $sgpr10
	s_and_saveexec_b64 s[8:9], s[6:7]
	s_xor_b64 s[6:7], exec, s[8:9]
	s_cbranch_execnz .LBB11_2273
; %bb.225:
	s_or_saveexec_b64 s[6:7], s[6:7]
	v_mov_b32_e32 v2, s10
	s_xor_b64 exec, exec, s[6:7]
	s_cbranch_execnz .LBB11_2276
.LBB11_226:
	s_or_b64 exec, exec, s[6:7]
	s_and_saveexec_b64 s[6:7], s[4:5]
	s_cbranch_execz .LBB11_228
.LBB11_227:
	v_mov_b32_e32 v2, 8
	v_and_b32_e32 v3, 7, v9
	v_lshrrev_b32_sdwa v2, v2, v9 dst_sel:BYTE_1 dst_unused:UNUSED_PAD src0_sel:DWORD src1_sel:DWORD
	v_ffbh_u32_e32 v4, v3
	v_or_b32_sdwa v2, v9, v2 dst_sel:DWORD dst_unused:UNUSED_PAD src0_sel:BYTE_0 src1_sel:DWORD
	v_min_u32_e32 v4, 32, v4
	v_lshrrev_b16_e32 v2, 3, v2
	v_subrev_u32_e32 v6, 28, v4
	v_and_b32_e32 v2, 15, v2
	v_lshlrev_b32_e32 v6, v6, v9
	v_sub_u32_e32 v4, 29, v4
	v_and_b32_e32 v6, 7, v6
	v_cmp_eq_u16_e32 vcc, 0, v2
	v_cndmask_b32_e32 v3, v3, v6, vcc
	v_cndmask_b32_e32 v2, v2, v4, vcc
	v_lshlrev_b32_e32 v4, 24, v9
	v_mov_b32_e32 v6, 0x3b800000
	v_lshlrev_b32_e32 v3, 20, v3
	v_and_b32_e32 v4, 0x80000000, v4
	v_lshl_add_u32 v2, v2, 23, v6
	v_or3_b32 v2, v4, v2, v3
.LBB11_228:
	s_or_b64 exec, exec, s[6:7]
	s_movk_i32 s4, 0x7f
	v_cmp_gt_i16_sdwa s[6:7], v5, s4 src0_sel:BYTE_0 src1_sel:DWORD
	s_mov_b64 s[4:5], 0
                                        ; implicit-def: $sgpr10
	s_and_saveexec_b64 s[8:9], s[6:7]
	s_xor_b64 s[6:7], exec, s[8:9]
	s_cbranch_execnz .LBB11_2277
; %bb.229:
	s_or_saveexec_b64 s[6:7], s[6:7]
	v_mov_b32_e32 v3, s10
	s_xor_b64 exec, exec, s[6:7]
	s_cbranch_execnz .LBB11_2280
.LBB11_230:
	s_or_b64 exec, exec, s[6:7]
	s_and_saveexec_b64 s[6:7], s[4:5]
	s_cbranch_execz .LBB11_232
.LBB11_231:
	v_mov_b32_e32 v3, 8
	v_and_b32_e32 v4, 7, v5
	v_lshrrev_b32_sdwa v3, v3, v5 dst_sel:BYTE_1 dst_unused:UNUSED_PAD src0_sel:DWORD src1_sel:DWORD
	v_ffbh_u32_e32 v6, v4
	v_or_b32_sdwa v3, v5, v3 dst_sel:DWORD dst_unused:UNUSED_PAD src0_sel:BYTE_0 src1_sel:DWORD
	v_min_u32_e32 v6, 32, v6
	v_lshrrev_b16_e32 v3, 3, v3
	v_subrev_u32_e32 v7, 28, v6
	v_and_b32_e32 v3, 15, v3
	v_lshlrev_b32_e32 v7, v7, v5
	v_sub_u32_e32 v6, 29, v6
	v_and_b32_e32 v7, 7, v7
	v_cmp_eq_u16_e32 vcc, 0, v3
	v_cndmask_b32_e32 v4, v4, v7, vcc
	v_cndmask_b32_e32 v3, v3, v6, vcc
	v_lshlrev_b32_e32 v6, 24, v5
	v_mov_b32_e32 v7, 0x3b800000
	v_lshlrev_b32_e32 v4, 20, v4
	v_and_b32_e32 v6, 0x80000000, v6
	v_lshl_add_u32 v3, v3, 23, v7
	v_or3_b32 v3, v6, v3, v4
.LBB11_232:
	s_or_b64 exec, exec, s[6:7]
	s_nop 0
	v_mfma_f32_16x16x4f32 a[0:3], v2, v3, a[0:3]
	v_lshrrev_b32_e32 v3, 8, v9
	s_movk_i32 s4, 0x7f
	v_cmp_gt_i16_sdwa s[6:7], v3, s4 src0_sel:BYTE_0 src1_sel:DWORD
	s_mov_b64 s[4:5], 0
                                        ; implicit-def: $sgpr10
	s_and_saveexec_b64 s[8:9], s[6:7]
	s_xor_b64 s[6:7], exec, s[8:9]
	s_cbranch_execnz .LBB11_2281
; %bb.233:
	s_or_saveexec_b64 s[6:7], s[6:7]
	v_mov_b32_e32 v2, s10
	s_xor_b64 exec, exec, s[6:7]
	s_cbranch_execnz .LBB11_2284
.LBB11_234:
	s_or_b64 exec, exec, s[6:7]
	s_and_saveexec_b64 s[6:7], s[4:5]
	s_cbranch_execz .LBB11_236
.LBB11_235:
	v_bfe_u32 v2, v9, 8, 3
	v_ffbh_u32_e32 v6, v2
	v_min_u32_e32 v6, 32, v6
	v_lshrrev_b16_e32 v4, 3, v3
	v_subrev_u32_e32 v7, 28, v6
	v_and_b32_e32 v4, 15, v4
	v_lshlrev_b32_e32 v3, v7, v3
	v_sub_u32_e32 v6, 29, v6
	v_and_b32_e32 v3, 7, v3
	v_cmp_eq_u16_e32 vcc, 0, v4
	v_cndmask_b32_e32 v2, v2, v3, vcc
	v_cndmask_b32_e32 v3, v4, v6, vcc
	v_lshlrev_b32_e32 v4, 16, v9
	v_mov_b32_e32 v6, 0x3b800000
	v_lshlrev_b32_e32 v2, 20, v2
	v_and_b32_e32 v4, 0x80000000, v4
	v_lshl_add_u32 v3, v3, 23, v6
	v_or3_b32 v2, v4, v3, v2
.LBB11_236:
	s_or_b64 exec, exec, s[6:7]
	v_lshrrev_b32_e32 v3, 8, v5
	s_movk_i32 s4, 0x7f
	v_cmp_gt_i16_sdwa s[6:7], v3, s4 src0_sel:BYTE_0 src1_sel:DWORD
	s_mov_b64 s[4:5], 0
                                        ; implicit-def: $sgpr10
	s_and_saveexec_b64 s[8:9], s[6:7]
	s_xor_b64 s[6:7], exec, s[8:9]
	s_cbranch_execnz .LBB11_2285
; %bb.237:
	s_or_saveexec_b64 s[6:7], s[6:7]
	v_mov_b32_e32 v4, s10
	s_xor_b64 exec, exec, s[6:7]
	s_cbranch_execnz .LBB11_2288
.LBB11_238:
	s_or_b64 exec, exec, s[6:7]
	s_and_saveexec_b64 s[6:7], s[4:5]
	s_cbranch_execz .LBB11_240
.LBB11_239:
	v_bfe_u32 v4, v5, 8, 3
	v_ffbh_u32_e32 v7, v4
	v_min_u32_e32 v7, 32, v7
	v_lshrrev_b16_e32 v6, 3, v3
	v_subrev_u32_e32 v8, 28, v7
	v_and_b32_e32 v6, 15, v6
	v_lshlrev_b32_e32 v3, v8, v3
	v_sub_u32_e32 v7, 29, v7
	v_and_b32_e32 v3, 7, v3
	v_cmp_eq_u16_e32 vcc, 0, v6
	v_cndmask_b32_e32 v3, v4, v3, vcc
	v_cndmask_b32_e32 v4, v6, v7, vcc
	v_lshlrev_b32_e32 v6, 16, v5
	v_mov_b32_e32 v7, 0x3b800000
	v_lshlrev_b32_e32 v3, 20, v3
	v_and_b32_e32 v6, 0x80000000, v6
	v_lshl_add_u32 v4, v4, 23, v7
	v_or3_b32 v4, v6, v4, v3
.LBB11_240:
	s_or_b64 exec, exec, s[6:7]
	s_nop 0
	v_mfma_f32_16x16x4f32 a[0:3], v2, v4, a[0:3]
	s_movk_i32 s4, 0xff
	v_and_b32_sdwa v3, v9, s4 dst_sel:DWORD dst_unused:UNUSED_PAD src0_sel:WORD_1 src1_sel:DWORD
	s_movk_i32 s4, 0x7f
	v_cmp_lt_i16_e32 vcc, s4, v3
	s_mov_b64 s[4:5], 0
                                        ; implicit-def: $sgpr10
	s_and_saveexec_b64 s[6:7], vcc
	s_xor_b64 s[6:7], exec, s[6:7]
	s_cbranch_execnz .LBB11_2289
; %bb.241:
	s_or_saveexec_b64 s[6:7], s[6:7]
	v_mov_b32_e32 v2, s10
	s_xor_b64 exec, exec, s[6:7]
	s_cbranch_execnz .LBB11_2292
.LBB11_242:
	s_or_b64 exec, exec, s[6:7]
	s_and_saveexec_b64 s[6:7], s[4:5]
	s_cbranch_execz .LBB11_244
.LBB11_243:
	v_bfe_u32 v2, v9, 16, 3
	v_ffbh_u32_e32 v6, v2
	v_min_u32_e32 v6, 32, v6
	v_lshrrev_b32_e32 v3, 19, v9
	v_subrev_u32_e32 v7, 28, v6
	v_and_b32_e32 v3, 15, v3
	v_lshlrev_b32_sdwa v7, v7, v9 dst_sel:DWORD dst_unused:UNUSED_PAD src0_sel:DWORD src1_sel:WORD_1
	v_bfe_u32 v4, v9, 19, 4
	v_sub_u32_e32 v6, 29, v6
	v_and_b32_e32 v7, 7, v7
	v_cmp_eq_u16_e32 vcc, 0, v3
	v_cndmask_b32_e32 v2, v2, v7, vcc
	v_cndmask_b32_e32 v3, v4, v6, vcc
	v_lshlrev_b32_e32 v4, 8, v9
	v_mov_b32_e32 v6, 0x3b800000
	v_lshlrev_b32_e32 v2, 20, v2
	v_and_b32_e32 v4, 0x80000000, v4
	v_lshl_add_u32 v3, v3, 23, v6
	v_or3_b32 v2, v4, v3, v2
.LBB11_244:
	s_or_b64 exec, exec, s[6:7]
	s_movk_i32 s4, 0xff
	v_and_b32_sdwa v3, v5, s4 dst_sel:DWORD dst_unused:UNUSED_PAD src0_sel:WORD_1 src1_sel:DWORD
	s_movk_i32 s4, 0x7f
	v_cmp_lt_i16_e32 vcc, s4, v3
	s_mov_b64 s[4:5], 0
                                        ; implicit-def: $sgpr10
	s_and_saveexec_b64 s[6:7], vcc
	s_xor_b64 s[6:7], exec, s[6:7]
	s_cbranch_execnz .LBB11_2293
; %bb.245:
	s_or_saveexec_b64 s[6:7], s[6:7]
	v_mov_b32_e32 v4, s10
	s_xor_b64 exec, exec, s[6:7]
	s_cbranch_execnz .LBB11_2296
.LBB11_246:
	s_or_b64 exec, exec, s[6:7]
	s_and_saveexec_b64 s[6:7], s[4:5]
	s_cbranch_execz .LBB11_248
.LBB11_247:
	v_bfe_u32 v3, v5, 16, 3
	v_ffbh_u32_e32 v7, v3
	v_min_u32_e32 v7, 32, v7
	v_lshrrev_b32_e32 v4, 19, v5
	v_subrev_u32_e32 v8, 28, v7
	v_and_b32_e32 v4, 15, v4
	v_lshlrev_b32_sdwa v8, v8, v5 dst_sel:DWORD dst_unused:UNUSED_PAD src0_sel:DWORD src1_sel:WORD_1
	v_bfe_u32 v6, v5, 19, 4
	v_sub_u32_e32 v7, 29, v7
	v_and_b32_e32 v8, 7, v8
	v_cmp_eq_u16_e32 vcc, 0, v4
	v_cndmask_b32_e32 v3, v3, v8, vcc
	v_cndmask_b32_e32 v4, v6, v7, vcc
	v_lshlrev_b32_e32 v6, 8, v5
	v_mov_b32_e32 v7, 0x3b800000
	v_lshlrev_b32_e32 v3, 20, v3
	v_and_b32_e32 v6, 0x80000000, v6
	v_lshl_add_u32 v4, v4, 23, v7
	v_or3_b32 v4, v6, v4, v3
.LBB11_248:
	s_or_b64 exec, exec, s[6:7]
	s_nop 0
	v_mfma_f32_16x16x4f32 a[0:3], v2, v4, a[0:3]
	s_movk_i32 s4, 0x7f
	v_cmp_gt_i16_sdwa s[6:7], v9, s4 src0_sel:BYTE_3 src1_sel:DWORD
	s_mov_b64 s[4:5], 0
                                        ; implicit-def: $sgpr10
	s_and_saveexec_b64 s[8:9], s[6:7]
	s_xor_b64 s[6:7], exec, s[8:9]
	s_cbranch_execnz .LBB11_2297
; %bb.249:
	s_or_saveexec_b64 s[6:7], s[6:7]
	v_mov_b32_e32 v2, s10
	s_xor_b64 exec, exec, s[6:7]
	s_cbranch_execnz .LBB11_2300
.LBB11_250:
	s_or_b64 exec, exec, s[6:7]
	s_and_saveexec_b64 s[6:7], s[4:5]
	s_cbranch_execz .LBB11_252
.LBB11_251:
	v_bfe_u32 v2, v9, 24, 3
	v_ffbh_u32_e32 v7, v2
	v_min_u32_e32 v7, 32, v7
	v_lshrrev_b32_e32 v4, 27, v9
	v_subrev_u32_e32 v8, 28, v7
	v_and_b32_e32 v4, 15, v4
	v_lshlrev_b32_sdwa v8, v8, v9 dst_sel:DWORD dst_unused:UNUSED_PAD src0_sel:DWORD src1_sel:BYTE_3
	v_bfe_u32 v6, v9, 27, 4
	v_sub_u32_e32 v7, 29, v7
	v_and_b32_e32 v8, 7, v8
	v_cmp_eq_u16_e32 vcc, 0, v4
	v_cndmask_b32_e32 v2, v2, v8, vcc
	v_cndmask_b32_e32 v4, v6, v7, vcc
	v_mov_b32_e32 v6, 0x3b800000
	v_and_b32_e32 v3, 0x80000000, v9
	v_lshlrev_b32_e32 v2, 20, v2
	v_lshl_add_u32 v4, v4, 23, v6
	v_or3_b32 v2, v3, v4, v2
.LBB11_252:
	s_or_b64 exec, exec, s[6:7]
	s_movk_i32 s4, 0x7f
	v_cmp_gt_i16_sdwa s[6:7], v5, s4 src0_sel:BYTE_3 src1_sel:DWORD
	s_mov_b64 s[4:5], 0
                                        ; implicit-def: $sgpr10
	s_and_saveexec_b64 s[8:9], s[6:7]
	s_xor_b64 s[6:7], exec, s[8:9]
	s_cbranch_execnz .LBB11_2301
; %bb.253:
	s_or_saveexec_b64 s[6:7], s[6:7]
	v_mov_b32_e32 v3, s10
	s_xor_b64 exec, exec, s[6:7]
	s_cbranch_execnz .LBB11_2304
.LBB11_254:
	s_or_b64 exec, exec, s[6:7]
	s_and_saveexec_b64 s[6:7], s[4:5]
	s_cbranch_execz .LBB11_256
.LBB11_255:
	v_bfe_u32 v3, v5, 24, 3
	v_ffbh_u32_e32 v8, v3
	v_min_u32_e32 v8, 32, v8
	v_lshrrev_b32_e32 v6, 27, v5
	v_subrev_u32_e32 v9, 28, v8
	v_and_b32_e32 v4, 0x80000000, v5
	v_and_b32_e32 v6, 15, v6
	v_bfe_u32 v7, v5, 27, 4
	v_lshlrev_b32_sdwa v5, v9, v5 dst_sel:DWORD dst_unused:UNUSED_PAD src0_sel:DWORD src1_sel:BYTE_3
	v_sub_u32_e32 v8, 29, v8
	v_and_b32_e32 v5, 7, v5
	v_cmp_eq_u16_e32 vcc, 0, v6
	v_cndmask_b32_e32 v3, v3, v5, vcc
	v_cndmask_b32_e32 v5, v7, v8, vcc
	v_mov_b32_e32 v6, 0x3b800000
	v_lshlrev_b32_e32 v3, 20, v3
	v_lshl_add_u32 v5, v5, 23, v6
	v_or3_b32 v3, v4, v5, v3
.LBB11_256:
	s_or_b64 exec, exec, s[6:7]
	s_nop 0
	v_mfma_f32_16x16x4f32 a[0:3], v2, v3, a[0:3]
	s_movk_i32 s4, 0x7f
                                        ; implicit-def: $sgpr10
	s_nop 7
	s_nop 1
	flat_store_dwordx4 v[10:11], a[0:3] offset:16
	flat_load_dwordx4 v[12:15], v[0:1] offset:8
	s_nop 0
	flat_load_dwordx2 v[10:11], v[0:1] offset:32
	s_waitcnt vmcnt(0) lgkmcnt(0)
	flat_load_dwordx4 v[6:9], v[12:13] offset:16
	flat_load_dwordx4 v[2:5], v[14:15] offset:80
	s_waitcnt vmcnt(0) lgkmcnt(0)
	v_cmp_gt_i16_sdwa s[6:7], v6, s4 src0_sel:BYTE_0 src1_sel:DWORD
	s_mov_b64 s[4:5], 0
	s_and_saveexec_b64 s[8:9], s[6:7]
	s_xor_b64 s[6:7], exec, s[8:9]
	s_cbranch_execnz .LBB11_2305
; %bb.257:
	s_or_saveexec_b64 s[6:7], s[6:7]
	v_mov_b32_e32 v12, s10
	s_xor_b64 exec, exec, s[6:7]
	s_cbranch_execnz .LBB11_2308
.LBB11_258:
	s_or_b64 exec, exec, s[6:7]
	s_and_saveexec_b64 s[6:7], s[4:5]
	s_cbranch_execz .LBB11_260
.LBB11_259:
	v_and_b32_e32 v12, 7, v6
	v_ffbh_u32_e32 v14, v12
	v_min_u32_e32 v14, 32, v14
	v_lshrrev_b16_e32 v13, 3, v6
	v_subrev_u32_e32 v15, 28, v14
	v_and_b32_e32 v13, 15, v13
	v_lshlrev_b32_e32 v15, v15, v6
	v_sub_u32_e32 v14, 29, v14
	v_and_b32_e32 v15, 7, v15
	v_cmp_eq_u16_e32 vcc, 0, v13
	v_cndmask_b32_e32 v12, v12, v15, vcc
	v_cndmask_b32_e32 v13, v13, v14, vcc
	v_lshlrev_b32_e32 v14, 24, v6
	v_mov_b32_e32 v15, 0x3b800000
	v_lshlrev_b32_e32 v12, 20, v12
	v_and_b32_e32 v14, 0x80000000, v14
	v_lshl_add_u32 v13, v13, 23, v15
	v_or3_b32 v12, v14, v13, v12
.LBB11_260:
	s_or_b64 exec, exec, s[6:7]
	s_movk_i32 s4, 0x7f
	v_cmp_gt_i16_sdwa s[6:7], v2, s4 src0_sel:BYTE_0 src1_sel:DWORD
	s_mov_b64 s[4:5], 0
                                        ; implicit-def: $sgpr10
	s_and_saveexec_b64 s[8:9], s[6:7]
	s_xor_b64 s[6:7], exec, s[8:9]
	s_cbranch_execnz .LBB11_2309
; %bb.261:
	s_or_saveexec_b64 s[6:7], s[6:7]
	v_mov_b32_e32 v13, s10
	s_xor_b64 exec, exec, s[6:7]
	s_cbranch_execnz .LBB11_2312
.LBB11_262:
	s_or_b64 exec, exec, s[6:7]
	s_and_saveexec_b64 s[6:7], s[4:5]
	s_cbranch_execz .LBB11_264
.LBB11_263:
	v_and_b32_e32 v13, 7, v2
	v_ffbh_u32_e32 v15, v13
	v_min_u32_e32 v15, 32, v15
	v_lshrrev_b16_e32 v14, 3, v2
	v_subrev_u32_e32 v16, 28, v15
	v_and_b32_e32 v14, 15, v14
	v_lshlrev_b32_e32 v16, v16, v2
	v_sub_u32_e32 v15, 29, v15
	v_and_b32_e32 v16, 7, v16
	v_cmp_eq_u16_e32 vcc, 0, v14
	v_cndmask_b32_e32 v13, v13, v16, vcc
	v_cndmask_b32_e32 v14, v14, v15, vcc
	v_lshlrev_b32_e32 v15, 24, v2
	v_mov_b32_e32 v16, 0x3b800000
	v_lshlrev_b32_e32 v13, 20, v13
	v_and_b32_e32 v15, 0x80000000, v15
	v_lshl_add_u32 v14, v14, 23, v16
	v_or3_b32 v13, v15, v14, v13
.LBB11_264:
	s_or_b64 exec, exec, s[6:7]
	flat_load_dwordx4 a[0:3], v[10:11] offset:32
	s_movk_i32 s4, 0x7f
                                        ; implicit-def: $sgpr10
	s_waitcnt vmcnt(0) lgkmcnt(0)
	v_mfma_f32_16x16x4f32 a[0:3], v12, v13, a[0:3]
	v_lshrrev_b32_e32 v13, 8, v6
	v_cmp_gt_i16_sdwa s[6:7], v13, s4 src0_sel:BYTE_0 src1_sel:DWORD
	s_mov_b64 s[4:5], 0
	s_and_saveexec_b64 s[8:9], s[6:7]
	s_xor_b64 s[6:7], exec, s[8:9]
	s_cbranch_execnz .LBB11_2313
; %bb.265:
	s_or_saveexec_b64 s[6:7], s[6:7]
	v_mov_b32_e32 v12, s10
	s_xor_b64 exec, exec, s[6:7]
	s_cbranch_execnz .LBB11_2316
.LBB11_266:
	s_or_b64 exec, exec, s[6:7]
	s_and_saveexec_b64 s[6:7], s[4:5]
	s_cbranch_execz .LBB11_268
.LBB11_267:
	v_bfe_u32 v12, v6, 8, 3
	v_ffbh_u32_e32 v15, v12
	v_min_u32_e32 v15, 32, v15
	v_lshrrev_b16_e32 v14, 3, v13
	v_subrev_u32_e32 v16, 28, v15
	v_and_b32_e32 v14, 15, v14
	v_lshlrev_b32_e32 v13, v16, v13
	v_sub_u32_e32 v15, 29, v15
	v_and_b32_e32 v13, 7, v13
	v_cmp_eq_u16_e32 vcc, 0, v14
	v_cndmask_b32_e32 v12, v12, v13, vcc
	v_cndmask_b32_e32 v13, v14, v15, vcc
	v_lshlrev_b32_e32 v14, 16, v6
	v_mov_b32_e32 v15, 0x3b800000
	v_lshlrev_b32_e32 v12, 20, v12
	v_and_b32_e32 v14, 0x80000000, v14
	v_lshl_add_u32 v13, v13, 23, v15
	v_or3_b32 v12, v14, v13, v12
.LBB11_268:
	s_or_b64 exec, exec, s[6:7]
	v_lshrrev_b32_e32 v13, 8, v2
	s_movk_i32 s4, 0x7f
	v_cmp_gt_i16_sdwa s[6:7], v13, s4 src0_sel:BYTE_0 src1_sel:DWORD
	s_mov_b64 s[4:5], 0
                                        ; implicit-def: $sgpr10
	s_and_saveexec_b64 s[8:9], s[6:7]
	s_xor_b64 s[6:7], exec, s[8:9]
	s_cbranch_execnz .LBB11_2317
; %bb.269:
	s_or_saveexec_b64 s[6:7], s[6:7]
	v_mov_b32_e32 v14, s10
	s_xor_b64 exec, exec, s[6:7]
	s_cbranch_execnz .LBB11_2320
.LBB11_270:
	s_or_b64 exec, exec, s[6:7]
	s_and_saveexec_b64 s[6:7], s[4:5]
	s_cbranch_execz .LBB11_272
.LBB11_271:
	v_bfe_u32 v14, v2, 8, 3
	v_ffbh_u32_e32 v16, v14
	v_min_u32_e32 v16, 32, v16
	v_lshrrev_b16_e32 v15, 3, v13
	v_subrev_u32_e32 v17, 28, v16
	v_and_b32_e32 v15, 15, v15
	v_lshlrev_b32_e32 v13, v17, v13
	v_sub_u32_e32 v16, 29, v16
	v_and_b32_e32 v13, 7, v13
	v_cmp_eq_u16_e32 vcc, 0, v15
	v_cndmask_b32_e32 v13, v14, v13, vcc
	v_cndmask_b32_e32 v14, v15, v16, vcc
	v_lshlrev_b32_e32 v15, 16, v2
	v_mov_b32_e32 v16, 0x3b800000
	v_lshlrev_b32_e32 v13, 20, v13
	v_and_b32_e32 v15, 0x80000000, v15
	v_lshl_add_u32 v14, v14, 23, v16
	v_or3_b32 v14, v15, v14, v13
.LBB11_272:
	s_or_b64 exec, exec, s[6:7]
	s_nop 0
	v_mfma_f32_16x16x4f32 a[0:3], v12, v14, a[0:3]
	s_movk_i32 s4, 0xff
	v_and_b32_sdwa v13, v6, s4 dst_sel:DWORD dst_unused:UNUSED_PAD src0_sel:WORD_1 src1_sel:DWORD
	s_movk_i32 s4, 0x7f
	v_cmp_lt_i16_e32 vcc, s4, v13
	s_mov_b64 s[4:5], 0
                                        ; implicit-def: $sgpr10
	s_and_saveexec_b64 s[6:7], vcc
	s_xor_b64 s[6:7], exec, s[6:7]
	s_cbranch_execnz .LBB11_2321
; %bb.273:
	s_or_saveexec_b64 s[6:7], s[6:7]
	v_mov_b32_e32 v12, s10
	s_xor_b64 exec, exec, s[6:7]
	s_cbranch_execnz .LBB11_2324
.LBB11_274:
	s_or_b64 exec, exec, s[6:7]
	s_and_saveexec_b64 s[6:7], s[4:5]
	s_cbranch_execz .LBB11_276
.LBB11_275:
	v_bfe_u32 v12, v6, 16, 3
	v_ffbh_u32_e32 v15, v12
	v_min_u32_e32 v15, 32, v15
	v_lshrrev_b32_e32 v13, 19, v6
	v_subrev_u32_e32 v16, 28, v15
	v_and_b32_e32 v13, 15, v13
	v_lshlrev_b32_sdwa v16, v16, v6 dst_sel:DWORD dst_unused:UNUSED_PAD src0_sel:DWORD src1_sel:WORD_1
	v_bfe_u32 v14, v6, 19, 4
	v_sub_u32_e32 v15, 29, v15
	v_and_b32_e32 v16, 7, v16
	v_cmp_eq_u16_e32 vcc, 0, v13
	v_cndmask_b32_e32 v12, v12, v16, vcc
	v_cndmask_b32_e32 v13, v14, v15, vcc
	v_lshlrev_b32_e32 v14, 8, v6
	v_mov_b32_e32 v15, 0x3b800000
	v_lshlrev_b32_e32 v12, 20, v12
	v_and_b32_e32 v14, 0x80000000, v14
	v_lshl_add_u32 v13, v13, 23, v15
	v_or3_b32 v12, v14, v13, v12
.LBB11_276:
	s_or_b64 exec, exec, s[6:7]
	s_movk_i32 s4, 0xff
	v_and_b32_sdwa v13, v2, s4 dst_sel:DWORD dst_unused:UNUSED_PAD src0_sel:WORD_1 src1_sel:DWORD
	s_movk_i32 s4, 0x7f
	v_cmp_lt_i16_e32 vcc, s4, v13
	s_mov_b64 s[4:5], 0
                                        ; implicit-def: $sgpr10
	s_and_saveexec_b64 s[6:7], vcc
	s_xor_b64 s[6:7], exec, s[6:7]
	s_cbranch_execnz .LBB11_2325
; %bb.277:
	s_or_saveexec_b64 s[6:7], s[6:7]
	v_mov_b32_e32 v14, s10
	s_xor_b64 exec, exec, s[6:7]
	s_cbranch_execnz .LBB11_2328
.LBB11_278:
	s_or_b64 exec, exec, s[6:7]
	s_and_saveexec_b64 s[6:7], s[4:5]
	s_cbranch_execz .LBB11_280
.LBB11_279:
	v_bfe_u32 v13, v2, 16, 3
	v_ffbh_u32_e32 v16, v13
	v_min_u32_e32 v16, 32, v16
	v_lshrrev_b32_e32 v14, 19, v2
	v_subrev_u32_e32 v17, 28, v16
	v_and_b32_e32 v14, 15, v14
	v_lshlrev_b32_sdwa v17, v17, v2 dst_sel:DWORD dst_unused:UNUSED_PAD src0_sel:DWORD src1_sel:WORD_1
	v_bfe_u32 v15, v2, 19, 4
	v_sub_u32_e32 v16, 29, v16
	v_and_b32_e32 v17, 7, v17
	v_cmp_eq_u16_e32 vcc, 0, v14
	v_cndmask_b32_e32 v13, v13, v17, vcc
	v_cndmask_b32_e32 v14, v15, v16, vcc
	v_lshlrev_b32_e32 v15, 8, v2
	v_mov_b32_e32 v16, 0x3b800000
	v_lshlrev_b32_e32 v13, 20, v13
	v_and_b32_e32 v15, 0x80000000, v15
	v_lshl_add_u32 v14, v14, 23, v16
	v_or3_b32 v14, v15, v14, v13
.LBB11_280:
	s_or_b64 exec, exec, s[6:7]
	s_nop 0
	v_mfma_f32_16x16x4f32 a[0:3], v12, v14, a[0:3]
	s_movk_i32 s4, 0x7f
	v_cmp_gt_i16_sdwa s[6:7], v6, s4 src0_sel:BYTE_3 src1_sel:DWORD
	s_mov_b64 s[4:5], 0
                                        ; implicit-def: $sgpr10
	s_and_saveexec_b64 s[8:9], s[6:7]
	s_xor_b64 s[6:7], exec, s[8:9]
	s_cbranch_execnz .LBB11_2329
; %bb.281:
	s_or_saveexec_b64 s[6:7], s[6:7]
	v_mov_b32_e32 v12, s10
	s_xor_b64 exec, exec, s[6:7]
	s_cbranch_execnz .LBB11_2332
.LBB11_282:
	s_or_b64 exec, exec, s[6:7]
	s_and_saveexec_b64 s[6:7], s[4:5]
	s_cbranch_execz .LBB11_284
.LBB11_283:
	v_bfe_u32 v12, v6, 24, 3
	v_ffbh_u32_e32 v16, v12
	v_min_u32_e32 v16, 32, v16
	v_lshrrev_b32_e32 v14, 27, v6
	v_subrev_u32_e32 v17, 28, v16
	v_and_b32_e32 v13, 0x80000000, v6
	v_and_b32_e32 v14, 15, v14
	v_bfe_u32 v15, v6, 27, 4
	v_lshlrev_b32_sdwa v6, v17, v6 dst_sel:DWORD dst_unused:UNUSED_PAD src0_sel:DWORD src1_sel:BYTE_3
	v_sub_u32_e32 v16, 29, v16
	v_and_b32_e32 v6, 7, v6
	v_cmp_eq_u16_e32 vcc, 0, v14
	v_cndmask_b32_e32 v6, v12, v6, vcc
	v_cndmask_b32_e32 v12, v15, v16, vcc
	v_mov_b32_e32 v14, 0x3b800000
	v_lshlrev_b32_e32 v6, 20, v6
	v_lshl_add_u32 v12, v12, 23, v14
	v_or3_b32 v12, v13, v12, v6
.LBB11_284:
	s_or_b64 exec, exec, s[6:7]
	s_movk_i32 s4, 0x7f
	v_cmp_gt_i16_sdwa s[6:7], v2, s4 src0_sel:BYTE_3 src1_sel:DWORD
	s_mov_b64 s[4:5], 0
                                        ; implicit-def: $sgpr10
	s_and_saveexec_b64 s[8:9], s[6:7]
	s_xor_b64 s[6:7], exec, s[8:9]
	s_cbranch_execnz .LBB11_2333
; %bb.285:
	s_or_saveexec_b64 s[6:7], s[6:7]
	v_mov_b32_e32 v6, s10
	s_xor_b64 exec, exec, s[6:7]
	s_cbranch_execnz .LBB11_2336
.LBB11_286:
	s_or_b64 exec, exec, s[6:7]
	s_and_saveexec_b64 s[6:7], s[4:5]
	s_cbranch_execz .LBB11_288
.LBB11_287:
	v_bfe_u32 v6, v2, 24, 3
	v_ffbh_u32_e32 v16, v6
	v_min_u32_e32 v16, 32, v16
	v_lshrrev_b32_e32 v14, 27, v2
	v_subrev_u32_e32 v17, 28, v16
	v_and_b32_e32 v13, 0x80000000, v2
	v_and_b32_e32 v14, 15, v14
	v_bfe_u32 v15, v2, 27, 4
	v_lshlrev_b32_sdwa v2, v17, v2 dst_sel:DWORD dst_unused:UNUSED_PAD src0_sel:DWORD src1_sel:BYTE_3
	v_sub_u32_e32 v16, 29, v16
	v_and_b32_e32 v2, 7, v2
	v_cmp_eq_u16_e32 vcc, 0, v14
	v_cndmask_b32_e32 v2, v6, v2, vcc
	v_cndmask_b32_e32 v6, v15, v16, vcc
	v_mov_b32_e32 v14, 0x3b800000
	v_lshlrev_b32_e32 v2, 20, v2
	v_lshl_add_u32 v6, v6, 23, v14
	v_or3_b32 v6, v13, v6, v2
.LBB11_288:
	s_or_b64 exec, exec, s[6:7]
	s_nop 0
	v_mfma_f32_16x16x4f32 a[0:3], v12, v6, a[0:3]
	s_movk_i32 s4, 0x7f
	v_cmp_gt_i16_sdwa s[6:7], v7, s4 src0_sel:BYTE_0 src1_sel:DWORD
	s_mov_b64 s[4:5], 0
                                        ; implicit-def: $sgpr10
	s_and_saveexec_b64 s[8:9], s[6:7]
	s_xor_b64 s[6:7], exec, s[8:9]
	s_cbranch_execnz .LBB11_2337
; %bb.289:
	s_or_saveexec_b64 s[6:7], s[6:7]
	v_mov_b32_e32 v2, s10
	s_xor_b64 exec, exec, s[6:7]
	s_cbranch_execnz .LBB11_2340
.LBB11_290:
	s_or_b64 exec, exec, s[6:7]
	s_and_saveexec_b64 s[6:7], s[4:5]
	s_cbranch_execz .LBB11_292
.LBB11_291:
	v_and_b32_e32 v2, 7, v7
	v_ffbh_u32_e32 v12, v2
	v_min_u32_e32 v12, 32, v12
	v_lshrrev_b16_e32 v6, 3, v7
	v_subrev_u32_e32 v13, 28, v12
	v_and_b32_e32 v6, 15, v6
	v_lshlrev_b32_e32 v13, v13, v7
	v_sub_u32_e32 v12, 29, v12
	v_and_b32_e32 v13, 7, v13
	v_cmp_eq_u16_e32 vcc, 0, v6
	v_cndmask_b32_e32 v2, v2, v13, vcc
	v_cndmask_b32_e32 v6, v6, v12, vcc
	v_lshlrev_b32_e32 v12, 24, v7
	v_mov_b32_e32 v13, 0x3b800000
	v_lshlrev_b32_e32 v2, 20, v2
	v_and_b32_e32 v12, 0x80000000, v12
	v_lshl_add_u32 v6, v6, 23, v13
	v_or3_b32 v2, v12, v6, v2
.LBB11_292:
	s_or_b64 exec, exec, s[6:7]
	s_movk_i32 s4, 0x7f
	v_cmp_gt_i16_sdwa s[6:7], v3, s4 src0_sel:BYTE_0 src1_sel:DWORD
	s_mov_b64 s[4:5], 0
                                        ; implicit-def: $sgpr10
	s_and_saveexec_b64 s[8:9], s[6:7]
	s_xor_b64 s[6:7], exec, s[8:9]
	s_cbranch_execnz .LBB11_2341
; %bb.293:
	s_or_saveexec_b64 s[6:7], s[6:7]
	v_mov_b32_e32 v6, s10
	s_xor_b64 exec, exec, s[6:7]
	s_cbranch_execnz .LBB11_2344
.LBB11_294:
	s_or_b64 exec, exec, s[6:7]
	s_and_saveexec_b64 s[6:7], s[4:5]
	s_cbranch_execz .LBB11_296
.LBB11_295:
	v_and_b32_e32 v6, 7, v3
	v_ffbh_u32_e32 v13, v6
	v_min_u32_e32 v13, 32, v13
	v_lshrrev_b16_e32 v12, 3, v3
	v_subrev_u32_e32 v14, 28, v13
	v_and_b32_e32 v12, 15, v12
	v_lshlrev_b32_e32 v14, v14, v3
	v_sub_u32_e32 v13, 29, v13
	v_and_b32_e32 v14, 7, v14
	v_cmp_eq_u16_e32 vcc, 0, v12
	v_cndmask_b32_e32 v6, v6, v14, vcc
	v_cndmask_b32_e32 v12, v12, v13, vcc
	v_lshlrev_b32_e32 v13, 24, v3
	v_mov_b32_e32 v14, 0x3b800000
	v_lshlrev_b32_e32 v6, 20, v6
	v_and_b32_e32 v13, 0x80000000, v13
	v_lshl_add_u32 v12, v12, 23, v14
	v_or3_b32 v6, v13, v12, v6
.LBB11_296:
	s_or_b64 exec, exec, s[6:7]
	s_nop 0
	v_mfma_f32_16x16x4f32 a[0:3], v2, v6, a[0:3]
	v_lshrrev_b32_e32 v6, 8, v7
	s_movk_i32 s4, 0x7f
	v_cmp_gt_i16_sdwa s[6:7], v6, s4 src0_sel:BYTE_0 src1_sel:DWORD
	s_mov_b64 s[4:5], 0
                                        ; implicit-def: $sgpr10
	s_and_saveexec_b64 s[8:9], s[6:7]
	s_xor_b64 s[6:7], exec, s[8:9]
	s_cbranch_execnz .LBB11_2345
; %bb.297:
	s_or_saveexec_b64 s[6:7], s[6:7]
	v_mov_b32_e32 v2, s10
	s_xor_b64 exec, exec, s[6:7]
	s_cbranch_execnz .LBB11_2348
.LBB11_298:
	s_or_b64 exec, exec, s[6:7]
	s_and_saveexec_b64 s[6:7], s[4:5]
	s_cbranch_execz .LBB11_300
.LBB11_299:
	v_bfe_u32 v2, v7, 8, 3
	v_ffbh_u32_e32 v13, v2
	v_min_u32_e32 v13, 32, v13
	v_lshrrev_b16_e32 v12, 3, v6
	v_subrev_u32_e32 v14, 28, v13
	v_and_b32_e32 v12, 15, v12
	v_lshlrev_b32_e32 v6, v14, v6
	v_sub_u32_e32 v13, 29, v13
	v_and_b32_e32 v6, 7, v6
	v_cmp_eq_u16_e32 vcc, 0, v12
	v_cndmask_b32_e32 v2, v2, v6, vcc
	v_cndmask_b32_e32 v6, v12, v13, vcc
	v_lshlrev_b32_e32 v12, 16, v7
	v_mov_b32_e32 v13, 0x3b800000
	v_lshlrev_b32_e32 v2, 20, v2
	v_and_b32_e32 v12, 0x80000000, v12
	v_lshl_add_u32 v6, v6, 23, v13
	v_or3_b32 v2, v12, v6, v2
.LBB11_300:
	s_or_b64 exec, exec, s[6:7]
	v_lshrrev_b32_e32 v6, 8, v3
	s_movk_i32 s4, 0x7f
	v_cmp_gt_i16_sdwa s[6:7], v6, s4 src0_sel:BYTE_0 src1_sel:DWORD
	s_mov_b64 s[4:5], 0
                                        ; implicit-def: $sgpr10
	s_and_saveexec_b64 s[8:9], s[6:7]
	s_xor_b64 s[6:7], exec, s[8:9]
	s_cbranch_execnz .LBB11_2349
; %bb.301:
	s_or_saveexec_b64 s[6:7], s[6:7]
	v_mov_b32_e32 v12, s10
	s_xor_b64 exec, exec, s[6:7]
	s_cbranch_execnz .LBB11_2352
.LBB11_302:
	s_or_b64 exec, exec, s[6:7]
	s_and_saveexec_b64 s[6:7], s[4:5]
	s_cbranch_execz .LBB11_304
.LBB11_303:
	v_bfe_u32 v12, v3, 8, 3
	v_ffbh_u32_e32 v14, v12
	v_min_u32_e32 v14, 32, v14
	v_lshrrev_b16_e32 v13, 3, v6
	v_subrev_u32_e32 v15, 28, v14
	v_and_b32_e32 v13, 15, v13
	v_lshlrev_b32_e32 v6, v15, v6
	v_sub_u32_e32 v14, 29, v14
	v_and_b32_e32 v6, 7, v6
	v_cmp_eq_u16_e32 vcc, 0, v13
	v_cndmask_b32_e32 v6, v12, v6, vcc
	v_cndmask_b32_e32 v12, v13, v14, vcc
	v_lshlrev_b32_e32 v13, 16, v3
	v_mov_b32_e32 v14, 0x3b800000
	v_lshlrev_b32_e32 v6, 20, v6
	v_and_b32_e32 v13, 0x80000000, v13
	v_lshl_add_u32 v12, v12, 23, v14
	v_or3_b32 v12, v13, v12, v6
.LBB11_304:
	s_or_b64 exec, exec, s[6:7]
	s_nop 0
	v_mfma_f32_16x16x4f32 a[0:3], v2, v12, a[0:3]
	s_movk_i32 s4, 0xff
	v_and_b32_sdwa v6, v7, s4 dst_sel:DWORD dst_unused:UNUSED_PAD src0_sel:WORD_1 src1_sel:DWORD
	s_movk_i32 s4, 0x7f
	v_cmp_lt_i16_e32 vcc, s4, v6
	s_mov_b64 s[4:5], 0
                                        ; implicit-def: $sgpr10
	s_and_saveexec_b64 s[6:7], vcc
	s_xor_b64 s[6:7], exec, s[6:7]
	s_cbranch_execnz .LBB11_2353
; %bb.305:
	s_or_saveexec_b64 s[6:7], s[6:7]
	v_mov_b32_e32 v2, s10
	s_xor_b64 exec, exec, s[6:7]
	s_cbranch_execnz .LBB11_2356
.LBB11_306:
	s_or_b64 exec, exec, s[6:7]
	s_and_saveexec_b64 s[6:7], s[4:5]
	s_cbranch_execz .LBB11_308
.LBB11_307:
	v_bfe_u32 v2, v7, 16, 3
	v_ffbh_u32_e32 v13, v2
	v_min_u32_e32 v13, 32, v13
	v_lshrrev_b32_e32 v6, 19, v7
	v_subrev_u32_e32 v14, 28, v13
	v_and_b32_e32 v6, 15, v6
	v_lshlrev_b32_sdwa v14, v14, v7 dst_sel:DWORD dst_unused:UNUSED_PAD src0_sel:DWORD src1_sel:WORD_1
	v_bfe_u32 v12, v7, 19, 4
	v_sub_u32_e32 v13, 29, v13
	v_and_b32_e32 v14, 7, v14
	v_cmp_eq_u16_e32 vcc, 0, v6
	v_cndmask_b32_e32 v2, v2, v14, vcc
	v_cndmask_b32_e32 v6, v12, v13, vcc
	v_lshlrev_b32_e32 v12, 8, v7
	v_mov_b32_e32 v13, 0x3b800000
	v_lshlrev_b32_e32 v2, 20, v2
	v_and_b32_e32 v12, 0x80000000, v12
	v_lshl_add_u32 v6, v6, 23, v13
	v_or3_b32 v2, v12, v6, v2
.LBB11_308:
	s_or_b64 exec, exec, s[6:7]
	s_movk_i32 s4, 0xff
	v_and_b32_sdwa v6, v3, s4 dst_sel:DWORD dst_unused:UNUSED_PAD src0_sel:WORD_1 src1_sel:DWORD
	s_movk_i32 s4, 0x7f
	v_cmp_lt_i16_e32 vcc, s4, v6
	s_mov_b64 s[4:5], 0
                                        ; implicit-def: $sgpr10
	s_and_saveexec_b64 s[6:7], vcc
	s_xor_b64 s[6:7], exec, s[6:7]
	s_cbranch_execnz .LBB11_2357
; %bb.309:
	s_or_saveexec_b64 s[6:7], s[6:7]
	v_mov_b32_e32 v12, s10
	s_xor_b64 exec, exec, s[6:7]
	s_cbranch_execnz .LBB11_2360
.LBB11_310:
	s_or_b64 exec, exec, s[6:7]
	s_and_saveexec_b64 s[6:7], s[4:5]
	s_cbranch_execz .LBB11_312
.LBB11_311:
	v_bfe_u32 v6, v3, 16, 3
	v_ffbh_u32_e32 v14, v6
	v_min_u32_e32 v14, 32, v14
	v_lshrrev_b32_e32 v12, 19, v3
	v_subrev_u32_e32 v15, 28, v14
	v_and_b32_e32 v12, 15, v12
	v_lshlrev_b32_sdwa v15, v15, v3 dst_sel:DWORD dst_unused:UNUSED_PAD src0_sel:DWORD src1_sel:WORD_1
	v_bfe_u32 v13, v3, 19, 4
	v_sub_u32_e32 v14, 29, v14
	v_and_b32_e32 v15, 7, v15
	v_cmp_eq_u16_e32 vcc, 0, v12
	v_cndmask_b32_e32 v6, v6, v15, vcc
	v_cndmask_b32_e32 v12, v13, v14, vcc
	v_lshlrev_b32_e32 v13, 8, v3
	v_mov_b32_e32 v14, 0x3b800000
	v_lshlrev_b32_e32 v6, 20, v6
	v_and_b32_e32 v13, 0x80000000, v13
	v_lshl_add_u32 v12, v12, 23, v14
	v_or3_b32 v12, v13, v12, v6
.LBB11_312:
	s_or_b64 exec, exec, s[6:7]
	s_nop 0
	v_mfma_f32_16x16x4f32 a[0:3], v2, v12, a[0:3]
	s_movk_i32 s4, 0x7f
	v_cmp_gt_i16_sdwa s[6:7], v7, s4 src0_sel:BYTE_3 src1_sel:DWORD
	s_mov_b64 s[4:5], 0
                                        ; implicit-def: $sgpr10
	s_and_saveexec_b64 s[8:9], s[6:7]
	s_xor_b64 s[6:7], exec, s[8:9]
	s_cbranch_execnz .LBB11_2361
; %bb.313:
	s_or_saveexec_b64 s[6:7], s[6:7]
	v_mov_b32_e32 v2, s10
	s_xor_b64 exec, exec, s[6:7]
	s_cbranch_execnz .LBB11_2364
.LBB11_314:
	s_or_b64 exec, exec, s[6:7]
	s_and_saveexec_b64 s[6:7], s[4:5]
	s_cbranch_execz .LBB11_316
.LBB11_315:
	v_bfe_u32 v2, v7, 24, 3
	v_ffbh_u32_e32 v14, v2
	v_min_u32_e32 v14, 32, v14
	v_lshrrev_b32_e32 v12, 27, v7
	v_subrev_u32_e32 v15, 28, v14
	v_and_b32_e32 v6, 0x80000000, v7
	v_and_b32_e32 v12, 15, v12
	v_bfe_u32 v13, v7, 27, 4
	v_lshlrev_b32_sdwa v7, v15, v7 dst_sel:DWORD dst_unused:UNUSED_PAD src0_sel:DWORD src1_sel:BYTE_3
	v_sub_u32_e32 v14, 29, v14
	v_and_b32_e32 v7, 7, v7
	v_cmp_eq_u16_e32 vcc, 0, v12
	v_cndmask_b32_e32 v2, v2, v7, vcc
	v_cndmask_b32_e32 v7, v13, v14, vcc
	v_mov_b32_e32 v12, 0x3b800000
	v_lshlrev_b32_e32 v2, 20, v2
	v_lshl_add_u32 v7, v7, 23, v12
	v_or3_b32 v2, v6, v7, v2
.LBB11_316:
	s_or_b64 exec, exec, s[6:7]
	s_movk_i32 s4, 0x7f
	v_cmp_gt_i16_sdwa s[6:7], v3, s4 src0_sel:BYTE_3 src1_sel:DWORD
	s_mov_b64 s[4:5], 0
                                        ; implicit-def: $sgpr10
	s_and_saveexec_b64 s[8:9], s[6:7]
	s_xor_b64 s[6:7], exec, s[8:9]
	s_cbranch_execnz .LBB11_2365
; %bb.317:
	s_or_saveexec_b64 s[6:7], s[6:7]
	v_mov_b32_e32 v6, s10
	s_xor_b64 exec, exec, s[6:7]
	s_cbranch_execnz .LBB11_2368
.LBB11_318:
	s_or_b64 exec, exec, s[6:7]
	s_and_saveexec_b64 s[6:7], s[4:5]
	s_cbranch_execz .LBB11_320
.LBB11_319:
	v_bfe_u32 v6, v3, 24, 3
	v_ffbh_u32_e32 v14, v6
	v_min_u32_e32 v14, 32, v14
	v_lshrrev_b32_e32 v12, 27, v3
	v_subrev_u32_e32 v15, 28, v14
	v_and_b32_e32 v7, 0x80000000, v3
	v_and_b32_e32 v12, 15, v12
	v_bfe_u32 v13, v3, 27, 4
	v_lshlrev_b32_sdwa v3, v15, v3 dst_sel:DWORD dst_unused:UNUSED_PAD src0_sel:DWORD src1_sel:BYTE_3
	v_sub_u32_e32 v14, 29, v14
	v_and_b32_e32 v3, 7, v3
	v_cmp_eq_u16_e32 vcc, 0, v12
	v_cndmask_b32_e32 v3, v6, v3, vcc
	v_cndmask_b32_e32 v6, v13, v14, vcc
	v_mov_b32_e32 v12, 0x3b800000
	v_lshlrev_b32_e32 v3, 20, v3
	v_lshl_add_u32 v6, v6, 23, v12
	v_or3_b32 v6, v7, v6, v3
.LBB11_320:
	s_or_b64 exec, exec, s[6:7]
	s_nop 0
	v_mfma_f32_16x16x4f32 a[0:3], v2, v6, a[0:3]
	s_movk_i32 s4, 0x7f
	v_cmp_gt_i16_sdwa s[6:7], v8, s4 src0_sel:BYTE_0 src1_sel:DWORD
	s_mov_b64 s[4:5], 0
                                        ; implicit-def: $sgpr10
	s_and_saveexec_b64 s[8:9], s[6:7]
	s_xor_b64 s[6:7], exec, s[8:9]
	s_cbranch_execnz .LBB11_2369
; %bb.321:
	s_or_saveexec_b64 s[6:7], s[6:7]
	v_mov_b32_e32 v2, s10
	s_xor_b64 exec, exec, s[6:7]
	s_cbranch_execnz .LBB11_2372
.LBB11_322:
	s_or_b64 exec, exec, s[6:7]
	s_and_saveexec_b64 s[6:7], s[4:5]
	s_cbranch_execz .LBB11_324
.LBB11_323:
	v_and_b32_e32 v2, 7, v8
	v_ffbh_u32_e32 v6, v2
	v_min_u32_e32 v6, 32, v6
	v_lshrrev_b16_e32 v3, 3, v8
	v_subrev_u32_e32 v7, 28, v6
	v_and_b32_e32 v3, 15, v3
	v_lshlrev_b32_e32 v7, v7, v8
	v_sub_u32_e32 v6, 29, v6
	v_and_b32_e32 v7, 7, v7
	v_cmp_eq_u16_e32 vcc, 0, v3
	v_cndmask_b32_e32 v2, v2, v7, vcc
	v_cndmask_b32_e32 v3, v3, v6, vcc
	v_lshlrev_b32_e32 v6, 24, v8
	v_mov_b32_e32 v7, 0x3b800000
	v_lshlrev_b32_e32 v2, 20, v2
	v_and_b32_e32 v6, 0x80000000, v6
	v_lshl_add_u32 v3, v3, 23, v7
	v_or3_b32 v2, v6, v3, v2
.LBB11_324:
	s_or_b64 exec, exec, s[6:7]
	s_movk_i32 s4, 0x7f
	v_cmp_gt_i16_sdwa s[6:7], v4, s4 src0_sel:BYTE_0 src1_sel:DWORD
	s_mov_b64 s[4:5], 0
                                        ; implicit-def: $sgpr10
	s_and_saveexec_b64 s[8:9], s[6:7]
	s_xor_b64 s[6:7], exec, s[8:9]
	s_cbranch_execnz .LBB11_2373
; %bb.325:
	s_or_saveexec_b64 s[6:7], s[6:7]
	v_mov_b32_e32 v3, s10
	s_xor_b64 exec, exec, s[6:7]
	s_cbranch_execnz .LBB11_2376
.LBB11_326:
	s_or_b64 exec, exec, s[6:7]
	s_and_saveexec_b64 s[6:7], s[4:5]
	s_cbranch_execz .LBB11_328
.LBB11_327:
	v_and_b32_e32 v3, 7, v4
	v_ffbh_u32_e32 v7, v3
	v_min_u32_e32 v7, 32, v7
	v_lshrrev_b16_e32 v6, 3, v4
	v_subrev_u32_e32 v12, 28, v7
	v_and_b32_e32 v6, 15, v6
	v_lshlrev_b32_e32 v12, v12, v4
	v_sub_u32_e32 v7, 29, v7
	v_and_b32_e32 v12, 7, v12
	v_cmp_eq_u16_e32 vcc, 0, v6
	v_cndmask_b32_e32 v3, v3, v12, vcc
	v_cndmask_b32_e32 v6, v6, v7, vcc
	v_lshlrev_b32_e32 v7, 24, v4
	v_mov_b32_e32 v12, 0x3b800000
	v_lshlrev_b32_e32 v3, 20, v3
	v_and_b32_e32 v7, 0x80000000, v7
	v_lshl_add_u32 v6, v6, 23, v12
	v_or3_b32 v3, v7, v6, v3
.LBB11_328:
	s_or_b64 exec, exec, s[6:7]
	s_nop 0
	v_mfma_f32_16x16x4f32 a[0:3], v2, v3, a[0:3]
	v_lshrrev_b32_e32 v3, 8, v8
	s_movk_i32 s4, 0x7f
	v_cmp_gt_i16_sdwa s[6:7], v3, s4 src0_sel:BYTE_0 src1_sel:DWORD
	s_mov_b64 s[4:5], 0
                                        ; implicit-def: $sgpr10
	s_and_saveexec_b64 s[8:9], s[6:7]
	s_xor_b64 s[6:7], exec, s[8:9]
	s_cbranch_execnz .LBB11_2377
; %bb.329:
	s_or_saveexec_b64 s[6:7], s[6:7]
	v_mov_b32_e32 v2, s10
	s_xor_b64 exec, exec, s[6:7]
	s_cbranch_execnz .LBB11_2380
.LBB11_330:
	s_or_b64 exec, exec, s[6:7]
	s_and_saveexec_b64 s[6:7], s[4:5]
	s_cbranch_execz .LBB11_332
.LBB11_331:
	v_bfe_u32 v2, v8, 8, 3
	v_ffbh_u32_e32 v7, v2
	v_min_u32_e32 v7, 32, v7
	v_lshrrev_b16_e32 v6, 3, v3
	v_subrev_u32_e32 v12, 28, v7
	v_and_b32_e32 v6, 15, v6
	v_lshlrev_b32_e32 v3, v12, v3
	v_sub_u32_e32 v7, 29, v7
	v_and_b32_e32 v3, 7, v3
	v_cmp_eq_u16_e32 vcc, 0, v6
	v_cndmask_b32_e32 v2, v2, v3, vcc
	v_cndmask_b32_e32 v3, v6, v7, vcc
	v_lshlrev_b32_e32 v6, 16, v8
	v_mov_b32_e32 v7, 0x3b800000
	v_lshlrev_b32_e32 v2, 20, v2
	v_and_b32_e32 v6, 0x80000000, v6
	v_lshl_add_u32 v3, v3, 23, v7
	v_or3_b32 v2, v6, v3, v2
.LBB11_332:
	s_or_b64 exec, exec, s[6:7]
	v_lshrrev_b32_e32 v3, 8, v4
	s_movk_i32 s4, 0x7f
	v_cmp_gt_i16_sdwa s[6:7], v3, s4 src0_sel:BYTE_0 src1_sel:DWORD
	s_mov_b64 s[4:5], 0
                                        ; implicit-def: $sgpr10
	s_and_saveexec_b64 s[8:9], s[6:7]
	s_xor_b64 s[6:7], exec, s[8:9]
	s_cbranch_execnz .LBB11_2381
; %bb.333:
	s_or_saveexec_b64 s[6:7], s[6:7]
	v_mov_b32_e32 v6, s10
	s_xor_b64 exec, exec, s[6:7]
	s_cbranch_execnz .LBB11_2384
.LBB11_334:
	s_or_b64 exec, exec, s[6:7]
	s_and_saveexec_b64 s[6:7], s[4:5]
	s_cbranch_execz .LBB11_336
.LBB11_335:
	v_bfe_u32 v6, v4, 8, 3
	v_ffbh_u32_e32 v12, v6
	v_min_u32_e32 v12, 32, v12
	v_lshrrev_b16_e32 v7, 3, v3
	v_subrev_u32_e32 v13, 28, v12
	v_and_b32_e32 v7, 15, v7
	v_lshlrev_b32_e32 v3, v13, v3
	v_sub_u32_e32 v12, 29, v12
	v_and_b32_e32 v3, 7, v3
	v_cmp_eq_u16_e32 vcc, 0, v7
	v_cndmask_b32_e32 v3, v6, v3, vcc
	v_cndmask_b32_e32 v6, v7, v12, vcc
	v_lshlrev_b32_e32 v7, 16, v4
	v_mov_b32_e32 v12, 0x3b800000
	v_lshlrev_b32_e32 v3, 20, v3
	v_and_b32_e32 v7, 0x80000000, v7
	v_lshl_add_u32 v6, v6, 23, v12
	v_or3_b32 v6, v7, v6, v3
.LBB11_336:
	s_or_b64 exec, exec, s[6:7]
	s_nop 0
	v_mfma_f32_16x16x4f32 a[0:3], v2, v6, a[0:3]
	s_movk_i32 s4, 0xff
	v_and_b32_sdwa v3, v8, s4 dst_sel:DWORD dst_unused:UNUSED_PAD src0_sel:WORD_1 src1_sel:DWORD
	s_movk_i32 s4, 0x7f
	v_cmp_lt_i16_e32 vcc, s4, v3
	s_mov_b64 s[4:5], 0
                                        ; implicit-def: $sgpr10
	s_and_saveexec_b64 s[6:7], vcc
	s_xor_b64 s[6:7], exec, s[6:7]
	s_cbranch_execnz .LBB11_2385
; %bb.337:
	s_or_saveexec_b64 s[6:7], s[6:7]
	v_mov_b32_e32 v2, s10
	s_xor_b64 exec, exec, s[6:7]
	s_cbranch_execnz .LBB11_2388
.LBB11_338:
	s_or_b64 exec, exec, s[6:7]
	s_and_saveexec_b64 s[6:7], s[4:5]
	s_cbranch_execz .LBB11_340
.LBB11_339:
	v_bfe_u32 v2, v8, 16, 3
	v_ffbh_u32_e32 v7, v2
	v_min_u32_e32 v7, 32, v7
	v_lshrrev_b32_e32 v3, 19, v8
	v_subrev_u32_e32 v12, 28, v7
	v_and_b32_e32 v3, 15, v3
	v_lshlrev_b32_sdwa v12, v12, v8 dst_sel:DWORD dst_unused:UNUSED_PAD src0_sel:DWORD src1_sel:WORD_1
	v_bfe_u32 v6, v8, 19, 4
	v_sub_u32_e32 v7, 29, v7
	v_and_b32_e32 v12, 7, v12
	v_cmp_eq_u16_e32 vcc, 0, v3
	v_cndmask_b32_e32 v2, v2, v12, vcc
	v_cndmask_b32_e32 v3, v6, v7, vcc
	v_lshlrev_b32_e32 v6, 8, v8
	v_mov_b32_e32 v7, 0x3b800000
	v_lshlrev_b32_e32 v2, 20, v2
	v_and_b32_e32 v6, 0x80000000, v6
	v_lshl_add_u32 v3, v3, 23, v7
	v_or3_b32 v2, v6, v3, v2
.LBB11_340:
	s_or_b64 exec, exec, s[6:7]
	s_movk_i32 s4, 0xff
	v_and_b32_sdwa v3, v4, s4 dst_sel:DWORD dst_unused:UNUSED_PAD src0_sel:WORD_1 src1_sel:DWORD
	s_movk_i32 s4, 0x7f
	v_cmp_lt_i16_e32 vcc, s4, v3
	s_mov_b64 s[4:5], 0
                                        ; implicit-def: $sgpr10
	s_and_saveexec_b64 s[6:7], vcc
	s_xor_b64 s[6:7], exec, s[6:7]
	s_cbranch_execnz .LBB11_2389
; %bb.341:
	s_or_saveexec_b64 s[6:7], s[6:7]
	v_mov_b32_e32 v6, s10
	s_xor_b64 exec, exec, s[6:7]
	s_cbranch_execnz .LBB11_2392
.LBB11_342:
	s_or_b64 exec, exec, s[6:7]
	s_and_saveexec_b64 s[6:7], s[4:5]
	s_cbranch_execz .LBB11_344
.LBB11_343:
	v_bfe_u32 v3, v4, 16, 3
	v_ffbh_u32_e32 v12, v3
	v_min_u32_e32 v12, 32, v12
	v_lshrrev_b32_e32 v6, 19, v4
	v_subrev_u32_e32 v13, 28, v12
	v_and_b32_e32 v6, 15, v6
	v_lshlrev_b32_sdwa v13, v13, v4 dst_sel:DWORD dst_unused:UNUSED_PAD src0_sel:DWORD src1_sel:WORD_1
	v_bfe_u32 v7, v4, 19, 4
	v_sub_u32_e32 v12, 29, v12
	v_and_b32_e32 v13, 7, v13
	v_cmp_eq_u16_e32 vcc, 0, v6
	v_cndmask_b32_e32 v3, v3, v13, vcc
	v_cndmask_b32_e32 v6, v7, v12, vcc
	v_lshlrev_b32_e32 v7, 8, v4
	v_mov_b32_e32 v12, 0x3b800000
	v_lshlrev_b32_e32 v3, 20, v3
	v_and_b32_e32 v7, 0x80000000, v7
	v_lshl_add_u32 v6, v6, 23, v12
	v_or3_b32 v6, v7, v6, v3
.LBB11_344:
	s_or_b64 exec, exec, s[6:7]
	s_nop 0
	v_mfma_f32_16x16x4f32 a[0:3], v2, v6, a[0:3]
	s_movk_i32 s4, 0x7f
	v_cmp_gt_i16_sdwa s[6:7], v8, s4 src0_sel:BYTE_3 src1_sel:DWORD
	s_mov_b64 s[4:5], 0
                                        ; implicit-def: $sgpr10
	s_and_saveexec_b64 s[8:9], s[6:7]
	s_xor_b64 s[6:7], exec, s[8:9]
	s_cbranch_execnz .LBB11_2393
; %bb.345:
	s_or_saveexec_b64 s[6:7], s[6:7]
	v_mov_b32_e32 v2, s10
	s_xor_b64 exec, exec, s[6:7]
	s_cbranch_execnz .LBB11_2396
.LBB11_346:
	s_or_b64 exec, exec, s[6:7]
	s_and_saveexec_b64 s[6:7], s[4:5]
	s_cbranch_execz .LBB11_348
.LBB11_347:
	v_bfe_u32 v2, v8, 24, 3
	v_ffbh_u32_e32 v12, v2
	v_min_u32_e32 v12, 32, v12
	v_lshrrev_b32_e32 v6, 27, v8
	v_subrev_u32_e32 v13, 28, v12
	v_and_b32_e32 v3, 0x80000000, v8
	v_and_b32_e32 v6, 15, v6
	v_bfe_u32 v7, v8, 27, 4
	v_lshlrev_b32_sdwa v8, v13, v8 dst_sel:DWORD dst_unused:UNUSED_PAD src0_sel:DWORD src1_sel:BYTE_3
	v_sub_u32_e32 v12, 29, v12
	v_and_b32_e32 v8, 7, v8
	v_cmp_eq_u16_e32 vcc, 0, v6
	v_cndmask_b32_e32 v2, v2, v8, vcc
	v_cndmask_b32_e32 v6, v7, v12, vcc
	v_mov_b32_e32 v7, 0x3b800000
	v_lshlrev_b32_e32 v2, 20, v2
	v_lshl_add_u32 v6, v6, 23, v7
	v_or3_b32 v2, v3, v6, v2
.LBB11_348:
	s_or_b64 exec, exec, s[6:7]
	s_movk_i32 s4, 0x7f
	v_cmp_gt_i16_sdwa s[6:7], v4, s4 src0_sel:BYTE_3 src1_sel:DWORD
	s_mov_b64 s[4:5], 0
                                        ; implicit-def: $sgpr10
	s_and_saveexec_b64 s[8:9], s[6:7]
	s_xor_b64 s[6:7], exec, s[8:9]
	s_cbranch_execnz .LBB11_2397
; %bb.349:
	s_or_saveexec_b64 s[6:7], s[6:7]
	v_mov_b32_e32 v3, s10
	s_xor_b64 exec, exec, s[6:7]
	s_cbranch_execnz .LBB11_2400
.LBB11_350:
	s_or_b64 exec, exec, s[6:7]
	s_and_saveexec_b64 s[6:7], s[4:5]
	s_cbranch_execz .LBB11_352
.LBB11_351:
	v_bfe_u32 v3, v4, 24, 3
	v_ffbh_u32_e32 v12, v3
	v_min_u32_e32 v12, 32, v12
	v_lshrrev_b32_e32 v7, 27, v4
	v_subrev_u32_e32 v13, 28, v12
	v_and_b32_e32 v6, 0x80000000, v4
	v_and_b32_e32 v7, 15, v7
	v_bfe_u32 v8, v4, 27, 4
	v_lshlrev_b32_sdwa v4, v13, v4 dst_sel:DWORD dst_unused:UNUSED_PAD src0_sel:DWORD src1_sel:BYTE_3
	v_sub_u32_e32 v12, 29, v12
	v_and_b32_e32 v4, 7, v4
	v_cmp_eq_u16_e32 vcc, 0, v7
	v_cndmask_b32_e32 v3, v3, v4, vcc
	v_cndmask_b32_e32 v4, v8, v12, vcc
	v_mov_b32_e32 v7, 0x3b800000
	v_lshlrev_b32_e32 v3, 20, v3
	v_lshl_add_u32 v4, v4, 23, v7
	v_or3_b32 v3, v6, v4, v3
.LBB11_352:
	s_or_b64 exec, exec, s[6:7]
	s_nop 0
	v_mfma_f32_16x16x4f32 a[0:3], v2, v3, a[0:3]
	s_movk_i32 s4, 0x7f
	v_cmp_gt_i16_sdwa s[6:7], v9, s4 src0_sel:BYTE_0 src1_sel:DWORD
	s_mov_b64 s[4:5], 0
                                        ; implicit-def: $sgpr10
	s_and_saveexec_b64 s[8:9], s[6:7]
	s_xor_b64 s[6:7], exec, s[8:9]
	s_cbranch_execnz .LBB11_2401
; %bb.353:
	s_or_saveexec_b64 s[6:7], s[6:7]
	v_mov_b32_e32 v2, s10
	s_xor_b64 exec, exec, s[6:7]
	s_cbranch_execnz .LBB11_2404
.LBB11_354:
	s_or_b64 exec, exec, s[6:7]
	s_and_saveexec_b64 s[6:7], s[4:5]
	s_cbranch_execz .LBB11_356
.LBB11_355:
	v_mov_b32_e32 v2, 8
	v_and_b32_e32 v3, 7, v9
	v_lshrrev_b32_sdwa v2, v2, v9 dst_sel:BYTE_1 dst_unused:UNUSED_PAD src0_sel:DWORD src1_sel:DWORD
	v_ffbh_u32_e32 v4, v3
	v_or_b32_sdwa v2, v9, v2 dst_sel:DWORD dst_unused:UNUSED_PAD src0_sel:BYTE_0 src1_sel:DWORD
	v_min_u32_e32 v4, 32, v4
	v_lshrrev_b16_e32 v2, 3, v2
	v_subrev_u32_e32 v6, 28, v4
	v_and_b32_e32 v2, 15, v2
	v_lshlrev_b32_e32 v6, v6, v9
	v_sub_u32_e32 v4, 29, v4
	v_and_b32_e32 v6, 7, v6
	v_cmp_eq_u16_e32 vcc, 0, v2
	v_cndmask_b32_e32 v3, v3, v6, vcc
	v_cndmask_b32_e32 v2, v2, v4, vcc
	v_lshlrev_b32_e32 v4, 24, v9
	v_mov_b32_e32 v6, 0x3b800000
	v_lshlrev_b32_e32 v3, 20, v3
	v_and_b32_e32 v4, 0x80000000, v4
	v_lshl_add_u32 v2, v2, 23, v6
	v_or3_b32 v2, v4, v2, v3
.LBB11_356:
	s_or_b64 exec, exec, s[6:7]
	s_movk_i32 s4, 0x7f
	v_cmp_gt_i16_sdwa s[6:7], v5, s4 src0_sel:BYTE_0 src1_sel:DWORD
	s_mov_b64 s[4:5], 0
                                        ; implicit-def: $sgpr10
	s_and_saveexec_b64 s[8:9], s[6:7]
	s_xor_b64 s[6:7], exec, s[8:9]
	s_cbranch_execnz .LBB11_2405
; %bb.357:
	s_or_saveexec_b64 s[6:7], s[6:7]
	v_mov_b32_e32 v3, s10
	s_xor_b64 exec, exec, s[6:7]
	s_cbranch_execnz .LBB11_2408
.LBB11_358:
	s_or_b64 exec, exec, s[6:7]
	s_and_saveexec_b64 s[6:7], s[4:5]
	s_cbranch_execz .LBB11_360
.LBB11_359:
	v_mov_b32_e32 v3, 8
	v_and_b32_e32 v4, 7, v5
	v_lshrrev_b32_sdwa v3, v3, v5 dst_sel:BYTE_1 dst_unused:UNUSED_PAD src0_sel:DWORD src1_sel:DWORD
	v_ffbh_u32_e32 v6, v4
	v_or_b32_sdwa v3, v5, v3 dst_sel:DWORD dst_unused:UNUSED_PAD src0_sel:BYTE_0 src1_sel:DWORD
	v_min_u32_e32 v6, 32, v6
	v_lshrrev_b16_e32 v3, 3, v3
	v_subrev_u32_e32 v7, 28, v6
	v_and_b32_e32 v3, 15, v3
	v_lshlrev_b32_e32 v7, v7, v5
	v_sub_u32_e32 v6, 29, v6
	v_and_b32_e32 v7, 7, v7
	v_cmp_eq_u16_e32 vcc, 0, v3
	v_cndmask_b32_e32 v4, v4, v7, vcc
	v_cndmask_b32_e32 v3, v3, v6, vcc
	v_lshlrev_b32_e32 v6, 24, v5
	v_mov_b32_e32 v7, 0x3b800000
	v_lshlrev_b32_e32 v4, 20, v4
	v_and_b32_e32 v6, 0x80000000, v6
	v_lshl_add_u32 v3, v3, 23, v7
	v_or3_b32 v3, v6, v3, v4
.LBB11_360:
	s_or_b64 exec, exec, s[6:7]
	s_nop 0
	v_mfma_f32_16x16x4f32 a[0:3], v2, v3, a[0:3]
	v_lshrrev_b32_e32 v3, 8, v9
	s_movk_i32 s4, 0x7f
	v_cmp_gt_i16_sdwa s[6:7], v3, s4 src0_sel:BYTE_0 src1_sel:DWORD
	s_mov_b64 s[4:5], 0
                                        ; implicit-def: $sgpr10
	s_and_saveexec_b64 s[8:9], s[6:7]
	s_xor_b64 s[6:7], exec, s[8:9]
	s_cbranch_execnz .LBB11_2409
; %bb.361:
	s_or_saveexec_b64 s[6:7], s[6:7]
	v_mov_b32_e32 v2, s10
	s_xor_b64 exec, exec, s[6:7]
	s_cbranch_execnz .LBB11_2412
.LBB11_362:
	s_or_b64 exec, exec, s[6:7]
	s_and_saveexec_b64 s[6:7], s[4:5]
	s_cbranch_execz .LBB11_364
.LBB11_363:
	v_bfe_u32 v2, v9, 8, 3
	v_ffbh_u32_e32 v6, v2
	v_min_u32_e32 v6, 32, v6
	v_lshrrev_b16_e32 v4, 3, v3
	v_subrev_u32_e32 v7, 28, v6
	v_and_b32_e32 v4, 15, v4
	v_lshlrev_b32_e32 v3, v7, v3
	v_sub_u32_e32 v6, 29, v6
	v_and_b32_e32 v3, 7, v3
	v_cmp_eq_u16_e32 vcc, 0, v4
	v_cndmask_b32_e32 v2, v2, v3, vcc
	v_cndmask_b32_e32 v3, v4, v6, vcc
	v_lshlrev_b32_e32 v4, 16, v9
	v_mov_b32_e32 v6, 0x3b800000
	v_lshlrev_b32_e32 v2, 20, v2
	v_and_b32_e32 v4, 0x80000000, v4
	v_lshl_add_u32 v3, v3, 23, v6
	v_or3_b32 v2, v4, v3, v2
.LBB11_364:
	s_or_b64 exec, exec, s[6:7]
	v_lshrrev_b32_e32 v3, 8, v5
	s_movk_i32 s4, 0x7f
	v_cmp_gt_i16_sdwa s[6:7], v3, s4 src0_sel:BYTE_0 src1_sel:DWORD
	s_mov_b64 s[4:5], 0
                                        ; implicit-def: $sgpr10
	s_and_saveexec_b64 s[8:9], s[6:7]
	s_xor_b64 s[6:7], exec, s[8:9]
	s_cbranch_execnz .LBB11_2413
; %bb.365:
	s_or_saveexec_b64 s[6:7], s[6:7]
	v_mov_b32_e32 v4, s10
	s_xor_b64 exec, exec, s[6:7]
	s_cbranch_execnz .LBB11_2416
.LBB11_366:
	s_or_b64 exec, exec, s[6:7]
	s_and_saveexec_b64 s[6:7], s[4:5]
	s_cbranch_execz .LBB11_368
.LBB11_367:
	v_bfe_u32 v4, v5, 8, 3
	v_ffbh_u32_e32 v7, v4
	v_min_u32_e32 v7, 32, v7
	v_lshrrev_b16_e32 v6, 3, v3
	v_subrev_u32_e32 v8, 28, v7
	v_and_b32_e32 v6, 15, v6
	v_lshlrev_b32_e32 v3, v8, v3
	v_sub_u32_e32 v7, 29, v7
	v_and_b32_e32 v3, 7, v3
	v_cmp_eq_u16_e32 vcc, 0, v6
	v_cndmask_b32_e32 v3, v4, v3, vcc
	v_cndmask_b32_e32 v4, v6, v7, vcc
	v_lshlrev_b32_e32 v6, 16, v5
	v_mov_b32_e32 v7, 0x3b800000
	v_lshlrev_b32_e32 v3, 20, v3
	v_and_b32_e32 v6, 0x80000000, v6
	v_lshl_add_u32 v4, v4, 23, v7
	v_or3_b32 v4, v6, v4, v3
.LBB11_368:
	s_or_b64 exec, exec, s[6:7]
	s_nop 0
	v_mfma_f32_16x16x4f32 a[0:3], v2, v4, a[0:3]
	s_movk_i32 s4, 0xff
	v_and_b32_sdwa v3, v9, s4 dst_sel:DWORD dst_unused:UNUSED_PAD src0_sel:WORD_1 src1_sel:DWORD
	s_movk_i32 s4, 0x7f
	v_cmp_lt_i16_e32 vcc, s4, v3
	s_mov_b64 s[4:5], 0
                                        ; implicit-def: $sgpr10
	s_and_saveexec_b64 s[6:7], vcc
	s_xor_b64 s[6:7], exec, s[6:7]
	s_cbranch_execnz .LBB11_2417
; %bb.369:
	s_or_saveexec_b64 s[6:7], s[6:7]
	v_mov_b32_e32 v2, s10
	s_xor_b64 exec, exec, s[6:7]
	s_cbranch_execnz .LBB11_2420
.LBB11_370:
	s_or_b64 exec, exec, s[6:7]
	s_and_saveexec_b64 s[6:7], s[4:5]
	s_cbranch_execz .LBB11_372
.LBB11_371:
	v_bfe_u32 v2, v9, 16, 3
	v_ffbh_u32_e32 v6, v2
	v_min_u32_e32 v6, 32, v6
	v_lshrrev_b32_e32 v3, 19, v9
	v_subrev_u32_e32 v7, 28, v6
	v_and_b32_e32 v3, 15, v3
	v_lshlrev_b32_sdwa v7, v7, v9 dst_sel:DWORD dst_unused:UNUSED_PAD src0_sel:DWORD src1_sel:WORD_1
	v_bfe_u32 v4, v9, 19, 4
	v_sub_u32_e32 v6, 29, v6
	v_and_b32_e32 v7, 7, v7
	v_cmp_eq_u16_e32 vcc, 0, v3
	v_cndmask_b32_e32 v2, v2, v7, vcc
	v_cndmask_b32_e32 v3, v4, v6, vcc
	v_lshlrev_b32_e32 v4, 8, v9
	v_mov_b32_e32 v6, 0x3b800000
	v_lshlrev_b32_e32 v2, 20, v2
	v_and_b32_e32 v4, 0x80000000, v4
	v_lshl_add_u32 v3, v3, 23, v6
	v_or3_b32 v2, v4, v3, v2
.LBB11_372:
	s_or_b64 exec, exec, s[6:7]
	s_movk_i32 s4, 0xff
	v_and_b32_sdwa v3, v5, s4 dst_sel:DWORD dst_unused:UNUSED_PAD src0_sel:WORD_1 src1_sel:DWORD
	s_movk_i32 s4, 0x7f
	v_cmp_lt_i16_e32 vcc, s4, v3
	s_mov_b64 s[4:5], 0
                                        ; implicit-def: $sgpr10
	s_and_saveexec_b64 s[6:7], vcc
	s_xor_b64 s[6:7], exec, s[6:7]
	s_cbranch_execnz .LBB11_2421
; %bb.373:
	s_or_saveexec_b64 s[6:7], s[6:7]
	v_mov_b32_e32 v4, s10
	s_xor_b64 exec, exec, s[6:7]
	s_cbranch_execnz .LBB11_2424
.LBB11_374:
	s_or_b64 exec, exec, s[6:7]
	s_and_saveexec_b64 s[6:7], s[4:5]
	s_cbranch_execz .LBB11_376
.LBB11_375:
	v_bfe_u32 v3, v5, 16, 3
	v_ffbh_u32_e32 v7, v3
	v_min_u32_e32 v7, 32, v7
	v_lshrrev_b32_e32 v4, 19, v5
	v_subrev_u32_e32 v8, 28, v7
	v_and_b32_e32 v4, 15, v4
	v_lshlrev_b32_sdwa v8, v8, v5 dst_sel:DWORD dst_unused:UNUSED_PAD src0_sel:DWORD src1_sel:WORD_1
	v_bfe_u32 v6, v5, 19, 4
	v_sub_u32_e32 v7, 29, v7
	v_and_b32_e32 v8, 7, v8
	v_cmp_eq_u16_e32 vcc, 0, v4
	v_cndmask_b32_e32 v3, v3, v8, vcc
	v_cndmask_b32_e32 v4, v6, v7, vcc
	v_lshlrev_b32_e32 v6, 8, v5
	v_mov_b32_e32 v7, 0x3b800000
	v_lshlrev_b32_e32 v3, 20, v3
	v_and_b32_e32 v6, 0x80000000, v6
	v_lshl_add_u32 v4, v4, 23, v7
	v_or3_b32 v4, v6, v4, v3
.LBB11_376:
	s_or_b64 exec, exec, s[6:7]
	s_nop 0
	v_mfma_f32_16x16x4f32 a[0:3], v2, v4, a[0:3]
	s_movk_i32 s4, 0x7f
	v_cmp_gt_i16_sdwa s[6:7], v9, s4 src0_sel:BYTE_3 src1_sel:DWORD
	s_mov_b64 s[4:5], 0
                                        ; implicit-def: $sgpr10
	s_and_saveexec_b64 s[8:9], s[6:7]
	s_xor_b64 s[6:7], exec, s[8:9]
	s_cbranch_execnz .LBB11_2425
; %bb.377:
	s_or_saveexec_b64 s[6:7], s[6:7]
	v_mov_b32_e32 v2, s10
	s_xor_b64 exec, exec, s[6:7]
	s_cbranch_execnz .LBB11_2428
.LBB11_378:
	s_or_b64 exec, exec, s[6:7]
	s_and_saveexec_b64 s[6:7], s[4:5]
	s_cbranch_execz .LBB11_380
.LBB11_379:
	v_bfe_u32 v2, v9, 24, 3
	v_ffbh_u32_e32 v7, v2
	v_min_u32_e32 v7, 32, v7
	v_lshrrev_b32_e32 v4, 27, v9
	v_subrev_u32_e32 v8, 28, v7
	v_and_b32_e32 v4, 15, v4
	v_lshlrev_b32_sdwa v8, v8, v9 dst_sel:DWORD dst_unused:UNUSED_PAD src0_sel:DWORD src1_sel:BYTE_3
	v_bfe_u32 v6, v9, 27, 4
	v_sub_u32_e32 v7, 29, v7
	v_and_b32_e32 v8, 7, v8
	v_cmp_eq_u16_e32 vcc, 0, v4
	v_cndmask_b32_e32 v2, v2, v8, vcc
	v_cndmask_b32_e32 v4, v6, v7, vcc
	v_mov_b32_e32 v6, 0x3b800000
	v_and_b32_e32 v3, 0x80000000, v9
	v_lshlrev_b32_e32 v2, 20, v2
	v_lshl_add_u32 v4, v4, 23, v6
	v_or3_b32 v2, v3, v4, v2
.LBB11_380:
	s_or_b64 exec, exec, s[6:7]
	s_movk_i32 s4, 0x7f
	v_cmp_gt_i16_sdwa s[6:7], v5, s4 src0_sel:BYTE_3 src1_sel:DWORD
	s_mov_b64 s[4:5], 0
                                        ; implicit-def: $sgpr10
	s_and_saveexec_b64 s[8:9], s[6:7]
	s_xor_b64 s[6:7], exec, s[8:9]
	s_cbranch_execnz .LBB11_2429
; %bb.381:
	s_or_saveexec_b64 s[6:7], s[6:7]
	v_mov_b32_e32 v3, s10
	s_xor_b64 exec, exec, s[6:7]
	s_cbranch_execnz .LBB11_2432
.LBB11_382:
	s_or_b64 exec, exec, s[6:7]
	s_and_saveexec_b64 s[6:7], s[4:5]
	s_cbranch_execz .LBB11_384
.LBB11_383:
	v_bfe_u32 v3, v5, 24, 3
	v_ffbh_u32_e32 v8, v3
	v_min_u32_e32 v8, 32, v8
	v_lshrrev_b32_e32 v6, 27, v5
	v_subrev_u32_e32 v9, 28, v8
	v_and_b32_e32 v4, 0x80000000, v5
	v_and_b32_e32 v6, 15, v6
	v_bfe_u32 v7, v5, 27, 4
	v_lshlrev_b32_sdwa v5, v9, v5 dst_sel:DWORD dst_unused:UNUSED_PAD src0_sel:DWORD src1_sel:BYTE_3
	v_sub_u32_e32 v8, 29, v8
	v_and_b32_e32 v5, 7, v5
	v_cmp_eq_u16_e32 vcc, 0, v6
	v_cndmask_b32_e32 v3, v3, v5, vcc
	v_cndmask_b32_e32 v5, v7, v8, vcc
	v_mov_b32_e32 v6, 0x3b800000
	v_lshlrev_b32_e32 v3, 20, v3
	v_lshl_add_u32 v5, v5, 23, v6
	v_or3_b32 v3, v4, v5, v3
.LBB11_384:
	s_or_b64 exec, exec, s[6:7]
	s_nop 0
	v_mfma_f32_16x16x4f32 a[0:3], v2, v3, a[0:3]
	s_movk_i32 s4, 0x7f
                                        ; implicit-def: $sgpr10
	s_nop 7
	s_nop 1
	flat_store_dwordx4 v[10:11], a[0:3] offset:32
	flat_load_dwordx4 v[12:15], v[0:1] offset:8
	s_nop 0
	flat_load_dwordx2 v[10:11], v[0:1] offset:32
	s_waitcnt vmcnt(0) lgkmcnt(0)
	flat_load_dwordx4 v[6:9], v[12:13] offset:16
	flat_load_dwordx4 v[2:5], v[14:15] offset:112
	s_waitcnt vmcnt(0) lgkmcnt(0)
	v_cmp_gt_i16_sdwa s[6:7], v6, s4 src0_sel:BYTE_0 src1_sel:DWORD
	s_mov_b64 s[4:5], 0
	s_and_saveexec_b64 s[8:9], s[6:7]
	s_xor_b64 s[6:7], exec, s[8:9]
	s_cbranch_execnz .LBB11_2433
; %bb.385:
	s_or_saveexec_b64 s[6:7], s[6:7]
	v_mov_b32_e32 v12, s10
	s_xor_b64 exec, exec, s[6:7]
	s_cbranch_execnz .LBB11_2436
.LBB11_386:
	s_or_b64 exec, exec, s[6:7]
	s_and_saveexec_b64 s[6:7], s[4:5]
	s_cbranch_execz .LBB11_388
.LBB11_387:
	v_and_b32_e32 v12, 7, v6
	v_ffbh_u32_e32 v14, v12
	v_min_u32_e32 v14, 32, v14
	v_lshrrev_b16_e32 v13, 3, v6
	v_subrev_u32_e32 v15, 28, v14
	v_and_b32_e32 v13, 15, v13
	v_lshlrev_b32_e32 v15, v15, v6
	v_sub_u32_e32 v14, 29, v14
	v_and_b32_e32 v15, 7, v15
	v_cmp_eq_u16_e32 vcc, 0, v13
	v_cndmask_b32_e32 v12, v12, v15, vcc
	v_cndmask_b32_e32 v13, v13, v14, vcc
	v_lshlrev_b32_e32 v14, 24, v6
	v_mov_b32_e32 v15, 0x3b800000
	v_lshlrev_b32_e32 v12, 20, v12
	v_and_b32_e32 v14, 0x80000000, v14
	v_lshl_add_u32 v13, v13, 23, v15
	v_or3_b32 v12, v14, v13, v12
.LBB11_388:
	s_or_b64 exec, exec, s[6:7]
	s_movk_i32 s4, 0x7f
	v_cmp_gt_i16_sdwa s[6:7], v2, s4 src0_sel:BYTE_0 src1_sel:DWORD
	s_mov_b64 s[4:5], 0
                                        ; implicit-def: $sgpr10
	s_and_saveexec_b64 s[8:9], s[6:7]
	s_xor_b64 s[6:7], exec, s[8:9]
	s_cbranch_execnz .LBB11_2437
; %bb.389:
	s_or_saveexec_b64 s[6:7], s[6:7]
	v_mov_b32_e32 v13, s10
	s_xor_b64 exec, exec, s[6:7]
	s_cbranch_execnz .LBB11_2440
.LBB11_390:
	s_or_b64 exec, exec, s[6:7]
	s_and_saveexec_b64 s[6:7], s[4:5]
	s_cbranch_execz .LBB11_392
.LBB11_391:
	v_and_b32_e32 v13, 7, v2
	v_ffbh_u32_e32 v15, v13
	v_min_u32_e32 v15, 32, v15
	v_lshrrev_b16_e32 v14, 3, v2
	v_subrev_u32_e32 v16, 28, v15
	v_and_b32_e32 v14, 15, v14
	v_lshlrev_b32_e32 v16, v16, v2
	v_sub_u32_e32 v15, 29, v15
	v_and_b32_e32 v16, 7, v16
	v_cmp_eq_u16_e32 vcc, 0, v14
	v_cndmask_b32_e32 v13, v13, v16, vcc
	v_cndmask_b32_e32 v14, v14, v15, vcc
	v_lshlrev_b32_e32 v15, 24, v2
	v_mov_b32_e32 v16, 0x3b800000
	v_lshlrev_b32_e32 v13, 20, v13
	v_and_b32_e32 v15, 0x80000000, v15
	v_lshl_add_u32 v14, v14, 23, v16
	v_or3_b32 v13, v15, v14, v13
.LBB11_392:
	s_or_b64 exec, exec, s[6:7]
	flat_load_dwordx4 a[0:3], v[10:11] offset:48
	s_movk_i32 s4, 0x7f
                                        ; implicit-def: $sgpr10
	s_waitcnt vmcnt(0) lgkmcnt(0)
	v_mfma_f32_16x16x4f32 a[0:3], v12, v13, a[0:3]
	v_lshrrev_b32_e32 v13, 8, v6
	v_cmp_gt_i16_sdwa s[6:7], v13, s4 src0_sel:BYTE_0 src1_sel:DWORD
	s_mov_b64 s[4:5], 0
	s_and_saveexec_b64 s[8:9], s[6:7]
	s_xor_b64 s[6:7], exec, s[8:9]
	s_cbranch_execnz .LBB11_2441
; %bb.393:
	s_or_saveexec_b64 s[6:7], s[6:7]
	v_mov_b32_e32 v12, s10
	s_xor_b64 exec, exec, s[6:7]
	s_cbranch_execnz .LBB11_2444
.LBB11_394:
	s_or_b64 exec, exec, s[6:7]
	s_and_saveexec_b64 s[6:7], s[4:5]
	s_cbranch_execz .LBB11_396
.LBB11_395:
	v_bfe_u32 v12, v6, 8, 3
	v_ffbh_u32_e32 v15, v12
	v_min_u32_e32 v15, 32, v15
	v_lshrrev_b16_e32 v14, 3, v13
	v_subrev_u32_e32 v16, 28, v15
	v_and_b32_e32 v14, 15, v14
	v_lshlrev_b32_e32 v13, v16, v13
	v_sub_u32_e32 v15, 29, v15
	v_and_b32_e32 v13, 7, v13
	v_cmp_eq_u16_e32 vcc, 0, v14
	v_cndmask_b32_e32 v12, v12, v13, vcc
	v_cndmask_b32_e32 v13, v14, v15, vcc
	v_lshlrev_b32_e32 v14, 16, v6
	v_mov_b32_e32 v15, 0x3b800000
	v_lshlrev_b32_e32 v12, 20, v12
	v_and_b32_e32 v14, 0x80000000, v14
	v_lshl_add_u32 v13, v13, 23, v15
	v_or3_b32 v12, v14, v13, v12
.LBB11_396:
	s_or_b64 exec, exec, s[6:7]
	v_lshrrev_b32_e32 v13, 8, v2
	s_movk_i32 s4, 0x7f
	v_cmp_gt_i16_sdwa s[6:7], v13, s4 src0_sel:BYTE_0 src1_sel:DWORD
	s_mov_b64 s[4:5], 0
                                        ; implicit-def: $sgpr10
	s_and_saveexec_b64 s[8:9], s[6:7]
	s_xor_b64 s[6:7], exec, s[8:9]
	s_cbranch_execnz .LBB11_2445
; %bb.397:
	s_or_saveexec_b64 s[6:7], s[6:7]
	v_mov_b32_e32 v14, s10
	s_xor_b64 exec, exec, s[6:7]
	s_cbranch_execnz .LBB11_2448
.LBB11_398:
	s_or_b64 exec, exec, s[6:7]
	s_and_saveexec_b64 s[6:7], s[4:5]
	s_cbranch_execz .LBB11_400
.LBB11_399:
	v_bfe_u32 v14, v2, 8, 3
	v_ffbh_u32_e32 v16, v14
	v_min_u32_e32 v16, 32, v16
	v_lshrrev_b16_e32 v15, 3, v13
	v_subrev_u32_e32 v17, 28, v16
	v_and_b32_e32 v15, 15, v15
	v_lshlrev_b32_e32 v13, v17, v13
	v_sub_u32_e32 v16, 29, v16
	v_and_b32_e32 v13, 7, v13
	v_cmp_eq_u16_e32 vcc, 0, v15
	v_cndmask_b32_e32 v13, v14, v13, vcc
	v_cndmask_b32_e32 v14, v15, v16, vcc
	v_lshlrev_b32_e32 v15, 16, v2
	v_mov_b32_e32 v16, 0x3b800000
	v_lshlrev_b32_e32 v13, 20, v13
	v_and_b32_e32 v15, 0x80000000, v15
	v_lshl_add_u32 v14, v14, 23, v16
	v_or3_b32 v14, v15, v14, v13
.LBB11_400:
	s_or_b64 exec, exec, s[6:7]
	s_nop 0
	v_mfma_f32_16x16x4f32 a[0:3], v12, v14, a[0:3]
	s_movk_i32 s4, 0xff
	v_and_b32_sdwa v13, v6, s4 dst_sel:DWORD dst_unused:UNUSED_PAD src0_sel:WORD_1 src1_sel:DWORD
	s_movk_i32 s4, 0x7f
	v_cmp_lt_i16_e32 vcc, s4, v13
	s_mov_b64 s[4:5], 0
                                        ; implicit-def: $sgpr10
	s_and_saveexec_b64 s[6:7], vcc
	s_xor_b64 s[6:7], exec, s[6:7]
	s_cbranch_execnz .LBB11_2449
; %bb.401:
	s_or_saveexec_b64 s[6:7], s[6:7]
	v_mov_b32_e32 v12, s10
	s_xor_b64 exec, exec, s[6:7]
	s_cbranch_execnz .LBB11_2452
.LBB11_402:
	s_or_b64 exec, exec, s[6:7]
	s_and_saveexec_b64 s[6:7], s[4:5]
	s_cbranch_execz .LBB11_404
.LBB11_403:
	v_bfe_u32 v12, v6, 16, 3
	v_ffbh_u32_e32 v15, v12
	v_min_u32_e32 v15, 32, v15
	v_lshrrev_b32_e32 v13, 19, v6
	v_subrev_u32_e32 v16, 28, v15
	v_and_b32_e32 v13, 15, v13
	v_lshlrev_b32_sdwa v16, v16, v6 dst_sel:DWORD dst_unused:UNUSED_PAD src0_sel:DWORD src1_sel:WORD_1
	v_bfe_u32 v14, v6, 19, 4
	v_sub_u32_e32 v15, 29, v15
	v_and_b32_e32 v16, 7, v16
	v_cmp_eq_u16_e32 vcc, 0, v13
	v_cndmask_b32_e32 v12, v12, v16, vcc
	v_cndmask_b32_e32 v13, v14, v15, vcc
	v_lshlrev_b32_e32 v14, 8, v6
	v_mov_b32_e32 v15, 0x3b800000
	v_lshlrev_b32_e32 v12, 20, v12
	v_and_b32_e32 v14, 0x80000000, v14
	v_lshl_add_u32 v13, v13, 23, v15
	v_or3_b32 v12, v14, v13, v12
.LBB11_404:
	s_or_b64 exec, exec, s[6:7]
	s_movk_i32 s4, 0xff
	v_and_b32_sdwa v13, v2, s4 dst_sel:DWORD dst_unused:UNUSED_PAD src0_sel:WORD_1 src1_sel:DWORD
	s_movk_i32 s4, 0x7f
	v_cmp_lt_i16_e32 vcc, s4, v13
	s_mov_b64 s[4:5], 0
                                        ; implicit-def: $sgpr10
	s_and_saveexec_b64 s[6:7], vcc
	s_xor_b64 s[6:7], exec, s[6:7]
	s_cbranch_execnz .LBB11_2453
; %bb.405:
	s_or_saveexec_b64 s[6:7], s[6:7]
	v_mov_b32_e32 v14, s10
	s_xor_b64 exec, exec, s[6:7]
	s_cbranch_execnz .LBB11_2456
.LBB11_406:
	s_or_b64 exec, exec, s[6:7]
	s_and_saveexec_b64 s[6:7], s[4:5]
	s_cbranch_execz .LBB11_408
.LBB11_407:
	v_bfe_u32 v13, v2, 16, 3
	v_ffbh_u32_e32 v16, v13
	v_min_u32_e32 v16, 32, v16
	v_lshrrev_b32_e32 v14, 19, v2
	v_subrev_u32_e32 v17, 28, v16
	v_and_b32_e32 v14, 15, v14
	v_lshlrev_b32_sdwa v17, v17, v2 dst_sel:DWORD dst_unused:UNUSED_PAD src0_sel:DWORD src1_sel:WORD_1
	v_bfe_u32 v15, v2, 19, 4
	v_sub_u32_e32 v16, 29, v16
	v_and_b32_e32 v17, 7, v17
	v_cmp_eq_u16_e32 vcc, 0, v14
	v_cndmask_b32_e32 v13, v13, v17, vcc
	v_cndmask_b32_e32 v14, v15, v16, vcc
	v_lshlrev_b32_e32 v15, 8, v2
	v_mov_b32_e32 v16, 0x3b800000
	v_lshlrev_b32_e32 v13, 20, v13
	v_and_b32_e32 v15, 0x80000000, v15
	v_lshl_add_u32 v14, v14, 23, v16
	v_or3_b32 v14, v15, v14, v13
.LBB11_408:
	s_or_b64 exec, exec, s[6:7]
	s_nop 0
	v_mfma_f32_16x16x4f32 a[0:3], v12, v14, a[0:3]
	s_movk_i32 s4, 0x7f
	v_cmp_gt_i16_sdwa s[6:7], v6, s4 src0_sel:BYTE_3 src1_sel:DWORD
	s_mov_b64 s[4:5], 0
                                        ; implicit-def: $sgpr10
	s_and_saveexec_b64 s[8:9], s[6:7]
	s_xor_b64 s[6:7], exec, s[8:9]
	s_cbranch_execnz .LBB11_2457
; %bb.409:
	s_or_saveexec_b64 s[6:7], s[6:7]
	v_mov_b32_e32 v12, s10
	s_xor_b64 exec, exec, s[6:7]
	s_cbranch_execnz .LBB11_2460
.LBB11_410:
	s_or_b64 exec, exec, s[6:7]
	s_and_saveexec_b64 s[6:7], s[4:5]
	s_cbranch_execz .LBB11_412
.LBB11_411:
	v_bfe_u32 v12, v6, 24, 3
	v_ffbh_u32_e32 v16, v12
	v_min_u32_e32 v16, 32, v16
	v_lshrrev_b32_e32 v14, 27, v6
	v_subrev_u32_e32 v17, 28, v16
	v_and_b32_e32 v13, 0x80000000, v6
	v_and_b32_e32 v14, 15, v14
	v_bfe_u32 v15, v6, 27, 4
	v_lshlrev_b32_sdwa v6, v17, v6 dst_sel:DWORD dst_unused:UNUSED_PAD src0_sel:DWORD src1_sel:BYTE_3
	v_sub_u32_e32 v16, 29, v16
	v_and_b32_e32 v6, 7, v6
	v_cmp_eq_u16_e32 vcc, 0, v14
	v_cndmask_b32_e32 v6, v12, v6, vcc
	v_cndmask_b32_e32 v12, v15, v16, vcc
	v_mov_b32_e32 v14, 0x3b800000
	v_lshlrev_b32_e32 v6, 20, v6
	v_lshl_add_u32 v12, v12, 23, v14
	v_or3_b32 v12, v13, v12, v6
.LBB11_412:
	s_or_b64 exec, exec, s[6:7]
	s_movk_i32 s4, 0x7f
	v_cmp_gt_i16_sdwa s[6:7], v2, s4 src0_sel:BYTE_3 src1_sel:DWORD
	s_mov_b64 s[4:5], 0
                                        ; implicit-def: $sgpr10
	s_and_saveexec_b64 s[8:9], s[6:7]
	s_xor_b64 s[6:7], exec, s[8:9]
	s_cbranch_execnz .LBB11_2461
; %bb.413:
	s_or_saveexec_b64 s[6:7], s[6:7]
	v_mov_b32_e32 v6, s10
	s_xor_b64 exec, exec, s[6:7]
	s_cbranch_execnz .LBB11_2464
.LBB11_414:
	s_or_b64 exec, exec, s[6:7]
	s_and_saveexec_b64 s[6:7], s[4:5]
	s_cbranch_execz .LBB11_416
.LBB11_415:
	v_bfe_u32 v6, v2, 24, 3
	v_ffbh_u32_e32 v16, v6
	v_min_u32_e32 v16, 32, v16
	v_lshrrev_b32_e32 v14, 27, v2
	v_subrev_u32_e32 v17, 28, v16
	v_and_b32_e32 v13, 0x80000000, v2
	v_and_b32_e32 v14, 15, v14
	v_bfe_u32 v15, v2, 27, 4
	v_lshlrev_b32_sdwa v2, v17, v2 dst_sel:DWORD dst_unused:UNUSED_PAD src0_sel:DWORD src1_sel:BYTE_3
	v_sub_u32_e32 v16, 29, v16
	v_and_b32_e32 v2, 7, v2
	v_cmp_eq_u16_e32 vcc, 0, v14
	v_cndmask_b32_e32 v2, v6, v2, vcc
	v_cndmask_b32_e32 v6, v15, v16, vcc
	v_mov_b32_e32 v14, 0x3b800000
	v_lshlrev_b32_e32 v2, 20, v2
	v_lshl_add_u32 v6, v6, 23, v14
	v_or3_b32 v6, v13, v6, v2
.LBB11_416:
	s_or_b64 exec, exec, s[6:7]
	s_nop 0
	v_mfma_f32_16x16x4f32 a[0:3], v12, v6, a[0:3]
	s_movk_i32 s4, 0x7f
	v_cmp_gt_i16_sdwa s[6:7], v7, s4 src0_sel:BYTE_0 src1_sel:DWORD
	s_mov_b64 s[4:5], 0
                                        ; implicit-def: $sgpr10
	s_and_saveexec_b64 s[8:9], s[6:7]
	s_xor_b64 s[6:7], exec, s[8:9]
	s_cbranch_execnz .LBB11_2465
; %bb.417:
	s_or_saveexec_b64 s[6:7], s[6:7]
	v_mov_b32_e32 v2, s10
	s_xor_b64 exec, exec, s[6:7]
	s_cbranch_execnz .LBB11_2468
.LBB11_418:
	s_or_b64 exec, exec, s[6:7]
	s_and_saveexec_b64 s[6:7], s[4:5]
	s_cbranch_execz .LBB11_420
.LBB11_419:
	v_and_b32_e32 v2, 7, v7
	v_ffbh_u32_e32 v12, v2
	v_min_u32_e32 v12, 32, v12
	v_lshrrev_b16_e32 v6, 3, v7
	v_subrev_u32_e32 v13, 28, v12
	v_and_b32_e32 v6, 15, v6
	v_lshlrev_b32_e32 v13, v13, v7
	v_sub_u32_e32 v12, 29, v12
	v_and_b32_e32 v13, 7, v13
	v_cmp_eq_u16_e32 vcc, 0, v6
	v_cndmask_b32_e32 v2, v2, v13, vcc
	v_cndmask_b32_e32 v6, v6, v12, vcc
	v_lshlrev_b32_e32 v12, 24, v7
	v_mov_b32_e32 v13, 0x3b800000
	v_lshlrev_b32_e32 v2, 20, v2
	v_and_b32_e32 v12, 0x80000000, v12
	v_lshl_add_u32 v6, v6, 23, v13
	v_or3_b32 v2, v12, v6, v2
.LBB11_420:
	s_or_b64 exec, exec, s[6:7]
	s_movk_i32 s4, 0x7f
	v_cmp_gt_i16_sdwa s[6:7], v3, s4 src0_sel:BYTE_0 src1_sel:DWORD
	s_mov_b64 s[4:5], 0
                                        ; implicit-def: $sgpr10
	s_and_saveexec_b64 s[8:9], s[6:7]
	s_xor_b64 s[6:7], exec, s[8:9]
	s_cbranch_execnz .LBB11_2469
; %bb.421:
	s_or_saveexec_b64 s[6:7], s[6:7]
	v_mov_b32_e32 v6, s10
	s_xor_b64 exec, exec, s[6:7]
	s_cbranch_execnz .LBB11_2472
.LBB11_422:
	s_or_b64 exec, exec, s[6:7]
	s_and_saveexec_b64 s[6:7], s[4:5]
	s_cbranch_execz .LBB11_424
.LBB11_423:
	v_and_b32_e32 v6, 7, v3
	v_ffbh_u32_e32 v13, v6
	v_min_u32_e32 v13, 32, v13
	v_lshrrev_b16_e32 v12, 3, v3
	v_subrev_u32_e32 v14, 28, v13
	v_and_b32_e32 v12, 15, v12
	v_lshlrev_b32_e32 v14, v14, v3
	v_sub_u32_e32 v13, 29, v13
	v_and_b32_e32 v14, 7, v14
	v_cmp_eq_u16_e32 vcc, 0, v12
	v_cndmask_b32_e32 v6, v6, v14, vcc
	v_cndmask_b32_e32 v12, v12, v13, vcc
	v_lshlrev_b32_e32 v13, 24, v3
	v_mov_b32_e32 v14, 0x3b800000
	v_lshlrev_b32_e32 v6, 20, v6
	v_and_b32_e32 v13, 0x80000000, v13
	v_lshl_add_u32 v12, v12, 23, v14
	v_or3_b32 v6, v13, v12, v6
.LBB11_424:
	s_or_b64 exec, exec, s[6:7]
	s_nop 0
	v_mfma_f32_16x16x4f32 a[0:3], v2, v6, a[0:3]
	v_lshrrev_b32_e32 v6, 8, v7
	s_movk_i32 s4, 0x7f
	v_cmp_gt_i16_sdwa s[6:7], v6, s4 src0_sel:BYTE_0 src1_sel:DWORD
	s_mov_b64 s[4:5], 0
                                        ; implicit-def: $sgpr10
	s_and_saveexec_b64 s[8:9], s[6:7]
	s_xor_b64 s[6:7], exec, s[8:9]
	s_cbranch_execnz .LBB11_2473
; %bb.425:
	s_or_saveexec_b64 s[6:7], s[6:7]
	v_mov_b32_e32 v2, s10
	s_xor_b64 exec, exec, s[6:7]
	s_cbranch_execnz .LBB11_2476
.LBB11_426:
	s_or_b64 exec, exec, s[6:7]
	s_and_saveexec_b64 s[6:7], s[4:5]
	s_cbranch_execz .LBB11_428
.LBB11_427:
	v_bfe_u32 v2, v7, 8, 3
	v_ffbh_u32_e32 v13, v2
	v_min_u32_e32 v13, 32, v13
	v_lshrrev_b16_e32 v12, 3, v6
	v_subrev_u32_e32 v14, 28, v13
	v_and_b32_e32 v12, 15, v12
	v_lshlrev_b32_e32 v6, v14, v6
	v_sub_u32_e32 v13, 29, v13
	v_and_b32_e32 v6, 7, v6
	v_cmp_eq_u16_e32 vcc, 0, v12
	v_cndmask_b32_e32 v2, v2, v6, vcc
	v_cndmask_b32_e32 v6, v12, v13, vcc
	v_lshlrev_b32_e32 v12, 16, v7
	v_mov_b32_e32 v13, 0x3b800000
	v_lshlrev_b32_e32 v2, 20, v2
	v_and_b32_e32 v12, 0x80000000, v12
	v_lshl_add_u32 v6, v6, 23, v13
	v_or3_b32 v2, v12, v6, v2
.LBB11_428:
	s_or_b64 exec, exec, s[6:7]
	v_lshrrev_b32_e32 v6, 8, v3
	s_movk_i32 s4, 0x7f
	v_cmp_gt_i16_sdwa s[6:7], v6, s4 src0_sel:BYTE_0 src1_sel:DWORD
	s_mov_b64 s[4:5], 0
                                        ; implicit-def: $sgpr10
	s_and_saveexec_b64 s[8:9], s[6:7]
	s_xor_b64 s[6:7], exec, s[8:9]
	s_cbranch_execnz .LBB11_2477
; %bb.429:
	s_or_saveexec_b64 s[6:7], s[6:7]
	v_mov_b32_e32 v12, s10
	s_xor_b64 exec, exec, s[6:7]
	s_cbranch_execnz .LBB11_2480
.LBB11_430:
	s_or_b64 exec, exec, s[6:7]
	s_and_saveexec_b64 s[6:7], s[4:5]
	s_cbranch_execz .LBB11_432
.LBB11_431:
	v_bfe_u32 v12, v3, 8, 3
	v_ffbh_u32_e32 v14, v12
	v_min_u32_e32 v14, 32, v14
	v_lshrrev_b16_e32 v13, 3, v6
	v_subrev_u32_e32 v15, 28, v14
	v_and_b32_e32 v13, 15, v13
	v_lshlrev_b32_e32 v6, v15, v6
	v_sub_u32_e32 v14, 29, v14
	v_and_b32_e32 v6, 7, v6
	v_cmp_eq_u16_e32 vcc, 0, v13
	v_cndmask_b32_e32 v6, v12, v6, vcc
	v_cndmask_b32_e32 v12, v13, v14, vcc
	v_lshlrev_b32_e32 v13, 16, v3
	v_mov_b32_e32 v14, 0x3b800000
	v_lshlrev_b32_e32 v6, 20, v6
	v_and_b32_e32 v13, 0x80000000, v13
	v_lshl_add_u32 v12, v12, 23, v14
	v_or3_b32 v12, v13, v12, v6
.LBB11_432:
	s_or_b64 exec, exec, s[6:7]
	s_nop 0
	v_mfma_f32_16x16x4f32 a[0:3], v2, v12, a[0:3]
	s_movk_i32 s4, 0xff
	v_and_b32_sdwa v6, v7, s4 dst_sel:DWORD dst_unused:UNUSED_PAD src0_sel:WORD_1 src1_sel:DWORD
	s_movk_i32 s4, 0x7f
	v_cmp_lt_i16_e32 vcc, s4, v6
	s_mov_b64 s[4:5], 0
                                        ; implicit-def: $sgpr10
	s_and_saveexec_b64 s[6:7], vcc
	s_xor_b64 s[6:7], exec, s[6:7]
	s_cbranch_execnz .LBB11_2481
; %bb.433:
	s_or_saveexec_b64 s[6:7], s[6:7]
	v_mov_b32_e32 v2, s10
	s_xor_b64 exec, exec, s[6:7]
	s_cbranch_execnz .LBB11_2484
.LBB11_434:
	s_or_b64 exec, exec, s[6:7]
	s_and_saveexec_b64 s[6:7], s[4:5]
	s_cbranch_execz .LBB11_436
.LBB11_435:
	v_bfe_u32 v2, v7, 16, 3
	v_ffbh_u32_e32 v13, v2
	v_min_u32_e32 v13, 32, v13
	v_lshrrev_b32_e32 v6, 19, v7
	v_subrev_u32_e32 v14, 28, v13
	v_and_b32_e32 v6, 15, v6
	v_lshlrev_b32_sdwa v14, v14, v7 dst_sel:DWORD dst_unused:UNUSED_PAD src0_sel:DWORD src1_sel:WORD_1
	v_bfe_u32 v12, v7, 19, 4
	v_sub_u32_e32 v13, 29, v13
	v_and_b32_e32 v14, 7, v14
	v_cmp_eq_u16_e32 vcc, 0, v6
	v_cndmask_b32_e32 v2, v2, v14, vcc
	v_cndmask_b32_e32 v6, v12, v13, vcc
	v_lshlrev_b32_e32 v12, 8, v7
	v_mov_b32_e32 v13, 0x3b800000
	v_lshlrev_b32_e32 v2, 20, v2
	v_and_b32_e32 v12, 0x80000000, v12
	v_lshl_add_u32 v6, v6, 23, v13
	v_or3_b32 v2, v12, v6, v2
.LBB11_436:
	s_or_b64 exec, exec, s[6:7]
	s_movk_i32 s4, 0xff
	v_and_b32_sdwa v6, v3, s4 dst_sel:DWORD dst_unused:UNUSED_PAD src0_sel:WORD_1 src1_sel:DWORD
	s_movk_i32 s4, 0x7f
	v_cmp_lt_i16_e32 vcc, s4, v6
	s_mov_b64 s[4:5], 0
                                        ; implicit-def: $sgpr10
	s_and_saveexec_b64 s[6:7], vcc
	s_xor_b64 s[6:7], exec, s[6:7]
	s_cbranch_execnz .LBB11_2485
; %bb.437:
	s_or_saveexec_b64 s[6:7], s[6:7]
	v_mov_b32_e32 v12, s10
	s_xor_b64 exec, exec, s[6:7]
	s_cbranch_execnz .LBB11_2488
.LBB11_438:
	s_or_b64 exec, exec, s[6:7]
	s_and_saveexec_b64 s[6:7], s[4:5]
	s_cbranch_execz .LBB11_440
.LBB11_439:
	v_bfe_u32 v6, v3, 16, 3
	v_ffbh_u32_e32 v14, v6
	v_min_u32_e32 v14, 32, v14
	v_lshrrev_b32_e32 v12, 19, v3
	v_subrev_u32_e32 v15, 28, v14
	v_and_b32_e32 v12, 15, v12
	v_lshlrev_b32_sdwa v15, v15, v3 dst_sel:DWORD dst_unused:UNUSED_PAD src0_sel:DWORD src1_sel:WORD_1
	v_bfe_u32 v13, v3, 19, 4
	v_sub_u32_e32 v14, 29, v14
	v_and_b32_e32 v15, 7, v15
	v_cmp_eq_u16_e32 vcc, 0, v12
	v_cndmask_b32_e32 v6, v6, v15, vcc
	v_cndmask_b32_e32 v12, v13, v14, vcc
	v_lshlrev_b32_e32 v13, 8, v3
	v_mov_b32_e32 v14, 0x3b800000
	v_lshlrev_b32_e32 v6, 20, v6
	v_and_b32_e32 v13, 0x80000000, v13
	v_lshl_add_u32 v12, v12, 23, v14
	v_or3_b32 v12, v13, v12, v6
.LBB11_440:
	s_or_b64 exec, exec, s[6:7]
	s_nop 0
	v_mfma_f32_16x16x4f32 a[0:3], v2, v12, a[0:3]
	s_movk_i32 s4, 0x7f
	v_cmp_gt_i16_sdwa s[6:7], v7, s4 src0_sel:BYTE_3 src1_sel:DWORD
	s_mov_b64 s[4:5], 0
                                        ; implicit-def: $sgpr10
	s_and_saveexec_b64 s[8:9], s[6:7]
	s_xor_b64 s[6:7], exec, s[8:9]
	s_cbranch_execnz .LBB11_2489
; %bb.441:
	s_or_saveexec_b64 s[6:7], s[6:7]
	v_mov_b32_e32 v2, s10
	s_xor_b64 exec, exec, s[6:7]
	s_cbranch_execnz .LBB11_2492
.LBB11_442:
	s_or_b64 exec, exec, s[6:7]
	s_and_saveexec_b64 s[6:7], s[4:5]
	s_cbranch_execz .LBB11_444
.LBB11_443:
	v_bfe_u32 v2, v7, 24, 3
	v_ffbh_u32_e32 v14, v2
	v_min_u32_e32 v14, 32, v14
	v_lshrrev_b32_e32 v12, 27, v7
	v_subrev_u32_e32 v15, 28, v14
	v_and_b32_e32 v6, 0x80000000, v7
	v_and_b32_e32 v12, 15, v12
	v_bfe_u32 v13, v7, 27, 4
	v_lshlrev_b32_sdwa v7, v15, v7 dst_sel:DWORD dst_unused:UNUSED_PAD src0_sel:DWORD src1_sel:BYTE_3
	v_sub_u32_e32 v14, 29, v14
	v_and_b32_e32 v7, 7, v7
	v_cmp_eq_u16_e32 vcc, 0, v12
	v_cndmask_b32_e32 v2, v2, v7, vcc
	v_cndmask_b32_e32 v7, v13, v14, vcc
	v_mov_b32_e32 v12, 0x3b800000
	v_lshlrev_b32_e32 v2, 20, v2
	v_lshl_add_u32 v7, v7, 23, v12
	v_or3_b32 v2, v6, v7, v2
.LBB11_444:
	s_or_b64 exec, exec, s[6:7]
	s_movk_i32 s4, 0x7f
	v_cmp_gt_i16_sdwa s[6:7], v3, s4 src0_sel:BYTE_3 src1_sel:DWORD
	s_mov_b64 s[4:5], 0
                                        ; implicit-def: $sgpr10
	s_and_saveexec_b64 s[8:9], s[6:7]
	s_xor_b64 s[6:7], exec, s[8:9]
	s_cbranch_execnz .LBB11_2493
; %bb.445:
	s_or_saveexec_b64 s[6:7], s[6:7]
	v_mov_b32_e32 v6, s10
	s_xor_b64 exec, exec, s[6:7]
	s_cbranch_execnz .LBB11_2496
.LBB11_446:
	s_or_b64 exec, exec, s[6:7]
	s_and_saveexec_b64 s[6:7], s[4:5]
	s_cbranch_execz .LBB11_448
.LBB11_447:
	v_bfe_u32 v6, v3, 24, 3
	v_ffbh_u32_e32 v14, v6
	v_min_u32_e32 v14, 32, v14
	v_lshrrev_b32_e32 v12, 27, v3
	v_subrev_u32_e32 v15, 28, v14
	v_and_b32_e32 v7, 0x80000000, v3
	v_and_b32_e32 v12, 15, v12
	v_bfe_u32 v13, v3, 27, 4
	v_lshlrev_b32_sdwa v3, v15, v3 dst_sel:DWORD dst_unused:UNUSED_PAD src0_sel:DWORD src1_sel:BYTE_3
	v_sub_u32_e32 v14, 29, v14
	v_and_b32_e32 v3, 7, v3
	v_cmp_eq_u16_e32 vcc, 0, v12
	v_cndmask_b32_e32 v3, v6, v3, vcc
	v_cndmask_b32_e32 v6, v13, v14, vcc
	v_mov_b32_e32 v12, 0x3b800000
	v_lshlrev_b32_e32 v3, 20, v3
	v_lshl_add_u32 v6, v6, 23, v12
	v_or3_b32 v6, v7, v6, v3
.LBB11_448:
	s_or_b64 exec, exec, s[6:7]
	s_nop 0
	v_mfma_f32_16x16x4f32 a[0:3], v2, v6, a[0:3]
	s_movk_i32 s4, 0x7f
	v_cmp_gt_i16_sdwa s[6:7], v8, s4 src0_sel:BYTE_0 src1_sel:DWORD
	s_mov_b64 s[4:5], 0
                                        ; implicit-def: $sgpr10
	s_and_saveexec_b64 s[8:9], s[6:7]
	s_xor_b64 s[6:7], exec, s[8:9]
	s_cbranch_execnz .LBB11_2497
; %bb.449:
	s_or_saveexec_b64 s[6:7], s[6:7]
	v_mov_b32_e32 v2, s10
	s_xor_b64 exec, exec, s[6:7]
	s_cbranch_execnz .LBB11_2500
.LBB11_450:
	s_or_b64 exec, exec, s[6:7]
	s_and_saveexec_b64 s[6:7], s[4:5]
	s_cbranch_execz .LBB11_452
.LBB11_451:
	v_and_b32_e32 v2, 7, v8
	v_ffbh_u32_e32 v6, v2
	v_min_u32_e32 v6, 32, v6
	v_lshrrev_b16_e32 v3, 3, v8
	v_subrev_u32_e32 v7, 28, v6
	v_and_b32_e32 v3, 15, v3
	v_lshlrev_b32_e32 v7, v7, v8
	v_sub_u32_e32 v6, 29, v6
	v_and_b32_e32 v7, 7, v7
	v_cmp_eq_u16_e32 vcc, 0, v3
	v_cndmask_b32_e32 v2, v2, v7, vcc
	v_cndmask_b32_e32 v3, v3, v6, vcc
	v_lshlrev_b32_e32 v6, 24, v8
	v_mov_b32_e32 v7, 0x3b800000
	v_lshlrev_b32_e32 v2, 20, v2
	v_and_b32_e32 v6, 0x80000000, v6
	v_lshl_add_u32 v3, v3, 23, v7
	v_or3_b32 v2, v6, v3, v2
.LBB11_452:
	s_or_b64 exec, exec, s[6:7]
	s_movk_i32 s4, 0x7f
	v_cmp_gt_i16_sdwa s[6:7], v4, s4 src0_sel:BYTE_0 src1_sel:DWORD
	s_mov_b64 s[4:5], 0
                                        ; implicit-def: $sgpr10
	s_and_saveexec_b64 s[8:9], s[6:7]
	s_xor_b64 s[6:7], exec, s[8:9]
	s_cbranch_execnz .LBB11_2501
; %bb.453:
	s_or_saveexec_b64 s[6:7], s[6:7]
	v_mov_b32_e32 v3, s10
	s_xor_b64 exec, exec, s[6:7]
	s_cbranch_execnz .LBB11_2504
.LBB11_454:
	s_or_b64 exec, exec, s[6:7]
	s_and_saveexec_b64 s[6:7], s[4:5]
	s_cbranch_execz .LBB11_456
.LBB11_455:
	v_and_b32_e32 v3, 7, v4
	v_ffbh_u32_e32 v7, v3
	v_min_u32_e32 v7, 32, v7
	v_lshrrev_b16_e32 v6, 3, v4
	v_subrev_u32_e32 v12, 28, v7
	v_and_b32_e32 v6, 15, v6
	v_lshlrev_b32_e32 v12, v12, v4
	v_sub_u32_e32 v7, 29, v7
	v_and_b32_e32 v12, 7, v12
	v_cmp_eq_u16_e32 vcc, 0, v6
	v_cndmask_b32_e32 v3, v3, v12, vcc
	v_cndmask_b32_e32 v6, v6, v7, vcc
	v_lshlrev_b32_e32 v7, 24, v4
	v_mov_b32_e32 v12, 0x3b800000
	v_lshlrev_b32_e32 v3, 20, v3
	v_and_b32_e32 v7, 0x80000000, v7
	v_lshl_add_u32 v6, v6, 23, v12
	v_or3_b32 v3, v7, v6, v3
.LBB11_456:
	s_or_b64 exec, exec, s[6:7]
	s_nop 0
	v_mfma_f32_16x16x4f32 a[0:3], v2, v3, a[0:3]
	v_lshrrev_b32_e32 v3, 8, v8
	s_movk_i32 s4, 0x7f
	v_cmp_gt_i16_sdwa s[6:7], v3, s4 src0_sel:BYTE_0 src1_sel:DWORD
	s_mov_b64 s[4:5], 0
                                        ; implicit-def: $sgpr10
	s_and_saveexec_b64 s[8:9], s[6:7]
	s_xor_b64 s[6:7], exec, s[8:9]
	s_cbranch_execnz .LBB11_2505
; %bb.457:
	s_or_saveexec_b64 s[6:7], s[6:7]
	v_mov_b32_e32 v2, s10
	s_xor_b64 exec, exec, s[6:7]
	s_cbranch_execnz .LBB11_2508
.LBB11_458:
	s_or_b64 exec, exec, s[6:7]
	s_and_saveexec_b64 s[6:7], s[4:5]
	s_cbranch_execz .LBB11_460
.LBB11_459:
	v_bfe_u32 v2, v8, 8, 3
	v_ffbh_u32_e32 v7, v2
	v_min_u32_e32 v7, 32, v7
	v_lshrrev_b16_e32 v6, 3, v3
	v_subrev_u32_e32 v12, 28, v7
	v_and_b32_e32 v6, 15, v6
	v_lshlrev_b32_e32 v3, v12, v3
	v_sub_u32_e32 v7, 29, v7
	v_and_b32_e32 v3, 7, v3
	v_cmp_eq_u16_e32 vcc, 0, v6
	v_cndmask_b32_e32 v2, v2, v3, vcc
	v_cndmask_b32_e32 v3, v6, v7, vcc
	v_lshlrev_b32_e32 v6, 16, v8
	v_mov_b32_e32 v7, 0x3b800000
	v_lshlrev_b32_e32 v2, 20, v2
	v_and_b32_e32 v6, 0x80000000, v6
	v_lshl_add_u32 v3, v3, 23, v7
	v_or3_b32 v2, v6, v3, v2
.LBB11_460:
	s_or_b64 exec, exec, s[6:7]
	v_lshrrev_b32_e32 v3, 8, v4
	s_movk_i32 s4, 0x7f
	v_cmp_gt_i16_sdwa s[6:7], v3, s4 src0_sel:BYTE_0 src1_sel:DWORD
	s_mov_b64 s[4:5], 0
                                        ; implicit-def: $sgpr10
	s_and_saveexec_b64 s[8:9], s[6:7]
	s_xor_b64 s[6:7], exec, s[8:9]
	s_cbranch_execnz .LBB11_2509
; %bb.461:
	s_or_saveexec_b64 s[6:7], s[6:7]
	v_mov_b32_e32 v6, s10
	s_xor_b64 exec, exec, s[6:7]
	s_cbranch_execnz .LBB11_2512
.LBB11_462:
	s_or_b64 exec, exec, s[6:7]
	s_and_saveexec_b64 s[6:7], s[4:5]
	s_cbranch_execz .LBB11_464
.LBB11_463:
	v_bfe_u32 v6, v4, 8, 3
	v_ffbh_u32_e32 v12, v6
	v_min_u32_e32 v12, 32, v12
	v_lshrrev_b16_e32 v7, 3, v3
	v_subrev_u32_e32 v13, 28, v12
	v_and_b32_e32 v7, 15, v7
	v_lshlrev_b32_e32 v3, v13, v3
	v_sub_u32_e32 v12, 29, v12
	v_and_b32_e32 v3, 7, v3
	v_cmp_eq_u16_e32 vcc, 0, v7
	v_cndmask_b32_e32 v3, v6, v3, vcc
	v_cndmask_b32_e32 v6, v7, v12, vcc
	v_lshlrev_b32_e32 v7, 16, v4
	v_mov_b32_e32 v12, 0x3b800000
	v_lshlrev_b32_e32 v3, 20, v3
	v_and_b32_e32 v7, 0x80000000, v7
	v_lshl_add_u32 v6, v6, 23, v12
	v_or3_b32 v6, v7, v6, v3
.LBB11_464:
	s_or_b64 exec, exec, s[6:7]
	s_nop 0
	v_mfma_f32_16x16x4f32 a[0:3], v2, v6, a[0:3]
	s_movk_i32 s4, 0xff
	v_and_b32_sdwa v3, v8, s4 dst_sel:DWORD dst_unused:UNUSED_PAD src0_sel:WORD_1 src1_sel:DWORD
	s_movk_i32 s4, 0x7f
	v_cmp_lt_i16_e32 vcc, s4, v3
	s_mov_b64 s[4:5], 0
                                        ; implicit-def: $sgpr10
	s_and_saveexec_b64 s[6:7], vcc
	s_xor_b64 s[6:7], exec, s[6:7]
	s_cbranch_execnz .LBB11_2513
; %bb.465:
	s_or_saveexec_b64 s[6:7], s[6:7]
	v_mov_b32_e32 v2, s10
	s_xor_b64 exec, exec, s[6:7]
	s_cbranch_execnz .LBB11_2516
.LBB11_466:
	s_or_b64 exec, exec, s[6:7]
	s_and_saveexec_b64 s[6:7], s[4:5]
	s_cbranch_execz .LBB11_468
.LBB11_467:
	v_bfe_u32 v2, v8, 16, 3
	v_ffbh_u32_e32 v7, v2
	v_min_u32_e32 v7, 32, v7
	v_lshrrev_b32_e32 v3, 19, v8
	v_subrev_u32_e32 v12, 28, v7
	v_and_b32_e32 v3, 15, v3
	v_lshlrev_b32_sdwa v12, v12, v8 dst_sel:DWORD dst_unused:UNUSED_PAD src0_sel:DWORD src1_sel:WORD_1
	v_bfe_u32 v6, v8, 19, 4
	v_sub_u32_e32 v7, 29, v7
	v_and_b32_e32 v12, 7, v12
	v_cmp_eq_u16_e32 vcc, 0, v3
	v_cndmask_b32_e32 v2, v2, v12, vcc
	v_cndmask_b32_e32 v3, v6, v7, vcc
	v_lshlrev_b32_e32 v6, 8, v8
	v_mov_b32_e32 v7, 0x3b800000
	v_lshlrev_b32_e32 v2, 20, v2
	v_and_b32_e32 v6, 0x80000000, v6
	v_lshl_add_u32 v3, v3, 23, v7
	v_or3_b32 v2, v6, v3, v2
.LBB11_468:
	s_or_b64 exec, exec, s[6:7]
	s_movk_i32 s4, 0xff
	v_and_b32_sdwa v3, v4, s4 dst_sel:DWORD dst_unused:UNUSED_PAD src0_sel:WORD_1 src1_sel:DWORD
	s_movk_i32 s4, 0x7f
	v_cmp_lt_i16_e32 vcc, s4, v3
	s_mov_b64 s[4:5], 0
                                        ; implicit-def: $sgpr10
	s_and_saveexec_b64 s[6:7], vcc
	s_xor_b64 s[6:7], exec, s[6:7]
	s_cbranch_execnz .LBB11_2517
; %bb.469:
	s_or_saveexec_b64 s[6:7], s[6:7]
	v_mov_b32_e32 v6, s10
	s_xor_b64 exec, exec, s[6:7]
	s_cbranch_execnz .LBB11_2520
.LBB11_470:
	s_or_b64 exec, exec, s[6:7]
	s_and_saveexec_b64 s[6:7], s[4:5]
	s_cbranch_execz .LBB11_472
.LBB11_471:
	v_bfe_u32 v3, v4, 16, 3
	v_ffbh_u32_e32 v12, v3
	v_min_u32_e32 v12, 32, v12
	v_lshrrev_b32_e32 v6, 19, v4
	v_subrev_u32_e32 v13, 28, v12
	v_and_b32_e32 v6, 15, v6
	v_lshlrev_b32_sdwa v13, v13, v4 dst_sel:DWORD dst_unused:UNUSED_PAD src0_sel:DWORD src1_sel:WORD_1
	v_bfe_u32 v7, v4, 19, 4
	v_sub_u32_e32 v12, 29, v12
	v_and_b32_e32 v13, 7, v13
	v_cmp_eq_u16_e32 vcc, 0, v6
	v_cndmask_b32_e32 v3, v3, v13, vcc
	v_cndmask_b32_e32 v6, v7, v12, vcc
	v_lshlrev_b32_e32 v7, 8, v4
	v_mov_b32_e32 v12, 0x3b800000
	v_lshlrev_b32_e32 v3, 20, v3
	v_and_b32_e32 v7, 0x80000000, v7
	v_lshl_add_u32 v6, v6, 23, v12
	v_or3_b32 v6, v7, v6, v3
.LBB11_472:
	s_or_b64 exec, exec, s[6:7]
	s_nop 0
	v_mfma_f32_16x16x4f32 a[0:3], v2, v6, a[0:3]
	s_movk_i32 s4, 0x7f
	v_cmp_gt_i16_sdwa s[6:7], v8, s4 src0_sel:BYTE_3 src1_sel:DWORD
	s_mov_b64 s[4:5], 0
                                        ; implicit-def: $sgpr10
	s_and_saveexec_b64 s[8:9], s[6:7]
	s_xor_b64 s[6:7], exec, s[8:9]
	s_cbranch_execnz .LBB11_2521
; %bb.473:
	s_or_saveexec_b64 s[6:7], s[6:7]
	v_mov_b32_e32 v2, s10
	s_xor_b64 exec, exec, s[6:7]
	s_cbranch_execnz .LBB11_2524
.LBB11_474:
	s_or_b64 exec, exec, s[6:7]
	s_and_saveexec_b64 s[6:7], s[4:5]
	s_cbranch_execz .LBB11_476
.LBB11_475:
	v_bfe_u32 v2, v8, 24, 3
	v_ffbh_u32_e32 v12, v2
	v_min_u32_e32 v12, 32, v12
	v_lshrrev_b32_e32 v6, 27, v8
	v_subrev_u32_e32 v13, 28, v12
	v_and_b32_e32 v3, 0x80000000, v8
	v_and_b32_e32 v6, 15, v6
	v_bfe_u32 v7, v8, 27, 4
	v_lshlrev_b32_sdwa v8, v13, v8 dst_sel:DWORD dst_unused:UNUSED_PAD src0_sel:DWORD src1_sel:BYTE_3
	v_sub_u32_e32 v12, 29, v12
	v_and_b32_e32 v8, 7, v8
	v_cmp_eq_u16_e32 vcc, 0, v6
	v_cndmask_b32_e32 v2, v2, v8, vcc
	v_cndmask_b32_e32 v6, v7, v12, vcc
	v_mov_b32_e32 v7, 0x3b800000
	v_lshlrev_b32_e32 v2, 20, v2
	v_lshl_add_u32 v6, v6, 23, v7
	v_or3_b32 v2, v3, v6, v2
.LBB11_476:
	s_or_b64 exec, exec, s[6:7]
	s_movk_i32 s4, 0x7f
	v_cmp_gt_i16_sdwa s[6:7], v4, s4 src0_sel:BYTE_3 src1_sel:DWORD
	s_mov_b64 s[4:5], 0
                                        ; implicit-def: $sgpr10
	s_and_saveexec_b64 s[8:9], s[6:7]
	s_xor_b64 s[6:7], exec, s[8:9]
	s_cbranch_execnz .LBB11_2525
; %bb.477:
	s_or_saveexec_b64 s[6:7], s[6:7]
	v_mov_b32_e32 v3, s10
	s_xor_b64 exec, exec, s[6:7]
	s_cbranch_execnz .LBB11_2528
.LBB11_478:
	s_or_b64 exec, exec, s[6:7]
	s_and_saveexec_b64 s[6:7], s[4:5]
	s_cbranch_execz .LBB11_480
.LBB11_479:
	v_bfe_u32 v3, v4, 24, 3
	v_ffbh_u32_e32 v12, v3
	v_min_u32_e32 v12, 32, v12
	v_lshrrev_b32_e32 v7, 27, v4
	v_subrev_u32_e32 v13, 28, v12
	v_and_b32_e32 v6, 0x80000000, v4
	v_and_b32_e32 v7, 15, v7
	v_bfe_u32 v8, v4, 27, 4
	v_lshlrev_b32_sdwa v4, v13, v4 dst_sel:DWORD dst_unused:UNUSED_PAD src0_sel:DWORD src1_sel:BYTE_3
	v_sub_u32_e32 v12, 29, v12
	v_and_b32_e32 v4, 7, v4
	v_cmp_eq_u16_e32 vcc, 0, v7
	v_cndmask_b32_e32 v3, v3, v4, vcc
	v_cndmask_b32_e32 v4, v8, v12, vcc
	v_mov_b32_e32 v7, 0x3b800000
	v_lshlrev_b32_e32 v3, 20, v3
	v_lshl_add_u32 v4, v4, 23, v7
	v_or3_b32 v3, v6, v4, v3
.LBB11_480:
	s_or_b64 exec, exec, s[6:7]
	s_nop 0
	v_mfma_f32_16x16x4f32 a[0:3], v2, v3, a[0:3]
	s_movk_i32 s4, 0x7f
	v_cmp_gt_i16_sdwa s[6:7], v9, s4 src0_sel:BYTE_0 src1_sel:DWORD
	s_mov_b64 s[4:5], 0
                                        ; implicit-def: $sgpr10
	s_and_saveexec_b64 s[8:9], s[6:7]
	s_xor_b64 s[6:7], exec, s[8:9]
	s_cbranch_execnz .LBB11_2529
; %bb.481:
	s_or_saveexec_b64 s[6:7], s[6:7]
	v_mov_b32_e32 v2, s10
	s_xor_b64 exec, exec, s[6:7]
	s_cbranch_execnz .LBB11_2532
.LBB11_482:
	s_or_b64 exec, exec, s[6:7]
	s_and_saveexec_b64 s[6:7], s[4:5]
	s_cbranch_execz .LBB11_484
.LBB11_483:
	v_mov_b32_e32 v2, 8
	v_and_b32_e32 v3, 7, v9
	v_lshrrev_b32_sdwa v2, v2, v9 dst_sel:BYTE_1 dst_unused:UNUSED_PAD src0_sel:DWORD src1_sel:DWORD
	v_ffbh_u32_e32 v4, v3
	v_or_b32_sdwa v2, v9, v2 dst_sel:DWORD dst_unused:UNUSED_PAD src0_sel:BYTE_0 src1_sel:DWORD
	v_min_u32_e32 v4, 32, v4
	v_lshrrev_b16_e32 v2, 3, v2
	v_subrev_u32_e32 v6, 28, v4
	v_and_b32_e32 v2, 15, v2
	v_lshlrev_b32_e32 v6, v6, v9
	v_sub_u32_e32 v4, 29, v4
	v_and_b32_e32 v6, 7, v6
	v_cmp_eq_u16_e32 vcc, 0, v2
	v_cndmask_b32_e32 v3, v3, v6, vcc
	v_cndmask_b32_e32 v2, v2, v4, vcc
	v_lshlrev_b32_e32 v4, 24, v9
	v_mov_b32_e32 v6, 0x3b800000
	v_lshlrev_b32_e32 v3, 20, v3
	v_and_b32_e32 v4, 0x80000000, v4
	v_lshl_add_u32 v2, v2, 23, v6
	v_or3_b32 v2, v4, v2, v3
.LBB11_484:
	s_or_b64 exec, exec, s[6:7]
	s_movk_i32 s4, 0x7f
	v_cmp_gt_i16_sdwa s[6:7], v5, s4 src0_sel:BYTE_0 src1_sel:DWORD
	s_mov_b64 s[4:5], 0
                                        ; implicit-def: $sgpr10
	s_and_saveexec_b64 s[8:9], s[6:7]
	s_xor_b64 s[6:7], exec, s[8:9]
	s_cbranch_execnz .LBB11_2533
; %bb.485:
	s_or_saveexec_b64 s[6:7], s[6:7]
	v_mov_b32_e32 v3, s10
	s_xor_b64 exec, exec, s[6:7]
	s_cbranch_execnz .LBB11_2536
.LBB11_486:
	s_or_b64 exec, exec, s[6:7]
	s_and_saveexec_b64 s[6:7], s[4:5]
	s_cbranch_execz .LBB11_488
.LBB11_487:
	v_mov_b32_e32 v3, 8
	v_and_b32_e32 v4, 7, v5
	v_lshrrev_b32_sdwa v3, v3, v5 dst_sel:BYTE_1 dst_unused:UNUSED_PAD src0_sel:DWORD src1_sel:DWORD
	v_ffbh_u32_e32 v6, v4
	v_or_b32_sdwa v3, v5, v3 dst_sel:DWORD dst_unused:UNUSED_PAD src0_sel:BYTE_0 src1_sel:DWORD
	v_min_u32_e32 v6, 32, v6
	v_lshrrev_b16_e32 v3, 3, v3
	v_subrev_u32_e32 v7, 28, v6
	v_and_b32_e32 v3, 15, v3
	v_lshlrev_b32_e32 v7, v7, v5
	v_sub_u32_e32 v6, 29, v6
	v_and_b32_e32 v7, 7, v7
	v_cmp_eq_u16_e32 vcc, 0, v3
	v_cndmask_b32_e32 v4, v4, v7, vcc
	v_cndmask_b32_e32 v3, v3, v6, vcc
	v_lshlrev_b32_e32 v6, 24, v5
	v_mov_b32_e32 v7, 0x3b800000
	v_lshlrev_b32_e32 v4, 20, v4
	v_and_b32_e32 v6, 0x80000000, v6
	v_lshl_add_u32 v3, v3, 23, v7
	v_or3_b32 v3, v6, v3, v4
.LBB11_488:
	s_or_b64 exec, exec, s[6:7]
	s_nop 0
	v_mfma_f32_16x16x4f32 a[0:3], v2, v3, a[0:3]
	v_lshrrev_b32_e32 v3, 8, v9
	s_movk_i32 s4, 0x7f
	v_cmp_gt_i16_sdwa s[6:7], v3, s4 src0_sel:BYTE_0 src1_sel:DWORD
	s_mov_b64 s[4:5], 0
                                        ; implicit-def: $sgpr10
	s_and_saveexec_b64 s[8:9], s[6:7]
	s_xor_b64 s[6:7], exec, s[8:9]
	s_cbranch_execnz .LBB11_2537
; %bb.489:
	s_or_saveexec_b64 s[6:7], s[6:7]
	v_mov_b32_e32 v2, s10
	s_xor_b64 exec, exec, s[6:7]
	s_cbranch_execnz .LBB11_2540
.LBB11_490:
	s_or_b64 exec, exec, s[6:7]
	s_and_saveexec_b64 s[6:7], s[4:5]
	s_cbranch_execz .LBB11_492
.LBB11_491:
	v_bfe_u32 v2, v9, 8, 3
	v_ffbh_u32_e32 v6, v2
	v_min_u32_e32 v6, 32, v6
	v_lshrrev_b16_e32 v4, 3, v3
	v_subrev_u32_e32 v7, 28, v6
	v_and_b32_e32 v4, 15, v4
	v_lshlrev_b32_e32 v3, v7, v3
	v_sub_u32_e32 v6, 29, v6
	v_and_b32_e32 v3, 7, v3
	v_cmp_eq_u16_e32 vcc, 0, v4
	v_cndmask_b32_e32 v2, v2, v3, vcc
	v_cndmask_b32_e32 v3, v4, v6, vcc
	v_lshlrev_b32_e32 v4, 16, v9
	v_mov_b32_e32 v6, 0x3b800000
	v_lshlrev_b32_e32 v2, 20, v2
	v_and_b32_e32 v4, 0x80000000, v4
	v_lshl_add_u32 v3, v3, 23, v6
	v_or3_b32 v2, v4, v3, v2
.LBB11_492:
	s_or_b64 exec, exec, s[6:7]
	v_lshrrev_b32_e32 v3, 8, v5
	s_movk_i32 s4, 0x7f
	v_cmp_gt_i16_sdwa s[6:7], v3, s4 src0_sel:BYTE_0 src1_sel:DWORD
	s_mov_b64 s[4:5], 0
                                        ; implicit-def: $sgpr10
	s_and_saveexec_b64 s[8:9], s[6:7]
	s_xor_b64 s[6:7], exec, s[8:9]
	s_cbranch_execnz .LBB11_2541
; %bb.493:
	s_or_saveexec_b64 s[6:7], s[6:7]
	v_mov_b32_e32 v4, s10
	s_xor_b64 exec, exec, s[6:7]
	s_cbranch_execnz .LBB11_2544
.LBB11_494:
	s_or_b64 exec, exec, s[6:7]
	s_and_saveexec_b64 s[6:7], s[4:5]
	s_cbranch_execz .LBB11_496
.LBB11_495:
	v_bfe_u32 v4, v5, 8, 3
	v_ffbh_u32_e32 v7, v4
	v_min_u32_e32 v7, 32, v7
	v_lshrrev_b16_e32 v6, 3, v3
	v_subrev_u32_e32 v8, 28, v7
	v_and_b32_e32 v6, 15, v6
	v_lshlrev_b32_e32 v3, v8, v3
	v_sub_u32_e32 v7, 29, v7
	v_and_b32_e32 v3, 7, v3
	v_cmp_eq_u16_e32 vcc, 0, v6
	v_cndmask_b32_e32 v3, v4, v3, vcc
	v_cndmask_b32_e32 v4, v6, v7, vcc
	v_lshlrev_b32_e32 v6, 16, v5
	v_mov_b32_e32 v7, 0x3b800000
	v_lshlrev_b32_e32 v3, 20, v3
	v_and_b32_e32 v6, 0x80000000, v6
	v_lshl_add_u32 v4, v4, 23, v7
	v_or3_b32 v4, v6, v4, v3
.LBB11_496:
	s_or_b64 exec, exec, s[6:7]
	s_nop 0
	v_mfma_f32_16x16x4f32 a[0:3], v2, v4, a[0:3]
	s_movk_i32 s4, 0xff
	v_and_b32_sdwa v3, v9, s4 dst_sel:DWORD dst_unused:UNUSED_PAD src0_sel:WORD_1 src1_sel:DWORD
	s_movk_i32 s4, 0x7f
	v_cmp_lt_i16_e32 vcc, s4, v3
	s_mov_b64 s[4:5], 0
                                        ; implicit-def: $sgpr10
	s_and_saveexec_b64 s[6:7], vcc
	s_xor_b64 s[6:7], exec, s[6:7]
	s_cbranch_execnz .LBB11_2545
; %bb.497:
	s_or_saveexec_b64 s[6:7], s[6:7]
	v_mov_b32_e32 v2, s10
	s_xor_b64 exec, exec, s[6:7]
	s_cbranch_execnz .LBB11_2548
.LBB11_498:
	s_or_b64 exec, exec, s[6:7]
	s_and_saveexec_b64 s[6:7], s[4:5]
	s_cbranch_execz .LBB11_500
.LBB11_499:
	v_bfe_u32 v2, v9, 16, 3
	v_ffbh_u32_e32 v6, v2
	v_min_u32_e32 v6, 32, v6
	v_lshrrev_b32_e32 v3, 19, v9
	v_subrev_u32_e32 v7, 28, v6
	v_and_b32_e32 v3, 15, v3
	v_lshlrev_b32_sdwa v7, v7, v9 dst_sel:DWORD dst_unused:UNUSED_PAD src0_sel:DWORD src1_sel:WORD_1
	v_bfe_u32 v4, v9, 19, 4
	v_sub_u32_e32 v6, 29, v6
	v_and_b32_e32 v7, 7, v7
	v_cmp_eq_u16_e32 vcc, 0, v3
	v_cndmask_b32_e32 v2, v2, v7, vcc
	v_cndmask_b32_e32 v3, v4, v6, vcc
	v_lshlrev_b32_e32 v4, 8, v9
	v_mov_b32_e32 v6, 0x3b800000
	v_lshlrev_b32_e32 v2, 20, v2
	v_and_b32_e32 v4, 0x80000000, v4
	v_lshl_add_u32 v3, v3, 23, v6
	v_or3_b32 v2, v4, v3, v2
.LBB11_500:
	s_or_b64 exec, exec, s[6:7]
	s_movk_i32 s4, 0xff
	v_and_b32_sdwa v3, v5, s4 dst_sel:DWORD dst_unused:UNUSED_PAD src0_sel:WORD_1 src1_sel:DWORD
	s_movk_i32 s4, 0x7f
	v_cmp_lt_i16_e32 vcc, s4, v3
	s_mov_b64 s[4:5], 0
                                        ; implicit-def: $sgpr10
	s_and_saveexec_b64 s[6:7], vcc
	s_xor_b64 s[6:7], exec, s[6:7]
	s_cbranch_execnz .LBB11_2549
; %bb.501:
	s_or_saveexec_b64 s[6:7], s[6:7]
	v_mov_b32_e32 v4, s10
	s_xor_b64 exec, exec, s[6:7]
	s_cbranch_execnz .LBB11_2552
.LBB11_502:
	s_or_b64 exec, exec, s[6:7]
	s_and_saveexec_b64 s[6:7], s[4:5]
	s_cbranch_execz .LBB11_504
.LBB11_503:
	v_bfe_u32 v3, v5, 16, 3
	v_ffbh_u32_e32 v7, v3
	v_min_u32_e32 v7, 32, v7
	v_lshrrev_b32_e32 v4, 19, v5
	v_subrev_u32_e32 v8, 28, v7
	v_and_b32_e32 v4, 15, v4
	v_lshlrev_b32_sdwa v8, v8, v5 dst_sel:DWORD dst_unused:UNUSED_PAD src0_sel:DWORD src1_sel:WORD_1
	v_bfe_u32 v6, v5, 19, 4
	v_sub_u32_e32 v7, 29, v7
	v_and_b32_e32 v8, 7, v8
	v_cmp_eq_u16_e32 vcc, 0, v4
	v_cndmask_b32_e32 v3, v3, v8, vcc
	v_cndmask_b32_e32 v4, v6, v7, vcc
	v_lshlrev_b32_e32 v6, 8, v5
	v_mov_b32_e32 v7, 0x3b800000
	v_lshlrev_b32_e32 v3, 20, v3
	v_and_b32_e32 v6, 0x80000000, v6
	v_lshl_add_u32 v4, v4, 23, v7
	v_or3_b32 v4, v6, v4, v3
.LBB11_504:
	s_or_b64 exec, exec, s[6:7]
	s_nop 0
	v_mfma_f32_16x16x4f32 a[0:3], v2, v4, a[0:3]
	s_movk_i32 s4, 0x7f
	v_cmp_gt_i16_sdwa s[6:7], v9, s4 src0_sel:BYTE_3 src1_sel:DWORD
	s_mov_b64 s[4:5], 0
                                        ; implicit-def: $sgpr10
	s_and_saveexec_b64 s[8:9], s[6:7]
	s_xor_b64 s[6:7], exec, s[8:9]
	s_cbranch_execnz .LBB11_2553
; %bb.505:
	s_or_saveexec_b64 s[6:7], s[6:7]
	v_mov_b32_e32 v2, s10
	s_xor_b64 exec, exec, s[6:7]
	s_cbranch_execnz .LBB11_2556
.LBB11_506:
	s_or_b64 exec, exec, s[6:7]
	s_and_saveexec_b64 s[6:7], s[4:5]
	s_cbranch_execz .LBB11_508
.LBB11_507:
	v_bfe_u32 v2, v9, 24, 3
	v_ffbh_u32_e32 v7, v2
	v_min_u32_e32 v7, 32, v7
	v_lshrrev_b32_e32 v4, 27, v9
	v_subrev_u32_e32 v8, 28, v7
	v_and_b32_e32 v4, 15, v4
	v_lshlrev_b32_sdwa v8, v8, v9 dst_sel:DWORD dst_unused:UNUSED_PAD src0_sel:DWORD src1_sel:BYTE_3
	v_bfe_u32 v6, v9, 27, 4
	v_sub_u32_e32 v7, 29, v7
	v_and_b32_e32 v8, 7, v8
	v_cmp_eq_u16_e32 vcc, 0, v4
	v_cndmask_b32_e32 v2, v2, v8, vcc
	v_cndmask_b32_e32 v4, v6, v7, vcc
	v_mov_b32_e32 v6, 0x3b800000
	v_and_b32_e32 v3, 0x80000000, v9
	v_lshlrev_b32_e32 v2, 20, v2
	v_lshl_add_u32 v4, v4, 23, v6
	v_or3_b32 v2, v3, v4, v2
.LBB11_508:
	s_or_b64 exec, exec, s[6:7]
	s_movk_i32 s4, 0x7f
	v_cmp_gt_i16_sdwa s[6:7], v5, s4 src0_sel:BYTE_3 src1_sel:DWORD
	s_mov_b64 s[4:5], 0
                                        ; implicit-def: $sgpr10
	s_and_saveexec_b64 s[8:9], s[6:7]
	s_xor_b64 s[6:7], exec, s[8:9]
	s_cbranch_execnz .LBB11_2557
; %bb.509:
	s_or_saveexec_b64 s[6:7], s[6:7]
	v_mov_b32_e32 v3, s10
	s_xor_b64 exec, exec, s[6:7]
	s_cbranch_execnz .LBB11_2560
.LBB11_510:
	s_or_b64 exec, exec, s[6:7]
	s_and_saveexec_b64 s[6:7], s[4:5]
	s_cbranch_execz .LBB11_512
.LBB11_511:
	v_bfe_u32 v3, v5, 24, 3
	v_ffbh_u32_e32 v8, v3
	v_min_u32_e32 v8, 32, v8
	v_lshrrev_b32_e32 v6, 27, v5
	v_subrev_u32_e32 v9, 28, v8
	v_and_b32_e32 v4, 0x80000000, v5
	v_and_b32_e32 v6, 15, v6
	v_bfe_u32 v7, v5, 27, 4
	v_lshlrev_b32_sdwa v5, v9, v5 dst_sel:DWORD dst_unused:UNUSED_PAD src0_sel:DWORD src1_sel:BYTE_3
	v_sub_u32_e32 v8, 29, v8
	v_and_b32_e32 v5, 7, v5
	v_cmp_eq_u16_e32 vcc, 0, v6
	v_cndmask_b32_e32 v3, v3, v5, vcc
	v_cndmask_b32_e32 v5, v7, v8, vcc
	v_mov_b32_e32 v6, 0x3b800000
	v_lshlrev_b32_e32 v3, 20, v3
	v_lshl_add_u32 v5, v5, 23, v6
	v_or3_b32 v3, v4, v5, v3
.LBB11_512:
	s_or_b64 exec, exec, s[6:7]
	s_nop 0
	v_mfma_f32_16x16x4f32 a[0:3], v2, v3, a[0:3]
	s_movk_i32 s4, 0x7f
                                        ; implicit-def: $sgpr10
	s_nop 7
	s_nop 1
	flat_store_dwordx4 v[10:11], a[0:3] offset:48
	flat_load_dwordx4 v[12:15], v[0:1] offset:8
	s_nop 0
	flat_load_dwordx2 v[10:11], v[0:1] offset:32
	s_waitcnt vmcnt(0) lgkmcnt(0)
	flat_load_dwordx4 v[6:9], v[12:13] offset:48
	flat_load_dwordx4 v[2:5], v[14:15] offset:16
	s_waitcnt vmcnt(0) lgkmcnt(0)
	v_cmp_gt_i16_sdwa s[6:7], v6, s4 src0_sel:BYTE_0 src1_sel:DWORD
	s_mov_b64 s[4:5], 0
	s_and_saveexec_b64 s[8:9], s[6:7]
	s_xor_b64 s[6:7], exec, s[8:9]
	s_cbranch_execnz .LBB11_2561
; %bb.513:
	s_or_saveexec_b64 s[6:7], s[6:7]
	v_mov_b32_e32 v12, s10
	s_xor_b64 exec, exec, s[6:7]
	s_cbranch_execnz .LBB11_2564
.LBB11_514:
	s_or_b64 exec, exec, s[6:7]
	s_and_saveexec_b64 s[6:7], s[4:5]
	s_cbranch_execz .LBB11_516
.LBB11_515:
	v_and_b32_e32 v12, 7, v6
	v_ffbh_u32_e32 v14, v12
	v_min_u32_e32 v14, 32, v14
	v_lshrrev_b16_e32 v13, 3, v6
	v_subrev_u32_e32 v15, 28, v14
	v_and_b32_e32 v13, 15, v13
	v_lshlrev_b32_e32 v15, v15, v6
	v_sub_u32_e32 v14, 29, v14
	v_and_b32_e32 v15, 7, v15
	v_cmp_eq_u16_e32 vcc, 0, v13
	v_cndmask_b32_e32 v12, v12, v15, vcc
	v_cndmask_b32_e32 v13, v13, v14, vcc
	v_lshlrev_b32_e32 v14, 24, v6
	v_mov_b32_e32 v15, 0x3b800000
	v_lshlrev_b32_e32 v12, 20, v12
	v_and_b32_e32 v14, 0x80000000, v14
	v_lshl_add_u32 v13, v13, 23, v15
	v_or3_b32 v12, v14, v13, v12
.LBB11_516:
	s_or_b64 exec, exec, s[6:7]
	s_movk_i32 s4, 0x7f
	v_cmp_gt_i16_sdwa s[6:7], v2, s4 src0_sel:BYTE_0 src1_sel:DWORD
	s_mov_b64 s[4:5], 0
                                        ; implicit-def: $sgpr10
	s_and_saveexec_b64 s[8:9], s[6:7]
	s_xor_b64 s[6:7], exec, s[8:9]
	s_cbranch_execnz .LBB11_2565
; %bb.517:
	s_or_saveexec_b64 s[6:7], s[6:7]
	v_mov_b32_e32 v13, s10
	s_xor_b64 exec, exec, s[6:7]
	s_cbranch_execnz .LBB11_2568
.LBB11_518:
	s_or_b64 exec, exec, s[6:7]
	s_and_saveexec_b64 s[6:7], s[4:5]
	s_cbranch_execz .LBB11_520
.LBB11_519:
	v_and_b32_e32 v13, 7, v2
	v_ffbh_u32_e32 v15, v13
	v_min_u32_e32 v15, 32, v15
	v_lshrrev_b16_e32 v14, 3, v2
	v_subrev_u32_e32 v16, 28, v15
	v_and_b32_e32 v14, 15, v14
	v_lshlrev_b32_e32 v16, v16, v2
	v_sub_u32_e32 v15, 29, v15
	v_and_b32_e32 v16, 7, v16
	v_cmp_eq_u16_e32 vcc, 0, v14
	v_cndmask_b32_e32 v13, v13, v16, vcc
	v_cndmask_b32_e32 v14, v14, v15, vcc
	v_lshlrev_b32_e32 v15, 24, v2
	v_mov_b32_e32 v16, 0x3b800000
	v_lshlrev_b32_e32 v13, 20, v13
	v_and_b32_e32 v15, 0x80000000, v15
	v_lshl_add_u32 v14, v14, 23, v16
	v_or3_b32 v13, v15, v14, v13
.LBB11_520:
	s_or_b64 exec, exec, s[6:7]
	flat_load_dwordx4 a[0:3], v[10:11] offset:64
	s_movk_i32 s4, 0x7f
                                        ; implicit-def: $sgpr10
	s_waitcnt vmcnt(0) lgkmcnt(0)
	v_mfma_f32_16x16x4f32 a[0:3], v12, v13, a[0:3]
	v_lshrrev_b32_e32 v13, 8, v6
	v_cmp_gt_i16_sdwa s[6:7], v13, s4 src0_sel:BYTE_0 src1_sel:DWORD
	s_mov_b64 s[4:5], 0
	s_and_saveexec_b64 s[8:9], s[6:7]
	s_xor_b64 s[6:7], exec, s[8:9]
	s_cbranch_execnz .LBB11_2569
; %bb.521:
	s_or_saveexec_b64 s[6:7], s[6:7]
	v_mov_b32_e32 v12, s10
	s_xor_b64 exec, exec, s[6:7]
	s_cbranch_execnz .LBB11_2572
.LBB11_522:
	s_or_b64 exec, exec, s[6:7]
	s_and_saveexec_b64 s[6:7], s[4:5]
	s_cbranch_execz .LBB11_524
.LBB11_523:
	v_bfe_u32 v12, v6, 8, 3
	v_ffbh_u32_e32 v15, v12
	v_min_u32_e32 v15, 32, v15
	v_lshrrev_b16_e32 v14, 3, v13
	v_subrev_u32_e32 v16, 28, v15
	v_and_b32_e32 v14, 15, v14
	v_lshlrev_b32_e32 v13, v16, v13
	v_sub_u32_e32 v15, 29, v15
	v_and_b32_e32 v13, 7, v13
	v_cmp_eq_u16_e32 vcc, 0, v14
	v_cndmask_b32_e32 v12, v12, v13, vcc
	v_cndmask_b32_e32 v13, v14, v15, vcc
	v_lshlrev_b32_e32 v14, 16, v6
	v_mov_b32_e32 v15, 0x3b800000
	v_lshlrev_b32_e32 v12, 20, v12
	v_and_b32_e32 v14, 0x80000000, v14
	v_lshl_add_u32 v13, v13, 23, v15
	v_or3_b32 v12, v14, v13, v12
.LBB11_524:
	s_or_b64 exec, exec, s[6:7]
	v_lshrrev_b32_e32 v13, 8, v2
	s_movk_i32 s4, 0x7f
	v_cmp_gt_i16_sdwa s[6:7], v13, s4 src0_sel:BYTE_0 src1_sel:DWORD
	s_mov_b64 s[4:5], 0
                                        ; implicit-def: $sgpr10
	s_and_saveexec_b64 s[8:9], s[6:7]
	s_xor_b64 s[6:7], exec, s[8:9]
	s_cbranch_execnz .LBB11_2573
; %bb.525:
	s_or_saveexec_b64 s[6:7], s[6:7]
	v_mov_b32_e32 v14, s10
	s_xor_b64 exec, exec, s[6:7]
	s_cbranch_execnz .LBB11_2576
.LBB11_526:
	s_or_b64 exec, exec, s[6:7]
	s_and_saveexec_b64 s[6:7], s[4:5]
	s_cbranch_execz .LBB11_528
.LBB11_527:
	v_bfe_u32 v14, v2, 8, 3
	v_ffbh_u32_e32 v16, v14
	v_min_u32_e32 v16, 32, v16
	v_lshrrev_b16_e32 v15, 3, v13
	v_subrev_u32_e32 v17, 28, v16
	v_and_b32_e32 v15, 15, v15
	v_lshlrev_b32_e32 v13, v17, v13
	v_sub_u32_e32 v16, 29, v16
	v_and_b32_e32 v13, 7, v13
	v_cmp_eq_u16_e32 vcc, 0, v15
	v_cndmask_b32_e32 v13, v14, v13, vcc
	v_cndmask_b32_e32 v14, v15, v16, vcc
	v_lshlrev_b32_e32 v15, 16, v2
	v_mov_b32_e32 v16, 0x3b800000
	v_lshlrev_b32_e32 v13, 20, v13
	v_and_b32_e32 v15, 0x80000000, v15
	v_lshl_add_u32 v14, v14, 23, v16
	v_or3_b32 v14, v15, v14, v13
.LBB11_528:
	s_or_b64 exec, exec, s[6:7]
	s_nop 0
	v_mfma_f32_16x16x4f32 a[0:3], v12, v14, a[0:3]
	s_movk_i32 s4, 0xff
	v_and_b32_sdwa v13, v6, s4 dst_sel:DWORD dst_unused:UNUSED_PAD src0_sel:WORD_1 src1_sel:DWORD
	s_movk_i32 s4, 0x7f
	v_cmp_lt_i16_e32 vcc, s4, v13
	s_mov_b64 s[4:5], 0
                                        ; implicit-def: $sgpr10
	s_and_saveexec_b64 s[6:7], vcc
	s_xor_b64 s[6:7], exec, s[6:7]
	s_cbranch_execnz .LBB11_2577
; %bb.529:
	s_or_saveexec_b64 s[6:7], s[6:7]
	v_mov_b32_e32 v12, s10
	s_xor_b64 exec, exec, s[6:7]
	s_cbranch_execnz .LBB11_2580
.LBB11_530:
	s_or_b64 exec, exec, s[6:7]
	s_and_saveexec_b64 s[6:7], s[4:5]
	s_cbranch_execz .LBB11_532
.LBB11_531:
	v_bfe_u32 v12, v6, 16, 3
	v_ffbh_u32_e32 v15, v12
	v_min_u32_e32 v15, 32, v15
	v_lshrrev_b32_e32 v13, 19, v6
	v_subrev_u32_e32 v16, 28, v15
	v_and_b32_e32 v13, 15, v13
	v_lshlrev_b32_sdwa v16, v16, v6 dst_sel:DWORD dst_unused:UNUSED_PAD src0_sel:DWORD src1_sel:WORD_1
	v_bfe_u32 v14, v6, 19, 4
	v_sub_u32_e32 v15, 29, v15
	v_and_b32_e32 v16, 7, v16
	v_cmp_eq_u16_e32 vcc, 0, v13
	v_cndmask_b32_e32 v12, v12, v16, vcc
	v_cndmask_b32_e32 v13, v14, v15, vcc
	v_lshlrev_b32_e32 v14, 8, v6
	v_mov_b32_e32 v15, 0x3b800000
	v_lshlrev_b32_e32 v12, 20, v12
	v_and_b32_e32 v14, 0x80000000, v14
	v_lshl_add_u32 v13, v13, 23, v15
	v_or3_b32 v12, v14, v13, v12
.LBB11_532:
	s_or_b64 exec, exec, s[6:7]
	s_movk_i32 s4, 0xff
	v_and_b32_sdwa v13, v2, s4 dst_sel:DWORD dst_unused:UNUSED_PAD src0_sel:WORD_1 src1_sel:DWORD
	s_movk_i32 s4, 0x7f
	v_cmp_lt_i16_e32 vcc, s4, v13
	s_mov_b64 s[4:5], 0
                                        ; implicit-def: $sgpr10
	s_and_saveexec_b64 s[6:7], vcc
	s_xor_b64 s[6:7], exec, s[6:7]
	s_cbranch_execnz .LBB11_2581
; %bb.533:
	s_or_saveexec_b64 s[6:7], s[6:7]
	v_mov_b32_e32 v14, s10
	s_xor_b64 exec, exec, s[6:7]
	s_cbranch_execnz .LBB11_2584
.LBB11_534:
	s_or_b64 exec, exec, s[6:7]
	s_and_saveexec_b64 s[6:7], s[4:5]
	s_cbranch_execz .LBB11_536
.LBB11_535:
	v_bfe_u32 v13, v2, 16, 3
	v_ffbh_u32_e32 v16, v13
	v_min_u32_e32 v16, 32, v16
	v_lshrrev_b32_e32 v14, 19, v2
	v_subrev_u32_e32 v17, 28, v16
	v_and_b32_e32 v14, 15, v14
	v_lshlrev_b32_sdwa v17, v17, v2 dst_sel:DWORD dst_unused:UNUSED_PAD src0_sel:DWORD src1_sel:WORD_1
	v_bfe_u32 v15, v2, 19, 4
	v_sub_u32_e32 v16, 29, v16
	v_and_b32_e32 v17, 7, v17
	v_cmp_eq_u16_e32 vcc, 0, v14
	v_cndmask_b32_e32 v13, v13, v17, vcc
	v_cndmask_b32_e32 v14, v15, v16, vcc
	v_lshlrev_b32_e32 v15, 8, v2
	v_mov_b32_e32 v16, 0x3b800000
	v_lshlrev_b32_e32 v13, 20, v13
	v_and_b32_e32 v15, 0x80000000, v15
	v_lshl_add_u32 v14, v14, 23, v16
	v_or3_b32 v14, v15, v14, v13
.LBB11_536:
	s_or_b64 exec, exec, s[6:7]
	s_nop 0
	v_mfma_f32_16x16x4f32 a[0:3], v12, v14, a[0:3]
	s_movk_i32 s4, 0x7f
	v_cmp_gt_i16_sdwa s[6:7], v6, s4 src0_sel:BYTE_3 src1_sel:DWORD
	s_mov_b64 s[4:5], 0
                                        ; implicit-def: $sgpr10
	s_and_saveexec_b64 s[8:9], s[6:7]
	s_xor_b64 s[6:7], exec, s[8:9]
	s_cbranch_execnz .LBB11_2585
; %bb.537:
	s_or_saveexec_b64 s[6:7], s[6:7]
	v_mov_b32_e32 v12, s10
	s_xor_b64 exec, exec, s[6:7]
	s_cbranch_execnz .LBB11_2588
.LBB11_538:
	s_or_b64 exec, exec, s[6:7]
	s_and_saveexec_b64 s[6:7], s[4:5]
	s_cbranch_execz .LBB11_540
.LBB11_539:
	v_bfe_u32 v12, v6, 24, 3
	v_ffbh_u32_e32 v16, v12
	v_min_u32_e32 v16, 32, v16
	v_lshrrev_b32_e32 v14, 27, v6
	v_subrev_u32_e32 v17, 28, v16
	v_and_b32_e32 v13, 0x80000000, v6
	v_and_b32_e32 v14, 15, v14
	v_bfe_u32 v15, v6, 27, 4
	v_lshlrev_b32_sdwa v6, v17, v6 dst_sel:DWORD dst_unused:UNUSED_PAD src0_sel:DWORD src1_sel:BYTE_3
	v_sub_u32_e32 v16, 29, v16
	v_and_b32_e32 v6, 7, v6
	v_cmp_eq_u16_e32 vcc, 0, v14
	v_cndmask_b32_e32 v6, v12, v6, vcc
	v_cndmask_b32_e32 v12, v15, v16, vcc
	v_mov_b32_e32 v14, 0x3b800000
	v_lshlrev_b32_e32 v6, 20, v6
	v_lshl_add_u32 v12, v12, 23, v14
	v_or3_b32 v12, v13, v12, v6
.LBB11_540:
	s_or_b64 exec, exec, s[6:7]
	s_movk_i32 s4, 0x7f
	v_cmp_gt_i16_sdwa s[6:7], v2, s4 src0_sel:BYTE_3 src1_sel:DWORD
	s_mov_b64 s[4:5], 0
                                        ; implicit-def: $sgpr10
	s_and_saveexec_b64 s[8:9], s[6:7]
	s_xor_b64 s[6:7], exec, s[8:9]
	s_cbranch_execnz .LBB11_2589
; %bb.541:
	s_or_saveexec_b64 s[6:7], s[6:7]
	v_mov_b32_e32 v6, s10
	s_xor_b64 exec, exec, s[6:7]
	s_cbranch_execnz .LBB11_2592
.LBB11_542:
	s_or_b64 exec, exec, s[6:7]
	s_and_saveexec_b64 s[6:7], s[4:5]
	s_cbranch_execz .LBB11_544
.LBB11_543:
	v_bfe_u32 v6, v2, 24, 3
	v_ffbh_u32_e32 v16, v6
	v_min_u32_e32 v16, 32, v16
	v_lshrrev_b32_e32 v14, 27, v2
	v_subrev_u32_e32 v17, 28, v16
	v_and_b32_e32 v13, 0x80000000, v2
	v_and_b32_e32 v14, 15, v14
	v_bfe_u32 v15, v2, 27, 4
	v_lshlrev_b32_sdwa v2, v17, v2 dst_sel:DWORD dst_unused:UNUSED_PAD src0_sel:DWORD src1_sel:BYTE_3
	v_sub_u32_e32 v16, 29, v16
	v_and_b32_e32 v2, 7, v2
	v_cmp_eq_u16_e32 vcc, 0, v14
	v_cndmask_b32_e32 v2, v6, v2, vcc
	v_cndmask_b32_e32 v6, v15, v16, vcc
	v_mov_b32_e32 v14, 0x3b800000
	v_lshlrev_b32_e32 v2, 20, v2
	v_lshl_add_u32 v6, v6, 23, v14
	v_or3_b32 v6, v13, v6, v2
.LBB11_544:
	s_or_b64 exec, exec, s[6:7]
	s_nop 0
	v_mfma_f32_16x16x4f32 a[0:3], v12, v6, a[0:3]
	s_movk_i32 s4, 0x7f
	v_cmp_gt_i16_sdwa s[6:7], v7, s4 src0_sel:BYTE_0 src1_sel:DWORD
	s_mov_b64 s[4:5], 0
                                        ; implicit-def: $sgpr10
	s_and_saveexec_b64 s[8:9], s[6:7]
	s_xor_b64 s[6:7], exec, s[8:9]
	s_cbranch_execnz .LBB11_2593
; %bb.545:
	s_or_saveexec_b64 s[6:7], s[6:7]
	v_mov_b32_e32 v2, s10
	s_xor_b64 exec, exec, s[6:7]
	s_cbranch_execnz .LBB11_2596
.LBB11_546:
	s_or_b64 exec, exec, s[6:7]
	s_and_saveexec_b64 s[6:7], s[4:5]
	s_cbranch_execz .LBB11_548
.LBB11_547:
	v_and_b32_e32 v2, 7, v7
	v_ffbh_u32_e32 v12, v2
	v_min_u32_e32 v12, 32, v12
	v_lshrrev_b16_e32 v6, 3, v7
	v_subrev_u32_e32 v13, 28, v12
	v_and_b32_e32 v6, 15, v6
	v_lshlrev_b32_e32 v13, v13, v7
	v_sub_u32_e32 v12, 29, v12
	v_and_b32_e32 v13, 7, v13
	v_cmp_eq_u16_e32 vcc, 0, v6
	v_cndmask_b32_e32 v2, v2, v13, vcc
	v_cndmask_b32_e32 v6, v6, v12, vcc
	v_lshlrev_b32_e32 v12, 24, v7
	v_mov_b32_e32 v13, 0x3b800000
	v_lshlrev_b32_e32 v2, 20, v2
	v_and_b32_e32 v12, 0x80000000, v12
	v_lshl_add_u32 v6, v6, 23, v13
	v_or3_b32 v2, v12, v6, v2
.LBB11_548:
	s_or_b64 exec, exec, s[6:7]
	s_movk_i32 s4, 0x7f
	v_cmp_gt_i16_sdwa s[6:7], v3, s4 src0_sel:BYTE_0 src1_sel:DWORD
	s_mov_b64 s[4:5], 0
                                        ; implicit-def: $sgpr10
	s_and_saveexec_b64 s[8:9], s[6:7]
	s_xor_b64 s[6:7], exec, s[8:9]
	s_cbranch_execnz .LBB11_2597
; %bb.549:
	s_or_saveexec_b64 s[6:7], s[6:7]
	v_mov_b32_e32 v6, s10
	s_xor_b64 exec, exec, s[6:7]
	s_cbranch_execnz .LBB11_2600
.LBB11_550:
	s_or_b64 exec, exec, s[6:7]
	s_and_saveexec_b64 s[6:7], s[4:5]
	s_cbranch_execz .LBB11_552
.LBB11_551:
	v_and_b32_e32 v6, 7, v3
	v_ffbh_u32_e32 v13, v6
	v_min_u32_e32 v13, 32, v13
	v_lshrrev_b16_e32 v12, 3, v3
	v_subrev_u32_e32 v14, 28, v13
	v_and_b32_e32 v12, 15, v12
	v_lshlrev_b32_e32 v14, v14, v3
	v_sub_u32_e32 v13, 29, v13
	v_and_b32_e32 v14, 7, v14
	v_cmp_eq_u16_e32 vcc, 0, v12
	v_cndmask_b32_e32 v6, v6, v14, vcc
	v_cndmask_b32_e32 v12, v12, v13, vcc
	v_lshlrev_b32_e32 v13, 24, v3
	v_mov_b32_e32 v14, 0x3b800000
	v_lshlrev_b32_e32 v6, 20, v6
	v_and_b32_e32 v13, 0x80000000, v13
	v_lshl_add_u32 v12, v12, 23, v14
	v_or3_b32 v6, v13, v12, v6
.LBB11_552:
	s_or_b64 exec, exec, s[6:7]
	s_nop 0
	v_mfma_f32_16x16x4f32 a[0:3], v2, v6, a[0:3]
	v_lshrrev_b32_e32 v6, 8, v7
	s_movk_i32 s4, 0x7f
	v_cmp_gt_i16_sdwa s[6:7], v6, s4 src0_sel:BYTE_0 src1_sel:DWORD
	s_mov_b64 s[4:5], 0
                                        ; implicit-def: $sgpr10
	s_and_saveexec_b64 s[8:9], s[6:7]
	s_xor_b64 s[6:7], exec, s[8:9]
	s_cbranch_execnz .LBB11_2601
; %bb.553:
	s_or_saveexec_b64 s[6:7], s[6:7]
	v_mov_b32_e32 v2, s10
	s_xor_b64 exec, exec, s[6:7]
	s_cbranch_execnz .LBB11_2604
.LBB11_554:
	s_or_b64 exec, exec, s[6:7]
	s_and_saveexec_b64 s[6:7], s[4:5]
	s_cbranch_execz .LBB11_556
.LBB11_555:
	v_bfe_u32 v2, v7, 8, 3
	v_ffbh_u32_e32 v13, v2
	v_min_u32_e32 v13, 32, v13
	v_lshrrev_b16_e32 v12, 3, v6
	v_subrev_u32_e32 v14, 28, v13
	v_and_b32_e32 v12, 15, v12
	v_lshlrev_b32_e32 v6, v14, v6
	v_sub_u32_e32 v13, 29, v13
	v_and_b32_e32 v6, 7, v6
	v_cmp_eq_u16_e32 vcc, 0, v12
	v_cndmask_b32_e32 v2, v2, v6, vcc
	v_cndmask_b32_e32 v6, v12, v13, vcc
	v_lshlrev_b32_e32 v12, 16, v7
	v_mov_b32_e32 v13, 0x3b800000
	v_lshlrev_b32_e32 v2, 20, v2
	v_and_b32_e32 v12, 0x80000000, v12
	v_lshl_add_u32 v6, v6, 23, v13
	v_or3_b32 v2, v12, v6, v2
.LBB11_556:
	s_or_b64 exec, exec, s[6:7]
	v_lshrrev_b32_e32 v6, 8, v3
	s_movk_i32 s4, 0x7f
	v_cmp_gt_i16_sdwa s[6:7], v6, s4 src0_sel:BYTE_0 src1_sel:DWORD
	s_mov_b64 s[4:5], 0
                                        ; implicit-def: $sgpr10
	s_and_saveexec_b64 s[8:9], s[6:7]
	s_xor_b64 s[6:7], exec, s[8:9]
	s_cbranch_execnz .LBB11_2605
; %bb.557:
	s_or_saveexec_b64 s[6:7], s[6:7]
	v_mov_b32_e32 v12, s10
	s_xor_b64 exec, exec, s[6:7]
	s_cbranch_execnz .LBB11_2608
.LBB11_558:
	s_or_b64 exec, exec, s[6:7]
	s_and_saveexec_b64 s[6:7], s[4:5]
	s_cbranch_execz .LBB11_560
.LBB11_559:
	v_bfe_u32 v12, v3, 8, 3
	v_ffbh_u32_e32 v14, v12
	v_min_u32_e32 v14, 32, v14
	v_lshrrev_b16_e32 v13, 3, v6
	v_subrev_u32_e32 v15, 28, v14
	v_and_b32_e32 v13, 15, v13
	v_lshlrev_b32_e32 v6, v15, v6
	v_sub_u32_e32 v14, 29, v14
	v_and_b32_e32 v6, 7, v6
	v_cmp_eq_u16_e32 vcc, 0, v13
	v_cndmask_b32_e32 v6, v12, v6, vcc
	v_cndmask_b32_e32 v12, v13, v14, vcc
	v_lshlrev_b32_e32 v13, 16, v3
	v_mov_b32_e32 v14, 0x3b800000
	v_lshlrev_b32_e32 v6, 20, v6
	v_and_b32_e32 v13, 0x80000000, v13
	v_lshl_add_u32 v12, v12, 23, v14
	v_or3_b32 v12, v13, v12, v6
.LBB11_560:
	s_or_b64 exec, exec, s[6:7]
	s_nop 0
	v_mfma_f32_16x16x4f32 a[0:3], v2, v12, a[0:3]
	s_movk_i32 s4, 0xff
	v_and_b32_sdwa v6, v7, s4 dst_sel:DWORD dst_unused:UNUSED_PAD src0_sel:WORD_1 src1_sel:DWORD
	s_movk_i32 s4, 0x7f
	v_cmp_lt_i16_e32 vcc, s4, v6
	s_mov_b64 s[4:5], 0
                                        ; implicit-def: $sgpr10
	s_and_saveexec_b64 s[6:7], vcc
	s_xor_b64 s[6:7], exec, s[6:7]
	s_cbranch_execnz .LBB11_2609
; %bb.561:
	s_or_saveexec_b64 s[6:7], s[6:7]
	v_mov_b32_e32 v2, s10
	s_xor_b64 exec, exec, s[6:7]
	s_cbranch_execnz .LBB11_2612
.LBB11_562:
	s_or_b64 exec, exec, s[6:7]
	s_and_saveexec_b64 s[6:7], s[4:5]
	s_cbranch_execz .LBB11_564
.LBB11_563:
	v_bfe_u32 v2, v7, 16, 3
	v_ffbh_u32_e32 v13, v2
	v_min_u32_e32 v13, 32, v13
	v_lshrrev_b32_e32 v6, 19, v7
	v_subrev_u32_e32 v14, 28, v13
	v_and_b32_e32 v6, 15, v6
	v_lshlrev_b32_sdwa v14, v14, v7 dst_sel:DWORD dst_unused:UNUSED_PAD src0_sel:DWORD src1_sel:WORD_1
	v_bfe_u32 v12, v7, 19, 4
	v_sub_u32_e32 v13, 29, v13
	v_and_b32_e32 v14, 7, v14
	v_cmp_eq_u16_e32 vcc, 0, v6
	v_cndmask_b32_e32 v2, v2, v14, vcc
	v_cndmask_b32_e32 v6, v12, v13, vcc
	v_lshlrev_b32_e32 v12, 8, v7
	v_mov_b32_e32 v13, 0x3b800000
	v_lshlrev_b32_e32 v2, 20, v2
	v_and_b32_e32 v12, 0x80000000, v12
	v_lshl_add_u32 v6, v6, 23, v13
	v_or3_b32 v2, v12, v6, v2
.LBB11_564:
	s_or_b64 exec, exec, s[6:7]
	s_movk_i32 s4, 0xff
	v_and_b32_sdwa v6, v3, s4 dst_sel:DWORD dst_unused:UNUSED_PAD src0_sel:WORD_1 src1_sel:DWORD
	s_movk_i32 s4, 0x7f
	v_cmp_lt_i16_e32 vcc, s4, v6
	s_mov_b64 s[4:5], 0
                                        ; implicit-def: $sgpr10
	s_and_saveexec_b64 s[6:7], vcc
	s_xor_b64 s[6:7], exec, s[6:7]
	s_cbranch_execnz .LBB11_2613
; %bb.565:
	s_or_saveexec_b64 s[6:7], s[6:7]
	v_mov_b32_e32 v12, s10
	s_xor_b64 exec, exec, s[6:7]
	s_cbranch_execnz .LBB11_2616
.LBB11_566:
	s_or_b64 exec, exec, s[6:7]
	s_and_saveexec_b64 s[6:7], s[4:5]
	s_cbranch_execz .LBB11_568
.LBB11_567:
	v_bfe_u32 v6, v3, 16, 3
	v_ffbh_u32_e32 v14, v6
	v_min_u32_e32 v14, 32, v14
	v_lshrrev_b32_e32 v12, 19, v3
	v_subrev_u32_e32 v15, 28, v14
	v_and_b32_e32 v12, 15, v12
	v_lshlrev_b32_sdwa v15, v15, v3 dst_sel:DWORD dst_unused:UNUSED_PAD src0_sel:DWORD src1_sel:WORD_1
	v_bfe_u32 v13, v3, 19, 4
	v_sub_u32_e32 v14, 29, v14
	v_and_b32_e32 v15, 7, v15
	v_cmp_eq_u16_e32 vcc, 0, v12
	v_cndmask_b32_e32 v6, v6, v15, vcc
	v_cndmask_b32_e32 v12, v13, v14, vcc
	v_lshlrev_b32_e32 v13, 8, v3
	v_mov_b32_e32 v14, 0x3b800000
	v_lshlrev_b32_e32 v6, 20, v6
	v_and_b32_e32 v13, 0x80000000, v13
	v_lshl_add_u32 v12, v12, 23, v14
	v_or3_b32 v12, v13, v12, v6
.LBB11_568:
	s_or_b64 exec, exec, s[6:7]
	s_nop 0
	v_mfma_f32_16x16x4f32 a[0:3], v2, v12, a[0:3]
	s_movk_i32 s4, 0x7f
	v_cmp_gt_i16_sdwa s[6:7], v7, s4 src0_sel:BYTE_3 src1_sel:DWORD
	s_mov_b64 s[4:5], 0
                                        ; implicit-def: $sgpr10
	s_and_saveexec_b64 s[8:9], s[6:7]
	s_xor_b64 s[6:7], exec, s[8:9]
	s_cbranch_execnz .LBB11_2617
; %bb.569:
	s_or_saveexec_b64 s[6:7], s[6:7]
	v_mov_b32_e32 v2, s10
	s_xor_b64 exec, exec, s[6:7]
	s_cbranch_execnz .LBB11_2620
.LBB11_570:
	s_or_b64 exec, exec, s[6:7]
	s_and_saveexec_b64 s[6:7], s[4:5]
	s_cbranch_execz .LBB11_572
.LBB11_571:
	v_bfe_u32 v2, v7, 24, 3
	v_ffbh_u32_e32 v14, v2
	v_min_u32_e32 v14, 32, v14
	v_lshrrev_b32_e32 v12, 27, v7
	v_subrev_u32_e32 v15, 28, v14
	v_and_b32_e32 v6, 0x80000000, v7
	v_and_b32_e32 v12, 15, v12
	v_bfe_u32 v13, v7, 27, 4
	v_lshlrev_b32_sdwa v7, v15, v7 dst_sel:DWORD dst_unused:UNUSED_PAD src0_sel:DWORD src1_sel:BYTE_3
	v_sub_u32_e32 v14, 29, v14
	v_and_b32_e32 v7, 7, v7
	v_cmp_eq_u16_e32 vcc, 0, v12
	v_cndmask_b32_e32 v2, v2, v7, vcc
	v_cndmask_b32_e32 v7, v13, v14, vcc
	v_mov_b32_e32 v12, 0x3b800000
	v_lshlrev_b32_e32 v2, 20, v2
	v_lshl_add_u32 v7, v7, 23, v12
	v_or3_b32 v2, v6, v7, v2
.LBB11_572:
	s_or_b64 exec, exec, s[6:7]
	s_movk_i32 s4, 0x7f
	v_cmp_gt_i16_sdwa s[6:7], v3, s4 src0_sel:BYTE_3 src1_sel:DWORD
	s_mov_b64 s[4:5], 0
                                        ; implicit-def: $sgpr10
	s_and_saveexec_b64 s[8:9], s[6:7]
	s_xor_b64 s[6:7], exec, s[8:9]
	s_cbranch_execnz .LBB11_2621
; %bb.573:
	s_or_saveexec_b64 s[6:7], s[6:7]
	v_mov_b32_e32 v6, s10
	s_xor_b64 exec, exec, s[6:7]
	s_cbranch_execnz .LBB11_2624
.LBB11_574:
	s_or_b64 exec, exec, s[6:7]
	s_and_saveexec_b64 s[6:7], s[4:5]
	s_cbranch_execz .LBB11_576
.LBB11_575:
	v_bfe_u32 v6, v3, 24, 3
	v_ffbh_u32_e32 v14, v6
	v_min_u32_e32 v14, 32, v14
	v_lshrrev_b32_e32 v12, 27, v3
	v_subrev_u32_e32 v15, 28, v14
	v_and_b32_e32 v7, 0x80000000, v3
	v_and_b32_e32 v12, 15, v12
	v_bfe_u32 v13, v3, 27, 4
	v_lshlrev_b32_sdwa v3, v15, v3 dst_sel:DWORD dst_unused:UNUSED_PAD src0_sel:DWORD src1_sel:BYTE_3
	v_sub_u32_e32 v14, 29, v14
	v_and_b32_e32 v3, 7, v3
	v_cmp_eq_u16_e32 vcc, 0, v12
	v_cndmask_b32_e32 v3, v6, v3, vcc
	v_cndmask_b32_e32 v6, v13, v14, vcc
	v_mov_b32_e32 v12, 0x3b800000
	v_lshlrev_b32_e32 v3, 20, v3
	v_lshl_add_u32 v6, v6, 23, v12
	v_or3_b32 v6, v7, v6, v3
.LBB11_576:
	s_or_b64 exec, exec, s[6:7]
	s_nop 0
	v_mfma_f32_16x16x4f32 a[0:3], v2, v6, a[0:3]
	s_movk_i32 s4, 0x7f
	v_cmp_gt_i16_sdwa s[6:7], v8, s4 src0_sel:BYTE_0 src1_sel:DWORD
	s_mov_b64 s[4:5], 0
                                        ; implicit-def: $sgpr10
	s_and_saveexec_b64 s[8:9], s[6:7]
	s_xor_b64 s[6:7], exec, s[8:9]
	s_cbranch_execnz .LBB11_2625
; %bb.577:
	s_or_saveexec_b64 s[6:7], s[6:7]
	v_mov_b32_e32 v2, s10
	s_xor_b64 exec, exec, s[6:7]
	s_cbranch_execnz .LBB11_2628
.LBB11_578:
	s_or_b64 exec, exec, s[6:7]
	s_and_saveexec_b64 s[6:7], s[4:5]
	s_cbranch_execz .LBB11_580
.LBB11_579:
	v_and_b32_e32 v2, 7, v8
	v_ffbh_u32_e32 v6, v2
	v_min_u32_e32 v6, 32, v6
	v_lshrrev_b16_e32 v3, 3, v8
	v_subrev_u32_e32 v7, 28, v6
	v_and_b32_e32 v3, 15, v3
	v_lshlrev_b32_e32 v7, v7, v8
	v_sub_u32_e32 v6, 29, v6
	v_and_b32_e32 v7, 7, v7
	v_cmp_eq_u16_e32 vcc, 0, v3
	v_cndmask_b32_e32 v2, v2, v7, vcc
	v_cndmask_b32_e32 v3, v3, v6, vcc
	v_lshlrev_b32_e32 v6, 24, v8
	v_mov_b32_e32 v7, 0x3b800000
	v_lshlrev_b32_e32 v2, 20, v2
	v_and_b32_e32 v6, 0x80000000, v6
	v_lshl_add_u32 v3, v3, 23, v7
	v_or3_b32 v2, v6, v3, v2
.LBB11_580:
	s_or_b64 exec, exec, s[6:7]
	s_movk_i32 s4, 0x7f
	v_cmp_gt_i16_sdwa s[6:7], v4, s4 src0_sel:BYTE_0 src1_sel:DWORD
	s_mov_b64 s[4:5], 0
                                        ; implicit-def: $sgpr10
	s_and_saveexec_b64 s[8:9], s[6:7]
	s_xor_b64 s[6:7], exec, s[8:9]
	s_cbranch_execnz .LBB11_2629
; %bb.581:
	s_or_saveexec_b64 s[6:7], s[6:7]
	v_mov_b32_e32 v3, s10
	s_xor_b64 exec, exec, s[6:7]
	s_cbranch_execnz .LBB11_2632
.LBB11_582:
	s_or_b64 exec, exec, s[6:7]
	s_and_saveexec_b64 s[6:7], s[4:5]
	s_cbranch_execz .LBB11_584
.LBB11_583:
	v_and_b32_e32 v3, 7, v4
	v_ffbh_u32_e32 v7, v3
	v_min_u32_e32 v7, 32, v7
	v_lshrrev_b16_e32 v6, 3, v4
	v_subrev_u32_e32 v12, 28, v7
	v_and_b32_e32 v6, 15, v6
	v_lshlrev_b32_e32 v12, v12, v4
	v_sub_u32_e32 v7, 29, v7
	v_and_b32_e32 v12, 7, v12
	v_cmp_eq_u16_e32 vcc, 0, v6
	v_cndmask_b32_e32 v3, v3, v12, vcc
	v_cndmask_b32_e32 v6, v6, v7, vcc
	v_lshlrev_b32_e32 v7, 24, v4
	v_mov_b32_e32 v12, 0x3b800000
	v_lshlrev_b32_e32 v3, 20, v3
	v_and_b32_e32 v7, 0x80000000, v7
	v_lshl_add_u32 v6, v6, 23, v12
	v_or3_b32 v3, v7, v6, v3
.LBB11_584:
	s_or_b64 exec, exec, s[6:7]
	s_nop 0
	v_mfma_f32_16x16x4f32 a[0:3], v2, v3, a[0:3]
	v_lshrrev_b32_e32 v3, 8, v8
	s_movk_i32 s4, 0x7f
	v_cmp_gt_i16_sdwa s[6:7], v3, s4 src0_sel:BYTE_0 src1_sel:DWORD
	s_mov_b64 s[4:5], 0
                                        ; implicit-def: $sgpr10
	s_and_saveexec_b64 s[8:9], s[6:7]
	s_xor_b64 s[6:7], exec, s[8:9]
	s_cbranch_execnz .LBB11_2633
; %bb.585:
	s_or_saveexec_b64 s[6:7], s[6:7]
	v_mov_b32_e32 v2, s10
	s_xor_b64 exec, exec, s[6:7]
	s_cbranch_execnz .LBB11_2636
.LBB11_586:
	s_or_b64 exec, exec, s[6:7]
	s_and_saveexec_b64 s[6:7], s[4:5]
	s_cbranch_execz .LBB11_588
.LBB11_587:
	v_bfe_u32 v2, v8, 8, 3
	v_ffbh_u32_e32 v7, v2
	v_min_u32_e32 v7, 32, v7
	v_lshrrev_b16_e32 v6, 3, v3
	v_subrev_u32_e32 v12, 28, v7
	v_and_b32_e32 v6, 15, v6
	v_lshlrev_b32_e32 v3, v12, v3
	v_sub_u32_e32 v7, 29, v7
	v_and_b32_e32 v3, 7, v3
	v_cmp_eq_u16_e32 vcc, 0, v6
	v_cndmask_b32_e32 v2, v2, v3, vcc
	v_cndmask_b32_e32 v3, v6, v7, vcc
	v_lshlrev_b32_e32 v6, 16, v8
	v_mov_b32_e32 v7, 0x3b800000
	v_lshlrev_b32_e32 v2, 20, v2
	v_and_b32_e32 v6, 0x80000000, v6
	v_lshl_add_u32 v3, v3, 23, v7
	v_or3_b32 v2, v6, v3, v2
.LBB11_588:
	s_or_b64 exec, exec, s[6:7]
	v_lshrrev_b32_e32 v3, 8, v4
	s_movk_i32 s4, 0x7f
	v_cmp_gt_i16_sdwa s[6:7], v3, s4 src0_sel:BYTE_0 src1_sel:DWORD
	s_mov_b64 s[4:5], 0
                                        ; implicit-def: $sgpr10
	s_and_saveexec_b64 s[8:9], s[6:7]
	s_xor_b64 s[6:7], exec, s[8:9]
	s_cbranch_execnz .LBB11_2637
; %bb.589:
	s_or_saveexec_b64 s[6:7], s[6:7]
	v_mov_b32_e32 v6, s10
	s_xor_b64 exec, exec, s[6:7]
	s_cbranch_execnz .LBB11_2640
.LBB11_590:
	s_or_b64 exec, exec, s[6:7]
	s_and_saveexec_b64 s[6:7], s[4:5]
	s_cbranch_execz .LBB11_592
.LBB11_591:
	v_bfe_u32 v6, v4, 8, 3
	v_ffbh_u32_e32 v12, v6
	v_min_u32_e32 v12, 32, v12
	v_lshrrev_b16_e32 v7, 3, v3
	v_subrev_u32_e32 v13, 28, v12
	v_and_b32_e32 v7, 15, v7
	v_lshlrev_b32_e32 v3, v13, v3
	v_sub_u32_e32 v12, 29, v12
	v_and_b32_e32 v3, 7, v3
	v_cmp_eq_u16_e32 vcc, 0, v7
	v_cndmask_b32_e32 v3, v6, v3, vcc
	v_cndmask_b32_e32 v6, v7, v12, vcc
	v_lshlrev_b32_e32 v7, 16, v4
	v_mov_b32_e32 v12, 0x3b800000
	v_lshlrev_b32_e32 v3, 20, v3
	v_and_b32_e32 v7, 0x80000000, v7
	v_lshl_add_u32 v6, v6, 23, v12
	v_or3_b32 v6, v7, v6, v3
.LBB11_592:
	s_or_b64 exec, exec, s[6:7]
	s_nop 0
	v_mfma_f32_16x16x4f32 a[0:3], v2, v6, a[0:3]
	s_movk_i32 s4, 0xff
	v_and_b32_sdwa v3, v8, s4 dst_sel:DWORD dst_unused:UNUSED_PAD src0_sel:WORD_1 src1_sel:DWORD
	s_movk_i32 s4, 0x7f
	v_cmp_lt_i16_e32 vcc, s4, v3
	s_mov_b64 s[4:5], 0
                                        ; implicit-def: $sgpr10
	s_and_saveexec_b64 s[6:7], vcc
	s_xor_b64 s[6:7], exec, s[6:7]
	s_cbranch_execnz .LBB11_2641
; %bb.593:
	s_or_saveexec_b64 s[6:7], s[6:7]
	v_mov_b32_e32 v2, s10
	s_xor_b64 exec, exec, s[6:7]
	s_cbranch_execnz .LBB11_2644
.LBB11_594:
	s_or_b64 exec, exec, s[6:7]
	s_and_saveexec_b64 s[6:7], s[4:5]
	s_cbranch_execz .LBB11_596
.LBB11_595:
	v_bfe_u32 v2, v8, 16, 3
	v_ffbh_u32_e32 v7, v2
	v_min_u32_e32 v7, 32, v7
	v_lshrrev_b32_e32 v3, 19, v8
	v_subrev_u32_e32 v12, 28, v7
	v_and_b32_e32 v3, 15, v3
	v_lshlrev_b32_sdwa v12, v12, v8 dst_sel:DWORD dst_unused:UNUSED_PAD src0_sel:DWORD src1_sel:WORD_1
	v_bfe_u32 v6, v8, 19, 4
	v_sub_u32_e32 v7, 29, v7
	v_and_b32_e32 v12, 7, v12
	v_cmp_eq_u16_e32 vcc, 0, v3
	v_cndmask_b32_e32 v2, v2, v12, vcc
	v_cndmask_b32_e32 v3, v6, v7, vcc
	v_lshlrev_b32_e32 v6, 8, v8
	v_mov_b32_e32 v7, 0x3b800000
	v_lshlrev_b32_e32 v2, 20, v2
	v_and_b32_e32 v6, 0x80000000, v6
	v_lshl_add_u32 v3, v3, 23, v7
	v_or3_b32 v2, v6, v3, v2
.LBB11_596:
	s_or_b64 exec, exec, s[6:7]
	s_movk_i32 s4, 0xff
	v_and_b32_sdwa v3, v4, s4 dst_sel:DWORD dst_unused:UNUSED_PAD src0_sel:WORD_1 src1_sel:DWORD
	s_movk_i32 s4, 0x7f
	v_cmp_lt_i16_e32 vcc, s4, v3
	s_mov_b64 s[4:5], 0
                                        ; implicit-def: $sgpr10
	s_and_saveexec_b64 s[6:7], vcc
	s_xor_b64 s[6:7], exec, s[6:7]
	s_cbranch_execnz .LBB11_2645
; %bb.597:
	s_or_saveexec_b64 s[6:7], s[6:7]
	v_mov_b32_e32 v6, s10
	s_xor_b64 exec, exec, s[6:7]
	s_cbranch_execnz .LBB11_2648
.LBB11_598:
	s_or_b64 exec, exec, s[6:7]
	s_and_saveexec_b64 s[6:7], s[4:5]
	s_cbranch_execz .LBB11_600
.LBB11_599:
	v_bfe_u32 v3, v4, 16, 3
	v_ffbh_u32_e32 v12, v3
	v_min_u32_e32 v12, 32, v12
	v_lshrrev_b32_e32 v6, 19, v4
	v_subrev_u32_e32 v13, 28, v12
	v_and_b32_e32 v6, 15, v6
	v_lshlrev_b32_sdwa v13, v13, v4 dst_sel:DWORD dst_unused:UNUSED_PAD src0_sel:DWORD src1_sel:WORD_1
	v_bfe_u32 v7, v4, 19, 4
	v_sub_u32_e32 v12, 29, v12
	v_and_b32_e32 v13, 7, v13
	v_cmp_eq_u16_e32 vcc, 0, v6
	v_cndmask_b32_e32 v3, v3, v13, vcc
	v_cndmask_b32_e32 v6, v7, v12, vcc
	v_lshlrev_b32_e32 v7, 8, v4
	v_mov_b32_e32 v12, 0x3b800000
	v_lshlrev_b32_e32 v3, 20, v3
	v_and_b32_e32 v7, 0x80000000, v7
	v_lshl_add_u32 v6, v6, 23, v12
	v_or3_b32 v6, v7, v6, v3
.LBB11_600:
	s_or_b64 exec, exec, s[6:7]
	s_nop 0
	v_mfma_f32_16x16x4f32 a[0:3], v2, v6, a[0:3]
	s_movk_i32 s4, 0x7f
	v_cmp_gt_i16_sdwa s[6:7], v8, s4 src0_sel:BYTE_3 src1_sel:DWORD
	s_mov_b64 s[4:5], 0
                                        ; implicit-def: $sgpr10
	s_and_saveexec_b64 s[8:9], s[6:7]
	s_xor_b64 s[6:7], exec, s[8:9]
	s_cbranch_execnz .LBB11_2649
; %bb.601:
	s_or_saveexec_b64 s[6:7], s[6:7]
	v_mov_b32_e32 v2, s10
	s_xor_b64 exec, exec, s[6:7]
	s_cbranch_execnz .LBB11_2652
.LBB11_602:
	s_or_b64 exec, exec, s[6:7]
	s_and_saveexec_b64 s[6:7], s[4:5]
	s_cbranch_execz .LBB11_604
.LBB11_603:
	v_bfe_u32 v2, v8, 24, 3
	v_ffbh_u32_e32 v12, v2
	v_min_u32_e32 v12, 32, v12
	v_lshrrev_b32_e32 v6, 27, v8
	v_subrev_u32_e32 v13, 28, v12
	v_and_b32_e32 v3, 0x80000000, v8
	v_and_b32_e32 v6, 15, v6
	v_bfe_u32 v7, v8, 27, 4
	v_lshlrev_b32_sdwa v8, v13, v8 dst_sel:DWORD dst_unused:UNUSED_PAD src0_sel:DWORD src1_sel:BYTE_3
	v_sub_u32_e32 v12, 29, v12
	v_and_b32_e32 v8, 7, v8
	v_cmp_eq_u16_e32 vcc, 0, v6
	v_cndmask_b32_e32 v2, v2, v8, vcc
	v_cndmask_b32_e32 v6, v7, v12, vcc
	v_mov_b32_e32 v7, 0x3b800000
	v_lshlrev_b32_e32 v2, 20, v2
	v_lshl_add_u32 v6, v6, 23, v7
	v_or3_b32 v2, v3, v6, v2
.LBB11_604:
	s_or_b64 exec, exec, s[6:7]
	s_movk_i32 s4, 0x7f
	v_cmp_gt_i16_sdwa s[6:7], v4, s4 src0_sel:BYTE_3 src1_sel:DWORD
	s_mov_b64 s[4:5], 0
                                        ; implicit-def: $sgpr10
	s_and_saveexec_b64 s[8:9], s[6:7]
	s_xor_b64 s[6:7], exec, s[8:9]
	s_cbranch_execnz .LBB11_2653
; %bb.605:
	s_or_saveexec_b64 s[6:7], s[6:7]
	v_mov_b32_e32 v3, s10
	s_xor_b64 exec, exec, s[6:7]
	s_cbranch_execnz .LBB11_2656
.LBB11_606:
	s_or_b64 exec, exec, s[6:7]
	s_and_saveexec_b64 s[6:7], s[4:5]
	s_cbranch_execz .LBB11_608
.LBB11_607:
	v_bfe_u32 v3, v4, 24, 3
	v_ffbh_u32_e32 v12, v3
	v_min_u32_e32 v12, 32, v12
	v_lshrrev_b32_e32 v7, 27, v4
	v_subrev_u32_e32 v13, 28, v12
	v_and_b32_e32 v6, 0x80000000, v4
	v_and_b32_e32 v7, 15, v7
	v_bfe_u32 v8, v4, 27, 4
	v_lshlrev_b32_sdwa v4, v13, v4 dst_sel:DWORD dst_unused:UNUSED_PAD src0_sel:DWORD src1_sel:BYTE_3
	v_sub_u32_e32 v12, 29, v12
	v_and_b32_e32 v4, 7, v4
	v_cmp_eq_u16_e32 vcc, 0, v7
	v_cndmask_b32_e32 v3, v3, v4, vcc
	v_cndmask_b32_e32 v4, v8, v12, vcc
	v_mov_b32_e32 v7, 0x3b800000
	v_lshlrev_b32_e32 v3, 20, v3
	v_lshl_add_u32 v4, v4, 23, v7
	v_or3_b32 v3, v6, v4, v3
.LBB11_608:
	s_or_b64 exec, exec, s[6:7]
	s_nop 0
	v_mfma_f32_16x16x4f32 a[0:3], v2, v3, a[0:3]
	s_movk_i32 s4, 0x7f
	v_cmp_gt_i16_sdwa s[6:7], v9, s4 src0_sel:BYTE_0 src1_sel:DWORD
	s_mov_b64 s[4:5], 0
                                        ; implicit-def: $sgpr10
	s_and_saveexec_b64 s[8:9], s[6:7]
	s_xor_b64 s[6:7], exec, s[8:9]
	s_cbranch_execnz .LBB11_2657
; %bb.609:
	s_or_saveexec_b64 s[6:7], s[6:7]
	v_mov_b32_e32 v2, s10
	s_xor_b64 exec, exec, s[6:7]
	s_cbranch_execnz .LBB11_2660
.LBB11_610:
	s_or_b64 exec, exec, s[6:7]
	s_and_saveexec_b64 s[6:7], s[4:5]
	s_cbranch_execz .LBB11_612
.LBB11_611:
	v_mov_b32_e32 v2, 8
	v_and_b32_e32 v3, 7, v9
	v_lshrrev_b32_sdwa v2, v2, v9 dst_sel:BYTE_1 dst_unused:UNUSED_PAD src0_sel:DWORD src1_sel:DWORD
	v_ffbh_u32_e32 v4, v3
	v_or_b32_sdwa v2, v9, v2 dst_sel:DWORD dst_unused:UNUSED_PAD src0_sel:BYTE_0 src1_sel:DWORD
	v_min_u32_e32 v4, 32, v4
	v_lshrrev_b16_e32 v2, 3, v2
	v_subrev_u32_e32 v6, 28, v4
	v_and_b32_e32 v2, 15, v2
	v_lshlrev_b32_e32 v6, v6, v9
	v_sub_u32_e32 v4, 29, v4
	v_and_b32_e32 v6, 7, v6
	v_cmp_eq_u16_e32 vcc, 0, v2
	v_cndmask_b32_e32 v3, v3, v6, vcc
	v_cndmask_b32_e32 v2, v2, v4, vcc
	v_lshlrev_b32_e32 v4, 24, v9
	v_mov_b32_e32 v6, 0x3b800000
	v_lshlrev_b32_e32 v3, 20, v3
	v_and_b32_e32 v4, 0x80000000, v4
	v_lshl_add_u32 v2, v2, 23, v6
	v_or3_b32 v2, v4, v2, v3
.LBB11_612:
	s_or_b64 exec, exec, s[6:7]
	s_movk_i32 s4, 0x7f
	v_cmp_gt_i16_sdwa s[6:7], v5, s4 src0_sel:BYTE_0 src1_sel:DWORD
	s_mov_b64 s[4:5], 0
                                        ; implicit-def: $sgpr10
	s_and_saveexec_b64 s[8:9], s[6:7]
	s_xor_b64 s[6:7], exec, s[8:9]
	s_cbranch_execnz .LBB11_2661
; %bb.613:
	s_or_saveexec_b64 s[6:7], s[6:7]
	v_mov_b32_e32 v3, s10
	s_xor_b64 exec, exec, s[6:7]
	s_cbranch_execnz .LBB11_2664
.LBB11_614:
	s_or_b64 exec, exec, s[6:7]
	s_and_saveexec_b64 s[6:7], s[4:5]
	s_cbranch_execz .LBB11_616
.LBB11_615:
	v_mov_b32_e32 v3, 8
	v_and_b32_e32 v4, 7, v5
	v_lshrrev_b32_sdwa v3, v3, v5 dst_sel:BYTE_1 dst_unused:UNUSED_PAD src0_sel:DWORD src1_sel:DWORD
	v_ffbh_u32_e32 v6, v4
	v_or_b32_sdwa v3, v5, v3 dst_sel:DWORD dst_unused:UNUSED_PAD src0_sel:BYTE_0 src1_sel:DWORD
	v_min_u32_e32 v6, 32, v6
	v_lshrrev_b16_e32 v3, 3, v3
	v_subrev_u32_e32 v7, 28, v6
	v_and_b32_e32 v3, 15, v3
	v_lshlrev_b32_e32 v7, v7, v5
	v_sub_u32_e32 v6, 29, v6
	v_and_b32_e32 v7, 7, v7
	v_cmp_eq_u16_e32 vcc, 0, v3
	v_cndmask_b32_e32 v4, v4, v7, vcc
	v_cndmask_b32_e32 v3, v3, v6, vcc
	v_lshlrev_b32_e32 v6, 24, v5
	v_mov_b32_e32 v7, 0x3b800000
	v_lshlrev_b32_e32 v4, 20, v4
	v_and_b32_e32 v6, 0x80000000, v6
	v_lshl_add_u32 v3, v3, 23, v7
	v_or3_b32 v3, v6, v3, v4
.LBB11_616:
	s_or_b64 exec, exec, s[6:7]
	s_nop 0
	v_mfma_f32_16x16x4f32 a[0:3], v2, v3, a[0:3]
	v_lshrrev_b32_e32 v3, 8, v9
	s_movk_i32 s4, 0x7f
	v_cmp_gt_i16_sdwa s[6:7], v3, s4 src0_sel:BYTE_0 src1_sel:DWORD
	s_mov_b64 s[4:5], 0
                                        ; implicit-def: $sgpr10
	s_and_saveexec_b64 s[8:9], s[6:7]
	s_xor_b64 s[6:7], exec, s[8:9]
	s_cbranch_execnz .LBB11_2665
; %bb.617:
	s_or_saveexec_b64 s[6:7], s[6:7]
	v_mov_b32_e32 v2, s10
	s_xor_b64 exec, exec, s[6:7]
	s_cbranch_execnz .LBB11_2668
.LBB11_618:
	s_or_b64 exec, exec, s[6:7]
	s_and_saveexec_b64 s[6:7], s[4:5]
	s_cbranch_execz .LBB11_620
.LBB11_619:
	v_bfe_u32 v2, v9, 8, 3
	v_ffbh_u32_e32 v6, v2
	v_min_u32_e32 v6, 32, v6
	v_lshrrev_b16_e32 v4, 3, v3
	v_subrev_u32_e32 v7, 28, v6
	v_and_b32_e32 v4, 15, v4
	v_lshlrev_b32_e32 v3, v7, v3
	v_sub_u32_e32 v6, 29, v6
	v_and_b32_e32 v3, 7, v3
	v_cmp_eq_u16_e32 vcc, 0, v4
	v_cndmask_b32_e32 v2, v2, v3, vcc
	v_cndmask_b32_e32 v3, v4, v6, vcc
	v_lshlrev_b32_e32 v4, 16, v9
	v_mov_b32_e32 v6, 0x3b800000
	v_lshlrev_b32_e32 v2, 20, v2
	v_and_b32_e32 v4, 0x80000000, v4
	v_lshl_add_u32 v3, v3, 23, v6
	v_or3_b32 v2, v4, v3, v2
.LBB11_620:
	s_or_b64 exec, exec, s[6:7]
	v_lshrrev_b32_e32 v3, 8, v5
	s_movk_i32 s4, 0x7f
	v_cmp_gt_i16_sdwa s[6:7], v3, s4 src0_sel:BYTE_0 src1_sel:DWORD
	s_mov_b64 s[4:5], 0
                                        ; implicit-def: $sgpr10
	s_and_saveexec_b64 s[8:9], s[6:7]
	s_xor_b64 s[6:7], exec, s[8:9]
	s_cbranch_execnz .LBB11_2669
; %bb.621:
	s_or_saveexec_b64 s[6:7], s[6:7]
	v_mov_b32_e32 v4, s10
	s_xor_b64 exec, exec, s[6:7]
	s_cbranch_execnz .LBB11_2672
.LBB11_622:
	s_or_b64 exec, exec, s[6:7]
	s_and_saveexec_b64 s[6:7], s[4:5]
	s_cbranch_execz .LBB11_624
.LBB11_623:
	v_bfe_u32 v4, v5, 8, 3
	v_ffbh_u32_e32 v7, v4
	v_min_u32_e32 v7, 32, v7
	v_lshrrev_b16_e32 v6, 3, v3
	v_subrev_u32_e32 v8, 28, v7
	v_and_b32_e32 v6, 15, v6
	v_lshlrev_b32_e32 v3, v8, v3
	v_sub_u32_e32 v7, 29, v7
	v_and_b32_e32 v3, 7, v3
	v_cmp_eq_u16_e32 vcc, 0, v6
	v_cndmask_b32_e32 v3, v4, v3, vcc
	v_cndmask_b32_e32 v4, v6, v7, vcc
	v_lshlrev_b32_e32 v6, 16, v5
	v_mov_b32_e32 v7, 0x3b800000
	v_lshlrev_b32_e32 v3, 20, v3
	v_and_b32_e32 v6, 0x80000000, v6
	v_lshl_add_u32 v4, v4, 23, v7
	v_or3_b32 v4, v6, v4, v3
.LBB11_624:
	s_or_b64 exec, exec, s[6:7]
	s_nop 0
	v_mfma_f32_16x16x4f32 a[0:3], v2, v4, a[0:3]
	s_movk_i32 s4, 0xff
	v_and_b32_sdwa v3, v9, s4 dst_sel:DWORD dst_unused:UNUSED_PAD src0_sel:WORD_1 src1_sel:DWORD
	s_movk_i32 s4, 0x7f
	v_cmp_lt_i16_e32 vcc, s4, v3
	s_mov_b64 s[4:5], 0
                                        ; implicit-def: $sgpr10
	s_and_saveexec_b64 s[6:7], vcc
	s_xor_b64 s[6:7], exec, s[6:7]
	s_cbranch_execnz .LBB11_2673
; %bb.625:
	s_or_saveexec_b64 s[6:7], s[6:7]
	v_mov_b32_e32 v2, s10
	s_xor_b64 exec, exec, s[6:7]
	s_cbranch_execnz .LBB11_2676
.LBB11_626:
	s_or_b64 exec, exec, s[6:7]
	s_and_saveexec_b64 s[6:7], s[4:5]
	s_cbranch_execz .LBB11_628
.LBB11_627:
	v_bfe_u32 v2, v9, 16, 3
	v_ffbh_u32_e32 v6, v2
	v_min_u32_e32 v6, 32, v6
	v_lshrrev_b32_e32 v3, 19, v9
	v_subrev_u32_e32 v7, 28, v6
	v_and_b32_e32 v3, 15, v3
	v_lshlrev_b32_sdwa v7, v7, v9 dst_sel:DWORD dst_unused:UNUSED_PAD src0_sel:DWORD src1_sel:WORD_1
	v_bfe_u32 v4, v9, 19, 4
	v_sub_u32_e32 v6, 29, v6
	v_and_b32_e32 v7, 7, v7
	v_cmp_eq_u16_e32 vcc, 0, v3
	v_cndmask_b32_e32 v2, v2, v7, vcc
	v_cndmask_b32_e32 v3, v4, v6, vcc
	v_lshlrev_b32_e32 v4, 8, v9
	v_mov_b32_e32 v6, 0x3b800000
	v_lshlrev_b32_e32 v2, 20, v2
	v_and_b32_e32 v4, 0x80000000, v4
	v_lshl_add_u32 v3, v3, 23, v6
	v_or3_b32 v2, v4, v3, v2
.LBB11_628:
	s_or_b64 exec, exec, s[6:7]
	s_movk_i32 s4, 0xff
	v_and_b32_sdwa v3, v5, s4 dst_sel:DWORD dst_unused:UNUSED_PAD src0_sel:WORD_1 src1_sel:DWORD
	s_movk_i32 s4, 0x7f
	v_cmp_lt_i16_e32 vcc, s4, v3
	s_mov_b64 s[4:5], 0
                                        ; implicit-def: $sgpr10
	s_and_saveexec_b64 s[6:7], vcc
	s_xor_b64 s[6:7], exec, s[6:7]
	s_cbranch_execnz .LBB11_2677
; %bb.629:
	s_or_saveexec_b64 s[6:7], s[6:7]
	v_mov_b32_e32 v4, s10
	s_xor_b64 exec, exec, s[6:7]
	s_cbranch_execnz .LBB11_2680
.LBB11_630:
	s_or_b64 exec, exec, s[6:7]
	s_and_saveexec_b64 s[6:7], s[4:5]
	s_cbranch_execz .LBB11_632
.LBB11_631:
	v_bfe_u32 v3, v5, 16, 3
	v_ffbh_u32_e32 v7, v3
	v_min_u32_e32 v7, 32, v7
	v_lshrrev_b32_e32 v4, 19, v5
	v_subrev_u32_e32 v8, 28, v7
	v_and_b32_e32 v4, 15, v4
	v_lshlrev_b32_sdwa v8, v8, v5 dst_sel:DWORD dst_unused:UNUSED_PAD src0_sel:DWORD src1_sel:WORD_1
	v_bfe_u32 v6, v5, 19, 4
	v_sub_u32_e32 v7, 29, v7
	v_and_b32_e32 v8, 7, v8
	v_cmp_eq_u16_e32 vcc, 0, v4
	v_cndmask_b32_e32 v3, v3, v8, vcc
	v_cndmask_b32_e32 v4, v6, v7, vcc
	v_lshlrev_b32_e32 v6, 8, v5
	v_mov_b32_e32 v7, 0x3b800000
	v_lshlrev_b32_e32 v3, 20, v3
	v_and_b32_e32 v6, 0x80000000, v6
	v_lshl_add_u32 v4, v4, 23, v7
	v_or3_b32 v4, v6, v4, v3
.LBB11_632:
	s_or_b64 exec, exec, s[6:7]
	s_nop 0
	v_mfma_f32_16x16x4f32 a[0:3], v2, v4, a[0:3]
	s_movk_i32 s4, 0x7f
	v_cmp_gt_i16_sdwa s[6:7], v9, s4 src0_sel:BYTE_3 src1_sel:DWORD
	s_mov_b64 s[4:5], 0
                                        ; implicit-def: $sgpr10
	s_and_saveexec_b64 s[8:9], s[6:7]
	s_xor_b64 s[6:7], exec, s[8:9]
	s_cbranch_execnz .LBB11_2681
; %bb.633:
	s_or_saveexec_b64 s[6:7], s[6:7]
	v_mov_b32_e32 v2, s10
	s_xor_b64 exec, exec, s[6:7]
	s_cbranch_execnz .LBB11_2684
.LBB11_634:
	s_or_b64 exec, exec, s[6:7]
	s_and_saveexec_b64 s[6:7], s[4:5]
	s_cbranch_execz .LBB11_636
.LBB11_635:
	v_bfe_u32 v2, v9, 24, 3
	v_ffbh_u32_e32 v7, v2
	v_min_u32_e32 v7, 32, v7
	v_lshrrev_b32_e32 v4, 27, v9
	v_subrev_u32_e32 v8, 28, v7
	v_and_b32_e32 v4, 15, v4
	v_lshlrev_b32_sdwa v8, v8, v9 dst_sel:DWORD dst_unused:UNUSED_PAD src0_sel:DWORD src1_sel:BYTE_3
	v_bfe_u32 v6, v9, 27, 4
	v_sub_u32_e32 v7, 29, v7
	v_and_b32_e32 v8, 7, v8
	v_cmp_eq_u16_e32 vcc, 0, v4
	v_cndmask_b32_e32 v2, v2, v8, vcc
	v_cndmask_b32_e32 v4, v6, v7, vcc
	v_mov_b32_e32 v6, 0x3b800000
	v_and_b32_e32 v3, 0x80000000, v9
	v_lshlrev_b32_e32 v2, 20, v2
	v_lshl_add_u32 v4, v4, 23, v6
	v_or3_b32 v2, v3, v4, v2
.LBB11_636:
	s_or_b64 exec, exec, s[6:7]
	s_movk_i32 s4, 0x7f
	v_cmp_gt_i16_sdwa s[6:7], v5, s4 src0_sel:BYTE_3 src1_sel:DWORD
	s_mov_b64 s[4:5], 0
                                        ; implicit-def: $sgpr10
	s_and_saveexec_b64 s[8:9], s[6:7]
	s_xor_b64 s[6:7], exec, s[8:9]
	s_cbranch_execnz .LBB11_2685
; %bb.637:
	s_or_saveexec_b64 s[6:7], s[6:7]
	v_mov_b32_e32 v3, s10
	s_xor_b64 exec, exec, s[6:7]
	s_cbranch_execnz .LBB11_2688
.LBB11_638:
	s_or_b64 exec, exec, s[6:7]
	s_and_saveexec_b64 s[6:7], s[4:5]
	s_cbranch_execz .LBB11_640
.LBB11_639:
	v_bfe_u32 v3, v5, 24, 3
	v_ffbh_u32_e32 v8, v3
	v_min_u32_e32 v8, 32, v8
	v_lshrrev_b32_e32 v6, 27, v5
	v_subrev_u32_e32 v9, 28, v8
	v_and_b32_e32 v4, 0x80000000, v5
	v_and_b32_e32 v6, 15, v6
	v_bfe_u32 v7, v5, 27, 4
	v_lshlrev_b32_sdwa v5, v9, v5 dst_sel:DWORD dst_unused:UNUSED_PAD src0_sel:DWORD src1_sel:BYTE_3
	v_sub_u32_e32 v8, 29, v8
	v_and_b32_e32 v5, 7, v5
	v_cmp_eq_u16_e32 vcc, 0, v6
	v_cndmask_b32_e32 v3, v3, v5, vcc
	v_cndmask_b32_e32 v5, v7, v8, vcc
	v_mov_b32_e32 v6, 0x3b800000
	v_lshlrev_b32_e32 v3, 20, v3
	v_lshl_add_u32 v5, v5, 23, v6
	v_or3_b32 v3, v4, v5, v3
.LBB11_640:
	s_or_b64 exec, exec, s[6:7]
	s_nop 0
	v_mfma_f32_16x16x4f32 a[0:3], v2, v3, a[0:3]
	s_movk_i32 s4, 0x7f
                                        ; implicit-def: $sgpr10
	s_nop 7
	s_nop 1
	flat_store_dwordx4 v[10:11], a[0:3] offset:64
	flat_load_dwordx4 v[12:15], v[0:1] offset:8
	s_nop 0
	flat_load_dwordx2 v[10:11], v[0:1] offset:32
	s_waitcnt vmcnt(0) lgkmcnt(0)
	flat_load_dwordx4 v[6:9], v[12:13] offset:48
	flat_load_dwordx4 v[2:5], v[14:15] offset:48
	s_waitcnt vmcnt(0) lgkmcnt(0)
	v_cmp_gt_i16_sdwa s[6:7], v6, s4 src0_sel:BYTE_0 src1_sel:DWORD
	s_mov_b64 s[4:5], 0
	s_and_saveexec_b64 s[8:9], s[6:7]
	s_xor_b64 s[6:7], exec, s[8:9]
	s_cbranch_execnz .LBB11_2689
; %bb.641:
	s_or_saveexec_b64 s[6:7], s[6:7]
	v_mov_b32_e32 v12, s10
	s_xor_b64 exec, exec, s[6:7]
	s_cbranch_execnz .LBB11_2692
.LBB11_642:
	s_or_b64 exec, exec, s[6:7]
	s_and_saveexec_b64 s[6:7], s[4:5]
	s_cbranch_execz .LBB11_644
.LBB11_643:
	v_and_b32_e32 v12, 7, v6
	v_ffbh_u32_e32 v14, v12
	v_min_u32_e32 v14, 32, v14
	v_lshrrev_b16_e32 v13, 3, v6
	v_subrev_u32_e32 v15, 28, v14
	v_and_b32_e32 v13, 15, v13
	v_lshlrev_b32_e32 v15, v15, v6
	v_sub_u32_e32 v14, 29, v14
	v_and_b32_e32 v15, 7, v15
	v_cmp_eq_u16_e32 vcc, 0, v13
	v_cndmask_b32_e32 v12, v12, v15, vcc
	v_cndmask_b32_e32 v13, v13, v14, vcc
	v_lshlrev_b32_e32 v14, 24, v6
	v_mov_b32_e32 v15, 0x3b800000
	v_lshlrev_b32_e32 v12, 20, v12
	v_and_b32_e32 v14, 0x80000000, v14
	v_lshl_add_u32 v13, v13, 23, v15
	v_or3_b32 v12, v14, v13, v12
.LBB11_644:
	s_or_b64 exec, exec, s[6:7]
	s_movk_i32 s4, 0x7f
	v_cmp_gt_i16_sdwa s[6:7], v2, s4 src0_sel:BYTE_0 src1_sel:DWORD
	s_mov_b64 s[4:5], 0
                                        ; implicit-def: $sgpr10
	s_and_saveexec_b64 s[8:9], s[6:7]
	s_xor_b64 s[6:7], exec, s[8:9]
	s_cbranch_execnz .LBB11_2693
; %bb.645:
	s_or_saveexec_b64 s[6:7], s[6:7]
	v_mov_b32_e32 v13, s10
	s_xor_b64 exec, exec, s[6:7]
	s_cbranch_execnz .LBB11_2696
.LBB11_646:
	s_or_b64 exec, exec, s[6:7]
	s_and_saveexec_b64 s[6:7], s[4:5]
	s_cbranch_execz .LBB11_648
.LBB11_647:
	v_and_b32_e32 v13, 7, v2
	v_ffbh_u32_e32 v15, v13
	v_min_u32_e32 v15, 32, v15
	v_lshrrev_b16_e32 v14, 3, v2
	v_subrev_u32_e32 v16, 28, v15
	v_and_b32_e32 v14, 15, v14
	v_lshlrev_b32_e32 v16, v16, v2
	v_sub_u32_e32 v15, 29, v15
	v_and_b32_e32 v16, 7, v16
	v_cmp_eq_u16_e32 vcc, 0, v14
	v_cndmask_b32_e32 v13, v13, v16, vcc
	v_cndmask_b32_e32 v14, v14, v15, vcc
	v_lshlrev_b32_e32 v15, 24, v2
	v_mov_b32_e32 v16, 0x3b800000
	v_lshlrev_b32_e32 v13, 20, v13
	v_and_b32_e32 v15, 0x80000000, v15
	v_lshl_add_u32 v14, v14, 23, v16
	v_or3_b32 v13, v15, v14, v13
.LBB11_648:
	s_or_b64 exec, exec, s[6:7]
	flat_load_dwordx4 a[0:3], v[10:11] offset:80
	s_movk_i32 s4, 0x7f
                                        ; implicit-def: $sgpr10
	s_waitcnt vmcnt(0) lgkmcnt(0)
	v_mfma_f32_16x16x4f32 a[0:3], v12, v13, a[0:3]
	v_lshrrev_b32_e32 v13, 8, v6
	v_cmp_gt_i16_sdwa s[6:7], v13, s4 src0_sel:BYTE_0 src1_sel:DWORD
	s_mov_b64 s[4:5], 0
	s_and_saveexec_b64 s[8:9], s[6:7]
	s_xor_b64 s[6:7], exec, s[8:9]
	s_cbranch_execnz .LBB11_2697
; %bb.649:
	s_or_saveexec_b64 s[6:7], s[6:7]
	v_mov_b32_e32 v12, s10
	s_xor_b64 exec, exec, s[6:7]
	s_cbranch_execnz .LBB11_2700
.LBB11_650:
	s_or_b64 exec, exec, s[6:7]
	s_and_saveexec_b64 s[6:7], s[4:5]
	s_cbranch_execz .LBB11_652
.LBB11_651:
	v_bfe_u32 v12, v6, 8, 3
	v_ffbh_u32_e32 v15, v12
	v_min_u32_e32 v15, 32, v15
	v_lshrrev_b16_e32 v14, 3, v13
	v_subrev_u32_e32 v16, 28, v15
	v_and_b32_e32 v14, 15, v14
	v_lshlrev_b32_e32 v13, v16, v13
	v_sub_u32_e32 v15, 29, v15
	v_and_b32_e32 v13, 7, v13
	v_cmp_eq_u16_e32 vcc, 0, v14
	v_cndmask_b32_e32 v12, v12, v13, vcc
	v_cndmask_b32_e32 v13, v14, v15, vcc
	v_lshlrev_b32_e32 v14, 16, v6
	v_mov_b32_e32 v15, 0x3b800000
	v_lshlrev_b32_e32 v12, 20, v12
	v_and_b32_e32 v14, 0x80000000, v14
	v_lshl_add_u32 v13, v13, 23, v15
	v_or3_b32 v12, v14, v13, v12
.LBB11_652:
	s_or_b64 exec, exec, s[6:7]
	v_lshrrev_b32_e32 v13, 8, v2
	s_movk_i32 s4, 0x7f
	v_cmp_gt_i16_sdwa s[6:7], v13, s4 src0_sel:BYTE_0 src1_sel:DWORD
	s_mov_b64 s[4:5], 0
                                        ; implicit-def: $sgpr10
	s_and_saveexec_b64 s[8:9], s[6:7]
	s_xor_b64 s[6:7], exec, s[8:9]
	s_cbranch_execnz .LBB11_2701
; %bb.653:
	s_or_saveexec_b64 s[6:7], s[6:7]
	v_mov_b32_e32 v14, s10
	s_xor_b64 exec, exec, s[6:7]
	s_cbranch_execnz .LBB11_2704
.LBB11_654:
	s_or_b64 exec, exec, s[6:7]
	s_and_saveexec_b64 s[6:7], s[4:5]
	s_cbranch_execz .LBB11_656
.LBB11_655:
	v_bfe_u32 v14, v2, 8, 3
	v_ffbh_u32_e32 v16, v14
	v_min_u32_e32 v16, 32, v16
	v_lshrrev_b16_e32 v15, 3, v13
	v_subrev_u32_e32 v17, 28, v16
	v_and_b32_e32 v15, 15, v15
	v_lshlrev_b32_e32 v13, v17, v13
	v_sub_u32_e32 v16, 29, v16
	v_and_b32_e32 v13, 7, v13
	v_cmp_eq_u16_e32 vcc, 0, v15
	v_cndmask_b32_e32 v13, v14, v13, vcc
	v_cndmask_b32_e32 v14, v15, v16, vcc
	v_lshlrev_b32_e32 v15, 16, v2
	v_mov_b32_e32 v16, 0x3b800000
	v_lshlrev_b32_e32 v13, 20, v13
	v_and_b32_e32 v15, 0x80000000, v15
	v_lshl_add_u32 v14, v14, 23, v16
	v_or3_b32 v14, v15, v14, v13
.LBB11_656:
	s_or_b64 exec, exec, s[6:7]
	s_nop 0
	v_mfma_f32_16x16x4f32 a[0:3], v12, v14, a[0:3]
	s_movk_i32 s4, 0xff
	v_and_b32_sdwa v13, v6, s4 dst_sel:DWORD dst_unused:UNUSED_PAD src0_sel:WORD_1 src1_sel:DWORD
	s_movk_i32 s4, 0x7f
	v_cmp_lt_i16_e32 vcc, s4, v13
	s_mov_b64 s[4:5], 0
                                        ; implicit-def: $sgpr10
	s_and_saveexec_b64 s[6:7], vcc
	s_xor_b64 s[6:7], exec, s[6:7]
	s_cbranch_execnz .LBB11_2705
; %bb.657:
	s_or_saveexec_b64 s[6:7], s[6:7]
	v_mov_b32_e32 v12, s10
	s_xor_b64 exec, exec, s[6:7]
	s_cbranch_execnz .LBB11_2708
.LBB11_658:
	s_or_b64 exec, exec, s[6:7]
	s_and_saveexec_b64 s[6:7], s[4:5]
	s_cbranch_execz .LBB11_660
.LBB11_659:
	v_bfe_u32 v12, v6, 16, 3
	v_ffbh_u32_e32 v15, v12
	v_min_u32_e32 v15, 32, v15
	v_lshrrev_b32_e32 v13, 19, v6
	v_subrev_u32_e32 v16, 28, v15
	v_and_b32_e32 v13, 15, v13
	v_lshlrev_b32_sdwa v16, v16, v6 dst_sel:DWORD dst_unused:UNUSED_PAD src0_sel:DWORD src1_sel:WORD_1
	v_bfe_u32 v14, v6, 19, 4
	v_sub_u32_e32 v15, 29, v15
	v_and_b32_e32 v16, 7, v16
	v_cmp_eq_u16_e32 vcc, 0, v13
	v_cndmask_b32_e32 v12, v12, v16, vcc
	v_cndmask_b32_e32 v13, v14, v15, vcc
	v_lshlrev_b32_e32 v14, 8, v6
	v_mov_b32_e32 v15, 0x3b800000
	v_lshlrev_b32_e32 v12, 20, v12
	v_and_b32_e32 v14, 0x80000000, v14
	v_lshl_add_u32 v13, v13, 23, v15
	v_or3_b32 v12, v14, v13, v12
.LBB11_660:
	s_or_b64 exec, exec, s[6:7]
	s_movk_i32 s4, 0xff
	v_and_b32_sdwa v13, v2, s4 dst_sel:DWORD dst_unused:UNUSED_PAD src0_sel:WORD_1 src1_sel:DWORD
	s_movk_i32 s4, 0x7f
	v_cmp_lt_i16_e32 vcc, s4, v13
	s_mov_b64 s[4:5], 0
                                        ; implicit-def: $sgpr10
	s_and_saveexec_b64 s[6:7], vcc
	s_xor_b64 s[6:7], exec, s[6:7]
	s_cbranch_execnz .LBB11_2709
; %bb.661:
	s_or_saveexec_b64 s[6:7], s[6:7]
	v_mov_b32_e32 v14, s10
	s_xor_b64 exec, exec, s[6:7]
	s_cbranch_execnz .LBB11_2712
.LBB11_662:
	s_or_b64 exec, exec, s[6:7]
	s_and_saveexec_b64 s[6:7], s[4:5]
	s_cbranch_execz .LBB11_664
.LBB11_663:
	v_bfe_u32 v13, v2, 16, 3
	v_ffbh_u32_e32 v16, v13
	v_min_u32_e32 v16, 32, v16
	v_lshrrev_b32_e32 v14, 19, v2
	v_subrev_u32_e32 v17, 28, v16
	v_and_b32_e32 v14, 15, v14
	v_lshlrev_b32_sdwa v17, v17, v2 dst_sel:DWORD dst_unused:UNUSED_PAD src0_sel:DWORD src1_sel:WORD_1
	v_bfe_u32 v15, v2, 19, 4
	v_sub_u32_e32 v16, 29, v16
	v_and_b32_e32 v17, 7, v17
	v_cmp_eq_u16_e32 vcc, 0, v14
	v_cndmask_b32_e32 v13, v13, v17, vcc
	v_cndmask_b32_e32 v14, v15, v16, vcc
	v_lshlrev_b32_e32 v15, 8, v2
	v_mov_b32_e32 v16, 0x3b800000
	v_lshlrev_b32_e32 v13, 20, v13
	v_and_b32_e32 v15, 0x80000000, v15
	v_lshl_add_u32 v14, v14, 23, v16
	v_or3_b32 v14, v15, v14, v13
.LBB11_664:
	s_or_b64 exec, exec, s[6:7]
	s_nop 0
	v_mfma_f32_16x16x4f32 a[0:3], v12, v14, a[0:3]
	s_movk_i32 s4, 0x7f
	v_cmp_gt_i16_sdwa s[6:7], v6, s4 src0_sel:BYTE_3 src1_sel:DWORD
	s_mov_b64 s[4:5], 0
                                        ; implicit-def: $sgpr10
	s_and_saveexec_b64 s[8:9], s[6:7]
	s_xor_b64 s[6:7], exec, s[8:9]
	s_cbranch_execnz .LBB11_2713
; %bb.665:
	s_or_saveexec_b64 s[6:7], s[6:7]
	v_mov_b32_e32 v12, s10
	s_xor_b64 exec, exec, s[6:7]
	s_cbranch_execnz .LBB11_2716
.LBB11_666:
	s_or_b64 exec, exec, s[6:7]
	s_and_saveexec_b64 s[6:7], s[4:5]
	s_cbranch_execz .LBB11_668
.LBB11_667:
	v_bfe_u32 v12, v6, 24, 3
	v_ffbh_u32_e32 v16, v12
	v_min_u32_e32 v16, 32, v16
	v_lshrrev_b32_e32 v14, 27, v6
	v_subrev_u32_e32 v17, 28, v16
	v_and_b32_e32 v13, 0x80000000, v6
	v_and_b32_e32 v14, 15, v14
	v_bfe_u32 v15, v6, 27, 4
	v_lshlrev_b32_sdwa v6, v17, v6 dst_sel:DWORD dst_unused:UNUSED_PAD src0_sel:DWORD src1_sel:BYTE_3
	v_sub_u32_e32 v16, 29, v16
	v_and_b32_e32 v6, 7, v6
	v_cmp_eq_u16_e32 vcc, 0, v14
	v_cndmask_b32_e32 v6, v12, v6, vcc
	v_cndmask_b32_e32 v12, v15, v16, vcc
	v_mov_b32_e32 v14, 0x3b800000
	v_lshlrev_b32_e32 v6, 20, v6
	v_lshl_add_u32 v12, v12, 23, v14
	v_or3_b32 v12, v13, v12, v6
.LBB11_668:
	s_or_b64 exec, exec, s[6:7]
	s_movk_i32 s4, 0x7f
	v_cmp_gt_i16_sdwa s[6:7], v2, s4 src0_sel:BYTE_3 src1_sel:DWORD
	s_mov_b64 s[4:5], 0
                                        ; implicit-def: $sgpr10
	s_and_saveexec_b64 s[8:9], s[6:7]
	s_xor_b64 s[6:7], exec, s[8:9]
	s_cbranch_execnz .LBB11_2717
; %bb.669:
	s_or_saveexec_b64 s[6:7], s[6:7]
	v_mov_b32_e32 v6, s10
	s_xor_b64 exec, exec, s[6:7]
	s_cbranch_execnz .LBB11_2720
.LBB11_670:
	s_or_b64 exec, exec, s[6:7]
	s_and_saveexec_b64 s[6:7], s[4:5]
	s_cbranch_execz .LBB11_672
.LBB11_671:
	v_bfe_u32 v6, v2, 24, 3
	v_ffbh_u32_e32 v16, v6
	v_min_u32_e32 v16, 32, v16
	v_lshrrev_b32_e32 v14, 27, v2
	v_subrev_u32_e32 v17, 28, v16
	v_and_b32_e32 v13, 0x80000000, v2
	v_and_b32_e32 v14, 15, v14
	v_bfe_u32 v15, v2, 27, 4
	v_lshlrev_b32_sdwa v2, v17, v2 dst_sel:DWORD dst_unused:UNUSED_PAD src0_sel:DWORD src1_sel:BYTE_3
	v_sub_u32_e32 v16, 29, v16
	v_and_b32_e32 v2, 7, v2
	v_cmp_eq_u16_e32 vcc, 0, v14
	v_cndmask_b32_e32 v2, v6, v2, vcc
	v_cndmask_b32_e32 v6, v15, v16, vcc
	v_mov_b32_e32 v14, 0x3b800000
	v_lshlrev_b32_e32 v2, 20, v2
	v_lshl_add_u32 v6, v6, 23, v14
	v_or3_b32 v6, v13, v6, v2
.LBB11_672:
	s_or_b64 exec, exec, s[6:7]
	s_nop 0
	v_mfma_f32_16x16x4f32 a[0:3], v12, v6, a[0:3]
	s_movk_i32 s4, 0x7f
	v_cmp_gt_i16_sdwa s[6:7], v7, s4 src0_sel:BYTE_0 src1_sel:DWORD
	s_mov_b64 s[4:5], 0
                                        ; implicit-def: $sgpr10
	s_and_saveexec_b64 s[8:9], s[6:7]
	s_xor_b64 s[6:7], exec, s[8:9]
	s_cbranch_execnz .LBB11_2721
; %bb.673:
	s_or_saveexec_b64 s[6:7], s[6:7]
	v_mov_b32_e32 v2, s10
	s_xor_b64 exec, exec, s[6:7]
	s_cbranch_execnz .LBB11_2724
.LBB11_674:
	s_or_b64 exec, exec, s[6:7]
	s_and_saveexec_b64 s[6:7], s[4:5]
	s_cbranch_execz .LBB11_676
.LBB11_675:
	v_and_b32_e32 v2, 7, v7
	v_ffbh_u32_e32 v12, v2
	v_min_u32_e32 v12, 32, v12
	v_lshrrev_b16_e32 v6, 3, v7
	v_subrev_u32_e32 v13, 28, v12
	v_and_b32_e32 v6, 15, v6
	v_lshlrev_b32_e32 v13, v13, v7
	v_sub_u32_e32 v12, 29, v12
	v_and_b32_e32 v13, 7, v13
	v_cmp_eq_u16_e32 vcc, 0, v6
	v_cndmask_b32_e32 v2, v2, v13, vcc
	v_cndmask_b32_e32 v6, v6, v12, vcc
	v_lshlrev_b32_e32 v12, 24, v7
	v_mov_b32_e32 v13, 0x3b800000
	v_lshlrev_b32_e32 v2, 20, v2
	v_and_b32_e32 v12, 0x80000000, v12
	v_lshl_add_u32 v6, v6, 23, v13
	v_or3_b32 v2, v12, v6, v2
.LBB11_676:
	s_or_b64 exec, exec, s[6:7]
	s_movk_i32 s4, 0x7f
	v_cmp_gt_i16_sdwa s[6:7], v3, s4 src0_sel:BYTE_0 src1_sel:DWORD
	s_mov_b64 s[4:5], 0
                                        ; implicit-def: $sgpr10
	s_and_saveexec_b64 s[8:9], s[6:7]
	s_xor_b64 s[6:7], exec, s[8:9]
	s_cbranch_execnz .LBB11_2725
; %bb.677:
	s_or_saveexec_b64 s[6:7], s[6:7]
	v_mov_b32_e32 v6, s10
	s_xor_b64 exec, exec, s[6:7]
	s_cbranch_execnz .LBB11_2728
.LBB11_678:
	s_or_b64 exec, exec, s[6:7]
	s_and_saveexec_b64 s[6:7], s[4:5]
	s_cbranch_execz .LBB11_680
.LBB11_679:
	v_and_b32_e32 v6, 7, v3
	v_ffbh_u32_e32 v13, v6
	v_min_u32_e32 v13, 32, v13
	v_lshrrev_b16_e32 v12, 3, v3
	v_subrev_u32_e32 v14, 28, v13
	v_and_b32_e32 v12, 15, v12
	v_lshlrev_b32_e32 v14, v14, v3
	v_sub_u32_e32 v13, 29, v13
	v_and_b32_e32 v14, 7, v14
	v_cmp_eq_u16_e32 vcc, 0, v12
	v_cndmask_b32_e32 v6, v6, v14, vcc
	v_cndmask_b32_e32 v12, v12, v13, vcc
	v_lshlrev_b32_e32 v13, 24, v3
	v_mov_b32_e32 v14, 0x3b800000
	v_lshlrev_b32_e32 v6, 20, v6
	v_and_b32_e32 v13, 0x80000000, v13
	v_lshl_add_u32 v12, v12, 23, v14
	v_or3_b32 v6, v13, v12, v6
.LBB11_680:
	s_or_b64 exec, exec, s[6:7]
	s_nop 0
	v_mfma_f32_16x16x4f32 a[0:3], v2, v6, a[0:3]
	v_lshrrev_b32_e32 v6, 8, v7
	s_movk_i32 s4, 0x7f
	v_cmp_gt_i16_sdwa s[6:7], v6, s4 src0_sel:BYTE_0 src1_sel:DWORD
	s_mov_b64 s[4:5], 0
                                        ; implicit-def: $sgpr10
	s_and_saveexec_b64 s[8:9], s[6:7]
	s_xor_b64 s[6:7], exec, s[8:9]
	s_cbranch_execnz .LBB11_2729
; %bb.681:
	s_or_saveexec_b64 s[6:7], s[6:7]
	v_mov_b32_e32 v2, s10
	s_xor_b64 exec, exec, s[6:7]
	s_cbranch_execnz .LBB11_2732
.LBB11_682:
	s_or_b64 exec, exec, s[6:7]
	s_and_saveexec_b64 s[6:7], s[4:5]
	s_cbranch_execz .LBB11_684
.LBB11_683:
	v_bfe_u32 v2, v7, 8, 3
	v_ffbh_u32_e32 v13, v2
	v_min_u32_e32 v13, 32, v13
	v_lshrrev_b16_e32 v12, 3, v6
	v_subrev_u32_e32 v14, 28, v13
	v_and_b32_e32 v12, 15, v12
	v_lshlrev_b32_e32 v6, v14, v6
	v_sub_u32_e32 v13, 29, v13
	v_and_b32_e32 v6, 7, v6
	v_cmp_eq_u16_e32 vcc, 0, v12
	v_cndmask_b32_e32 v2, v2, v6, vcc
	v_cndmask_b32_e32 v6, v12, v13, vcc
	v_lshlrev_b32_e32 v12, 16, v7
	v_mov_b32_e32 v13, 0x3b800000
	v_lshlrev_b32_e32 v2, 20, v2
	v_and_b32_e32 v12, 0x80000000, v12
	v_lshl_add_u32 v6, v6, 23, v13
	v_or3_b32 v2, v12, v6, v2
.LBB11_684:
	s_or_b64 exec, exec, s[6:7]
	v_lshrrev_b32_e32 v6, 8, v3
	s_movk_i32 s4, 0x7f
	v_cmp_gt_i16_sdwa s[6:7], v6, s4 src0_sel:BYTE_0 src1_sel:DWORD
	s_mov_b64 s[4:5], 0
                                        ; implicit-def: $sgpr10
	s_and_saveexec_b64 s[8:9], s[6:7]
	s_xor_b64 s[6:7], exec, s[8:9]
	s_cbranch_execnz .LBB11_2733
; %bb.685:
	s_or_saveexec_b64 s[6:7], s[6:7]
	v_mov_b32_e32 v12, s10
	s_xor_b64 exec, exec, s[6:7]
	s_cbranch_execnz .LBB11_2736
.LBB11_686:
	s_or_b64 exec, exec, s[6:7]
	s_and_saveexec_b64 s[6:7], s[4:5]
	s_cbranch_execz .LBB11_688
.LBB11_687:
	v_bfe_u32 v12, v3, 8, 3
	v_ffbh_u32_e32 v14, v12
	v_min_u32_e32 v14, 32, v14
	v_lshrrev_b16_e32 v13, 3, v6
	v_subrev_u32_e32 v15, 28, v14
	v_and_b32_e32 v13, 15, v13
	v_lshlrev_b32_e32 v6, v15, v6
	v_sub_u32_e32 v14, 29, v14
	v_and_b32_e32 v6, 7, v6
	v_cmp_eq_u16_e32 vcc, 0, v13
	v_cndmask_b32_e32 v6, v12, v6, vcc
	v_cndmask_b32_e32 v12, v13, v14, vcc
	v_lshlrev_b32_e32 v13, 16, v3
	v_mov_b32_e32 v14, 0x3b800000
	v_lshlrev_b32_e32 v6, 20, v6
	v_and_b32_e32 v13, 0x80000000, v13
	v_lshl_add_u32 v12, v12, 23, v14
	v_or3_b32 v12, v13, v12, v6
.LBB11_688:
	s_or_b64 exec, exec, s[6:7]
	s_nop 0
	v_mfma_f32_16x16x4f32 a[0:3], v2, v12, a[0:3]
	s_movk_i32 s4, 0xff
	v_and_b32_sdwa v6, v7, s4 dst_sel:DWORD dst_unused:UNUSED_PAD src0_sel:WORD_1 src1_sel:DWORD
	s_movk_i32 s4, 0x7f
	v_cmp_lt_i16_e32 vcc, s4, v6
	s_mov_b64 s[4:5], 0
                                        ; implicit-def: $sgpr10
	s_and_saveexec_b64 s[6:7], vcc
	s_xor_b64 s[6:7], exec, s[6:7]
	s_cbranch_execnz .LBB11_2737
; %bb.689:
	s_or_saveexec_b64 s[6:7], s[6:7]
	v_mov_b32_e32 v2, s10
	s_xor_b64 exec, exec, s[6:7]
	s_cbranch_execnz .LBB11_2740
.LBB11_690:
	s_or_b64 exec, exec, s[6:7]
	s_and_saveexec_b64 s[6:7], s[4:5]
	s_cbranch_execz .LBB11_692
.LBB11_691:
	v_bfe_u32 v2, v7, 16, 3
	v_ffbh_u32_e32 v13, v2
	v_min_u32_e32 v13, 32, v13
	v_lshrrev_b32_e32 v6, 19, v7
	v_subrev_u32_e32 v14, 28, v13
	v_and_b32_e32 v6, 15, v6
	v_lshlrev_b32_sdwa v14, v14, v7 dst_sel:DWORD dst_unused:UNUSED_PAD src0_sel:DWORD src1_sel:WORD_1
	v_bfe_u32 v12, v7, 19, 4
	v_sub_u32_e32 v13, 29, v13
	v_and_b32_e32 v14, 7, v14
	v_cmp_eq_u16_e32 vcc, 0, v6
	v_cndmask_b32_e32 v2, v2, v14, vcc
	v_cndmask_b32_e32 v6, v12, v13, vcc
	v_lshlrev_b32_e32 v12, 8, v7
	v_mov_b32_e32 v13, 0x3b800000
	v_lshlrev_b32_e32 v2, 20, v2
	v_and_b32_e32 v12, 0x80000000, v12
	v_lshl_add_u32 v6, v6, 23, v13
	v_or3_b32 v2, v12, v6, v2
.LBB11_692:
	s_or_b64 exec, exec, s[6:7]
	s_movk_i32 s4, 0xff
	v_and_b32_sdwa v6, v3, s4 dst_sel:DWORD dst_unused:UNUSED_PAD src0_sel:WORD_1 src1_sel:DWORD
	s_movk_i32 s4, 0x7f
	v_cmp_lt_i16_e32 vcc, s4, v6
	s_mov_b64 s[4:5], 0
                                        ; implicit-def: $sgpr10
	s_and_saveexec_b64 s[6:7], vcc
	s_xor_b64 s[6:7], exec, s[6:7]
	s_cbranch_execnz .LBB11_2741
; %bb.693:
	s_or_saveexec_b64 s[6:7], s[6:7]
	v_mov_b32_e32 v12, s10
	s_xor_b64 exec, exec, s[6:7]
	s_cbranch_execnz .LBB11_2744
.LBB11_694:
	s_or_b64 exec, exec, s[6:7]
	s_and_saveexec_b64 s[6:7], s[4:5]
	s_cbranch_execz .LBB11_696
.LBB11_695:
	v_bfe_u32 v6, v3, 16, 3
	v_ffbh_u32_e32 v14, v6
	v_min_u32_e32 v14, 32, v14
	v_lshrrev_b32_e32 v12, 19, v3
	v_subrev_u32_e32 v15, 28, v14
	v_and_b32_e32 v12, 15, v12
	v_lshlrev_b32_sdwa v15, v15, v3 dst_sel:DWORD dst_unused:UNUSED_PAD src0_sel:DWORD src1_sel:WORD_1
	v_bfe_u32 v13, v3, 19, 4
	v_sub_u32_e32 v14, 29, v14
	v_and_b32_e32 v15, 7, v15
	v_cmp_eq_u16_e32 vcc, 0, v12
	v_cndmask_b32_e32 v6, v6, v15, vcc
	v_cndmask_b32_e32 v12, v13, v14, vcc
	v_lshlrev_b32_e32 v13, 8, v3
	v_mov_b32_e32 v14, 0x3b800000
	v_lshlrev_b32_e32 v6, 20, v6
	v_and_b32_e32 v13, 0x80000000, v13
	v_lshl_add_u32 v12, v12, 23, v14
	v_or3_b32 v12, v13, v12, v6
.LBB11_696:
	s_or_b64 exec, exec, s[6:7]
	s_nop 0
	v_mfma_f32_16x16x4f32 a[0:3], v2, v12, a[0:3]
	s_movk_i32 s4, 0x7f
	v_cmp_gt_i16_sdwa s[6:7], v7, s4 src0_sel:BYTE_3 src1_sel:DWORD
	s_mov_b64 s[4:5], 0
                                        ; implicit-def: $sgpr10
	s_and_saveexec_b64 s[8:9], s[6:7]
	s_xor_b64 s[6:7], exec, s[8:9]
	s_cbranch_execnz .LBB11_2745
; %bb.697:
	s_or_saveexec_b64 s[6:7], s[6:7]
	v_mov_b32_e32 v2, s10
	s_xor_b64 exec, exec, s[6:7]
	s_cbranch_execnz .LBB11_2748
.LBB11_698:
	s_or_b64 exec, exec, s[6:7]
	s_and_saveexec_b64 s[6:7], s[4:5]
	s_cbranch_execz .LBB11_700
.LBB11_699:
	v_bfe_u32 v2, v7, 24, 3
	v_ffbh_u32_e32 v14, v2
	v_min_u32_e32 v14, 32, v14
	v_lshrrev_b32_e32 v12, 27, v7
	v_subrev_u32_e32 v15, 28, v14
	v_and_b32_e32 v6, 0x80000000, v7
	v_and_b32_e32 v12, 15, v12
	v_bfe_u32 v13, v7, 27, 4
	v_lshlrev_b32_sdwa v7, v15, v7 dst_sel:DWORD dst_unused:UNUSED_PAD src0_sel:DWORD src1_sel:BYTE_3
	v_sub_u32_e32 v14, 29, v14
	v_and_b32_e32 v7, 7, v7
	v_cmp_eq_u16_e32 vcc, 0, v12
	v_cndmask_b32_e32 v2, v2, v7, vcc
	v_cndmask_b32_e32 v7, v13, v14, vcc
	v_mov_b32_e32 v12, 0x3b800000
	v_lshlrev_b32_e32 v2, 20, v2
	v_lshl_add_u32 v7, v7, 23, v12
	v_or3_b32 v2, v6, v7, v2
.LBB11_700:
	s_or_b64 exec, exec, s[6:7]
	s_movk_i32 s4, 0x7f
	v_cmp_gt_i16_sdwa s[6:7], v3, s4 src0_sel:BYTE_3 src1_sel:DWORD
	s_mov_b64 s[4:5], 0
                                        ; implicit-def: $sgpr10
	s_and_saveexec_b64 s[8:9], s[6:7]
	s_xor_b64 s[6:7], exec, s[8:9]
	s_cbranch_execnz .LBB11_2749
; %bb.701:
	s_or_saveexec_b64 s[6:7], s[6:7]
	v_mov_b32_e32 v6, s10
	s_xor_b64 exec, exec, s[6:7]
	s_cbranch_execnz .LBB11_2752
.LBB11_702:
	s_or_b64 exec, exec, s[6:7]
	s_and_saveexec_b64 s[6:7], s[4:5]
	s_cbranch_execz .LBB11_704
.LBB11_703:
	v_bfe_u32 v6, v3, 24, 3
	v_ffbh_u32_e32 v14, v6
	v_min_u32_e32 v14, 32, v14
	v_lshrrev_b32_e32 v12, 27, v3
	v_subrev_u32_e32 v15, 28, v14
	v_and_b32_e32 v7, 0x80000000, v3
	v_and_b32_e32 v12, 15, v12
	v_bfe_u32 v13, v3, 27, 4
	v_lshlrev_b32_sdwa v3, v15, v3 dst_sel:DWORD dst_unused:UNUSED_PAD src0_sel:DWORD src1_sel:BYTE_3
	v_sub_u32_e32 v14, 29, v14
	v_and_b32_e32 v3, 7, v3
	v_cmp_eq_u16_e32 vcc, 0, v12
	v_cndmask_b32_e32 v3, v6, v3, vcc
	v_cndmask_b32_e32 v6, v13, v14, vcc
	v_mov_b32_e32 v12, 0x3b800000
	v_lshlrev_b32_e32 v3, 20, v3
	v_lshl_add_u32 v6, v6, 23, v12
	v_or3_b32 v6, v7, v6, v3
.LBB11_704:
	s_or_b64 exec, exec, s[6:7]
	s_nop 0
	v_mfma_f32_16x16x4f32 a[0:3], v2, v6, a[0:3]
	s_movk_i32 s4, 0x7f
	v_cmp_gt_i16_sdwa s[6:7], v8, s4 src0_sel:BYTE_0 src1_sel:DWORD
	s_mov_b64 s[4:5], 0
                                        ; implicit-def: $sgpr10
	s_and_saveexec_b64 s[8:9], s[6:7]
	s_xor_b64 s[6:7], exec, s[8:9]
	s_cbranch_execnz .LBB11_2753
; %bb.705:
	s_or_saveexec_b64 s[6:7], s[6:7]
	v_mov_b32_e32 v2, s10
	s_xor_b64 exec, exec, s[6:7]
	s_cbranch_execnz .LBB11_2756
.LBB11_706:
	s_or_b64 exec, exec, s[6:7]
	s_and_saveexec_b64 s[6:7], s[4:5]
	s_cbranch_execz .LBB11_708
.LBB11_707:
	v_and_b32_e32 v2, 7, v8
	v_ffbh_u32_e32 v6, v2
	v_min_u32_e32 v6, 32, v6
	v_lshrrev_b16_e32 v3, 3, v8
	v_subrev_u32_e32 v7, 28, v6
	v_and_b32_e32 v3, 15, v3
	v_lshlrev_b32_e32 v7, v7, v8
	v_sub_u32_e32 v6, 29, v6
	v_and_b32_e32 v7, 7, v7
	v_cmp_eq_u16_e32 vcc, 0, v3
	v_cndmask_b32_e32 v2, v2, v7, vcc
	v_cndmask_b32_e32 v3, v3, v6, vcc
	v_lshlrev_b32_e32 v6, 24, v8
	v_mov_b32_e32 v7, 0x3b800000
	v_lshlrev_b32_e32 v2, 20, v2
	v_and_b32_e32 v6, 0x80000000, v6
	v_lshl_add_u32 v3, v3, 23, v7
	v_or3_b32 v2, v6, v3, v2
.LBB11_708:
	s_or_b64 exec, exec, s[6:7]
	s_movk_i32 s4, 0x7f
	v_cmp_gt_i16_sdwa s[6:7], v4, s4 src0_sel:BYTE_0 src1_sel:DWORD
	s_mov_b64 s[4:5], 0
                                        ; implicit-def: $sgpr10
	s_and_saveexec_b64 s[8:9], s[6:7]
	s_xor_b64 s[6:7], exec, s[8:9]
	s_cbranch_execnz .LBB11_2757
; %bb.709:
	s_or_saveexec_b64 s[6:7], s[6:7]
	v_mov_b32_e32 v3, s10
	s_xor_b64 exec, exec, s[6:7]
	s_cbranch_execnz .LBB11_2760
.LBB11_710:
	s_or_b64 exec, exec, s[6:7]
	s_and_saveexec_b64 s[6:7], s[4:5]
	s_cbranch_execz .LBB11_712
.LBB11_711:
	v_and_b32_e32 v3, 7, v4
	v_ffbh_u32_e32 v7, v3
	v_min_u32_e32 v7, 32, v7
	v_lshrrev_b16_e32 v6, 3, v4
	v_subrev_u32_e32 v12, 28, v7
	v_and_b32_e32 v6, 15, v6
	v_lshlrev_b32_e32 v12, v12, v4
	v_sub_u32_e32 v7, 29, v7
	v_and_b32_e32 v12, 7, v12
	v_cmp_eq_u16_e32 vcc, 0, v6
	v_cndmask_b32_e32 v3, v3, v12, vcc
	v_cndmask_b32_e32 v6, v6, v7, vcc
	v_lshlrev_b32_e32 v7, 24, v4
	v_mov_b32_e32 v12, 0x3b800000
	v_lshlrev_b32_e32 v3, 20, v3
	v_and_b32_e32 v7, 0x80000000, v7
	v_lshl_add_u32 v6, v6, 23, v12
	v_or3_b32 v3, v7, v6, v3
.LBB11_712:
	s_or_b64 exec, exec, s[6:7]
	s_nop 0
	v_mfma_f32_16x16x4f32 a[0:3], v2, v3, a[0:3]
	v_lshrrev_b32_e32 v3, 8, v8
	s_movk_i32 s4, 0x7f
	v_cmp_gt_i16_sdwa s[6:7], v3, s4 src0_sel:BYTE_0 src1_sel:DWORD
	s_mov_b64 s[4:5], 0
                                        ; implicit-def: $sgpr10
	s_and_saveexec_b64 s[8:9], s[6:7]
	s_xor_b64 s[6:7], exec, s[8:9]
	s_cbranch_execnz .LBB11_2761
; %bb.713:
	s_or_saveexec_b64 s[6:7], s[6:7]
	v_mov_b32_e32 v2, s10
	s_xor_b64 exec, exec, s[6:7]
	s_cbranch_execnz .LBB11_2764
.LBB11_714:
	s_or_b64 exec, exec, s[6:7]
	s_and_saveexec_b64 s[6:7], s[4:5]
	s_cbranch_execz .LBB11_716
.LBB11_715:
	v_bfe_u32 v2, v8, 8, 3
	v_ffbh_u32_e32 v7, v2
	v_min_u32_e32 v7, 32, v7
	v_lshrrev_b16_e32 v6, 3, v3
	v_subrev_u32_e32 v12, 28, v7
	v_and_b32_e32 v6, 15, v6
	v_lshlrev_b32_e32 v3, v12, v3
	v_sub_u32_e32 v7, 29, v7
	v_and_b32_e32 v3, 7, v3
	v_cmp_eq_u16_e32 vcc, 0, v6
	v_cndmask_b32_e32 v2, v2, v3, vcc
	v_cndmask_b32_e32 v3, v6, v7, vcc
	v_lshlrev_b32_e32 v6, 16, v8
	v_mov_b32_e32 v7, 0x3b800000
	v_lshlrev_b32_e32 v2, 20, v2
	v_and_b32_e32 v6, 0x80000000, v6
	v_lshl_add_u32 v3, v3, 23, v7
	v_or3_b32 v2, v6, v3, v2
.LBB11_716:
	s_or_b64 exec, exec, s[6:7]
	v_lshrrev_b32_e32 v3, 8, v4
	s_movk_i32 s4, 0x7f
	v_cmp_gt_i16_sdwa s[6:7], v3, s4 src0_sel:BYTE_0 src1_sel:DWORD
	s_mov_b64 s[4:5], 0
                                        ; implicit-def: $sgpr10
	s_and_saveexec_b64 s[8:9], s[6:7]
	s_xor_b64 s[6:7], exec, s[8:9]
	s_cbranch_execnz .LBB11_2765
; %bb.717:
	s_or_saveexec_b64 s[6:7], s[6:7]
	v_mov_b32_e32 v6, s10
	s_xor_b64 exec, exec, s[6:7]
	s_cbranch_execnz .LBB11_2768
.LBB11_718:
	s_or_b64 exec, exec, s[6:7]
	s_and_saveexec_b64 s[6:7], s[4:5]
	s_cbranch_execz .LBB11_720
.LBB11_719:
	v_bfe_u32 v6, v4, 8, 3
	v_ffbh_u32_e32 v12, v6
	v_min_u32_e32 v12, 32, v12
	v_lshrrev_b16_e32 v7, 3, v3
	v_subrev_u32_e32 v13, 28, v12
	v_and_b32_e32 v7, 15, v7
	v_lshlrev_b32_e32 v3, v13, v3
	v_sub_u32_e32 v12, 29, v12
	v_and_b32_e32 v3, 7, v3
	v_cmp_eq_u16_e32 vcc, 0, v7
	v_cndmask_b32_e32 v3, v6, v3, vcc
	v_cndmask_b32_e32 v6, v7, v12, vcc
	v_lshlrev_b32_e32 v7, 16, v4
	v_mov_b32_e32 v12, 0x3b800000
	v_lshlrev_b32_e32 v3, 20, v3
	v_and_b32_e32 v7, 0x80000000, v7
	v_lshl_add_u32 v6, v6, 23, v12
	v_or3_b32 v6, v7, v6, v3
.LBB11_720:
	s_or_b64 exec, exec, s[6:7]
	s_nop 0
	v_mfma_f32_16x16x4f32 a[0:3], v2, v6, a[0:3]
	s_movk_i32 s4, 0xff
	v_and_b32_sdwa v3, v8, s4 dst_sel:DWORD dst_unused:UNUSED_PAD src0_sel:WORD_1 src1_sel:DWORD
	s_movk_i32 s4, 0x7f
	v_cmp_lt_i16_e32 vcc, s4, v3
	s_mov_b64 s[4:5], 0
                                        ; implicit-def: $sgpr10
	s_and_saveexec_b64 s[6:7], vcc
	s_xor_b64 s[6:7], exec, s[6:7]
	s_cbranch_execnz .LBB11_2769
; %bb.721:
	s_or_saveexec_b64 s[6:7], s[6:7]
	v_mov_b32_e32 v2, s10
	s_xor_b64 exec, exec, s[6:7]
	s_cbranch_execnz .LBB11_2772
.LBB11_722:
	s_or_b64 exec, exec, s[6:7]
	s_and_saveexec_b64 s[6:7], s[4:5]
	s_cbranch_execz .LBB11_724
.LBB11_723:
	v_bfe_u32 v2, v8, 16, 3
	v_ffbh_u32_e32 v7, v2
	v_min_u32_e32 v7, 32, v7
	v_lshrrev_b32_e32 v3, 19, v8
	v_subrev_u32_e32 v12, 28, v7
	v_and_b32_e32 v3, 15, v3
	v_lshlrev_b32_sdwa v12, v12, v8 dst_sel:DWORD dst_unused:UNUSED_PAD src0_sel:DWORD src1_sel:WORD_1
	v_bfe_u32 v6, v8, 19, 4
	v_sub_u32_e32 v7, 29, v7
	v_and_b32_e32 v12, 7, v12
	v_cmp_eq_u16_e32 vcc, 0, v3
	v_cndmask_b32_e32 v2, v2, v12, vcc
	v_cndmask_b32_e32 v3, v6, v7, vcc
	v_lshlrev_b32_e32 v6, 8, v8
	v_mov_b32_e32 v7, 0x3b800000
	v_lshlrev_b32_e32 v2, 20, v2
	v_and_b32_e32 v6, 0x80000000, v6
	v_lshl_add_u32 v3, v3, 23, v7
	v_or3_b32 v2, v6, v3, v2
.LBB11_724:
	s_or_b64 exec, exec, s[6:7]
	s_movk_i32 s4, 0xff
	v_and_b32_sdwa v3, v4, s4 dst_sel:DWORD dst_unused:UNUSED_PAD src0_sel:WORD_1 src1_sel:DWORD
	s_movk_i32 s4, 0x7f
	v_cmp_lt_i16_e32 vcc, s4, v3
	s_mov_b64 s[4:5], 0
                                        ; implicit-def: $sgpr10
	s_and_saveexec_b64 s[6:7], vcc
	s_xor_b64 s[6:7], exec, s[6:7]
	s_cbranch_execnz .LBB11_2773
; %bb.725:
	s_or_saveexec_b64 s[6:7], s[6:7]
	v_mov_b32_e32 v6, s10
	s_xor_b64 exec, exec, s[6:7]
	s_cbranch_execnz .LBB11_2776
.LBB11_726:
	s_or_b64 exec, exec, s[6:7]
	s_and_saveexec_b64 s[6:7], s[4:5]
	s_cbranch_execz .LBB11_728
.LBB11_727:
	v_bfe_u32 v3, v4, 16, 3
	v_ffbh_u32_e32 v12, v3
	v_min_u32_e32 v12, 32, v12
	v_lshrrev_b32_e32 v6, 19, v4
	v_subrev_u32_e32 v13, 28, v12
	v_and_b32_e32 v6, 15, v6
	v_lshlrev_b32_sdwa v13, v13, v4 dst_sel:DWORD dst_unused:UNUSED_PAD src0_sel:DWORD src1_sel:WORD_1
	v_bfe_u32 v7, v4, 19, 4
	v_sub_u32_e32 v12, 29, v12
	v_and_b32_e32 v13, 7, v13
	v_cmp_eq_u16_e32 vcc, 0, v6
	v_cndmask_b32_e32 v3, v3, v13, vcc
	v_cndmask_b32_e32 v6, v7, v12, vcc
	v_lshlrev_b32_e32 v7, 8, v4
	v_mov_b32_e32 v12, 0x3b800000
	v_lshlrev_b32_e32 v3, 20, v3
	v_and_b32_e32 v7, 0x80000000, v7
	v_lshl_add_u32 v6, v6, 23, v12
	v_or3_b32 v6, v7, v6, v3
.LBB11_728:
	s_or_b64 exec, exec, s[6:7]
	s_nop 0
	v_mfma_f32_16x16x4f32 a[0:3], v2, v6, a[0:3]
	s_movk_i32 s4, 0x7f
	v_cmp_gt_i16_sdwa s[6:7], v8, s4 src0_sel:BYTE_3 src1_sel:DWORD
	s_mov_b64 s[4:5], 0
                                        ; implicit-def: $sgpr10
	s_and_saveexec_b64 s[8:9], s[6:7]
	s_xor_b64 s[6:7], exec, s[8:9]
	s_cbranch_execnz .LBB11_2777
; %bb.729:
	s_or_saveexec_b64 s[6:7], s[6:7]
	v_mov_b32_e32 v2, s10
	s_xor_b64 exec, exec, s[6:7]
	s_cbranch_execnz .LBB11_2780
.LBB11_730:
	s_or_b64 exec, exec, s[6:7]
	s_and_saveexec_b64 s[6:7], s[4:5]
	s_cbranch_execz .LBB11_732
.LBB11_731:
	v_bfe_u32 v2, v8, 24, 3
	v_ffbh_u32_e32 v12, v2
	v_min_u32_e32 v12, 32, v12
	v_lshrrev_b32_e32 v6, 27, v8
	v_subrev_u32_e32 v13, 28, v12
	v_and_b32_e32 v3, 0x80000000, v8
	v_and_b32_e32 v6, 15, v6
	v_bfe_u32 v7, v8, 27, 4
	v_lshlrev_b32_sdwa v8, v13, v8 dst_sel:DWORD dst_unused:UNUSED_PAD src0_sel:DWORD src1_sel:BYTE_3
	v_sub_u32_e32 v12, 29, v12
	v_and_b32_e32 v8, 7, v8
	v_cmp_eq_u16_e32 vcc, 0, v6
	v_cndmask_b32_e32 v2, v2, v8, vcc
	v_cndmask_b32_e32 v6, v7, v12, vcc
	v_mov_b32_e32 v7, 0x3b800000
	v_lshlrev_b32_e32 v2, 20, v2
	v_lshl_add_u32 v6, v6, 23, v7
	v_or3_b32 v2, v3, v6, v2
.LBB11_732:
	s_or_b64 exec, exec, s[6:7]
	s_movk_i32 s4, 0x7f
	v_cmp_gt_i16_sdwa s[6:7], v4, s4 src0_sel:BYTE_3 src1_sel:DWORD
	s_mov_b64 s[4:5], 0
                                        ; implicit-def: $sgpr10
	s_and_saveexec_b64 s[8:9], s[6:7]
	s_xor_b64 s[6:7], exec, s[8:9]
	s_cbranch_execnz .LBB11_2781
; %bb.733:
	s_or_saveexec_b64 s[6:7], s[6:7]
	v_mov_b32_e32 v3, s10
	s_xor_b64 exec, exec, s[6:7]
	s_cbranch_execnz .LBB11_2784
.LBB11_734:
	s_or_b64 exec, exec, s[6:7]
	s_and_saveexec_b64 s[6:7], s[4:5]
	s_cbranch_execz .LBB11_736
.LBB11_735:
	v_bfe_u32 v3, v4, 24, 3
	v_ffbh_u32_e32 v12, v3
	v_min_u32_e32 v12, 32, v12
	v_lshrrev_b32_e32 v7, 27, v4
	v_subrev_u32_e32 v13, 28, v12
	v_and_b32_e32 v6, 0x80000000, v4
	v_and_b32_e32 v7, 15, v7
	v_bfe_u32 v8, v4, 27, 4
	v_lshlrev_b32_sdwa v4, v13, v4 dst_sel:DWORD dst_unused:UNUSED_PAD src0_sel:DWORD src1_sel:BYTE_3
	v_sub_u32_e32 v12, 29, v12
	v_and_b32_e32 v4, 7, v4
	v_cmp_eq_u16_e32 vcc, 0, v7
	v_cndmask_b32_e32 v3, v3, v4, vcc
	v_cndmask_b32_e32 v4, v8, v12, vcc
	v_mov_b32_e32 v7, 0x3b800000
	v_lshlrev_b32_e32 v3, 20, v3
	v_lshl_add_u32 v4, v4, 23, v7
	v_or3_b32 v3, v6, v4, v3
.LBB11_736:
	s_or_b64 exec, exec, s[6:7]
	s_nop 0
	v_mfma_f32_16x16x4f32 a[0:3], v2, v3, a[0:3]
	s_movk_i32 s4, 0x7f
	v_cmp_gt_i16_sdwa s[6:7], v9, s4 src0_sel:BYTE_0 src1_sel:DWORD
	s_mov_b64 s[4:5], 0
                                        ; implicit-def: $sgpr10
	s_and_saveexec_b64 s[8:9], s[6:7]
	s_xor_b64 s[6:7], exec, s[8:9]
	s_cbranch_execnz .LBB11_2785
; %bb.737:
	s_or_saveexec_b64 s[6:7], s[6:7]
	v_mov_b32_e32 v2, s10
	s_xor_b64 exec, exec, s[6:7]
	s_cbranch_execnz .LBB11_2788
.LBB11_738:
	s_or_b64 exec, exec, s[6:7]
	s_and_saveexec_b64 s[6:7], s[4:5]
	s_cbranch_execz .LBB11_740
.LBB11_739:
	v_mov_b32_e32 v2, 8
	v_and_b32_e32 v3, 7, v9
	v_lshrrev_b32_sdwa v2, v2, v9 dst_sel:BYTE_1 dst_unused:UNUSED_PAD src0_sel:DWORD src1_sel:DWORD
	v_ffbh_u32_e32 v4, v3
	v_or_b32_sdwa v2, v9, v2 dst_sel:DWORD dst_unused:UNUSED_PAD src0_sel:BYTE_0 src1_sel:DWORD
	v_min_u32_e32 v4, 32, v4
	v_lshrrev_b16_e32 v2, 3, v2
	v_subrev_u32_e32 v6, 28, v4
	v_and_b32_e32 v2, 15, v2
	v_lshlrev_b32_e32 v6, v6, v9
	v_sub_u32_e32 v4, 29, v4
	v_and_b32_e32 v6, 7, v6
	v_cmp_eq_u16_e32 vcc, 0, v2
	v_cndmask_b32_e32 v3, v3, v6, vcc
	v_cndmask_b32_e32 v2, v2, v4, vcc
	v_lshlrev_b32_e32 v4, 24, v9
	v_mov_b32_e32 v6, 0x3b800000
	v_lshlrev_b32_e32 v3, 20, v3
	v_and_b32_e32 v4, 0x80000000, v4
	v_lshl_add_u32 v2, v2, 23, v6
	v_or3_b32 v2, v4, v2, v3
.LBB11_740:
	s_or_b64 exec, exec, s[6:7]
	s_movk_i32 s4, 0x7f
	v_cmp_gt_i16_sdwa s[6:7], v5, s4 src0_sel:BYTE_0 src1_sel:DWORD
	s_mov_b64 s[4:5], 0
                                        ; implicit-def: $sgpr10
	s_and_saveexec_b64 s[8:9], s[6:7]
	s_xor_b64 s[6:7], exec, s[8:9]
	s_cbranch_execnz .LBB11_2789
; %bb.741:
	s_or_saveexec_b64 s[6:7], s[6:7]
	v_mov_b32_e32 v3, s10
	s_xor_b64 exec, exec, s[6:7]
	s_cbranch_execnz .LBB11_2792
.LBB11_742:
	s_or_b64 exec, exec, s[6:7]
	s_and_saveexec_b64 s[6:7], s[4:5]
	s_cbranch_execz .LBB11_744
.LBB11_743:
	v_mov_b32_e32 v3, 8
	v_and_b32_e32 v4, 7, v5
	v_lshrrev_b32_sdwa v3, v3, v5 dst_sel:BYTE_1 dst_unused:UNUSED_PAD src0_sel:DWORD src1_sel:DWORD
	v_ffbh_u32_e32 v6, v4
	v_or_b32_sdwa v3, v5, v3 dst_sel:DWORD dst_unused:UNUSED_PAD src0_sel:BYTE_0 src1_sel:DWORD
	v_min_u32_e32 v6, 32, v6
	v_lshrrev_b16_e32 v3, 3, v3
	v_subrev_u32_e32 v7, 28, v6
	v_and_b32_e32 v3, 15, v3
	v_lshlrev_b32_e32 v7, v7, v5
	v_sub_u32_e32 v6, 29, v6
	v_and_b32_e32 v7, 7, v7
	v_cmp_eq_u16_e32 vcc, 0, v3
	v_cndmask_b32_e32 v4, v4, v7, vcc
	v_cndmask_b32_e32 v3, v3, v6, vcc
	v_lshlrev_b32_e32 v6, 24, v5
	v_mov_b32_e32 v7, 0x3b800000
	v_lshlrev_b32_e32 v4, 20, v4
	v_and_b32_e32 v6, 0x80000000, v6
	v_lshl_add_u32 v3, v3, 23, v7
	v_or3_b32 v3, v6, v3, v4
.LBB11_744:
	s_or_b64 exec, exec, s[6:7]
	s_nop 0
	v_mfma_f32_16x16x4f32 a[0:3], v2, v3, a[0:3]
	v_lshrrev_b32_e32 v3, 8, v9
	s_movk_i32 s4, 0x7f
	v_cmp_gt_i16_sdwa s[6:7], v3, s4 src0_sel:BYTE_0 src1_sel:DWORD
	s_mov_b64 s[4:5], 0
                                        ; implicit-def: $sgpr10
	s_and_saveexec_b64 s[8:9], s[6:7]
	s_xor_b64 s[6:7], exec, s[8:9]
	s_cbranch_execnz .LBB11_2793
; %bb.745:
	s_or_saveexec_b64 s[6:7], s[6:7]
	v_mov_b32_e32 v2, s10
	s_xor_b64 exec, exec, s[6:7]
	s_cbranch_execnz .LBB11_2796
.LBB11_746:
	s_or_b64 exec, exec, s[6:7]
	s_and_saveexec_b64 s[6:7], s[4:5]
	s_cbranch_execz .LBB11_748
.LBB11_747:
	v_bfe_u32 v2, v9, 8, 3
	v_ffbh_u32_e32 v6, v2
	v_min_u32_e32 v6, 32, v6
	v_lshrrev_b16_e32 v4, 3, v3
	v_subrev_u32_e32 v7, 28, v6
	v_and_b32_e32 v4, 15, v4
	v_lshlrev_b32_e32 v3, v7, v3
	v_sub_u32_e32 v6, 29, v6
	v_and_b32_e32 v3, 7, v3
	v_cmp_eq_u16_e32 vcc, 0, v4
	v_cndmask_b32_e32 v2, v2, v3, vcc
	v_cndmask_b32_e32 v3, v4, v6, vcc
	v_lshlrev_b32_e32 v4, 16, v9
	v_mov_b32_e32 v6, 0x3b800000
	v_lshlrev_b32_e32 v2, 20, v2
	v_and_b32_e32 v4, 0x80000000, v4
	v_lshl_add_u32 v3, v3, 23, v6
	v_or3_b32 v2, v4, v3, v2
.LBB11_748:
	s_or_b64 exec, exec, s[6:7]
	v_lshrrev_b32_e32 v3, 8, v5
	s_movk_i32 s4, 0x7f
	v_cmp_gt_i16_sdwa s[6:7], v3, s4 src0_sel:BYTE_0 src1_sel:DWORD
	s_mov_b64 s[4:5], 0
                                        ; implicit-def: $sgpr10
	s_and_saveexec_b64 s[8:9], s[6:7]
	s_xor_b64 s[6:7], exec, s[8:9]
	s_cbranch_execnz .LBB11_2797
; %bb.749:
	s_or_saveexec_b64 s[6:7], s[6:7]
	v_mov_b32_e32 v4, s10
	s_xor_b64 exec, exec, s[6:7]
	s_cbranch_execnz .LBB11_2800
.LBB11_750:
	s_or_b64 exec, exec, s[6:7]
	s_and_saveexec_b64 s[6:7], s[4:5]
	s_cbranch_execz .LBB11_752
.LBB11_751:
	v_bfe_u32 v4, v5, 8, 3
	v_ffbh_u32_e32 v7, v4
	v_min_u32_e32 v7, 32, v7
	v_lshrrev_b16_e32 v6, 3, v3
	v_subrev_u32_e32 v8, 28, v7
	v_and_b32_e32 v6, 15, v6
	v_lshlrev_b32_e32 v3, v8, v3
	v_sub_u32_e32 v7, 29, v7
	v_and_b32_e32 v3, 7, v3
	v_cmp_eq_u16_e32 vcc, 0, v6
	v_cndmask_b32_e32 v3, v4, v3, vcc
	v_cndmask_b32_e32 v4, v6, v7, vcc
	v_lshlrev_b32_e32 v6, 16, v5
	v_mov_b32_e32 v7, 0x3b800000
	v_lshlrev_b32_e32 v3, 20, v3
	v_and_b32_e32 v6, 0x80000000, v6
	v_lshl_add_u32 v4, v4, 23, v7
	v_or3_b32 v4, v6, v4, v3
.LBB11_752:
	s_or_b64 exec, exec, s[6:7]
	s_nop 0
	v_mfma_f32_16x16x4f32 a[0:3], v2, v4, a[0:3]
	s_movk_i32 s4, 0xff
	v_and_b32_sdwa v3, v9, s4 dst_sel:DWORD dst_unused:UNUSED_PAD src0_sel:WORD_1 src1_sel:DWORD
	s_movk_i32 s4, 0x7f
	v_cmp_lt_i16_e32 vcc, s4, v3
	s_mov_b64 s[4:5], 0
                                        ; implicit-def: $sgpr10
	s_and_saveexec_b64 s[6:7], vcc
	s_xor_b64 s[6:7], exec, s[6:7]
	s_cbranch_execnz .LBB11_2801
; %bb.753:
	s_or_saveexec_b64 s[6:7], s[6:7]
	v_mov_b32_e32 v2, s10
	s_xor_b64 exec, exec, s[6:7]
	s_cbranch_execnz .LBB11_2804
.LBB11_754:
	s_or_b64 exec, exec, s[6:7]
	s_and_saveexec_b64 s[6:7], s[4:5]
	s_cbranch_execz .LBB11_756
.LBB11_755:
	v_bfe_u32 v2, v9, 16, 3
	v_ffbh_u32_e32 v6, v2
	v_min_u32_e32 v6, 32, v6
	v_lshrrev_b32_e32 v3, 19, v9
	v_subrev_u32_e32 v7, 28, v6
	v_and_b32_e32 v3, 15, v3
	v_lshlrev_b32_sdwa v7, v7, v9 dst_sel:DWORD dst_unused:UNUSED_PAD src0_sel:DWORD src1_sel:WORD_1
	v_bfe_u32 v4, v9, 19, 4
	v_sub_u32_e32 v6, 29, v6
	v_and_b32_e32 v7, 7, v7
	v_cmp_eq_u16_e32 vcc, 0, v3
	v_cndmask_b32_e32 v2, v2, v7, vcc
	v_cndmask_b32_e32 v3, v4, v6, vcc
	v_lshlrev_b32_e32 v4, 8, v9
	v_mov_b32_e32 v6, 0x3b800000
	v_lshlrev_b32_e32 v2, 20, v2
	v_and_b32_e32 v4, 0x80000000, v4
	v_lshl_add_u32 v3, v3, 23, v6
	v_or3_b32 v2, v4, v3, v2
.LBB11_756:
	s_or_b64 exec, exec, s[6:7]
	s_movk_i32 s4, 0xff
	v_and_b32_sdwa v3, v5, s4 dst_sel:DWORD dst_unused:UNUSED_PAD src0_sel:WORD_1 src1_sel:DWORD
	s_movk_i32 s4, 0x7f
	v_cmp_lt_i16_e32 vcc, s4, v3
	s_mov_b64 s[4:5], 0
                                        ; implicit-def: $sgpr10
	s_and_saveexec_b64 s[6:7], vcc
	s_xor_b64 s[6:7], exec, s[6:7]
	s_cbranch_execnz .LBB11_2805
; %bb.757:
	s_or_saveexec_b64 s[6:7], s[6:7]
	v_mov_b32_e32 v4, s10
	s_xor_b64 exec, exec, s[6:7]
	s_cbranch_execnz .LBB11_2808
.LBB11_758:
	s_or_b64 exec, exec, s[6:7]
	s_and_saveexec_b64 s[6:7], s[4:5]
	s_cbranch_execz .LBB11_760
.LBB11_759:
	v_bfe_u32 v3, v5, 16, 3
	v_ffbh_u32_e32 v7, v3
	v_min_u32_e32 v7, 32, v7
	v_lshrrev_b32_e32 v4, 19, v5
	v_subrev_u32_e32 v8, 28, v7
	v_and_b32_e32 v4, 15, v4
	v_lshlrev_b32_sdwa v8, v8, v5 dst_sel:DWORD dst_unused:UNUSED_PAD src0_sel:DWORD src1_sel:WORD_1
	v_bfe_u32 v6, v5, 19, 4
	v_sub_u32_e32 v7, 29, v7
	v_and_b32_e32 v8, 7, v8
	v_cmp_eq_u16_e32 vcc, 0, v4
	v_cndmask_b32_e32 v3, v3, v8, vcc
	v_cndmask_b32_e32 v4, v6, v7, vcc
	v_lshlrev_b32_e32 v6, 8, v5
	v_mov_b32_e32 v7, 0x3b800000
	v_lshlrev_b32_e32 v3, 20, v3
	v_and_b32_e32 v6, 0x80000000, v6
	v_lshl_add_u32 v4, v4, 23, v7
	v_or3_b32 v4, v6, v4, v3
.LBB11_760:
	s_or_b64 exec, exec, s[6:7]
	s_nop 0
	v_mfma_f32_16x16x4f32 a[0:3], v2, v4, a[0:3]
	s_movk_i32 s4, 0x7f
	v_cmp_gt_i16_sdwa s[6:7], v9, s4 src0_sel:BYTE_3 src1_sel:DWORD
	s_mov_b64 s[4:5], 0
                                        ; implicit-def: $sgpr10
	s_and_saveexec_b64 s[8:9], s[6:7]
	s_xor_b64 s[6:7], exec, s[8:9]
	s_cbranch_execnz .LBB11_2809
; %bb.761:
	s_or_saveexec_b64 s[6:7], s[6:7]
	v_mov_b32_e32 v2, s10
	s_xor_b64 exec, exec, s[6:7]
	s_cbranch_execnz .LBB11_2812
.LBB11_762:
	s_or_b64 exec, exec, s[6:7]
	s_and_saveexec_b64 s[6:7], s[4:5]
	s_cbranch_execz .LBB11_764
.LBB11_763:
	v_bfe_u32 v2, v9, 24, 3
	v_ffbh_u32_e32 v7, v2
	v_min_u32_e32 v7, 32, v7
	v_lshrrev_b32_e32 v4, 27, v9
	v_subrev_u32_e32 v8, 28, v7
	v_and_b32_e32 v4, 15, v4
	v_lshlrev_b32_sdwa v8, v8, v9 dst_sel:DWORD dst_unused:UNUSED_PAD src0_sel:DWORD src1_sel:BYTE_3
	v_bfe_u32 v6, v9, 27, 4
	v_sub_u32_e32 v7, 29, v7
	v_and_b32_e32 v8, 7, v8
	v_cmp_eq_u16_e32 vcc, 0, v4
	v_cndmask_b32_e32 v2, v2, v8, vcc
	v_cndmask_b32_e32 v4, v6, v7, vcc
	v_mov_b32_e32 v6, 0x3b800000
	v_and_b32_e32 v3, 0x80000000, v9
	v_lshlrev_b32_e32 v2, 20, v2
	v_lshl_add_u32 v4, v4, 23, v6
	v_or3_b32 v2, v3, v4, v2
.LBB11_764:
	s_or_b64 exec, exec, s[6:7]
	s_movk_i32 s4, 0x7f
	v_cmp_gt_i16_sdwa s[6:7], v5, s4 src0_sel:BYTE_3 src1_sel:DWORD
	s_mov_b64 s[4:5], 0
                                        ; implicit-def: $sgpr10
	s_and_saveexec_b64 s[8:9], s[6:7]
	s_xor_b64 s[6:7], exec, s[8:9]
	s_cbranch_execnz .LBB11_2813
; %bb.765:
	s_or_saveexec_b64 s[6:7], s[6:7]
	v_mov_b32_e32 v3, s10
	s_xor_b64 exec, exec, s[6:7]
	s_cbranch_execnz .LBB11_2816
.LBB11_766:
	s_or_b64 exec, exec, s[6:7]
	s_and_saveexec_b64 s[6:7], s[4:5]
	s_cbranch_execz .LBB11_768
.LBB11_767:
	v_bfe_u32 v3, v5, 24, 3
	v_ffbh_u32_e32 v8, v3
	v_min_u32_e32 v8, 32, v8
	v_lshrrev_b32_e32 v6, 27, v5
	v_subrev_u32_e32 v9, 28, v8
	v_and_b32_e32 v4, 0x80000000, v5
	v_and_b32_e32 v6, 15, v6
	v_bfe_u32 v7, v5, 27, 4
	v_lshlrev_b32_sdwa v5, v9, v5 dst_sel:DWORD dst_unused:UNUSED_PAD src0_sel:DWORD src1_sel:BYTE_3
	v_sub_u32_e32 v8, 29, v8
	v_and_b32_e32 v5, 7, v5
	v_cmp_eq_u16_e32 vcc, 0, v6
	v_cndmask_b32_e32 v3, v3, v5, vcc
	v_cndmask_b32_e32 v5, v7, v8, vcc
	v_mov_b32_e32 v6, 0x3b800000
	v_lshlrev_b32_e32 v3, 20, v3
	v_lshl_add_u32 v5, v5, 23, v6
	v_or3_b32 v3, v4, v5, v3
.LBB11_768:
	s_or_b64 exec, exec, s[6:7]
	s_nop 0
	v_mfma_f32_16x16x4f32 a[0:3], v2, v3, a[0:3]
	s_movk_i32 s4, 0x7f
                                        ; implicit-def: $sgpr10
	s_nop 7
	s_nop 1
	flat_store_dwordx4 v[10:11], a[0:3] offset:80
	flat_load_dwordx4 v[12:15], v[0:1] offset:8
	s_nop 0
	flat_load_dwordx2 v[10:11], v[0:1] offset:32
	s_waitcnt vmcnt(0) lgkmcnt(0)
	flat_load_dwordx4 v[6:9], v[12:13] offset:48
	flat_load_dwordx4 v[2:5], v[14:15] offset:80
	s_waitcnt vmcnt(0) lgkmcnt(0)
	v_cmp_gt_i16_sdwa s[6:7], v6, s4 src0_sel:BYTE_0 src1_sel:DWORD
	s_mov_b64 s[4:5], 0
	s_and_saveexec_b64 s[8:9], s[6:7]
	s_xor_b64 s[6:7], exec, s[8:9]
	s_cbranch_execnz .LBB11_2817
; %bb.769:
	s_or_saveexec_b64 s[6:7], s[6:7]
	v_mov_b32_e32 v12, s10
	s_xor_b64 exec, exec, s[6:7]
	s_cbranch_execnz .LBB11_2820
.LBB11_770:
	s_or_b64 exec, exec, s[6:7]
	s_and_saveexec_b64 s[6:7], s[4:5]
	s_cbranch_execz .LBB11_772
.LBB11_771:
	v_and_b32_e32 v12, 7, v6
	v_ffbh_u32_e32 v14, v12
	v_min_u32_e32 v14, 32, v14
	v_lshrrev_b16_e32 v13, 3, v6
	v_subrev_u32_e32 v15, 28, v14
	v_and_b32_e32 v13, 15, v13
	v_lshlrev_b32_e32 v15, v15, v6
	v_sub_u32_e32 v14, 29, v14
	v_and_b32_e32 v15, 7, v15
	v_cmp_eq_u16_e32 vcc, 0, v13
	v_cndmask_b32_e32 v12, v12, v15, vcc
	v_cndmask_b32_e32 v13, v13, v14, vcc
	v_lshlrev_b32_e32 v14, 24, v6
	v_mov_b32_e32 v15, 0x3b800000
	v_lshlrev_b32_e32 v12, 20, v12
	v_and_b32_e32 v14, 0x80000000, v14
	v_lshl_add_u32 v13, v13, 23, v15
	v_or3_b32 v12, v14, v13, v12
.LBB11_772:
	s_or_b64 exec, exec, s[6:7]
	s_movk_i32 s4, 0x7f
	v_cmp_gt_i16_sdwa s[6:7], v2, s4 src0_sel:BYTE_0 src1_sel:DWORD
	s_mov_b64 s[4:5], 0
                                        ; implicit-def: $sgpr10
	s_and_saveexec_b64 s[8:9], s[6:7]
	s_xor_b64 s[6:7], exec, s[8:9]
	s_cbranch_execnz .LBB11_2821
; %bb.773:
	s_or_saveexec_b64 s[6:7], s[6:7]
	v_mov_b32_e32 v13, s10
	s_xor_b64 exec, exec, s[6:7]
	s_cbranch_execnz .LBB11_2824
.LBB11_774:
	s_or_b64 exec, exec, s[6:7]
	s_and_saveexec_b64 s[6:7], s[4:5]
	s_cbranch_execz .LBB11_776
.LBB11_775:
	v_and_b32_e32 v13, 7, v2
	v_ffbh_u32_e32 v15, v13
	v_min_u32_e32 v15, 32, v15
	v_lshrrev_b16_e32 v14, 3, v2
	v_subrev_u32_e32 v16, 28, v15
	v_and_b32_e32 v14, 15, v14
	v_lshlrev_b32_e32 v16, v16, v2
	v_sub_u32_e32 v15, 29, v15
	v_and_b32_e32 v16, 7, v16
	v_cmp_eq_u16_e32 vcc, 0, v14
	v_cndmask_b32_e32 v13, v13, v16, vcc
	v_cndmask_b32_e32 v14, v14, v15, vcc
	v_lshlrev_b32_e32 v15, 24, v2
	v_mov_b32_e32 v16, 0x3b800000
	v_lshlrev_b32_e32 v13, 20, v13
	v_and_b32_e32 v15, 0x80000000, v15
	v_lshl_add_u32 v14, v14, 23, v16
	v_or3_b32 v13, v15, v14, v13
.LBB11_776:
	s_or_b64 exec, exec, s[6:7]
	flat_load_dwordx4 a[0:3], v[10:11] offset:96
	s_movk_i32 s4, 0x7f
                                        ; implicit-def: $sgpr10
	s_waitcnt vmcnt(0) lgkmcnt(0)
	v_mfma_f32_16x16x4f32 a[0:3], v12, v13, a[0:3]
	v_lshrrev_b32_e32 v13, 8, v6
	v_cmp_gt_i16_sdwa s[6:7], v13, s4 src0_sel:BYTE_0 src1_sel:DWORD
	s_mov_b64 s[4:5], 0
	s_and_saveexec_b64 s[8:9], s[6:7]
	s_xor_b64 s[6:7], exec, s[8:9]
	s_cbranch_execnz .LBB11_2825
; %bb.777:
	s_or_saveexec_b64 s[6:7], s[6:7]
	v_mov_b32_e32 v12, s10
	s_xor_b64 exec, exec, s[6:7]
	s_cbranch_execnz .LBB11_2828
.LBB11_778:
	s_or_b64 exec, exec, s[6:7]
	s_and_saveexec_b64 s[6:7], s[4:5]
	s_cbranch_execz .LBB11_780
.LBB11_779:
	v_bfe_u32 v12, v6, 8, 3
	v_ffbh_u32_e32 v15, v12
	v_min_u32_e32 v15, 32, v15
	v_lshrrev_b16_e32 v14, 3, v13
	v_subrev_u32_e32 v16, 28, v15
	v_and_b32_e32 v14, 15, v14
	v_lshlrev_b32_e32 v13, v16, v13
	v_sub_u32_e32 v15, 29, v15
	v_and_b32_e32 v13, 7, v13
	v_cmp_eq_u16_e32 vcc, 0, v14
	v_cndmask_b32_e32 v12, v12, v13, vcc
	v_cndmask_b32_e32 v13, v14, v15, vcc
	v_lshlrev_b32_e32 v14, 16, v6
	v_mov_b32_e32 v15, 0x3b800000
	v_lshlrev_b32_e32 v12, 20, v12
	v_and_b32_e32 v14, 0x80000000, v14
	v_lshl_add_u32 v13, v13, 23, v15
	v_or3_b32 v12, v14, v13, v12
.LBB11_780:
	s_or_b64 exec, exec, s[6:7]
	v_lshrrev_b32_e32 v13, 8, v2
	s_movk_i32 s4, 0x7f
	v_cmp_gt_i16_sdwa s[6:7], v13, s4 src0_sel:BYTE_0 src1_sel:DWORD
	s_mov_b64 s[4:5], 0
                                        ; implicit-def: $sgpr10
	s_and_saveexec_b64 s[8:9], s[6:7]
	s_xor_b64 s[6:7], exec, s[8:9]
	s_cbranch_execnz .LBB11_2829
; %bb.781:
	s_or_saveexec_b64 s[6:7], s[6:7]
	v_mov_b32_e32 v14, s10
	s_xor_b64 exec, exec, s[6:7]
	s_cbranch_execnz .LBB11_2832
.LBB11_782:
	s_or_b64 exec, exec, s[6:7]
	s_and_saveexec_b64 s[6:7], s[4:5]
	s_cbranch_execz .LBB11_784
.LBB11_783:
	v_bfe_u32 v14, v2, 8, 3
	v_ffbh_u32_e32 v16, v14
	v_min_u32_e32 v16, 32, v16
	v_lshrrev_b16_e32 v15, 3, v13
	v_subrev_u32_e32 v17, 28, v16
	v_and_b32_e32 v15, 15, v15
	v_lshlrev_b32_e32 v13, v17, v13
	v_sub_u32_e32 v16, 29, v16
	v_and_b32_e32 v13, 7, v13
	v_cmp_eq_u16_e32 vcc, 0, v15
	v_cndmask_b32_e32 v13, v14, v13, vcc
	v_cndmask_b32_e32 v14, v15, v16, vcc
	v_lshlrev_b32_e32 v15, 16, v2
	v_mov_b32_e32 v16, 0x3b800000
	v_lshlrev_b32_e32 v13, 20, v13
	v_and_b32_e32 v15, 0x80000000, v15
	v_lshl_add_u32 v14, v14, 23, v16
	v_or3_b32 v14, v15, v14, v13
.LBB11_784:
	s_or_b64 exec, exec, s[6:7]
	s_nop 0
	v_mfma_f32_16x16x4f32 a[0:3], v12, v14, a[0:3]
	s_movk_i32 s4, 0xff
	v_and_b32_sdwa v13, v6, s4 dst_sel:DWORD dst_unused:UNUSED_PAD src0_sel:WORD_1 src1_sel:DWORD
	s_movk_i32 s4, 0x7f
	v_cmp_lt_i16_e32 vcc, s4, v13
	s_mov_b64 s[4:5], 0
                                        ; implicit-def: $sgpr10
	s_and_saveexec_b64 s[6:7], vcc
	s_xor_b64 s[6:7], exec, s[6:7]
	s_cbranch_execnz .LBB11_2833
; %bb.785:
	s_or_saveexec_b64 s[6:7], s[6:7]
	v_mov_b32_e32 v12, s10
	s_xor_b64 exec, exec, s[6:7]
	s_cbranch_execnz .LBB11_2836
.LBB11_786:
	s_or_b64 exec, exec, s[6:7]
	s_and_saveexec_b64 s[6:7], s[4:5]
	s_cbranch_execz .LBB11_788
.LBB11_787:
	v_bfe_u32 v12, v6, 16, 3
	v_ffbh_u32_e32 v15, v12
	v_min_u32_e32 v15, 32, v15
	v_lshrrev_b32_e32 v13, 19, v6
	v_subrev_u32_e32 v16, 28, v15
	v_and_b32_e32 v13, 15, v13
	v_lshlrev_b32_sdwa v16, v16, v6 dst_sel:DWORD dst_unused:UNUSED_PAD src0_sel:DWORD src1_sel:WORD_1
	v_bfe_u32 v14, v6, 19, 4
	v_sub_u32_e32 v15, 29, v15
	v_and_b32_e32 v16, 7, v16
	v_cmp_eq_u16_e32 vcc, 0, v13
	v_cndmask_b32_e32 v12, v12, v16, vcc
	v_cndmask_b32_e32 v13, v14, v15, vcc
	v_lshlrev_b32_e32 v14, 8, v6
	v_mov_b32_e32 v15, 0x3b800000
	v_lshlrev_b32_e32 v12, 20, v12
	v_and_b32_e32 v14, 0x80000000, v14
	v_lshl_add_u32 v13, v13, 23, v15
	v_or3_b32 v12, v14, v13, v12
.LBB11_788:
	s_or_b64 exec, exec, s[6:7]
	s_movk_i32 s4, 0xff
	v_and_b32_sdwa v13, v2, s4 dst_sel:DWORD dst_unused:UNUSED_PAD src0_sel:WORD_1 src1_sel:DWORD
	s_movk_i32 s4, 0x7f
	v_cmp_lt_i16_e32 vcc, s4, v13
	s_mov_b64 s[4:5], 0
                                        ; implicit-def: $sgpr10
	s_and_saveexec_b64 s[6:7], vcc
	s_xor_b64 s[6:7], exec, s[6:7]
	s_cbranch_execnz .LBB11_2837
; %bb.789:
	s_or_saveexec_b64 s[6:7], s[6:7]
	v_mov_b32_e32 v14, s10
	s_xor_b64 exec, exec, s[6:7]
	s_cbranch_execnz .LBB11_2840
.LBB11_790:
	s_or_b64 exec, exec, s[6:7]
	s_and_saveexec_b64 s[6:7], s[4:5]
	s_cbranch_execz .LBB11_792
.LBB11_791:
	v_bfe_u32 v13, v2, 16, 3
	v_ffbh_u32_e32 v16, v13
	v_min_u32_e32 v16, 32, v16
	v_lshrrev_b32_e32 v14, 19, v2
	v_subrev_u32_e32 v17, 28, v16
	v_and_b32_e32 v14, 15, v14
	v_lshlrev_b32_sdwa v17, v17, v2 dst_sel:DWORD dst_unused:UNUSED_PAD src0_sel:DWORD src1_sel:WORD_1
	v_bfe_u32 v15, v2, 19, 4
	v_sub_u32_e32 v16, 29, v16
	v_and_b32_e32 v17, 7, v17
	v_cmp_eq_u16_e32 vcc, 0, v14
	v_cndmask_b32_e32 v13, v13, v17, vcc
	v_cndmask_b32_e32 v14, v15, v16, vcc
	v_lshlrev_b32_e32 v15, 8, v2
	v_mov_b32_e32 v16, 0x3b800000
	v_lshlrev_b32_e32 v13, 20, v13
	v_and_b32_e32 v15, 0x80000000, v15
	v_lshl_add_u32 v14, v14, 23, v16
	v_or3_b32 v14, v15, v14, v13
.LBB11_792:
	s_or_b64 exec, exec, s[6:7]
	s_nop 0
	v_mfma_f32_16x16x4f32 a[0:3], v12, v14, a[0:3]
	s_movk_i32 s4, 0x7f
	v_cmp_gt_i16_sdwa s[6:7], v6, s4 src0_sel:BYTE_3 src1_sel:DWORD
	s_mov_b64 s[4:5], 0
                                        ; implicit-def: $sgpr10
	s_and_saveexec_b64 s[8:9], s[6:7]
	s_xor_b64 s[6:7], exec, s[8:9]
	s_cbranch_execnz .LBB11_2841
; %bb.793:
	s_or_saveexec_b64 s[6:7], s[6:7]
	v_mov_b32_e32 v12, s10
	s_xor_b64 exec, exec, s[6:7]
	s_cbranch_execnz .LBB11_2844
.LBB11_794:
	s_or_b64 exec, exec, s[6:7]
	s_and_saveexec_b64 s[6:7], s[4:5]
	s_cbranch_execz .LBB11_796
.LBB11_795:
	v_bfe_u32 v12, v6, 24, 3
	v_ffbh_u32_e32 v16, v12
	v_min_u32_e32 v16, 32, v16
	v_lshrrev_b32_e32 v14, 27, v6
	v_subrev_u32_e32 v17, 28, v16
	v_and_b32_e32 v13, 0x80000000, v6
	v_and_b32_e32 v14, 15, v14
	v_bfe_u32 v15, v6, 27, 4
	v_lshlrev_b32_sdwa v6, v17, v6 dst_sel:DWORD dst_unused:UNUSED_PAD src0_sel:DWORD src1_sel:BYTE_3
	v_sub_u32_e32 v16, 29, v16
	v_and_b32_e32 v6, 7, v6
	v_cmp_eq_u16_e32 vcc, 0, v14
	v_cndmask_b32_e32 v6, v12, v6, vcc
	v_cndmask_b32_e32 v12, v15, v16, vcc
	v_mov_b32_e32 v14, 0x3b800000
	v_lshlrev_b32_e32 v6, 20, v6
	v_lshl_add_u32 v12, v12, 23, v14
	v_or3_b32 v12, v13, v12, v6
.LBB11_796:
	s_or_b64 exec, exec, s[6:7]
	s_movk_i32 s4, 0x7f
	v_cmp_gt_i16_sdwa s[6:7], v2, s4 src0_sel:BYTE_3 src1_sel:DWORD
	s_mov_b64 s[4:5], 0
                                        ; implicit-def: $sgpr10
	s_and_saveexec_b64 s[8:9], s[6:7]
	s_xor_b64 s[6:7], exec, s[8:9]
	s_cbranch_execnz .LBB11_2845
; %bb.797:
	s_or_saveexec_b64 s[6:7], s[6:7]
	v_mov_b32_e32 v6, s10
	s_xor_b64 exec, exec, s[6:7]
	s_cbranch_execnz .LBB11_2848
.LBB11_798:
	s_or_b64 exec, exec, s[6:7]
	s_and_saveexec_b64 s[6:7], s[4:5]
	s_cbranch_execz .LBB11_800
.LBB11_799:
	v_bfe_u32 v6, v2, 24, 3
	v_ffbh_u32_e32 v16, v6
	v_min_u32_e32 v16, 32, v16
	v_lshrrev_b32_e32 v14, 27, v2
	v_subrev_u32_e32 v17, 28, v16
	v_and_b32_e32 v13, 0x80000000, v2
	v_and_b32_e32 v14, 15, v14
	v_bfe_u32 v15, v2, 27, 4
	v_lshlrev_b32_sdwa v2, v17, v2 dst_sel:DWORD dst_unused:UNUSED_PAD src0_sel:DWORD src1_sel:BYTE_3
	v_sub_u32_e32 v16, 29, v16
	v_and_b32_e32 v2, 7, v2
	v_cmp_eq_u16_e32 vcc, 0, v14
	v_cndmask_b32_e32 v2, v6, v2, vcc
	v_cndmask_b32_e32 v6, v15, v16, vcc
	v_mov_b32_e32 v14, 0x3b800000
	v_lshlrev_b32_e32 v2, 20, v2
	v_lshl_add_u32 v6, v6, 23, v14
	v_or3_b32 v6, v13, v6, v2
.LBB11_800:
	s_or_b64 exec, exec, s[6:7]
	s_nop 0
	v_mfma_f32_16x16x4f32 a[0:3], v12, v6, a[0:3]
	s_movk_i32 s4, 0x7f
	v_cmp_gt_i16_sdwa s[6:7], v7, s4 src0_sel:BYTE_0 src1_sel:DWORD
	s_mov_b64 s[4:5], 0
                                        ; implicit-def: $sgpr10
	s_and_saveexec_b64 s[8:9], s[6:7]
	s_xor_b64 s[6:7], exec, s[8:9]
	s_cbranch_execnz .LBB11_2849
; %bb.801:
	s_or_saveexec_b64 s[6:7], s[6:7]
	v_mov_b32_e32 v2, s10
	s_xor_b64 exec, exec, s[6:7]
	s_cbranch_execnz .LBB11_2852
.LBB11_802:
	s_or_b64 exec, exec, s[6:7]
	s_and_saveexec_b64 s[6:7], s[4:5]
	s_cbranch_execz .LBB11_804
.LBB11_803:
	v_and_b32_e32 v2, 7, v7
	v_ffbh_u32_e32 v12, v2
	v_min_u32_e32 v12, 32, v12
	v_lshrrev_b16_e32 v6, 3, v7
	v_subrev_u32_e32 v13, 28, v12
	v_and_b32_e32 v6, 15, v6
	v_lshlrev_b32_e32 v13, v13, v7
	v_sub_u32_e32 v12, 29, v12
	v_and_b32_e32 v13, 7, v13
	v_cmp_eq_u16_e32 vcc, 0, v6
	v_cndmask_b32_e32 v2, v2, v13, vcc
	v_cndmask_b32_e32 v6, v6, v12, vcc
	v_lshlrev_b32_e32 v12, 24, v7
	v_mov_b32_e32 v13, 0x3b800000
	v_lshlrev_b32_e32 v2, 20, v2
	v_and_b32_e32 v12, 0x80000000, v12
	v_lshl_add_u32 v6, v6, 23, v13
	v_or3_b32 v2, v12, v6, v2
.LBB11_804:
	s_or_b64 exec, exec, s[6:7]
	s_movk_i32 s4, 0x7f
	v_cmp_gt_i16_sdwa s[6:7], v3, s4 src0_sel:BYTE_0 src1_sel:DWORD
	s_mov_b64 s[4:5], 0
                                        ; implicit-def: $sgpr10
	s_and_saveexec_b64 s[8:9], s[6:7]
	s_xor_b64 s[6:7], exec, s[8:9]
	s_cbranch_execnz .LBB11_2853
; %bb.805:
	s_or_saveexec_b64 s[6:7], s[6:7]
	v_mov_b32_e32 v6, s10
	s_xor_b64 exec, exec, s[6:7]
	s_cbranch_execnz .LBB11_2856
.LBB11_806:
	s_or_b64 exec, exec, s[6:7]
	s_and_saveexec_b64 s[6:7], s[4:5]
	s_cbranch_execz .LBB11_808
.LBB11_807:
	v_and_b32_e32 v6, 7, v3
	v_ffbh_u32_e32 v13, v6
	v_min_u32_e32 v13, 32, v13
	v_lshrrev_b16_e32 v12, 3, v3
	v_subrev_u32_e32 v14, 28, v13
	v_and_b32_e32 v12, 15, v12
	v_lshlrev_b32_e32 v14, v14, v3
	v_sub_u32_e32 v13, 29, v13
	v_and_b32_e32 v14, 7, v14
	v_cmp_eq_u16_e32 vcc, 0, v12
	v_cndmask_b32_e32 v6, v6, v14, vcc
	v_cndmask_b32_e32 v12, v12, v13, vcc
	v_lshlrev_b32_e32 v13, 24, v3
	v_mov_b32_e32 v14, 0x3b800000
	v_lshlrev_b32_e32 v6, 20, v6
	v_and_b32_e32 v13, 0x80000000, v13
	v_lshl_add_u32 v12, v12, 23, v14
	v_or3_b32 v6, v13, v12, v6
.LBB11_808:
	s_or_b64 exec, exec, s[6:7]
	s_nop 0
	v_mfma_f32_16x16x4f32 a[0:3], v2, v6, a[0:3]
	v_lshrrev_b32_e32 v6, 8, v7
	s_movk_i32 s4, 0x7f
	v_cmp_gt_i16_sdwa s[6:7], v6, s4 src0_sel:BYTE_0 src1_sel:DWORD
	s_mov_b64 s[4:5], 0
                                        ; implicit-def: $sgpr10
	s_and_saveexec_b64 s[8:9], s[6:7]
	s_xor_b64 s[6:7], exec, s[8:9]
	s_cbranch_execnz .LBB11_2857
; %bb.809:
	s_or_saveexec_b64 s[6:7], s[6:7]
	v_mov_b32_e32 v2, s10
	s_xor_b64 exec, exec, s[6:7]
	s_cbranch_execnz .LBB11_2860
.LBB11_810:
	s_or_b64 exec, exec, s[6:7]
	s_and_saveexec_b64 s[6:7], s[4:5]
	s_cbranch_execz .LBB11_812
.LBB11_811:
	v_bfe_u32 v2, v7, 8, 3
	v_ffbh_u32_e32 v13, v2
	v_min_u32_e32 v13, 32, v13
	v_lshrrev_b16_e32 v12, 3, v6
	v_subrev_u32_e32 v14, 28, v13
	v_and_b32_e32 v12, 15, v12
	v_lshlrev_b32_e32 v6, v14, v6
	v_sub_u32_e32 v13, 29, v13
	v_and_b32_e32 v6, 7, v6
	v_cmp_eq_u16_e32 vcc, 0, v12
	v_cndmask_b32_e32 v2, v2, v6, vcc
	v_cndmask_b32_e32 v6, v12, v13, vcc
	v_lshlrev_b32_e32 v12, 16, v7
	v_mov_b32_e32 v13, 0x3b800000
	v_lshlrev_b32_e32 v2, 20, v2
	v_and_b32_e32 v12, 0x80000000, v12
	v_lshl_add_u32 v6, v6, 23, v13
	v_or3_b32 v2, v12, v6, v2
.LBB11_812:
	s_or_b64 exec, exec, s[6:7]
	v_lshrrev_b32_e32 v6, 8, v3
	s_movk_i32 s4, 0x7f
	v_cmp_gt_i16_sdwa s[6:7], v6, s4 src0_sel:BYTE_0 src1_sel:DWORD
	s_mov_b64 s[4:5], 0
                                        ; implicit-def: $sgpr10
	s_and_saveexec_b64 s[8:9], s[6:7]
	s_xor_b64 s[6:7], exec, s[8:9]
	s_cbranch_execnz .LBB11_2861
; %bb.813:
	s_or_saveexec_b64 s[6:7], s[6:7]
	v_mov_b32_e32 v12, s10
	s_xor_b64 exec, exec, s[6:7]
	s_cbranch_execnz .LBB11_2864
.LBB11_814:
	s_or_b64 exec, exec, s[6:7]
	s_and_saveexec_b64 s[6:7], s[4:5]
	s_cbranch_execz .LBB11_816
.LBB11_815:
	v_bfe_u32 v12, v3, 8, 3
	v_ffbh_u32_e32 v14, v12
	v_min_u32_e32 v14, 32, v14
	v_lshrrev_b16_e32 v13, 3, v6
	v_subrev_u32_e32 v15, 28, v14
	v_and_b32_e32 v13, 15, v13
	v_lshlrev_b32_e32 v6, v15, v6
	v_sub_u32_e32 v14, 29, v14
	v_and_b32_e32 v6, 7, v6
	v_cmp_eq_u16_e32 vcc, 0, v13
	v_cndmask_b32_e32 v6, v12, v6, vcc
	v_cndmask_b32_e32 v12, v13, v14, vcc
	v_lshlrev_b32_e32 v13, 16, v3
	v_mov_b32_e32 v14, 0x3b800000
	v_lshlrev_b32_e32 v6, 20, v6
	v_and_b32_e32 v13, 0x80000000, v13
	v_lshl_add_u32 v12, v12, 23, v14
	v_or3_b32 v12, v13, v12, v6
.LBB11_816:
	s_or_b64 exec, exec, s[6:7]
	s_nop 0
	v_mfma_f32_16x16x4f32 a[0:3], v2, v12, a[0:3]
	s_movk_i32 s4, 0xff
	v_and_b32_sdwa v6, v7, s4 dst_sel:DWORD dst_unused:UNUSED_PAD src0_sel:WORD_1 src1_sel:DWORD
	s_movk_i32 s4, 0x7f
	v_cmp_lt_i16_e32 vcc, s4, v6
	s_mov_b64 s[4:5], 0
                                        ; implicit-def: $sgpr10
	s_and_saveexec_b64 s[6:7], vcc
	s_xor_b64 s[6:7], exec, s[6:7]
	s_cbranch_execnz .LBB11_2865
; %bb.817:
	s_or_saveexec_b64 s[6:7], s[6:7]
	v_mov_b32_e32 v2, s10
	s_xor_b64 exec, exec, s[6:7]
	s_cbranch_execnz .LBB11_2868
.LBB11_818:
	s_or_b64 exec, exec, s[6:7]
	s_and_saveexec_b64 s[6:7], s[4:5]
	s_cbranch_execz .LBB11_820
.LBB11_819:
	v_bfe_u32 v2, v7, 16, 3
	v_ffbh_u32_e32 v13, v2
	v_min_u32_e32 v13, 32, v13
	v_lshrrev_b32_e32 v6, 19, v7
	v_subrev_u32_e32 v14, 28, v13
	v_and_b32_e32 v6, 15, v6
	v_lshlrev_b32_sdwa v14, v14, v7 dst_sel:DWORD dst_unused:UNUSED_PAD src0_sel:DWORD src1_sel:WORD_1
	v_bfe_u32 v12, v7, 19, 4
	v_sub_u32_e32 v13, 29, v13
	v_and_b32_e32 v14, 7, v14
	v_cmp_eq_u16_e32 vcc, 0, v6
	v_cndmask_b32_e32 v2, v2, v14, vcc
	v_cndmask_b32_e32 v6, v12, v13, vcc
	v_lshlrev_b32_e32 v12, 8, v7
	v_mov_b32_e32 v13, 0x3b800000
	v_lshlrev_b32_e32 v2, 20, v2
	v_and_b32_e32 v12, 0x80000000, v12
	v_lshl_add_u32 v6, v6, 23, v13
	v_or3_b32 v2, v12, v6, v2
.LBB11_820:
	s_or_b64 exec, exec, s[6:7]
	s_movk_i32 s4, 0xff
	v_and_b32_sdwa v6, v3, s4 dst_sel:DWORD dst_unused:UNUSED_PAD src0_sel:WORD_1 src1_sel:DWORD
	s_movk_i32 s4, 0x7f
	v_cmp_lt_i16_e32 vcc, s4, v6
	s_mov_b64 s[4:5], 0
                                        ; implicit-def: $sgpr10
	s_and_saveexec_b64 s[6:7], vcc
	s_xor_b64 s[6:7], exec, s[6:7]
	s_cbranch_execnz .LBB11_2869
; %bb.821:
	s_or_saveexec_b64 s[6:7], s[6:7]
	v_mov_b32_e32 v12, s10
	s_xor_b64 exec, exec, s[6:7]
	s_cbranch_execnz .LBB11_2872
.LBB11_822:
	s_or_b64 exec, exec, s[6:7]
	s_and_saveexec_b64 s[6:7], s[4:5]
	s_cbranch_execz .LBB11_824
.LBB11_823:
	v_bfe_u32 v6, v3, 16, 3
	v_ffbh_u32_e32 v14, v6
	v_min_u32_e32 v14, 32, v14
	v_lshrrev_b32_e32 v12, 19, v3
	v_subrev_u32_e32 v15, 28, v14
	v_and_b32_e32 v12, 15, v12
	v_lshlrev_b32_sdwa v15, v15, v3 dst_sel:DWORD dst_unused:UNUSED_PAD src0_sel:DWORD src1_sel:WORD_1
	v_bfe_u32 v13, v3, 19, 4
	v_sub_u32_e32 v14, 29, v14
	v_and_b32_e32 v15, 7, v15
	v_cmp_eq_u16_e32 vcc, 0, v12
	v_cndmask_b32_e32 v6, v6, v15, vcc
	v_cndmask_b32_e32 v12, v13, v14, vcc
	v_lshlrev_b32_e32 v13, 8, v3
	v_mov_b32_e32 v14, 0x3b800000
	v_lshlrev_b32_e32 v6, 20, v6
	v_and_b32_e32 v13, 0x80000000, v13
	v_lshl_add_u32 v12, v12, 23, v14
	v_or3_b32 v12, v13, v12, v6
.LBB11_824:
	s_or_b64 exec, exec, s[6:7]
	s_nop 0
	v_mfma_f32_16x16x4f32 a[0:3], v2, v12, a[0:3]
	s_movk_i32 s4, 0x7f
	v_cmp_gt_i16_sdwa s[6:7], v7, s4 src0_sel:BYTE_3 src1_sel:DWORD
	s_mov_b64 s[4:5], 0
                                        ; implicit-def: $sgpr10
	s_and_saveexec_b64 s[8:9], s[6:7]
	s_xor_b64 s[6:7], exec, s[8:9]
	s_cbranch_execnz .LBB11_2873
; %bb.825:
	s_or_saveexec_b64 s[6:7], s[6:7]
	v_mov_b32_e32 v2, s10
	s_xor_b64 exec, exec, s[6:7]
	s_cbranch_execnz .LBB11_2876
.LBB11_826:
	s_or_b64 exec, exec, s[6:7]
	s_and_saveexec_b64 s[6:7], s[4:5]
	s_cbranch_execz .LBB11_828
.LBB11_827:
	v_bfe_u32 v2, v7, 24, 3
	v_ffbh_u32_e32 v14, v2
	v_min_u32_e32 v14, 32, v14
	v_lshrrev_b32_e32 v12, 27, v7
	v_subrev_u32_e32 v15, 28, v14
	v_and_b32_e32 v6, 0x80000000, v7
	v_and_b32_e32 v12, 15, v12
	v_bfe_u32 v13, v7, 27, 4
	v_lshlrev_b32_sdwa v7, v15, v7 dst_sel:DWORD dst_unused:UNUSED_PAD src0_sel:DWORD src1_sel:BYTE_3
	v_sub_u32_e32 v14, 29, v14
	v_and_b32_e32 v7, 7, v7
	v_cmp_eq_u16_e32 vcc, 0, v12
	v_cndmask_b32_e32 v2, v2, v7, vcc
	v_cndmask_b32_e32 v7, v13, v14, vcc
	v_mov_b32_e32 v12, 0x3b800000
	v_lshlrev_b32_e32 v2, 20, v2
	v_lshl_add_u32 v7, v7, 23, v12
	v_or3_b32 v2, v6, v7, v2
.LBB11_828:
	s_or_b64 exec, exec, s[6:7]
	s_movk_i32 s4, 0x7f
	v_cmp_gt_i16_sdwa s[6:7], v3, s4 src0_sel:BYTE_3 src1_sel:DWORD
	s_mov_b64 s[4:5], 0
                                        ; implicit-def: $sgpr10
	s_and_saveexec_b64 s[8:9], s[6:7]
	s_xor_b64 s[6:7], exec, s[8:9]
	s_cbranch_execnz .LBB11_2877
; %bb.829:
	s_or_saveexec_b64 s[6:7], s[6:7]
	v_mov_b32_e32 v6, s10
	s_xor_b64 exec, exec, s[6:7]
	s_cbranch_execnz .LBB11_2880
.LBB11_830:
	s_or_b64 exec, exec, s[6:7]
	s_and_saveexec_b64 s[6:7], s[4:5]
	s_cbranch_execz .LBB11_832
.LBB11_831:
	v_bfe_u32 v6, v3, 24, 3
	v_ffbh_u32_e32 v14, v6
	v_min_u32_e32 v14, 32, v14
	v_lshrrev_b32_e32 v12, 27, v3
	v_subrev_u32_e32 v15, 28, v14
	v_and_b32_e32 v7, 0x80000000, v3
	v_and_b32_e32 v12, 15, v12
	v_bfe_u32 v13, v3, 27, 4
	v_lshlrev_b32_sdwa v3, v15, v3 dst_sel:DWORD dst_unused:UNUSED_PAD src0_sel:DWORD src1_sel:BYTE_3
	v_sub_u32_e32 v14, 29, v14
	v_and_b32_e32 v3, 7, v3
	v_cmp_eq_u16_e32 vcc, 0, v12
	v_cndmask_b32_e32 v3, v6, v3, vcc
	v_cndmask_b32_e32 v6, v13, v14, vcc
	v_mov_b32_e32 v12, 0x3b800000
	v_lshlrev_b32_e32 v3, 20, v3
	v_lshl_add_u32 v6, v6, 23, v12
	v_or3_b32 v6, v7, v6, v3
.LBB11_832:
	s_or_b64 exec, exec, s[6:7]
	s_nop 0
	v_mfma_f32_16x16x4f32 a[0:3], v2, v6, a[0:3]
	s_movk_i32 s4, 0x7f
	v_cmp_gt_i16_sdwa s[6:7], v8, s4 src0_sel:BYTE_0 src1_sel:DWORD
	s_mov_b64 s[4:5], 0
                                        ; implicit-def: $sgpr10
	s_and_saveexec_b64 s[8:9], s[6:7]
	s_xor_b64 s[6:7], exec, s[8:9]
	s_cbranch_execnz .LBB11_2881
; %bb.833:
	s_or_saveexec_b64 s[6:7], s[6:7]
	v_mov_b32_e32 v2, s10
	s_xor_b64 exec, exec, s[6:7]
	s_cbranch_execnz .LBB11_2884
.LBB11_834:
	s_or_b64 exec, exec, s[6:7]
	s_and_saveexec_b64 s[6:7], s[4:5]
	s_cbranch_execz .LBB11_836
.LBB11_835:
	v_and_b32_e32 v2, 7, v8
	v_ffbh_u32_e32 v6, v2
	v_min_u32_e32 v6, 32, v6
	v_lshrrev_b16_e32 v3, 3, v8
	v_subrev_u32_e32 v7, 28, v6
	v_and_b32_e32 v3, 15, v3
	v_lshlrev_b32_e32 v7, v7, v8
	v_sub_u32_e32 v6, 29, v6
	v_and_b32_e32 v7, 7, v7
	v_cmp_eq_u16_e32 vcc, 0, v3
	v_cndmask_b32_e32 v2, v2, v7, vcc
	v_cndmask_b32_e32 v3, v3, v6, vcc
	v_lshlrev_b32_e32 v6, 24, v8
	v_mov_b32_e32 v7, 0x3b800000
	v_lshlrev_b32_e32 v2, 20, v2
	v_and_b32_e32 v6, 0x80000000, v6
	v_lshl_add_u32 v3, v3, 23, v7
	v_or3_b32 v2, v6, v3, v2
.LBB11_836:
	s_or_b64 exec, exec, s[6:7]
	s_movk_i32 s4, 0x7f
	v_cmp_gt_i16_sdwa s[6:7], v4, s4 src0_sel:BYTE_0 src1_sel:DWORD
	s_mov_b64 s[4:5], 0
                                        ; implicit-def: $sgpr10
	s_and_saveexec_b64 s[8:9], s[6:7]
	s_xor_b64 s[6:7], exec, s[8:9]
	s_cbranch_execnz .LBB11_2885
; %bb.837:
	s_or_saveexec_b64 s[6:7], s[6:7]
	v_mov_b32_e32 v3, s10
	s_xor_b64 exec, exec, s[6:7]
	s_cbranch_execnz .LBB11_2888
.LBB11_838:
	s_or_b64 exec, exec, s[6:7]
	s_and_saveexec_b64 s[6:7], s[4:5]
	s_cbranch_execz .LBB11_840
.LBB11_839:
	v_and_b32_e32 v3, 7, v4
	v_ffbh_u32_e32 v7, v3
	v_min_u32_e32 v7, 32, v7
	v_lshrrev_b16_e32 v6, 3, v4
	v_subrev_u32_e32 v12, 28, v7
	v_and_b32_e32 v6, 15, v6
	v_lshlrev_b32_e32 v12, v12, v4
	v_sub_u32_e32 v7, 29, v7
	v_and_b32_e32 v12, 7, v12
	v_cmp_eq_u16_e32 vcc, 0, v6
	v_cndmask_b32_e32 v3, v3, v12, vcc
	v_cndmask_b32_e32 v6, v6, v7, vcc
	v_lshlrev_b32_e32 v7, 24, v4
	v_mov_b32_e32 v12, 0x3b800000
	v_lshlrev_b32_e32 v3, 20, v3
	v_and_b32_e32 v7, 0x80000000, v7
	v_lshl_add_u32 v6, v6, 23, v12
	v_or3_b32 v3, v7, v6, v3
.LBB11_840:
	s_or_b64 exec, exec, s[6:7]
	s_nop 0
	v_mfma_f32_16x16x4f32 a[0:3], v2, v3, a[0:3]
	v_lshrrev_b32_e32 v3, 8, v8
	s_movk_i32 s4, 0x7f
	v_cmp_gt_i16_sdwa s[6:7], v3, s4 src0_sel:BYTE_0 src1_sel:DWORD
	s_mov_b64 s[4:5], 0
                                        ; implicit-def: $sgpr10
	s_and_saveexec_b64 s[8:9], s[6:7]
	s_xor_b64 s[6:7], exec, s[8:9]
	s_cbranch_execnz .LBB11_2889
; %bb.841:
	s_or_saveexec_b64 s[6:7], s[6:7]
	v_mov_b32_e32 v2, s10
	s_xor_b64 exec, exec, s[6:7]
	s_cbranch_execnz .LBB11_2892
.LBB11_842:
	s_or_b64 exec, exec, s[6:7]
	s_and_saveexec_b64 s[6:7], s[4:5]
	s_cbranch_execz .LBB11_844
.LBB11_843:
	v_bfe_u32 v2, v8, 8, 3
	v_ffbh_u32_e32 v7, v2
	v_min_u32_e32 v7, 32, v7
	v_lshrrev_b16_e32 v6, 3, v3
	v_subrev_u32_e32 v12, 28, v7
	v_and_b32_e32 v6, 15, v6
	v_lshlrev_b32_e32 v3, v12, v3
	v_sub_u32_e32 v7, 29, v7
	v_and_b32_e32 v3, 7, v3
	v_cmp_eq_u16_e32 vcc, 0, v6
	v_cndmask_b32_e32 v2, v2, v3, vcc
	v_cndmask_b32_e32 v3, v6, v7, vcc
	v_lshlrev_b32_e32 v6, 16, v8
	v_mov_b32_e32 v7, 0x3b800000
	v_lshlrev_b32_e32 v2, 20, v2
	v_and_b32_e32 v6, 0x80000000, v6
	v_lshl_add_u32 v3, v3, 23, v7
	v_or3_b32 v2, v6, v3, v2
.LBB11_844:
	s_or_b64 exec, exec, s[6:7]
	v_lshrrev_b32_e32 v3, 8, v4
	s_movk_i32 s4, 0x7f
	v_cmp_gt_i16_sdwa s[6:7], v3, s4 src0_sel:BYTE_0 src1_sel:DWORD
	s_mov_b64 s[4:5], 0
                                        ; implicit-def: $sgpr10
	s_and_saveexec_b64 s[8:9], s[6:7]
	s_xor_b64 s[6:7], exec, s[8:9]
	s_cbranch_execnz .LBB11_2893
; %bb.845:
	s_or_saveexec_b64 s[6:7], s[6:7]
	v_mov_b32_e32 v6, s10
	s_xor_b64 exec, exec, s[6:7]
	s_cbranch_execnz .LBB11_2896
.LBB11_846:
	s_or_b64 exec, exec, s[6:7]
	s_and_saveexec_b64 s[6:7], s[4:5]
	s_cbranch_execz .LBB11_848
.LBB11_847:
	v_bfe_u32 v6, v4, 8, 3
	v_ffbh_u32_e32 v12, v6
	v_min_u32_e32 v12, 32, v12
	v_lshrrev_b16_e32 v7, 3, v3
	v_subrev_u32_e32 v13, 28, v12
	v_and_b32_e32 v7, 15, v7
	v_lshlrev_b32_e32 v3, v13, v3
	v_sub_u32_e32 v12, 29, v12
	v_and_b32_e32 v3, 7, v3
	v_cmp_eq_u16_e32 vcc, 0, v7
	v_cndmask_b32_e32 v3, v6, v3, vcc
	v_cndmask_b32_e32 v6, v7, v12, vcc
	v_lshlrev_b32_e32 v7, 16, v4
	v_mov_b32_e32 v12, 0x3b800000
	v_lshlrev_b32_e32 v3, 20, v3
	v_and_b32_e32 v7, 0x80000000, v7
	v_lshl_add_u32 v6, v6, 23, v12
	v_or3_b32 v6, v7, v6, v3
.LBB11_848:
	s_or_b64 exec, exec, s[6:7]
	s_nop 0
	v_mfma_f32_16x16x4f32 a[0:3], v2, v6, a[0:3]
	s_movk_i32 s4, 0xff
	v_and_b32_sdwa v3, v8, s4 dst_sel:DWORD dst_unused:UNUSED_PAD src0_sel:WORD_1 src1_sel:DWORD
	s_movk_i32 s4, 0x7f
	v_cmp_lt_i16_e32 vcc, s4, v3
	s_mov_b64 s[4:5], 0
                                        ; implicit-def: $sgpr10
	s_and_saveexec_b64 s[6:7], vcc
	s_xor_b64 s[6:7], exec, s[6:7]
	s_cbranch_execnz .LBB11_2897
; %bb.849:
	s_or_saveexec_b64 s[6:7], s[6:7]
	v_mov_b32_e32 v2, s10
	s_xor_b64 exec, exec, s[6:7]
	s_cbranch_execnz .LBB11_2900
.LBB11_850:
	s_or_b64 exec, exec, s[6:7]
	s_and_saveexec_b64 s[6:7], s[4:5]
	s_cbranch_execz .LBB11_852
.LBB11_851:
	v_bfe_u32 v2, v8, 16, 3
	v_ffbh_u32_e32 v7, v2
	v_min_u32_e32 v7, 32, v7
	v_lshrrev_b32_e32 v3, 19, v8
	v_subrev_u32_e32 v12, 28, v7
	v_and_b32_e32 v3, 15, v3
	v_lshlrev_b32_sdwa v12, v12, v8 dst_sel:DWORD dst_unused:UNUSED_PAD src0_sel:DWORD src1_sel:WORD_1
	v_bfe_u32 v6, v8, 19, 4
	v_sub_u32_e32 v7, 29, v7
	v_and_b32_e32 v12, 7, v12
	v_cmp_eq_u16_e32 vcc, 0, v3
	v_cndmask_b32_e32 v2, v2, v12, vcc
	v_cndmask_b32_e32 v3, v6, v7, vcc
	v_lshlrev_b32_e32 v6, 8, v8
	v_mov_b32_e32 v7, 0x3b800000
	v_lshlrev_b32_e32 v2, 20, v2
	v_and_b32_e32 v6, 0x80000000, v6
	v_lshl_add_u32 v3, v3, 23, v7
	v_or3_b32 v2, v6, v3, v2
.LBB11_852:
	s_or_b64 exec, exec, s[6:7]
	s_movk_i32 s4, 0xff
	v_and_b32_sdwa v3, v4, s4 dst_sel:DWORD dst_unused:UNUSED_PAD src0_sel:WORD_1 src1_sel:DWORD
	s_movk_i32 s4, 0x7f
	v_cmp_lt_i16_e32 vcc, s4, v3
	s_mov_b64 s[4:5], 0
                                        ; implicit-def: $sgpr10
	s_and_saveexec_b64 s[6:7], vcc
	s_xor_b64 s[6:7], exec, s[6:7]
	s_cbranch_execnz .LBB11_2901
; %bb.853:
	s_or_saveexec_b64 s[6:7], s[6:7]
	v_mov_b32_e32 v6, s10
	s_xor_b64 exec, exec, s[6:7]
	s_cbranch_execnz .LBB11_2904
.LBB11_854:
	s_or_b64 exec, exec, s[6:7]
	s_and_saveexec_b64 s[6:7], s[4:5]
	s_cbranch_execz .LBB11_856
.LBB11_855:
	v_bfe_u32 v3, v4, 16, 3
	v_ffbh_u32_e32 v12, v3
	v_min_u32_e32 v12, 32, v12
	v_lshrrev_b32_e32 v6, 19, v4
	v_subrev_u32_e32 v13, 28, v12
	v_and_b32_e32 v6, 15, v6
	v_lshlrev_b32_sdwa v13, v13, v4 dst_sel:DWORD dst_unused:UNUSED_PAD src0_sel:DWORD src1_sel:WORD_1
	v_bfe_u32 v7, v4, 19, 4
	v_sub_u32_e32 v12, 29, v12
	v_and_b32_e32 v13, 7, v13
	v_cmp_eq_u16_e32 vcc, 0, v6
	v_cndmask_b32_e32 v3, v3, v13, vcc
	v_cndmask_b32_e32 v6, v7, v12, vcc
	v_lshlrev_b32_e32 v7, 8, v4
	v_mov_b32_e32 v12, 0x3b800000
	v_lshlrev_b32_e32 v3, 20, v3
	v_and_b32_e32 v7, 0x80000000, v7
	v_lshl_add_u32 v6, v6, 23, v12
	v_or3_b32 v6, v7, v6, v3
.LBB11_856:
	s_or_b64 exec, exec, s[6:7]
	s_nop 0
	v_mfma_f32_16x16x4f32 a[0:3], v2, v6, a[0:3]
	s_movk_i32 s4, 0x7f
	v_cmp_gt_i16_sdwa s[6:7], v8, s4 src0_sel:BYTE_3 src1_sel:DWORD
	s_mov_b64 s[4:5], 0
                                        ; implicit-def: $sgpr10
	s_and_saveexec_b64 s[8:9], s[6:7]
	s_xor_b64 s[6:7], exec, s[8:9]
	s_cbranch_execnz .LBB11_2905
; %bb.857:
	s_or_saveexec_b64 s[6:7], s[6:7]
	v_mov_b32_e32 v2, s10
	s_xor_b64 exec, exec, s[6:7]
	s_cbranch_execnz .LBB11_2908
.LBB11_858:
	s_or_b64 exec, exec, s[6:7]
	s_and_saveexec_b64 s[6:7], s[4:5]
	s_cbranch_execz .LBB11_860
.LBB11_859:
	v_bfe_u32 v2, v8, 24, 3
	v_ffbh_u32_e32 v12, v2
	v_min_u32_e32 v12, 32, v12
	v_lshrrev_b32_e32 v6, 27, v8
	v_subrev_u32_e32 v13, 28, v12
	v_and_b32_e32 v3, 0x80000000, v8
	v_and_b32_e32 v6, 15, v6
	v_bfe_u32 v7, v8, 27, 4
	v_lshlrev_b32_sdwa v8, v13, v8 dst_sel:DWORD dst_unused:UNUSED_PAD src0_sel:DWORD src1_sel:BYTE_3
	v_sub_u32_e32 v12, 29, v12
	v_and_b32_e32 v8, 7, v8
	v_cmp_eq_u16_e32 vcc, 0, v6
	v_cndmask_b32_e32 v2, v2, v8, vcc
	v_cndmask_b32_e32 v6, v7, v12, vcc
	v_mov_b32_e32 v7, 0x3b800000
	v_lshlrev_b32_e32 v2, 20, v2
	v_lshl_add_u32 v6, v6, 23, v7
	v_or3_b32 v2, v3, v6, v2
.LBB11_860:
	s_or_b64 exec, exec, s[6:7]
	s_movk_i32 s4, 0x7f
	v_cmp_gt_i16_sdwa s[6:7], v4, s4 src0_sel:BYTE_3 src1_sel:DWORD
	s_mov_b64 s[4:5], 0
                                        ; implicit-def: $sgpr10
	s_and_saveexec_b64 s[8:9], s[6:7]
	s_xor_b64 s[6:7], exec, s[8:9]
	s_cbranch_execnz .LBB11_2909
; %bb.861:
	s_or_saveexec_b64 s[6:7], s[6:7]
	v_mov_b32_e32 v3, s10
	s_xor_b64 exec, exec, s[6:7]
	s_cbranch_execnz .LBB11_2912
.LBB11_862:
	s_or_b64 exec, exec, s[6:7]
	s_and_saveexec_b64 s[6:7], s[4:5]
	s_cbranch_execz .LBB11_864
.LBB11_863:
	v_bfe_u32 v3, v4, 24, 3
	v_ffbh_u32_e32 v12, v3
	v_min_u32_e32 v12, 32, v12
	v_lshrrev_b32_e32 v7, 27, v4
	v_subrev_u32_e32 v13, 28, v12
	v_and_b32_e32 v6, 0x80000000, v4
	v_and_b32_e32 v7, 15, v7
	v_bfe_u32 v8, v4, 27, 4
	v_lshlrev_b32_sdwa v4, v13, v4 dst_sel:DWORD dst_unused:UNUSED_PAD src0_sel:DWORD src1_sel:BYTE_3
	v_sub_u32_e32 v12, 29, v12
	v_and_b32_e32 v4, 7, v4
	v_cmp_eq_u16_e32 vcc, 0, v7
	v_cndmask_b32_e32 v3, v3, v4, vcc
	v_cndmask_b32_e32 v4, v8, v12, vcc
	v_mov_b32_e32 v7, 0x3b800000
	v_lshlrev_b32_e32 v3, 20, v3
	v_lshl_add_u32 v4, v4, 23, v7
	v_or3_b32 v3, v6, v4, v3
.LBB11_864:
	s_or_b64 exec, exec, s[6:7]
	s_nop 0
	v_mfma_f32_16x16x4f32 a[0:3], v2, v3, a[0:3]
	s_movk_i32 s4, 0x7f
	v_cmp_gt_i16_sdwa s[6:7], v9, s4 src0_sel:BYTE_0 src1_sel:DWORD
	s_mov_b64 s[4:5], 0
                                        ; implicit-def: $sgpr10
	s_and_saveexec_b64 s[8:9], s[6:7]
	s_xor_b64 s[6:7], exec, s[8:9]
	s_cbranch_execnz .LBB11_2913
; %bb.865:
	s_or_saveexec_b64 s[6:7], s[6:7]
	v_mov_b32_e32 v2, s10
	s_xor_b64 exec, exec, s[6:7]
	s_cbranch_execnz .LBB11_2916
.LBB11_866:
	s_or_b64 exec, exec, s[6:7]
	s_and_saveexec_b64 s[6:7], s[4:5]
	s_cbranch_execz .LBB11_868
.LBB11_867:
	v_mov_b32_e32 v2, 8
	v_and_b32_e32 v3, 7, v9
	v_lshrrev_b32_sdwa v2, v2, v9 dst_sel:BYTE_1 dst_unused:UNUSED_PAD src0_sel:DWORD src1_sel:DWORD
	v_ffbh_u32_e32 v4, v3
	v_or_b32_sdwa v2, v9, v2 dst_sel:DWORD dst_unused:UNUSED_PAD src0_sel:BYTE_0 src1_sel:DWORD
	v_min_u32_e32 v4, 32, v4
	v_lshrrev_b16_e32 v2, 3, v2
	v_subrev_u32_e32 v6, 28, v4
	v_and_b32_e32 v2, 15, v2
	v_lshlrev_b32_e32 v6, v6, v9
	v_sub_u32_e32 v4, 29, v4
	v_and_b32_e32 v6, 7, v6
	v_cmp_eq_u16_e32 vcc, 0, v2
	v_cndmask_b32_e32 v3, v3, v6, vcc
	v_cndmask_b32_e32 v2, v2, v4, vcc
	v_lshlrev_b32_e32 v4, 24, v9
	v_mov_b32_e32 v6, 0x3b800000
	v_lshlrev_b32_e32 v3, 20, v3
	v_and_b32_e32 v4, 0x80000000, v4
	v_lshl_add_u32 v2, v2, 23, v6
	v_or3_b32 v2, v4, v2, v3
.LBB11_868:
	s_or_b64 exec, exec, s[6:7]
	s_movk_i32 s4, 0x7f
	v_cmp_gt_i16_sdwa s[6:7], v5, s4 src0_sel:BYTE_0 src1_sel:DWORD
	s_mov_b64 s[4:5], 0
                                        ; implicit-def: $sgpr10
	s_and_saveexec_b64 s[8:9], s[6:7]
	s_xor_b64 s[6:7], exec, s[8:9]
	s_cbranch_execnz .LBB11_2917
; %bb.869:
	s_or_saveexec_b64 s[6:7], s[6:7]
	v_mov_b32_e32 v3, s10
	s_xor_b64 exec, exec, s[6:7]
	s_cbranch_execnz .LBB11_2920
.LBB11_870:
	s_or_b64 exec, exec, s[6:7]
	s_and_saveexec_b64 s[6:7], s[4:5]
	s_cbranch_execz .LBB11_872
.LBB11_871:
	v_mov_b32_e32 v3, 8
	v_and_b32_e32 v4, 7, v5
	v_lshrrev_b32_sdwa v3, v3, v5 dst_sel:BYTE_1 dst_unused:UNUSED_PAD src0_sel:DWORD src1_sel:DWORD
	v_ffbh_u32_e32 v6, v4
	v_or_b32_sdwa v3, v5, v3 dst_sel:DWORD dst_unused:UNUSED_PAD src0_sel:BYTE_0 src1_sel:DWORD
	v_min_u32_e32 v6, 32, v6
	v_lshrrev_b16_e32 v3, 3, v3
	v_subrev_u32_e32 v7, 28, v6
	v_and_b32_e32 v3, 15, v3
	v_lshlrev_b32_e32 v7, v7, v5
	v_sub_u32_e32 v6, 29, v6
	v_and_b32_e32 v7, 7, v7
	v_cmp_eq_u16_e32 vcc, 0, v3
	v_cndmask_b32_e32 v4, v4, v7, vcc
	v_cndmask_b32_e32 v3, v3, v6, vcc
	v_lshlrev_b32_e32 v6, 24, v5
	v_mov_b32_e32 v7, 0x3b800000
	v_lshlrev_b32_e32 v4, 20, v4
	v_and_b32_e32 v6, 0x80000000, v6
	v_lshl_add_u32 v3, v3, 23, v7
	v_or3_b32 v3, v6, v3, v4
.LBB11_872:
	s_or_b64 exec, exec, s[6:7]
	s_nop 0
	v_mfma_f32_16x16x4f32 a[0:3], v2, v3, a[0:3]
	v_lshrrev_b32_e32 v3, 8, v9
	s_movk_i32 s4, 0x7f
	v_cmp_gt_i16_sdwa s[6:7], v3, s4 src0_sel:BYTE_0 src1_sel:DWORD
	s_mov_b64 s[4:5], 0
                                        ; implicit-def: $sgpr10
	s_and_saveexec_b64 s[8:9], s[6:7]
	s_xor_b64 s[6:7], exec, s[8:9]
	s_cbranch_execnz .LBB11_2921
; %bb.873:
	s_or_saveexec_b64 s[6:7], s[6:7]
	v_mov_b32_e32 v2, s10
	s_xor_b64 exec, exec, s[6:7]
	s_cbranch_execnz .LBB11_2924
.LBB11_874:
	s_or_b64 exec, exec, s[6:7]
	s_and_saveexec_b64 s[6:7], s[4:5]
	s_cbranch_execz .LBB11_876
.LBB11_875:
	v_bfe_u32 v2, v9, 8, 3
	v_ffbh_u32_e32 v6, v2
	v_min_u32_e32 v6, 32, v6
	v_lshrrev_b16_e32 v4, 3, v3
	v_subrev_u32_e32 v7, 28, v6
	v_and_b32_e32 v4, 15, v4
	v_lshlrev_b32_e32 v3, v7, v3
	v_sub_u32_e32 v6, 29, v6
	v_and_b32_e32 v3, 7, v3
	v_cmp_eq_u16_e32 vcc, 0, v4
	v_cndmask_b32_e32 v2, v2, v3, vcc
	v_cndmask_b32_e32 v3, v4, v6, vcc
	v_lshlrev_b32_e32 v4, 16, v9
	v_mov_b32_e32 v6, 0x3b800000
	v_lshlrev_b32_e32 v2, 20, v2
	v_and_b32_e32 v4, 0x80000000, v4
	v_lshl_add_u32 v3, v3, 23, v6
	v_or3_b32 v2, v4, v3, v2
.LBB11_876:
	s_or_b64 exec, exec, s[6:7]
	v_lshrrev_b32_e32 v3, 8, v5
	s_movk_i32 s4, 0x7f
	v_cmp_gt_i16_sdwa s[6:7], v3, s4 src0_sel:BYTE_0 src1_sel:DWORD
	s_mov_b64 s[4:5], 0
                                        ; implicit-def: $sgpr10
	s_and_saveexec_b64 s[8:9], s[6:7]
	s_xor_b64 s[6:7], exec, s[8:9]
	s_cbranch_execnz .LBB11_2925
; %bb.877:
	s_or_saveexec_b64 s[6:7], s[6:7]
	v_mov_b32_e32 v4, s10
	s_xor_b64 exec, exec, s[6:7]
	s_cbranch_execnz .LBB11_2928
.LBB11_878:
	s_or_b64 exec, exec, s[6:7]
	s_and_saveexec_b64 s[6:7], s[4:5]
	s_cbranch_execz .LBB11_880
.LBB11_879:
	v_bfe_u32 v4, v5, 8, 3
	v_ffbh_u32_e32 v7, v4
	v_min_u32_e32 v7, 32, v7
	v_lshrrev_b16_e32 v6, 3, v3
	v_subrev_u32_e32 v8, 28, v7
	v_and_b32_e32 v6, 15, v6
	v_lshlrev_b32_e32 v3, v8, v3
	v_sub_u32_e32 v7, 29, v7
	v_and_b32_e32 v3, 7, v3
	v_cmp_eq_u16_e32 vcc, 0, v6
	v_cndmask_b32_e32 v3, v4, v3, vcc
	v_cndmask_b32_e32 v4, v6, v7, vcc
	v_lshlrev_b32_e32 v6, 16, v5
	v_mov_b32_e32 v7, 0x3b800000
	v_lshlrev_b32_e32 v3, 20, v3
	v_and_b32_e32 v6, 0x80000000, v6
	v_lshl_add_u32 v4, v4, 23, v7
	v_or3_b32 v4, v6, v4, v3
.LBB11_880:
	s_or_b64 exec, exec, s[6:7]
	s_nop 0
	v_mfma_f32_16x16x4f32 a[0:3], v2, v4, a[0:3]
	s_movk_i32 s4, 0xff
	v_and_b32_sdwa v3, v9, s4 dst_sel:DWORD dst_unused:UNUSED_PAD src0_sel:WORD_1 src1_sel:DWORD
	s_movk_i32 s4, 0x7f
	v_cmp_lt_i16_e32 vcc, s4, v3
	s_mov_b64 s[4:5], 0
                                        ; implicit-def: $sgpr10
	s_and_saveexec_b64 s[6:7], vcc
	s_xor_b64 s[6:7], exec, s[6:7]
	s_cbranch_execnz .LBB11_2929
; %bb.881:
	s_or_saveexec_b64 s[6:7], s[6:7]
	v_mov_b32_e32 v2, s10
	s_xor_b64 exec, exec, s[6:7]
	s_cbranch_execnz .LBB11_2932
.LBB11_882:
	s_or_b64 exec, exec, s[6:7]
	s_and_saveexec_b64 s[6:7], s[4:5]
	s_cbranch_execz .LBB11_884
.LBB11_883:
	v_bfe_u32 v2, v9, 16, 3
	v_ffbh_u32_e32 v6, v2
	v_min_u32_e32 v6, 32, v6
	v_lshrrev_b32_e32 v3, 19, v9
	v_subrev_u32_e32 v7, 28, v6
	v_and_b32_e32 v3, 15, v3
	v_lshlrev_b32_sdwa v7, v7, v9 dst_sel:DWORD dst_unused:UNUSED_PAD src0_sel:DWORD src1_sel:WORD_1
	v_bfe_u32 v4, v9, 19, 4
	v_sub_u32_e32 v6, 29, v6
	v_and_b32_e32 v7, 7, v7
	v_cmp_eq_u16_e32 vcc, 0, v3
	v_cndmask_b32_e32 v2, v2, v7, vcc
	v_cndmask_b32_e32 v3, v4, v6, vcc
	v_lshlrev_b32_e32 v4, 8, v9
	v_mov_b32_e32 v6, 0x3b800000
	v_lshlrev_b32_e32 v2, 20, v2
	v_and_b32_e32 v4, 0x80000000, v4
	v_lshl_add_u32 v3, v3, 23, v6
	v_or3_b32 v2, v4, v3, v2
.LBB11_884:
	s_or_b64 exec, exec, s[6:7]
	s_movk_i32 s4, 0xff
	v_and_b32_sdwa v3, v5, s4 dst_sel:DWORD dst_unused:UNUSED_PAD src0_sel:WORD_1 src1_sel:DWORD
	s_movk_i32 s4, 0x7f
	v_cmp_lt_i16_e32 vcc, s4, v3
	s_mov_b64 s[4:5], 0
                                        ; implicit-def: $sgpr10
	s_and_saveexec_b64 s[6:7], vcc
	s_xor_b64 s[6:7], exec, s[6:7]
	s_cbranch_execnz .LBB11_2933
; %bb.885:
	s_or_saveexec_b64 s[6:7], s[6:7]
	v_mov_b32_e32 v4, s10
	s_xor_b64 exec, exec, s[6:7]
	s_cbranch_execnz .LBB11_2936
.LBB11_886:
	s_or_b64 exec, exec, s[6:7]
	s_and_saveexec_b64 s[6:7], s[4:5]
	s_cbranch_execz .LBB11_888
.LBB11_887:
	v_bfe_u32 v3, v5, 16, 3
	v_ffbh_u32_e32 v7, v3
	v_min_u32_e32 v7, 32, v7
	v_lshrrev_b32_e32 v4, 19, v5
	v_subrev_u32_e32 v8, 28, v7
	v_and_b32_e32 v4, 15, v4
	v_lshlrev_b32_sdwa v8, v8, v5 dst_sel:DWORD dst_unused:UNUSED_PAD src0_sel:DWORD src1_sel:WORD_1
	v_bfe_u32 v6, v5, 19, 4
	v_sub_u32_e32 v7, 29, v7
	v_and_b32_e32 v8, 7, v8
	v_cmp_eq_u16_e32 vcc, 0, v4
	v_cndmask_b32_e32 v3, v3, v8, vcc
	v_cndmask_b32_e32 v4, v6, v7, vcc
	v_lshlrev_b32_e32 v6, 8, v5
	v_mov_b32_e32 v7, 0x3b800000
	v_lshlrev_b32_e32 v3, 20, v3
	v_and_b32_e32 v6, 0x80000000, v6
	v_lshl_add_u32 v4, v4, 23, v7
	v_or3_b32 v4, v6, v4, v3
.LBB11_888:
	s_or_b64 exec, exec, s[6:7]
	s_nop 0
	v_mfma_f32_16x16x4f32 a[0:3], v2, v4, a[0:3]
	s_movk_i32 s4, 0x7f
	v_cmp_gt_i16_sdwa s[6:7], v9, s4 src0_sel:BYTE_3 src1_sel:DWORD
	s_mov_b64 s[4:5], 0
                                        ; implicit-def: $sgpr10
	s_and_saveexec_b64 s[8:9], s[6:7]
	s_xor_b64 s[6:7], exec, s[8:9]
	s_cbranch_execnz .LBB11_2937
; %bb.889:
	s_or_saveexec_b64 s[6:7], s[6:7]
	v_mov_b32_e32 v2, s10
	s_xor_b64 exec, exec, s[6:7]
	s_cbranch_execnz .LBB11_2940
.LBB11_890:
	s_or_b64 exec, exec, s[6:7]
	s_and_saveexec_b64 s[6:7], s[4:5]
	s_cbranch_execz .LBB11_892
.LBB11_891:
	v_bfe_u32 v2, v9, 24, 3
	v_ffbh_u32_e32 v7, v2
	v_min_u32_e32 v7, 32, v7
	v_lshrrev_b32_e32 v4, 27, v9
	v_subrev_u32_e32 v8, 28, v7
	v_and_b32_e32 v4, 15, v4
	v_lshlrev_b32_sdwa v8, v8, v9 dst_sel:DWORD dst_unused:UNUSED_PAD src0_sel:DWORD src1_sel:BYTE_3
	v_bfe_u32 v6, v9, 27, 4
	v_sub_u32_e32 v7, 29, v7
	v_and_b32_e32 v8, 7, v8
	v_cmp_eq_u16_e32 vcc, 0, v4
	v_cndmask_b32_e32 v2, v2, v8, vcc
	v_cndmask_b32_e32 v4, v6, v7, vcc
	v_mov_b32_e32 v6, 0x3b800000
	v_and_b32_e32 v3, 0x80000000, v9
	v_lshlrev_b32_e32 v2, 20, v2
	v_lshl_add_u32 v4, v4, 23, v6
	v_or3_b32 v2, v3, v4, v2
.LBB11_892:
	s_or_b64 exec, exec, s[6:7]
	s_movk_i32 s4, 0x7f
	v_cmp_gt_i16_sdwa s[6:7], v5, s4 src0_sel:BYTE_3 src1_sel:DWORD
	s_mov_b64 s[4:5], 0
                                        ; implicit-def: $sgpr10
	s_and_saveexec_b64 s[8:9], s[6:7]
	s_xor_b64 s[6:7], exec, s[8:9]
	s_cbranch_execnz .LBB11_2941
; %bb.893:
	s_or_saveexec_b64 s[6:7], s[6:7]
	v_mov_b32_e32 v3, s10
	s_xor_b64 exec, exec, s[6:7]
	s_cbranch_execnz .LBB11_2944
.LBB11_894:
	s_or_b64 exec, exec, s[6:7]
	s_and_saveexec_b64 s[6:7], s[4:5]
	s_cbranch_execz .LBB11_896
.LBB11_895:
	v_bfe_u32 v3, v5, 24, 3
	v_ffbh_u32_e32 v8, v3
	v_min_u32_e32 v8, 32, v8
	v_lshrrev_b32_e32 v6, 27, v5
	v_subrev_u32_e32 v9, 28, v8
	v_and_b32_e32 v4, 0x80000000, v5
	v_and_b32_e32 v6, 15, v6
	v_bfe_u32 v7, v5, 27, 4
	v_lshlrev_b32_sdwa v5, v9, v5 dst_sel:DWORD dst_unused:UNUSED_PAD src0_sel:DWORD src1_sel:BYTE_3
	v_sub_u32_e32 v8, 29, v8
	v_and_b32_e32 v5, 7, v5
	v_cmp_eq_u16_e32 vcc, 0, v6
	v_cndmask_b32_e32 v3, v3, v5, vcc
	v_cndmask_b32_e32 v5, v7, v8, vcc
	v_mov_b32_e32 v6, 0x3b800000
	v_lshlrev_b32_e32 v3, 20, v3
	v_lshl_add_u32 v5, v5, 23, v6
	v_or3_b32 v3, v4, v5, v3
.LBB11_896:
	s_or_b64 exec, exec, s[6:7]
	s_nop 0
	v_mfma_f32_16x16x4f32 a[0:3], v2, v3, a[0:3]
	s_movk_i32 s4, 0x7f
                                        ; implicit-def: $sgpr10
	s_nop 7
	s_nop 1
	flat_store_dwordx4 v[10:11], a[0:3] offset:96
	flat_load_dwordx4 v[12:15], v[0:1] offset:8
	s_nop 0
	flat_load_dwordx2 v[10:11], v[0:1] offset:32
	s_waitcnt vmcnt(0) lgkmcnt(0)
	flat_load_dwordx4 v[6:9], v[12:13] offset:48
	flat_load_dwordx4 v[2:5], v[14:15] offset:112
	s_waitcnt vmcnt(0) lgkmcnt(0)
	v_cmp_gt_i16_sdwa s[6:7], v6, s4 src0_sel:BYTE_0 src1_sel:DWORD
	s_mov_b64 s[4:5], 0
	s_and_saveexec_b64 s[8:9], s[6:7]
	s_xor_b64 s[6:7], exec, s[8:9]
	s_cbranch_execnz .LBB11_2945
; %bb.897:
	s_or_saveexec_b64 s[6:7], s[6:7]
	v_mov_b32_e32 v12, s10
	s_xor_b64 exec, exec, s[6:7]
	s_cbranch_execnz .LBB11_2948
.LBB11_898:
	s_or_b64 exec, exec, s[6:7]
	s_and_saveexec_b64 s[6:7], s[4:5]
	s_cbranch_execz .LBB11_900
.LBB11_899:
	v_and_b32_e32 v12, 7, v6
	v_ffbh_u32_e32 v14, v12
	v_min_u32_e32 v14, 32, v14
	v_lshrrev_b16_e32 v13, 3, v6
	v_subrev_u32_e32 v15, 28, v14
	v_and_b32_e32 v13, 15, v13
	v_lshlrev_b32_e32 v15, v15, v6
	v_sub_u32_e32 v14, 29, v14
	v_and_b32_e32 v15, 7, v15
	v_cmp_eq_u16_e32 vcc, 0, v13
	v_cndmask_b32_e32 v12, v12, v15, vcc
	v_cndmask_b32_e32 v13, v13, v14, vcc
	v_lshlrev_b32_e32 v14, 24, v6
	v_mov_b32_e32 v15, 0x3b800000
	v_lshlrev_b32_e32 v12, 20, v12
	v_and_b32_e32 v14, 0x80000000, v14
	v_lshl_add_u32 v13, v13, 23, v15
	v_or3_b32 v12, v14, v13, v12
.LBB11_900:
	s_or_b64 exec, exec, s[6:7]
	s_movk_i32 s4, 0x7f
	v_cmp_gt_i16_sdwa s[6:7], v2, s4 src0_sel:BYTE_0 src1_sel:DWORD
	s_mov_b64 s[4:5], 0
                                        ; implicit-def: $sgpr10
	s_and_saveexec_b64 s[8:9], s[6:7]
	s_xor_b64 s[6:7], exec, s[8:9]
	s_cbranch_execnz .LBB11_2949
; %bb.901:
	s_or_saveexec_b64 s[6:7], s[6:7]
	v_mov_b32_e32 v13, s10
	s_xor_b64 exec, exec, s[6:7]
	s_cbranch_execnz .LBB11_2952
.LBB11_902:
	s_or_b64 exec, exec, s[6:7]
	s_and_saveexec_b64 s[6:7], s[4:5]
	s_cbranch_execz .LBB11_904
.LBB11_903:
	v_and_b32_e32 v13, 7, v2
	v_ffbh_u32_e32 v15, v13
	v_min_u32_e32 v15, 32, v15
	v_lshrrev_b16_e32 v14, 3, v2
	v_subrev_u32_e32 v16, 28, v15
	v_and_b32_e32 v14, 15, v14
	v_lshlrev_b32_e32 v16, v16, v2
	v_sub_u32_e32 v15, 29, v15
	v_and_b32_e32 v16, 7, v16
	v_cmp_eq_u16_e32 vcc, 0, v14
	v_cndmask_b32_e32 v13, v13, v16, vcc
	v_cndmask_b32_e32 v14, v14, v15, vcc
	v_lshlrev_b32_e32 v15, 24, v2
	v_mov_b32_e32 v16, 0x3b800000
	v_lshlrev_b32_e32 v13, 20, v13
	v_and_b32_e32 v15, 0x80000000, v15
	v_lshl_add_u32 v14, v14, 23, v16
	v_or3_b32 v13, v15, v14, v13
.LBB11_904:
	s_or_b64 exec, exec, s[6:7]
	flat_load_dwordx4 a[0:3], v[10:11] offset:112
	s_movk_i32 s4, 0x7f
                                        ; implicit-def: $sgpr10
	s_waitcnt vmcnt(0) lgkmcnt(0)
	v_mfma_f32_16x16x4f32 a[0:3], v12, v13, a[0:3]
	v_lshrrev_b32_e32 v13, 8, v6
	v_cmp_gt_i16_sdwa s[6:7], v13, s4 src0_sel:BYTE_0 src1_sel:DWORD
	s_mov_b64 s[4:5], 0
	s_and_saveexec_b64 s[8:9], s[6:7]
	s_xor_b64 s[6:7], exec, s[8:9]
	s_cbranch_execnz .LBB11_2953
; %bb.905:
	s_or_saveexec_b64 s[6:7], s[6:7]
	v_mov_b32_e32 v12, s10
	s_xor_b64 exec, exec, s[6:7]
	s_cbranch_execnz .LBB11_2956
.LBB11_906:
	s_or_b64 exec, exec, s[6:7]
	s_and_saveexec_b64 s[6:7], s[4:5]
	s_cbranch_execz .LBB11_908
.LBB11_907:
	v_bfe_u32 v12, v6, 8, 3
	v_ffbh_u32_e32 v15, v12
	v_min_u32_e32 v15, 32, v15
	v_lshrrev_b16_e32 v14, 3, v13
	v_subrev_u32_e32 v16, 28, v15
	v_and_b32_e32 v14, 15, v14
	v_lshlrev_b32_e32 v13, v16, v13
	v_sub_u32_e32 v15, 29, v15
	v_and_b32_e32 v13, 7, v13
	v_cmp_eq_u16_e32 vcc, 0, v14
	v_cndmask_b32_e32 v12, v12, v13, vcc
	v_cndmask_b32_e32 v13, v14, v15, vcc
	v_lshlrev_b32_e32 v14, 16, v6
	v_mov_b32_e32 v15, 0x3b800000
	v_lshlrev_b32_e32 v12, 20, v12
	v_and_b32_e32 v14, 0x80000000, v14
	v_lshl_add_u32 v13, v13, 23, v15
	v_or3_b32 v12, v14, v13, v12
.LBB11_908:
	s_or_b64 exec, exec, s[6:7]
	v_lshrrev_b32_e32 v13, 8, v2
	s_movk_i32 s4, 0x7f
	v_cmp_gt_i16_sdwa s[6:7], v13, s4 src0_sel:BYTE_0 src1_sel:DWORD
	s_mov_b64 s[4:5], 0
                                        ; implicit-def: $sgpr10
	s_and_saveexec_b64 s[8:9], s[6:7]
	s_xor_b64 s[6:7], exec, s[8:9]
	s_cbranch_execnz .LBB11_2957
; %bb.909:
	s_or_saveexec_b64 s[6:7], s[6:7]
	v_mov_b32_e32 v14, s10
	s_xor_b64 exec, exec, s[6:7]
	s_cbranch_execnz .LBB11_2960
.LBB11_910:
	s_or_b64 exec, exec, s[6:7]
	s_and_saveexec_b64 s[6:7], s[4:5]
	s_cbranch_execz .LBB11_912
.LBB11_911:
	v_bfe_u32 v14, v2, 8, 3
	v_ffbh_u32_e32 v16, v14
	v_min_u32_e32 v16, 32, v16
	v_lshrrev_b16_e32 v15, 3, v13
	v_subrev_u32_e32 v17, 28, v16
	v_and_b32_e32 v15, 15, v15
	v_lshlrev_b32_e32 v13, v17, v13
	v_sub_u32_e32 v16, 29, v16
	v_and_b32_e32 v13, 7, v13
	v_cmp_eq_u16_e32 vcc, 0, v15
	v_cndmask_b32_e32 v13, v14, v13, vcc
	v_cndmask_b32_e32 v14, v15, v16, vcc
	v_lshlrev_b32_e32 v15, 16, v2
	v_mov_b32_e32 v16, 0x3b800000
	v_lshlrev_b32_e32 v13, 20, v13
	v_and_b32_e32 v15, 0x80000000, v15
	v_lshl_add_u32 v14, v14, 23, v16
	v_or3_b32 v14, v15, v14, v13
.LBB11_912:
	s_or_b64 exec, exec, s[6:7]
	s_nop 0
	v_mfma_f32_16x16x4f32 a[0:3], v12, v14, a[0:3]
	s_movk_i32 s4, 0xff
	v_and_b32_sdwa v13, v6, s4 dst_sel:DWORD dst_unused:UNUSED_PAD src0_sel:WORD_1 src1_sel:DWORD
	s_movk_i32 s4, 0x7f
	v_cmp_lt_i16_e32 vcc, s4, v13
	s_mov_b64 s[4:5], 0
                                        ; implicit-def: $sgpr10
	s_and_saveexec_b64 s[6:7], vcc
	s_xor_b64 s[6:7], exec, s[6:7]
	s_cbranch_execnz .LBB11_2961
; %bb.913:
	s_or_saveexec_b64 s[6:7], s[6:7]
	v_mov_b32_e32 v12, s10
	s_xor_b64 exec, exec, s[6:7]
	s_cbranch_execnz .LBB11_2964
.LBB11_914:
	s_or_b64 exec, exec, s[6:7]
	s_and_saveexec_b64 s[6:7], s[4:5]
	s_cbranch_execz .LBB11_916
.LBB11_915:
	v_bfe_u32 v12, v6, 16, 3
	v_ffbh_u32_e32 v15, v12
	v_min_u32_e32 v15, 32, v15
	v_lshrrev_b32_e32 v13, 19, v6
	v_subrev_u32_e32 v16, 28, v15
	v_and_b32_e32 v13, 15, v13
	v_lshlrev_b32_sdwa v16, v16, v6 dst_sel:DWORD dst_unused:UNUSED_PAD src0_sel:DWORD src1_sel:WORD_1
	v_bfe_u32 v14, v6, 19, 4
	v_sub_u32_e32 v15, 29, v15
	v_and_b32_e32 v16, 7, v16
	v_cmp_eq_u16_e32 vcc, 0, v13
	v_cndmask_b32_e32 v12, v12, v16, vcc
	v_cndmask_b32_e32 v13, v14, v15, vcc
	v_lshlrev_b32_e32 v14, 8, v6
	v_mov_b32_e32 v15, 0x3b800000
	v_lshlrev_b32_e32 v12, 20, v12
	v_and_b32_e32 v14, 0x80000000, v14
	v_lshl_add_u32 v13, v13, 23, v15
	v_or3_b32 v12, v14, v13, v12
.LBB11_916:
	s_or_b64 exec, exec, s[6:7]
	s_movk_i32 s4, 0xff
	v_and_b32_sdwa v13, v2, s4 dst_sel:DWORD dst_unused:UNUSED_PAD src0_sel:WORD_1 src1_sel:DWORD
	s_movk_i32 s4, 0x7f
	v_cmp_lt_i16_e32 vcc, s4, v13
	s_mov_b64 s[4:5], 0
                                        ; implicit-def: $sgpr10
	s_and_saveexec_b64 s[6:7], vcc
	s_xor_b64 s[6:7], exec, s[6:7]
	s_cbranch_execnz .LBB11_2965
; %bb.917:
	s_or_saveexec_b64 s[6:7], s[6:7]
	v_mov_b32_e32 v14, s10
	s_xor_b64 exec, exec, s[6:7]
	s_cbranch_execnz .LBB11_2968
.LBB11_918:
	s_or_b64 exec, exec, s[6:7]
	s_and_saveexec_b64 s[6:7], s[4:5]
	s_cbranch_execz .LBB11_920
.LBB11_919:
	v_bfe_u32 v13, v2, 16, 3
	v_ffbh_u32_e32 v16, v13
	v_min_u32_e32 v16, 32, v16
	v_lshrrev_b32_e32 v14, 19, v2
	v_subrev_u32_e32 v17, 28, v16
	v_and_b32_e32 v14, 15, v14
	v_lshlrev_b32_sdwa v17, v17, v2 dst_sel:DWORD dst_unused:UNUSED_PAD src0_sel:DWORD src1_sel:WORD_1
	v_bfe_u32 v15, v2, 19, 4
	v_sub_u32_e32 v16, 29, v16
	v_and_b32_e32 v17, 7, v17
	v_cmp_eq_u16_e32 vcc, 0, v14
	v_cndmask_b32_e32 v13, v13, v17, vcc
	v_cndmask_b32_e32 v14, v15, v16, vcc
	v_lshlrev_b32_e32 v15, 8, v2
	v_mov_b32_e32 v16, 0x3b800000
	v_lshlrev_b32_e32 v13, 20, v13
	v_and_b32_e32 v15, 0x80000000, v15
	v_lshl_add_u32 v14, v14, 23, v16
	v_or3_b32 v14, v15, v14, v13
.LBB11_920:
	s_or_b64 exec, exec, s[6:7]
	s_nop 0
	v_mfma_f32_16x16x4f32 a[0:3], v12, v14, a[0:3]
	s_movk_i32 s4, 0x7f
	v_cmp_gt_i16_sdwa s[6:7], v6, s4 src0_sel:BYTE_3 src1_sel:DWORD
	s_mov_b64 s[4:5], 0
                                        ; implicit-def: $sgpr10
	s_and_saveexec_b64 s[8:9], s[6:7]
	s_xor_b64 s[6:7], exec, s[8:9]
	s_cbranch_execnz .LBB11_2969
; %bb.921:
	s_or_saveexec_b64 s[6:7], s[6:7]
	v_mov_b32_e32 v12, s10
	s_xor_b64 exec, exec, s[6:7]
	s_cbranch_execnz .LBB11_2972
.LBB11_922:
	s_or_b64 exec, exec, s[6:7]
	s_and_saveexec_b64 s[6:7], s[4:5]
	s_cbranch_execz .LBB11_924
.LBB11_923:
	v_bfe_u32 v12, v6, 24, 3
	v_ffbh_u32_e32 v16, v12
	v_min_u32_e32 v16, 32, v16
	v_lshrrev_b32_e32 v14, 27, v6
	v_subrev_u32_e32 v17, 28, v16
	v_and_b32_e32 v13, 0x80000000, v6
	v_and_b32_e32 v14, 15, v14
	v_bfe_u32 v15, v6, 27, 4
	v_lshlrev_b32_sdwa v6, v17, v6 dst_sel:DWORD dst_unused:UNUSED_PAD src0_sel:DWORD src1_sel:BYTE_3
	v_sub_u32_e32 v16, 29, v16
	v_and_b32_e32 v6, 7, v6
	v_cmp_eq_u16_e32 vcc, 0, v14
	v_cndmask_b32_e32 v6, v12, v6, vcc
	v_cndmask_b32_e32 v12, v15, v16, vcc
	v_mov_b32_e32 v14, 0x3b800000
	v_lshlrev_b32_e32 v6, 20, v6
	v_lshl_add_u32 v12, v12, 23, v14
	v_or3_b32 v12, v13, v12, v6
.LBB11_924:
	s_or_b64 exec, exec, s[6:7]
	s_movk_i32 s4, 0x7f
	v_cmp_gt_i16_sdwa s[6:7], v2, s4 src0_sel:BYTE_3 src1_sel:DWORD
	s_mov_b64 s[4:5], 0
                                        ; implicit-def: $sgpr10
	s_and_saveexec_b64 s[8:9], s[6:7]
	s_xor_b64 s[6:7], exec, s[8:9]
	s_cbranch_execnz .LBB11_2973
; %bb.925:
	s_or_saveexec_b64 s[6:7], s[6:7]
	v_mov_b32_e32 v6, s10
	s_xor_b64 exec, exec, s[6:7]
	s_cbranch_execnz .LBB11_2976
.LBB11_926:
	s_or_b64 exec, exec, s[6:7]
	s_and_saveexec_b64 s[6:7], s[4:5]
	s_cbranch_execz .LBB11_928
.LBB11_927:
	v_bfe_u32 v6, v2, 24, 3
	v_ffbh_u32_e32 v16, v6
	v_min_u32_e32 v16, 32, v16
	v_lshrrev_b32_e32 v14, 27, v2
	v_subrev_u32_e32 v17, 28, v16
	v_and_b32_e32 v13, 0x80000000, v2
	v_and_b32_e32 v14, 15, v14
	v_bfe_u32 v15, v2, 27, 4
	v_lshlrev_b32_sdwa v2, v17, v2 dst_sel:DWORD dst_unused:UNUSED_PAD src0_sel:DWORD src1_sel:BYTE_3
	v_sub_u32_e32 v16, 29, v16
	v_and_b32_e32 v2, 7, v2
	v_cmp_eq_u16_e32 vcc, 0, v14
	v_cndmask_b32_e32 v2, v6, v2, vcc
	v_cndmask_b32_e32 v6, v15, v16, vcc
	v_mov_b32_e32 v14, 0x3b800000
	v_lshlrev_b32_e32 v2, 20, v2
	v_lshl_add_u32 v6, v6, 23, v14
	v_or3_b32 v6, v13, v6, v2
.LBB11_928:
	s_or_b64 exec, exec, s[6:7]
	s_nop 0
	v_mfma_f32_16x16x4f32 a[0:3], v12, v6, a[0:3]
	s_movk_i32 s4, 0x7f
	v_cmp_gt_i16_sdwa s[6:7], v7, s4 src0_sel:BYTE_0 src1_sel:DWORD
	s_mov_b64 s[4:5], 0
                                        ; implicit-def: $sgpr10
	s_and_saveexec_b64 s[8:9], s[6:7]
	s_xor_b64 s[6:7], exec, s[8:9]
	s_cbranch_execnz .LBB11_2977
; %bb.929:
	s_or_saveexec_b64 s[6:7], s[6:7]
	v_mov_b32_e32 v2, s10
	s_xor_b64 exec, exec, s[6:7]
	s_cbranch_execnz .LBB11_2980
.LBB11_930:
	s_or_b64 exec, exec, s[6:7]
	s_and_saveexec_b64 s[6:7], s[4:5]
	s_cbranch_execz .LBB11_932
.LBB11_931:
	v_and_b32_e32 v2, 7, v7
	v_ffbh_u32_e32 v12, v2
	v_min_u32_e32 v12, 32, v12
	v_lshrrev_b16_e32 v6, 3, v7
	v_subrev_u32_e32 v13, 28, v12
	v_and_b32_e32 v6, 15, v6
	v_lshlrev_b32_e32 v13, v13, v7
	v_sub_u32_e32 v12, 29, v12
	v_and_b32_e32 v13, 7, v13
	v_cmp_eq_u16_e32 vcc, 0, v6
	v_cndmask_b32_e32 v2, v2, v13, vcc
	v_cndmask_b32_e32 v6, v6, v12, vcc
	v_lshlrev_b32_e32 v12, 24, v7
	v_mov_b32_e32 v13, 0x3b800000
	v_lshlrev_b32_e32 v2, 20, v2
	v_and_b32_e32 v12, 0x80000000, v12
	v_lshl_add_u32 v6, v6, 23, v13
	v_or3_b32 v2, v12, v6, v2
.LBB11_932:
	s_or_b64 exec, exec, s[6:7]
	s_movk_i32 s4, 0x7f
	v_cmp_gt_i16_sdwa s[6:7], v3, s4 src0_sel:BYTE_0 src1_sel:DWORD
	s_mov_b64 s[4:5], 0
                                        ; implicit-def: $sgpr10
	s_and_saveexec_b64 s[8:9], s[6:7]
	s_xor_b64 s[6:7], exec, s[8:9]
	s_cbranch_execnz .LBB11_2981
; %bb.933:
	s_or_saveexec_b64 s[6:7], s[6:7]
	v_mov_b32_e32 v6, s10
	s_xor_b64 exec, exec, s[6:7]
	s_cbranch_execnz .LBB11_2984
.LBB11_934:
	s_or_b64 exec, exec, s[6:7]
	s_and_saveexec_b64 s[6:7], s[4:5]
	s_cbranch_execz .LBB11_936
.LBB11_935:
	v_and_b32_e32 v6, 7, v3
	v_ffbh_u32_e32 v13, v6
	v_min_u32_e32 v13, 32, v13
	v_lshrrev_b16_e32 v12, 3, v3
	v_subrev_u32_e32 v14, 28, v13
	v_and_b32_e32 v12, 15, v12
	v_lshlrev_b32_e32 v14, v14, v3
	v_sub_u32_e32 v13, 29, v13
	v_and_b32_e32 v14, 7, v14
	v_cmp_eq_u16_e32 vcc, 0, v12
	v_cndmask_b32_e32 v6, v6, v14, vcc
	v_cndmask_b32_e32 v12, v12, v13, vcc
	v_lshlrev_b32_e32 v13, 24, v3
	v_mov_b32_e32 v14, 0x3b800000
	v_lshlrev_b32_e32 v6, 20, v6
	v_and_b32_e32 v13, 0x80000000, v13
	v_lshl_add_u32 v12, v12, 23, v14
	v_or3_b32 v6, v13, v12, v6
.LBB11_936:
	s_or_b64 exec, exec, s[6:7]
	s_nop 0
	v_mfma_f32_16x16x4f32 a[0:3], v2, v6, a[0:3]
	v_lshrrev_b32_e32 v6, 8, v7
	s_movk_i32 s4, 0x7f
	v_cmp_gt_i16_sdwa s[6:7], v6, s4 src0_sel:BYTE_0 src1_sel:DWORD
	s_mov_b64 s[4:5], 0
                                        ; implicit-def: $sgpr10
	s_and_saveexec_b64 s[8:9], s[6:7]
	s_xor_b64 s[6:7], exec, s[8:9]
	s_cbranch_execnz .LBB11_2985
; %bb.937:
	s_or_saveexec_b64 s[6:7], s[6:7]
	v_mov_b32_e32 v2, s10
	s_xor_b64 exec, exec, s[6:7]
	s_cbranch_execnz .LBB11_2988
.LBB11_938:
	s_or_b64 exec, exec, s[6:7]
	s_and_saveexec_b64 s[6:7], s[4:5]
	s_cbranch_execz .LBB11_940
.LBB11_939:
	v_bfe_u32 v2, v7, 8, 3
	v_ffbh_u32_e32 v13, v2
	v_min_u32_e32 v13, 32, v13
	v_lshrrev_b16_e32 v12, 3, v6
	v_subrev_u32_e32 v14, 28, v13
	v_and_b32_e32 v12, 15, v12
	v_lshlrev_b32_e32 v6, v14, v6
	v_sub_u32_e32 v13, 29, v13
	v_and_b32_e32 v6, 7, v6
	v_cmp_eq_u16_e32 vcc, 0, v12
	v_cndmask_b32_e32 v2, v2, v6, vcc
	v_cndmask_b32_e32 v6, v12, v13, vcc
	v_lshlrev_b32_e32 v12, 16, v7
	v_mov_b32_e32 v13, 0x3b800000
	v_lshlrev_b32_e32 v2, 20, v2
	v_and_b32_e32 v12, 0x80000000, v12
	v_lshl_add_u32 v6, v6, 23, v13
	v_or3_b32 v2, v12, v6, v2
.LBB11_940:
	s_or_b64 exec, exec, s[6:7]
	v_lshrrev_b32_e32 v6, 8, v3
	s_movk_i32 s4, 0x7f
	v_cmp_gt_i16_sdwa s[6:7], v6, s4 src0_sel:BYTE_0 src1_sel:DWORD
	s_mov_b64 s[4:5], 0
                                        ; implicit-def: $sgpr10
	s_and_saveexec_b64 s[8:9], s[6:7]
	s_xor_b64 s[6:7], exec, s[8:9]
	s_cbranch_execnz .LBB11_2989
; %bb.941:
	s_or_saveexec_b64 s[6:7], s[6:7]
	v_mov_b32_e32 v12, s10
	s_xor_b64 exec, exec, s[6:7]
	s_cbranch_execnz .LBB11_2992
.LBB11_942:
	s_or_b64 exec, exec, s[6:7]
	s_and_saveexec_b64 s[6:7], s[4:5]
	s_cbranch_execz .LBB11_944
.LBB11_943:
	v_bfe_u32 v12, v3, 8, 3
	v_ffbh_u32_e32 v14, v12
	v_min_u32_e32 v14, 32, v14
	v_lshrrev_b16_e32 v13, 3, v6
	v_subrev_u32_e32 v15, 28, v14
	v_and_b32_e32 v13, 15, v13
	v_lshlrev_b32_e32 v6, v15, v6
	v_sub_u32_e32 v14, 29, v14
	v_and_b32_e32 v6, 7, v6
	v_cmp_eq_u16_e32 vcc, 0, v13
	v_cndmask_b32_e32 v6, v12, v6, vcc
	v_cndmask_b32_e32 v12, v13, v14, vcc
	v_lshlrev_b32_e32 v13, 16, v3
	v_mov_b32_e32 v14, 0x3b800000
	v_lshlrev_b32_e32 v6, 20, v6
	v_and_b32_e32 v13, 0x80000000, v13
	v_lshl_add_u32 v12, v12, 23, v14
	v_or3_b32 v12, v13, v12, v6
.LBB11_944:
	s_or_b64 exec, exec, s[6:7]
	s_nop 0
	v_mfma_f32_16x16x4f32 a[0:3], v2, v12, a[0:3]
	s_movk_i32 s4, 0xff
	v_and_b32_sdwa v6, v7, s4 dst_sel:DWORD dst_unused:UNUSED_PAD src0_sel:WORD_1 src1_sel:DWORD
	s_movk_i32 s4, 0x7f
	v_cmp_lt_i16_e32 vcc, s4, v6
	s_mov_b64 s[4:5], 0
                                        ; implicit-def: $sgpr10
	s_and_saveexec_b64 s[6:7], vcc
	s_xor_b64 s[6:7], exec, s[6:7]
	s_cbranch_execnz .LBB11_2993
; %bb.945:
	s_or_saveexec_b64 s[6:7], s[6:7]
	v_mov_b32_e32 v2, s10
	s_xor_b64 exec, exec, s[6:7]
	s_cbranch_execnz .LBB11_2996
.LBB11_946:
	s_or_b64 exec, exec, s[6:7]
	s_and_saveexec_b64 s[6:7], s[4:5]
	s_cbranch_execz .LBB11_948
.LBB11_947:
	v_bfe_u32 v2, v7, 16, 3
	v_ffbh_u32_e32 v13, v2
	v_min_u32_e32 v13, 32, v13
	v_lshrrev_b32_e32 v6, 19, v7
	v_subrev_u32_e32 v14, 28, v13
	v_and_b32_e32 v6, 15, v6
	v_lshlrev_b32_sdwa v14, v14, v7 dst_sel:DWORD dst_unused:UNUSED_PAD src0_sel:DWORD src1_sel:WORD_1
	v_bfe_u32 v12, v7, 19, 4
	v_sub_u32_e32 v13, 29, v13
	v_and_b32_e32 v14, 7, v14
	v_cmp_eq_u16_e32 vcc, 0, v6
	v_cndmask_b32_e32 v2, v2, v14, vcc
	v_cndmask_b32_e32 v6, v12, v13, vcc
	v_lshlrev_b32_e32 v12, 8, v7
	v_mov_b32_e32 v13, 0x3b800000
	v_lshlrev_b32_e32 v2, 20, v2
	v_and_b32_e32 v12, 0x80000000, v12
	v_lshl_add_u32 v6, v6, 23, v13
	v_or3_b32 v2, v12, v6, v2
.LBB11_948:
	s_or_b64 exec, exec, s[6:7]
	s_movk_i32 s4, 0xff
	v_and_b32_sdwa v6, v3, s4 dst_sel:DWORD dst_unused:UNUSED_PAD src0_sel:WORD_1 src1_sel:DWORD
	s_movk_i32 s4, 0x7f
	v_cmp_lt_i16_e32 vcc, s4, v6
	s_mov_b64 s[4:5], 0
                                        ; implicit-def: $sgpr10
	s_and_saveexec_b64 s[6:7], vcc
	s_xor_b64 s[6:7], exec, s[6:7]
	s_cbranch_execnz .LBB11_2997
; %bb.949:
	s_or_saveexec_b64 s[6:7], s[6:7]
	v_mov_b32_e32 v12, s10
	s_xor_b64 exec, exec, s[6:7]
	s_cbranch_execnz .LBB11_3000
.LBB11_950:
	s_or_b64 exec, exec, s[6:7]
	s_and_saveexec_b64 s[6:7], s[4:5]
	s_cbranch_execz .LBB11_952
.LBB11_951:
	v_bfe_u32 v6, v3, 16, 3
	v_ffbh_u32_e32 v14, v6
	v_min_u32_e32 v14, 32, v14
	v_lshrrev_b32_e32 v12, 19, v3
	v_subrev_u32_e32 v15, 28, v14
	v_and_b32_e32 v12, 15, v12
	v_lshlrev_b32_sdwa v15, v15, v3 dst_sel:DWORD dst_unused:UNUSED_PAD src0_sel:DWORD src1_sel:WORD_1
	v_bfe_u32 v13, v3, 19, 4
	v_sub_u32_e32 v14, 29, v14
	v_and_b32_e32 v15, 7, v15
	v_cmp_eq_u16_e32 vcc, 0, v12
	v_cndmask_b32_e32 v6, v6, v15, vcc
	v_cndmask_b32_e32 v12, v13, v14, vcc
	v_lshlrev_b32_e32 v13, 8, v3
	v_mov_b32_e32 v14, 0x3b800000
	v_lshlrev_b32_e32 v6, 20, v6
	v_and_b32_e32 v13, 0x80000000, v13
	v_lshl_add_u32 v12, v12, 23, v14
	v_or3_b32 v12, v13, v12, v6
.LBB11_952:
	s_or_b64 exec, exec, s[6:7]
	s_nop 0
	v_mfma_f32_16x16x4f32 a[0:3], v2, v12, a[0:3]
	s_movk_i32 s4, 0x7f
	v_cmp_gt_i16_sdwa s[6:7], v7, s4 src0_sel:BYTE_3 src1_sel:DWORD
	s_mov_b64 s[4:5], 0
                                        ; implicit-def: $sgpr10
	s_and_saveexec_b64 s[8:9], s[6:7]
	s_xor_b64 s[6:7], exec, s[8:9]
	s_cbranch_execnz .LBB11_3001
; %bb.953:
	s_or_saveexec_b64 s[6:7], s[6:7]
	v_mov_b32_e32 v2, s10
	s_xor_b64 exec, exec, s[6:7]
	s_cbranch_execnz .LBB11_3004
.LBB11_954:
	s_or_b64 exec, exec, s[6:7]
	s_and_saveexec_b64 s[6:7], s[4:5]
	s_cbranch_execz .LBB11_956
.LBB11_955:
	v_bfe_u32 v2, v7, 24, 3
	v_ffbh_u32_e32 v14, v2
	v_min_u32_e32 v14, 32, v14
	v_lshrrev_b32_e32 v12, 27, v7
	v_subrev_u32_e32 v15, 28, v14
	v_and_b32_e32 v6, 0x80000000, v7
	v_and_b32_e32 v12, 15, v12
	v_bfe_u32 v13, v7, 27, 4
	v_lshlrev_b32_sdwa v7, v15, v7 dst_sel:DWORD dst_unused:UNUSED_PAD src0_sel:DWORD src1_sel:BYTE_3
	v_sub_u32_e32 v14, 29, v14
	v_and_b32_e32 v7, 7, v7
	v_cmp_eq_u16_e32 vcc, 0, v12
	v_cndmask_b32_e32 v2, v2, v7, vcc
	v_cndmask_b32_e32 v7, v13, v14, vcc
	v_mov_b32_e32 v12, 0x3b800000
	v_lshlrev_b32_e32 v2, 20, v2
	v_lshl_add_u32 v7, v7, 23, v12
	v_or3_b32 v2, v6, v7, v2
.LBB11_956:
	s_or_b64 exec, exec, s[6:7]
	s_movk_i32 s4, 0x7f
	v_cmp_gt_i16_sdwa s[6:7], v3, s4 src0_sel:BYTE_3 src1_sel:DWORD
	s_mov_b64 s[4:5], 0
                                        ; implicit-def: $sgpr10
	s_and_saveexec_b64 s[8:9], s[6:7]
	s_xor_b64 s[6:7], exec, s[8:9]
	s_cbranch_execnz .LBB11_3005
; %bb.957:
	s_or_saveexec_b64 s[6:7], s[6:7]
	v_mov_b32_e32 v6, s10
	s_xor_b64 exec, exec, s[6:7]
	s_cbranch_execnz .LBB11_3008
.LBB11_958:
	s_or_b64 exec, exec, s[6:7]
	s_and_saveexec_b64 s[6:7], s[4:5]
	s_cbranch_execz .LBB11_960
.LBB11_959:
	v_bfe_u32 v6, v3, 24, 3
	v_ffbh_u32_e32 v14, v6
	v_min_u32_e32 v14, 32, v14
	v_lshrrev_b32_e32 v12, 27, v3
	v_subrev_u32_e32 v15, 28, v14
	v_and_b32_e32 v7, 0x80000000, v3
	v_and_b32_e32 v12, 15, v12
	v_bfe_u32 v13, v3, 27, 4
	v_lshlrev_b32_sdwa v3, v15, v3 dst_sel:DWORD dst_unused:UNUSED_PAD src0_sel:DWORD src1_sel:BYTE_3
	v_sub_u32_e32 v14, 29, v14
	v_and_b32_e32 v3, 7, v3
	v_cmp_eq_u16_e32 vcc, 0, v12
	v_cndmask_b32_e32 v3, v6, v3, vcc
	v_cndmask_b32_e32 v6, v13, v14, vcc
	v_mov_b32_e32 v12, 0x3b800000
	v_lshlrev_b32_e32 v3, 20, v3
	v_lshl_add_u32 v6, v6, 23, v12
	v_or3_b32 v6, v7, v6, v3
.LBB11_960:
	s_or_b64 exec, exec, s[6:7]
	s_nop 0
	v_mfma_f32_16x16x4f32 a[0:3], v2, v6, a[0:3]
	s_movk_i32 s4, 0x7f
	v_cmp_gt_i16_sdwa s[6:7], v8, s4 src0_sel:BYTE_0 src1_sel:DWORD
	s_mov_b64 s[4:5], 0
                                        ; implicit-def: $sgpr10
	s_and_saveexec_b64 s[8:9], s[6:7]
	s_xor_b64 s[6:7], exec, s[8:9]
	s_cbranch_execnz .LBB11_3009
; %bb.961:
	s_or_saveexec_b64 s[6:7], s[6:7]
	v_mov_b32_e32 v2, s10
	s_xor_b64 exec, exec, s[6:7]
	s_cbranch_execnz .LBB11_3012
.LBB11_962:
	s_or_b64 exec, exec, s[6:7]
	s_and_saveexec_b64 s[6:7], s[4:5]
	s_cbranch_execz .LBB11_964
.LBB11_963:
	v_and_b32_e32 v2, 7, v8
	v_ffbh_u32_e32 v6, v2
	v_min_u32_e32 v6, 32, v6
	v_lshrrev_b16_e32 v3, 3, v8
	v_subrev_u32_e32 v7, 28, v6
	v_and_b32_e32 v3, 15, v3
	v_lshlrev_b32_e32 v7, v7, v8
	v_sub_u32_e32 v6, 29, v6
	v_and_b32_e32 v7, 7, v7
	v_cmp_eq_u16_e32 vcc, 0, v3
	v_cndmask_b32_e32 v2, v2, v7, vcc
	v_cndmask_b32_e32 v3, v3, v6, vcc
	v_lshlrev_b32_e32 v6, 24, v8
	v_mov_b32_e32 v7, 0x3b800000
	v_lshlrev_b32_e32 v2, 20, v2
	v_and_b32_e32 v6, 0x80000000, v6
	v_lshl_add_u32 v3, v3, 23, v7
	v_or3_b32 v2, v6, v3, v2
.LBB11_964:
	s_or_b64 exec, exec, s[6:7]
	s_movk_i32 s4, 0x7f
	v_cmp_gt_i16_sdwa s[6:7], v4, s4 src0_sel:BYTE_0 src1_sel:DWORD
	s_mov_b64 s[4:5], 0
                                        ; implicit-def: $sgpr10
	s_and_saveexec_b64 s[8:9], s[6:7]
	s_xor_b64 s[6:7], exec, s[8:9]
	s_cbranch_execnz .LBB11_3013
; %bb.965:
	s_or_saveexec_b64 s[6:7], s[6:7]
	v_mov_b32_e32 v3, s10
	s_xor_b64 exec, exec, s[6:7]
	s_cbranch_execnz .LBB11_3016
.LBB11_966:
	s_or_b64 exec, exec, s[6:7]
	s_and_saveexec_b64 s[6:7], s[4:5]
	s_cbranch_execz .LBB11_968
.LBB11_967:
	v_and_b32_e32 v3, 7, v4
	v_ffbh_u32_e32 v7, v3
	v_min_u32_e32 v7, 32, v7
	v_lshrrev_b16_e32 v6, 3, v4
	v_subrev_u32_e32 v12, 28, v7
	v_and_b32_e32 v6, 15, v6
	v_lshlrev_b32_e32 v12, v12, v4
	v_sub_u32_e32 v7, 29, v7
	v_and_b32_e32 v12, 7, v12
	v_cmp_eq_u16_e32 vcc, 0, v6
	v_cndmask_b32_e32 v3, v3, v12, vcc
	v_cndmask_b32_e32 v6, v6, v7, vcc
	v_lshlrev_b32_e32 v7, 24, v4
	v_mov_b32_e32 v12, 0x3b800000
	v_lshlrev_b32_e32 v3, 20, v3
	v_and_b32_e32 v7, 0x80000000, v7
	v_lshl_add_u32 v6, v6, 23, v12
	v_or3_b32 v3, v7, v6, v3
.LBB11_968:
	s_or_b64 exec, exec, s[6:7]
	s_nop 0
	v_mfma_f32_16x16x4f32 a[0:3], v2, v3, a[0:3]
	v_lshrrev_b32_e32 v3, 8, v8
	s_movk_i32 s4, 0x7f
	v_cmp_gt_i16_sdwa s[6:7], v3, s4 src0_sel:BYTE_0 src1_sel:DWORD
	s_mov_b64 s[4:5], 0
                                        ; implicit-def: $sgpr10
	s_and_saveexec_b64 s[8:9], s[6:7]
	s_xor_b64 s[6:7], exec, s[8:9]
	s_cbranch_execnz .LBB11_3017
; %bb.969:
	s_or_saveexec_b64 s[6:7], s[6:7]
	v_mov_b32_e32 v2, s10
	s_xor_b64 exec, exec, s[6:7]
	s_cbranch_execnz .LBB11_3020
.LBB11_970:
	s_or_b64 exec, exec, s[6:7]
	s_and_saveexec_b64 s[6:7], s[4:5]
	s_cbranch_execz .LBB11_972
.LBB11_971:
	v_bfe_u32 v2, v8, 8, 3
	v_ffbh_u32_e32 v7, v2
	v_min_u32_e32 v7, 32, v7
	v_lshrrev_b16_e32 v6, 3, v3
	v_subrev_u32_e32 v12, 28, v7
	v_and_b32_e32 v6, 15, v6
	v_lshlrev_b32_e32 v3, v12, v3
	v_sub_u32_e32 v7, 29, v7
	v_and_b32_e32 v3, 7, v3
	v_cmp_eq_u16_e32 vcc, 0, v6
	v_cndmask_b32_e32 v2, v2, v3, vcc
	v_cndmask_b32_e32 v3, v6, v7, vcc
	v_lshlrev_b32_e32 v6, 16, v8
	v_mov_b32_e32 v7, 0x3b800000
	v_lshlrev_b32_e32 v2, 20, v2
	v_and_b32_e32 v6, 0x80000000, v6
	v_lshl_add_u32 v3, v3, 23, v7
	v_or3_b32 v2, v6, v3, v2
.LBB11_972:
	s_or_b64 exec, exec, s[6:7]
	v_lshrrev_b32_e32 v3, 8, v4
	s_movk_i32 s4, 0x7f
	v_cmp_gt_i16_sdwa s[6:7], v3, s4 src0_sel:BYTE_0 src1_sel:DWORD
	s_mov_b64 s[4:5], 0
                                        ; implicit-def: $sgpr10
	s_and_saveexec_b64 s[8:9], s[6:7]
	s_xor_b64 s[6:7], exec, s[8:9]
	s_cbranch_execnz .LBB11_3021
; %bb.973:
	s_or_saveexec_b64 s[6:7], s[6:7]
	v_mov_b32_e32 v6, s10
	s_xor_b64 exec, exec, s[6:7]
	s_cbranch_execnz .LBB11_3024
.LBB11_974:
	s_or_b64 exec, exec, s[6:7]
	s_and_saveexec_b64 s[6:7], s[4:5]
	s_cbranch_execz .LBB11_976
.LBB11_975:
	v_bfe_u32 v6, v4, 8, 3
	v_ffbh_u32_e32 v12, v6
	v_min_u32_e32 v12, 32, v12
	v_lshrrev_b16_e32 v7, 3, v3
	v_subrev_u32_e32 v13, 28, v12
	v_and_b32_e32 v7, 15, v7
	v_lshlrev_b32_e32 v3, v13, v3
	v_sub_u32_e32 v12, 29, v12
	v_and_b32_e32 v3, 7, v3
	v_cmp_eq_u16_e32 vcc, 0, v7
	v_cndmask_b32_e32 v3, v6, v3, vcc
	v_cndmask_b32_e32 v6, v7, v12, vcc
	v_lshlrev_b32_e32 v7, 16, v4
	v_mov_b32_e32 v12, 0x3b800000
	v_lshlrev_b32_e32 v3, 20, v3
	v_and_b32_e32 v7, 0x80000000, v7
	v_lshl_add_u32 v6, v6, 23, v12
	v_or3_b32 v6, v7, v6, v3
.LBB11_976:
	s_or_b64 exec, exec, s[6:7]
	s_nop 0
	v_mfma_f32_16x16x4f32 a[0:3], v2, v6, a[0:3]
	s_movk_i32 s4, 0xff
	v_and_b32_sdwa v3, v8, s4 dst_sel:DWORD dst_unused:UNUSED_PAD src0_sel:WORD_1 src1_sel:DWORD
	s_movk_i32 s4, 0x7f
	v_cmp_lt_i16_e32 vcc, s4, v3
	s_mov_b64 s[4:5], 0
                                        ; implicit-def: $sgpr10
	s_and_saveexec_b64 s[6:7], vcc
	s_xor_b64 s[6:7], exec, s[6:7]
	s_cbranch_execnz .LBB11_3025
; %bb.977:
	s_or_saveexec_b64 s[6:7], s[6:7]
	v_mov_b32_e32 v2, s10
	s_xor_b64 exec, exec, s[6:7]
	s_cbranch_execnz .LBB11_3028
.LBB11_978:
	s_or_b64 exec, exec, s[6:7]
	s_and_saveexec_b64 s[6:7], s[4:5]
	s_cbranch_execz .LBB11_980
.LBB11_979:
	v_bfe_u32 v2, v8, 16, 3
	v_ffbh_u32_e32 v7, v2
	v_min_u32_e32 v7, 32, v7
	v_lshrrev_b32_e32 v3, 19, v8
	v_subrev_u32_e32 v12, 28, v7
	v_and_b32_e32 v3, 15, v3
	v_lshlrev_b32_sdwa v12, v12, v8 dst_sel:DWORD dst_unused:UNUSED_PAD src0_sel:DWORD src1_sel:WORD_1
	v_bfe_u32 v6, v8, 19, 4
	v_sub_u32_e32 v7, 29, v7
	v_and_b32_e32 v12, 7, v12
	v_cmp_eq_u16_e32 vcc, 0, v3
	v_cndmask_b32_e32 v2, v2, v12, vcc
	v_cndmask_b32_e32 v3, v6, v7, vcc
	v_lshlrev_b32_e32 v6, 8, v8
	v_mov_b32_e32 v7, 0x3b800000
	v_lshlrev_b32_e32 v2, 20, v2
	v_and_b32_e32 v6, 0x80000000, v6
	v_lshl_add_u32 v3, v3, 23, v7
	v_or3_b32 v2, v6, v3, v2
.LBB11_980:
	s_or_b64 exec, exec, s[6:7]
	s_movk_i32 s4, 0xff
	v_and_b32_sdwa v3, v4, s4 dst_sel:DWORD dst_unused:UNUSED_PAD src0_sel:WORD_1 src1_sel:DWORD
	s_movk_i32 s4, 0x7f
	v_cmp_lt_i16_e32 vcc, s4, v3
	s_mov_b64 s[4:5], 0
                                        ; implicit-def: $sgpr10
	s_and_saveexec_b64 s[6:7], vcc
	s_xor_b64 s[6:7], exec, s[6:7]
	s_cbranch_execnz .LBB11_3029
; %bb.981:
	s_or_saveexec_b64 s[6:7], s[6:7]
	v_mov_b32_e32 v6, s10
	s_xor_b64 exec, exec, s[6:7]
	s_cbranch_execnz .LBB11_3032
.LBB11_982:
	s_or_b64 exec, exec, s[6:7]
	s_and_saveexec_b64 s[6:7], s[4:5]
	s_cbranch_execz .LBB11_984
.LBB11_983:
	v_bfe_u32 v3, v4, 16, 3
	v_ffbh_u32_e32 v12, v3
	v_min_u32_e32 v12, 32, v12
	v_lshrrev_b32_e32 v6, 19, v4
	v_subrev_u32_e32 v13, 28, v12
	v_and_b32_e32 v6, 15, v6
	v_lshlrev_b32_sdwa v13, v13, v4 dst_sel:DWORD dst_unused:UNUSED_PAD src0_sel:DWORD src1_sel:WORD_1
	v_bfe_u32 v7, v4, 19, 4
	v_sub_u32_e32 v12, 29, v12
	v_and_b32_e32 v13, 7, v13
	v_cmp_eq_u16_e32 vcc, 0, v6
	v_cndmask_b32_e32 v3, v3, v13, vcc
	v_cndmask_b32_e32 v6, v7, v12, vcc
	v_lshlrev_b32_e32 v7, 8, v4
	v_mov_b32_e32 v12, 0x3b800000
	v_lshlrev_b32_e32 v3, 20, v3
	v_and_b32_e32 v7, 0x80000000, v7
	v_lshl_add_u32 v6, v6, 23, v12
	v_or3_b32 v6, v7, v6, v3
.LBB11_984:
	s_or_b64 exec, exec, s[6:7]
	s_nop 0
	v_mfma_f32_16x16x4f32 a[0:3], v2, v6, a[0:3]
	s_movk_i32 s4, 0x7f
	v_cmp_gt_i16_sdwa s[6:7], v8, s4 src0_sel:BYTE_3 src1_sel:DWORD
	s_mov_b64 s[4:5], 0
                                        ; implicit-def: $sgpr10
	s_and_saveexec_b64 s[8:9], s[6:7]
	s_xor_b64 s[6:7], exec, s[8:9]
	s_cbranch_execnz .LBB11_3033
; %bb.985:
	s_or_saveexec_b64 s[6:7], s[6:7]
	v_mov_b32_e32 v2, s10
	s_xor_b64 exec, exec, s[6:7]
	s_cbranch_execnz .LBB11_3036
.LBB11_986:
	s_or_b64 exec, exec, s[6:7]
	s_and_saveexec_b64 s[6:7], s[4:5]
	s_cbranch_execz .LBB11_988
.LBB11_987:
	v_bfe_u32 v2, v8, 24, 3
	v_ffbh_u32_e32 v12, v2
	v_min_u32_e32 v12, 32, v12
	v_lshrrev_b32_e32 v6, 27, v8
	v_subrev_u32_e32 v13, 28, v12
	v_and_b32_e32 v3, 0x80000000, v8
	v_and_b32_e32 v6, 15, v6
	v_bfe_u32 v7, v8, 27, 4
	v_lshlrev_b32_sdwa v8, v13, v8 dst_sel:DWORD dst_unused:UNUSED_PAD src0_sel:DWORD src1_sel:BYTE_3
	v_sub_u32_e32 v12, 29, v12
	v_and_b32_e32 v8, 7, v8
	v_cmp_eq_u16_e32 vcc, 0, v6
	v_cndmask_b32_e32 v2, v2, v8, vcc
	v_cndmask_b32_e32 v6, v7, v12, vcc
	v_mov_b32_e32 v7, 0x3b800000
	v_lshlrev_b32_e32 v2, 20, v2
	v_lshl_add_u32 v6, v6, 23, v7
	v_or3_b32 v2, v3, v6, v2
.LBB11_988:
	s_or_b64 exec, exec, s[6:7]
	s_movk_i32 s4, 0x7f
	v_cmp_gt_i16_sdwa s[6:7], v4, s4 src0_sel:BYTE_3 src1_sel:DWORD
	s_mov_b64 s[4:5], 0
                                        ; implicit-def: $sgpr10
	s_and_saveexec_b64 s[8:9], s[6:7]
	s_xor_b64 s[6:7], exec, s[8:9]
	s_cbranch_execnz .LBB11_3037
; %bb.989:
	s_or_saveexec_b64 s[6:7], s[6:7]
	v_mov_b32_e32 v3, s10
	s_xor_b64 exec, exec, s[6:7]
	s_cbranch_execnz .LBB11_3040
.LBB11_990:
	s_or_b64 exec, exec, s[6:7]
	s_and_saveexec_b64 s[6:7], s[4:5]
	s_cbranch_execz .LBB11_992
.LBB11_991:
	v_bfe_u32 v3, v4, 24, 3
	v_ffbh_u32_e32 v12, v3
	v_min_u32_e32 v12, 32, v12
	v_lshrrev_b32_e32 v7, 27, v4
	v_subrev_u32_e32 v13, 28, v12
	v_and_b32_e32 v6, 0x80000000, v4
	v_and_b32_e32 v7, 15, v7
	v_bfe_u32 v8, v4, 27, 4
	v_lshlrev_b32_sdwa v4, v13, v4 dst_sel:DWORD dst_unused:UNUSED_PAD src0_sel:DWORD src1_sel:BYTE_3
	v_sub_u32_e32 v12, 29, v12
	v_and_b32_e32 v4, 7, v4
	v_cmp_eq_u16_e32 vcc, 0, v7
	v_cndmask_b32_e32 v3, v3, v4, vcc
	v_cndmask_b32_e32 v4, v8, v12, vcc
	v_mov_b32_e32 v7, 0x3b800000
	v_lshlrev_b32_e32 v3, 20, v3
	v_lshl_add_u32 v4, v4, 23, v7
	v_or3_b32 v3, v6, v4, v3
.LBB11_992:
	s_or_b64 exec, exec, s[6:7]
	s_nop 0
	v_mfma_f32_16x16x4f32 a[0:3], v2, v3, a[0:3]
	s_movk_i32 s4, 0x7f
	v_cmp_gt_i16_sdwa s[6:7], v9, s4 src0_sel:BYTE_0 src1_sel:DWORD
	s_mov_b64 s[4:5], 0
                                        ; implicit-def: $sgpr10
	s_and_saveexec_b64 s[8:9], s[6:7]
	s_xor_b64 s[6:7], exec, s[8:9]
	s_cbranch_execnz .LBB11_3041
; %bb.993:
	s_or_saveexec_b64 s[6:7], s[6:7]
	v_mov_b32_e32 v2, s10
	s_xor_b64 exec, exec, s[6:7]
	s_cbranch_execnz .LBB11_3044
.LBB11_994:
	s_or_b64 exec, exec, s[6:7]
	s_and_saveexec_b64 s[6:7], s[4:5]
	s_cbranch_execz .LBB11_996
.LBB11_995:
	v_mov_b32_e32 v2, 8
	v_and_b32_e32 v3, 7, v9
	v_lshrrev_b32_sdwa v2, v2, v9 dst_sel:BYTE_1 dst_unused:UNUSED_PAD src0_sel:DWORD src1_sel:DWORD
	v_ffbh_u32_e32 v4, v3
	v_or_b32_sdwa v2, v9, v2 dst_sel:DWORD dst_unused:UNUSED_PAD src0_sel:BYTE_0 src1_sel:DWORD
	v_min_u32_e32 v4, 32, v4
	v_lshrrev_b16_e32 v2, 3, v2
	v_subrev_u32_e32 v6, 28, v4
	v_and_b32_e32 v2, 15, v2
	v_lshlrev_b32_e32 v6, v6, v9
	v_sub_u32_e32 v4, 29, v4
	v_and_b32_e32 v6, 7, v6
	v_cmp_eq_u16_e32 vcc, 0, v2
	v_cndmask_b32_e32 v3, v3, v6, vcc
	v_cndmask_b32_e32 v2, v2, v4, vcc
	v_lshlrev_b32_e32 v4, 24, v9
	v_mov_b32_e32 v6, 0x3b800000
	v_lshlrev_b32_e32 v3, 20, v3
	v_and_b32_e32 v4, 0x80000000, v4
	v_lshl_add_u32 v2, v2, 23, v6
	v_or3_b32 v2, v4, v2, v3
.LBB11_996:
	s_or_b64 exec, exec, s[6:7]
	s_movk_i32 s4, 0x7f
	v_cmp_gt_i16_sdwa s[6:7], v5, s4 src0_sel:BYTE_0 src1_sel:DWORD
	s_mov_b64 s[4:5], 0
                                        ; implicit-def: $sgpr10
	s_and_saveexec_b64 s[8:9], s[6:7]
	s_xor_b64 s[6:7], exec, s[8:9]
	s_cbranch_execnz .LBB11_3045
; %bb.997:
	s_or_saveexec_b64 s[6:7], s[6:7]
	v_mov_b32_e32 v3, s10
	s_xor_b64 exec, exec, s[6:7]
	s_cbranch_execnz .LBB11_3048
.LBB11_998:
	s_or_b64 exec, exec, s[6:7]
	s_and_saveexec_b64 s[6:7], s[4:5]
	s_cbranch_execz .LBB11_1000
.LBB11_999:
	v_mov_b32_e32 v3, 8
	v_and_b32_e32 v4, 7, v5
	v_lshrrev_b32_sdwa v3, v3, v5 dst_sel:BYTE_1 dst_unused:UNUSED_PAD src0_sel:DWORD src1_sel:DWORD
	v_ffbh_u32_e32 v6, v4
	v_or_b32_sdwa v3, v5, v3 dst_sel:DWORD dst_unused:UNUSED_PAD src0_sel:BYTE_0 src1_sel:DWORD
	v_min_u32_e32 v6, 32, v6
	v_lshrrev_b16_e32 v3, 3, v3
	v_subrev_u32_e32 v7, 28, v6
	v_and_b32_e32 v3, 15, v3
	v_lshlrev_b32_e32 v7, v7, v5
	v_sub_u32_e32 v6, 29, v6
	v_and_b32_e32 v7, 7, v7
	v_cmp_eq_u16_e32 vcc, 0, v3
	v_cndmask_b32_e32 v4, v4, v7, vcc
	v_cndmask_b32_e32 v3, v3, v6, vcc
	v_lshlrev_b32_e32 v6, 24, v5
	v_mov_b32_e32 v7, 0x3b800000
	v_lshlrev_b32_e32 v4, 20, v4
	v_and_b32_e32 v6, 0x80000000, v6
	v_lshl_add_u32 v3, v3, 23, v7
	v_or3_b32 v3, v6, v3, v4
.LBB11_1000:
	s_or_b64 exec, exec, s[6:7]
	s_nop 0
	v_mfma_f32_16x16x4f32 a[0:3], v2, v3, a[0:3]
	v_lshrrev_b32_e32 v3, 8, v9
	s_movk_i32 s4, 0x7f
	v_cmp_gt_i16_sdwa s[6:7], v3, s4 src0_sel:BYTE_0 src1_sel:DWORD
	s_mov_b64 s[4:5], 0
                                        ; implicit-def: $sgpr10
	s_and_saveexec_b64 s[8:9], s[6:7]
	s_xor_b64 s[6:7], exec, s[8:9]
	s_cbranch_execnz .LBB11_3049
; %bb.1001:
	s_or_saveexec_b64 s[6:7], s[6:7]
	v_mov_b32_e32 v2, s10
	s_xor_b64 exec, exec, s[6:7]
	s_cbranch_execnz .LBB11_3052
.LBB11_1002:
	s_or_b64 exec, exec, s[6:7]
	s_and_saveexec_b64 s[6:7], s[4:5]
	s_cbranch_execz .LBB11_1004
.LBB11_1003:
	v_bfe_u32 v2, v9, 8, 3
	v_ffbh_u32_e32 v6, v2
	v_min_u32_e32 v6, 32, v6
	v_lshrrev_b16_e32 v4, 3, v3
	v_subrev_u32_e32 v7, 28, v6
	v_and_b32_e32 v4, 15, v4
	v_lshlrev_b32_e32 v3, v7, v3
	v_sub_u32_e32 v6, 29, v6
	v_and_b32_e32 v3, 7, v3
	v_cmp_eq_u16_e32 vcc, 0, v4
	v_cndmask_b32_e32 v2, v2, v3, vcc
	v_cndmask_b32_e32 v3, v4, v6, vcc
	v_lshlrev_b32_e32 v4, 16, v9
	v_mov_b32_e32 v6, 0x3b800000
	v_lshlrev_b32_e32 v2, 20, v2
	v_and_b32_e32 v4, 0x80000000, v4
	v_lshl_add_u32 v3, v3, 23, v6
	v_or3_b32 v2, v4, v3, v2
.LBB11_1004:
	s_or_b64 exec, exec, s[6:7]
	v_lshrrev_b32_e32 v3, 8, v5
	s_movk_i32 s4, 0x7f
	v_cmp_gt_i16_sdwa s[6:7], v3, s4 src0_sel:BYTE_0 src1_sel:DWORD
	s_mov_b64 s[4:5], 0
                                        ; implicit-def: $sgpr10
	s_and_saveexec_b64 s[8:9], s[6:7]
	s_xor_b64 s[6:7], exec, s[8:9]
	s_cbranch_execnz .LBB11_3053
; %bb.1005:
	s_or_saveexec_b64 s[6:7], s[6:7]
	v_mov_b32_e32 v4, s10
	s_xor_b64 exec, exec, s[6:7]
	s_cbranch_execnz .LBB11_3056
.LBB11_1006:
	s_or_b64 exec, exec, s[6:7]
	s_and_saveexec_b64 s[6:7], s[4:5]
	s_cbranch_execz .LBB11_1008
.LBB11_1007:
	v_bfe_u32 v4, v5, 8, 3
	v_ffbh_u32_e32 v7, v4
	v_min_u32_e32 v7, 32, v7
	v_lshrrev_b16_e32 v6, 3, v3
	v_subrev_u32_e32 v8, 28, v7
	v_and_b32_e32 v6, 15, v6
	v_lshlrev_b32_e32 v3, v8, v3
	v_sub_u32_e32 v7, 29, v7
	v_and_b32_e32 v3, 7, v3
	v_cmp_eq_u16_e32 vcc, 0, v6
	v_cndmask_b32_e32 v3, v4, v3, vcc
	v_cndmask_b32_e32 v4, v6, v7, vcc
	v_lshlrev_b32_e32 v6, 16, v5
	v_mov_b32_e32 v7, 0x3b800000
	v_lshlrev_b32_e32 v3, 20, v3
	v_and_b32_e32 v6, 0x80000000, v6
	v_lshl_add_u32 v4, v4, 23, v7
	v_or3_b32 v4, v6, v4, v3
.LBB11_1008:
	s_or_b64 exec, exec, s[6:7]
	s_nop 0
	v_mfma_f32_16x16x4f32 a[0:3], v2, v4, a[0:3]
	s_movk_i32 s4, 0xff
	v_and_b32_sdwa v3, v9, s4 dst_sel:DWORD dst_unused:UNUSED_PAD src0_sel:WORD_1 src1_sel:DWORD
	s_movk_i32 s4, 0x7f
	v_cmp_lt_i16_e32 vcc, s4, v3
	s_mov_b64 s[4:5], 0
                                        ; implicit-def: $sgpr10
	s_and_saveexec_b64 s[6:7], vcc
	s_xor_b64 s[6:7], exec, s[6:7]
	s_cbranch_execnz .LBB11_3057
; %bb.1009:
	s_or_saveexec_b64 s[6:7], s[6:7]
	v_mov_b32_e32 v2, s10
	s_xor_b64 exec, exec, s[6:7]
	s_cbranch_execnz .LBB11_3060
.LBB11_1010:
	s_or_b64 exec, exec, s[6:7]
	s_and_saveexec_b64 s[6:7], s[4:5]
	s_cbranch_execz .LBB11_1012
.LBB11_1011:
	v_bfe_u32 v2, v9, 16, 3
	v_ffbh_u32_e32 v6, v2
	v_min_u32_e32 v6, 32, v6
	v_lshrrev_b32_e32 v3, 19, v9
	v_subrev_u32_e32 v7, 28, v6
	v_and_b32_e32 v3, 15, v3
	v_lshlrev_b32_sdwa v7, v7, v9 dst_sel:DWORD dst_unused:UNUSED_PAD src0_sel:DWORD src1_sel:WORD_1
	v_bfe_u32 v4, v9, 19, 4
	v_sub_u32_e32 v6, 29, v6
	v_and_b32_e32 v7, 7, v7
	v_cmp_eq_u16_e32 vcc, 0, v3
	v_cndmask_b32_e32 v2, v2, v7, vcc
	v_cndmask_b32_e32 v3, v4, v6, vcc
	v_lshlrev_b32_e32 v4, 8, v9
	v_mov_b32_e32 v6, 0x3b800000
	v_lshlrev_b32_e32 v2, 20, v2
	v_and_b32_e32 v4, 0x80000000, v4
	v_lshl_add_u32 v3, v3, 23, v6
	v_or3_b32 v2, v4, v3, v2
.LBB11_1012:
	s_or_b64 exec, exec, s[6:7]
	s_movk_i32 s4, 0xff
	v_and_b32_sdwa v3, v5, s4 dst_sel:DWORD dst_unused:UNUSED_PAD src0_sel:WORD_1 src1_sel:DWORD
	s_movk_i32 s4, 0x7f
	v_cmp_lt_i16_e32 vcc, s4, v3
	s_mov_b64 s[4:5], 0
                                        ; implicit-def: $sgpr10
	s_and_saveexec_b64 s[6:7], vcc
	s_xor_b64 s[6:7], exec, s[6:7]
	s_cbranch_execnz .LBB11_3061
; %bb.1013:
	s_or_saveexec_b64 s[6:7], s[6:7]
	v_mov_b32_e32 v4, s10
	s_xor_b64 exec, exec, s[6:7]
	s_cbranch_execnz .LBB11_3064
.LBB11_1014:
	s_or_b64 exec, exec, s[6:7]
	s_and_saveexec_b64 s[6:7], s[4:5]
	s_cbranch_execz .LBB11_1016
.LBB11_1015:
	v_bfe_u32 v3, v5, 16, 3
	v_ffbh_u32_e32 v7, v3
	v_min_u32_e32 v7, 32, v7
	v_lshrrev_b32_e32 v4, 19, v5
	v_subrev_u32_e32 v8, 28, v7
	v_and_b32_e32 v4, 15, v4
	v_lshlrev_b32_sdwa v8, v8, v5 dst_sel:DWORD dst_unused:UNUSED_PAD src0_sel:DWORD src1_sel:WORD_1
	v_bfe_u32 v6, v5, 19, 4
	v_sub_u32_e32 v7, 29, v7
	v_and_b32_e32 v8, 7, v8
	v_cmp_eq_u16_e32 vcc, 0, v4
	v_cndmask_b32_e32 v3, v3, v8, vcc
	v_cndmask_b32_e32 v4, v6, v7, vcc
	v_lshlrev_b32_e32 v6, 8, v5
	v_mov_b32_e32 v7, 0x3b800000
	v_lshlrev_b32_e32 v3, 20, v3
	v_and_b32_e32 v6, 0x80000000, v6
	v_lshl_add_u32 v4, v4, 23, v7
	v_or3_b32 v4, v6, v4, v3
.LBB11_1016:
	s_or_b64 exec, exec, s[6:7]
	s_nop 0
	v_mfma_f32_16x16x4f32 a[0:3], v2, v4, a[0:3]
	s_movk_i32 s4, 0x7f
	v_cmp_gt_i16_sdwa s[6:7], v9, s4 src0_sel:BYTE_3 src1_sel:DWORD
	s_mov_b64 s[4:5], 0
                                        ; implicit-def: $sgpr10
	s_and_saveexec_b64 s[8:9], s[6:7]
	s_xor_b64 s[6:7], exec, s[8:9]
	s_cbranch_execnz .LBB11_3065
; %bb.1017:
	s_or_saveexec_b64 s[6:7], s[6:7]
	v_mov_b32_e32 v2, s10
	s_xor_b64 exec, exec, s[6:7]
	s_cbranch_execnz .LBB11_3068
.LBB11_1018:
	s_or_b64 exec, exec, s[6:7]
	s_and_saveexec_b64 s[6:7], s[4:5]
	s_cbranch_execz .LBB11_1020
.LBB11_1019:
	v_bfe_u32 v2, v9, 24, 3
	v_ffbh_u32_e32 v7, v2
	v_min_u32_e32 v7, 32, v7
	v_lshrrev_b32_e32 v4, 27, v9
	v_subrev_u32_e32 v8, 28, v7
	v_and_b32_e32 v4, 15, v4
	v_lshlrev_b32_sdwa v8, v8, v9 dst_sel:DWORD dst_unused:UNUSED_PAD src0_sel:DWORD src1_sel:BYTE_3
	v_bfe_u32 v6, v9, 27, 4
	v_sub_u32_e32 v7, 29, v7
	v_and_b32_e32 v8, 7, v8
	v_cmp_eq_u16_e32 vcc, 0, v4
	v_cndmask_b32_e32 v2, v2, v8, vcc
	v_cndmask_b32_e32 v4, v6, v7, vcc
	v_mov_b32_e32 v6, 0x3b800000
	v_and_b32_e32 v3, 0x80000000, v9
	v_lshlrev_b32_e32 v2, 20, v2
	v_lshl_add_u32 v4, v4, 23, v6
	v_or3_b32 v2, v3, v4, v2
.LBB11_1020:
	s_or_b64 exec, exec, s[6:7]
	s_movk_i32 s4, 0x7f
	v_cmp_gt_i16_sdwa s[6:7], v5, s4 src0_sel:BYTE_3 src1_sel:DWORD
	s_mov_b64 s[4:5], 0
                                        ; implicit-def: $sgpr10
	s_and_saveexec_b64 s[8:9], s[6:7]
	s_xor_b64 s[6:7], exec, s[8:9]
	s_cbranch_execnz .LBB11_3069
; %bb.1021:
	s_or_saveexec_b64 s[6:7], s[6:7]
	v_mov_b32_e32 v3, s10
	s_xor_b64 exec, exec, s[6:7]
	s_cbranch_execnz .LBB11_3072
.LBB11_1022:
	s_or_b64 exec, exec, s[6:7]
	s_and_saveexec_b64 s[6:7], s[4:5]
	s_cbranch_execz .LBB11_1024
.LBB11_1023:
	v_bfe_u32 v3, v5, 24, 3
	v_ffbh_u32_e32 v8, v3
	v_min_u32_e32 v8, 32, v8
	v_lshrrev_b32_e32 v6, 27, v5
	v_subrev_u32_e32 v9, 28, v8
	v_and_b32_e32 v4, 0x80000000, v5
	v_and_b32_e32 v6, 15, v6
	v_bfe_u32 v7, v5, 27, 4
	v_lshlrev_b32_sdwa v5, v9, v5 dst_sel:DWORD dst_unused:UNUSED_PAD src0_sel:DWORD src1_sel:BYTE_3
	v_sub_u32_e32 v8, 29, v8
	v_and_b32_e32 v5, 7, v5
	v_cmp_eq_u16_e32 vcc, 0, v6
	v_cndmask_b32_e32 v3, v3, v5, vcc
	v_cndmask_b32_e32 v5, v7, v8, vcc
	v_mov_b32_e32 v6, 0x3b800000
	v_lshlrev_b32_e32 v3, 20, v3
	v_lshl_add_u32 v5, v5, 23, v6
	v_or3_b32 v3, v4, v5, v3
.LBB11_1024:
	s_or_b64 exec, exec, s[6:7]
	s_nop 0
	v_mfma_f32_16x16x4f32 a[0:3], v2, v3, a[0:3]
	s_movk_i32 s4, 0x7f
                                        ; implicit-def: $sgpr10
	s_nop 7
	s_nop 1
	flat_store_dwordx4 v[10:11], a[0:3] offset:112
	flat_load_dwordx4 v[12:15], v[0:1] offset:8
	s_nop 0
	flat_load_dwordx2 v[10:11], v[0:1] offset:32
	s_waitcnt vmcnt(0) lgkmcnt(0)
	flat_load_dwordx4 v[6:9], v[12:13] offset:80
	flat_load_dwordx4 v[2:5], v[14:15] offset:16
	s_waitcnt vmcnt(0) lgkmcnt(0)
	v_cmp_gt_i16_sdwa s[6:7], v6, s4 src0_sel:BYTE_0 src1_sel:DWORD
	s_mov_b64 s[4:5], 0
	s_and_saveexec_b64 s[8:9], s[6:7]
	s_xor_b64 s[6:7], exec, s[8:9]
	s_cbranch_execnz .LBB11_3073
; %bb.1025:
	s_or_saveexec_b64 s[6:7], s[6:7]
	v_mov_b32_e32 v12, s10
	s_xor_b64 exec, exec, s[6:7]
	s_cbranch_execnz .LBB11_3076
.LBB11_1026:
	s_or_b64 exec, exec, s[6:7]
	s_and_saveexec_b64 s[6:7], s[4:5]
	s_cbranch_execz .LBB11_1028
.LBB11_1027:
	v_and_b32_e32 v12, 7, v6
	v_ffbh_u32_e32 v14, v12
	v_min_u32_e32 v14, 32, v14
	v_lshrrev_b16_e32 v13, 3, v6
	v_subrev_u32_e32 v15, 28, v14
	v_and_b32_e32 v13, 15, v13
	v_lshlrev_b32_e32 v15, v15, v6
	v_sub_u32_e32 v14, 29, v14
	v_and_b32_e32 v15, 7, v15
	v_cmp_eq_u16_e32 vcc, 0, v13
	v_cndmask_b32_e32 v12, v12, v15, vcc
	v_cndmask_b32_e32 v13, v13, v14, vcc
	v_lshlrev_b32_e32 v14, 24, v6
	v_mov_b32_e32 v15, 0x3b800000
	v_lshlrev_b32_e32 v12, 20, v12
	v_and_b32_e32 v14, 0x80000000, v14
	v_lshl_add_u32 v13, v13, 23, v15
	v_or3_b32 v12, v14, v13, v12
.LBB11_1028:
	s_or_b64 exec, exec, s[6:7]
	s_movk_i32 s4, 0x7f
	v_cmp_gt_i16_sdwa s[6:7], v2, s4 src0_sel:BYTE_0 src1_sel:DWORD
	s_mov_b64 s[4:5], 0
                                        ; implicit-def: $sgpr10
	s_and_saveexec_b64 s[8:9], s[6:7]
	s_xor_b64 s[6:7], exec, s[8:9]
	s_cbranch_execnz .LBB11_3077
; %bb.1029:
	s_or_saveexec_b64 s[6:7], s[6:7]
	v_mov_b32_e32 v13, s10
	s_xor_b64 exec, exec, s[6:7]
	s_cbranch_execnz .LBB11_3080
.LBB11_1030:
	s_or_b64 exec, exec, s[6:7]
	s_and_saveexec_b64 s[6:7], s[4:5]
	s_cbranch_execz .LBB11_1032
.LBB11_1031:
	v_and_b32_e32 v13, 7, v2
	v_ffbh_u32_e32 v15, v13
	v_min_u32_e32 v15, 32, v15
	v_lshrrev_b16_e32 v14, 3, v2
	v_subrev_u32_e32 v16, 28, v15
	v_and_b32_e32 v14, 15, v14
	v_lshlrev_b32_e32 v16, v16, v2
	v_sub_u32_e32 v15, 29, v15
	v_and_b32_e32 v16, 7, v16
	v_cmp_eq_u16_e32 vcc, 0, v14
	v_cndmask_b32_e32 v13, v13, v16, vcc
	v_cndmask_b32_e32 v14, v14, v15, vcc
	v_lshlrev_b32_e32 v15, 24, v2
	v_mov_b32_e32 v16, 0x3b800000
	v_lshlrev_b32_e32 v13, 20, v13
	v_and_b32_e32 v15, 0x80000000, v15
	v_lshl_add_u32 v14, v14, 23, v16
	v_or3_b32 v13, v15, v14, v13
.LBB11_1032:
	s_or_b64 exec, exec, s[6:7]
	flat_load_dwordx4 a[0:3], v[10:11] offset:128
	s_movk_i32 s4, 0x7f
                                        ; implicit-def: $sgpr10
	s_waitcnt vmcnt(0) lgkmcnt(0)
	v_mfma_f32_16x16x4f32 a[0:3], v12, v13, a[0:3]
	v_lshrrev_b32_e32 v13, 8, v6
	v_cmp_gt_i16_sdwa s[6:7], v13, s4 src0_sel:BYTE_0 src1_sel:DWORD
	s_mov_b64 s[4:5], 0
	s_and_saveexec_b64 s[8:9], s[6:7]
	s_xor_b64 s[6:7], exec, s[8:9]
	s_cbranch_execnz .LBB11_3081
; %bb.1033:
	s_or_saveexec_b64 s[6:7], s[6:7]
	v_mov_b32_e32 v12, s10
	s_xor_b64 exec, exec, s[6:7]
	s_cbranch_execnz .LBB11_3084
.LBB11_1034:
	s_or_b64 exec, exec, s[6:7]
	s_and_saveexec_b64 s[6:7], s[4:5]
	s_cbranch_execz .LBB11_1036
.LBB11_1035:
	v_bfe_u32 v12, v6, 8, 3
	v_ffbh_u32_e32 v15, v12
	v_min_u32_e32 v15, 32, v15
	v_lshrrev_b16_e32 v14, 3, v13
	v_subrev_u32_e32 v16, 28, v15
	v_and_b32_e32 v14, 15, v14
	v_lshlrev_b32_e32 v13, v16, v13
	v_sub_u32_e32 v15, 29, v15
	v_and_b32_e32 v13, 7, v13
	v_cmp_eq_u16_e32 vcc, 0, v14
	v_cndmask_b32_e32 v12, v12, v13, vcc
	v_cndmask_b32_e32 v13, v14, v15, vcc
	v_lshlrev_b32_e32 v14, 16, v6
	v_mov_b32_e32 v15, 0x3b800000
	v_lshlrev_b32_e32 v12, 20, v12
	v_and_b32_e32 v14, 0x80000000, v14
	v_lshl_add_u32 v13, v13, 23, v15
	v_or3_b32 v12, v14, v13, v12
.LBB11_1036:
	s_or_b64 exec, exec, s[6:7]
	v_lshrrev_b32_e32 v13, 8, v2
	s_movk_i32 s4, 0x7f
	v_cmp_gt_i16_sdwa s[6:7], v13, s4 src0_sel:BYTE_0 src1_sel:DWORD
	s_mov_b64 s[4:5], 0
                                        ; implicit-def: $sgpr10
	s_and_saveexec_b64 s[8:9], s[6:7]
	s_xor_b64 s[6:7], exec, s[8:9]
	s_cbranch_execnz .LBB11_3085
; %bb.1037:
	s_or_saveexec_b64 s[6:7], s[6:7]
	v_mov_b32_e32 v14, s10
	s_xor_b64 exec, exec, s[6:7]
	s_cbranch_execnz .LBB11_3088
.LBB11_1038:
	s_or_b64 exec, exec, s[6:7]
	s_and_saveexec_b64 s[6:7], s[4:5]
	s_cbranch_execz .LBB11_1040
.LBB11_1039:
	v_bfe_u32 v14, v2, 8, 3
	v_ffbh_u32_e32 v16, v14
	v_min_u32_e32 v16, 32, v16
	v_lshrrev_b16_e32 v15, 3, v13
	v_subrev_u32_e32 v17, 28, v16
	v_and_b32_e32 v15, 15, v15
	v_lshlrev_b32_e32 v13, v17, v13
	v_sub_u32_e32 v16, 29, v16
	v_and_b32_e32 v13, 7, v13
	v_cmp_eq_u16_e32 vcc, 0, v15
	v_cndmask_b32_e32 v13, v14, v13, vcc
	v_cndmask_b32_e32 v14, v15, v16, vcc
	v_lshlrev_b32_e32 v15, 16, v2
	v_mov_b32_e32 v16, 0x3b800000
	v_lshlrev_b32_e32 v13, 20, v13
	v_and_b32_e32 v15, 0x80000000, v15
	v_lshl_add_u32 v14, v14, 23, v16
	v_or3_b32 v14, v15, v14, v13
.LBB11_1040:
	s_or_b64 exec, exec, s[6:7]
	s_nop 0
	v_mfma_f32_16x16x4f32 a[0:3], v12, v14, a[0:3]
	s_movk_i32 s4, 0xff
	v_and_b32_sdwa v13, v6, s4 dst_sel:DWORD dst_unused:UNUSED_PAD src0_sel:WORD_1 src1_sel:DWORD
	s_movk_i32 s4, 0x7f
	v_cmp_lt_i16_e32 vcc, s4, v13
	s_mov_b64 s[4:5], 0
                                        ; implicit-def: $sgpr10
	s_and_saveexec_b64 s[6:7], vcc
	s_xor_b64 s[6:7], exec, s[6:7]
	s_cbranch_execnz .LBB11_3089
; %bb.1041:
	s_or_saveexec_b64 s[6:7], s[6:7]
	v_mov_b32_e32 v12, s10
	s_xor_b64 exec, exec, s[6:7]
	s_cbranch_execnz .LBB11_3092
.LBB11_1042:
	s_or_b64 exec, exec, s[6:7]
	s_and_saveexec_b64 s[6:7], s[4:5]
	s_cbranch_execz .LBB11_1044
.LBB11_1043:
	v_bfe_u32 v12, v6, 16, 3
	v_ffbh_u32_e32 v15, v12
	v_min_u32_e32 v15, 32, v15
	v_lshrrev_b32_e32 v13, 19, v6
	v_subrev_u32_e32 v16, 28, v15
	v_and_b32_e32 v13, 15, v13
	v_lshlrev_b32_sdwa v16, v16, v6 dst_sel:DWORD dst_unused:UNUSED_PAD src0_sel:DWORD src1_sel:WORD_1
	v_bfe_u32 v14, v6, 19, 4
	v_sub_u32_e32 v15, 29, v15
	v_and_b32_e32 v16, 7, v16
	v_cmp_eq_u16_e32 vcc, 0, v13
	v_cndmask_b32_e32 v12, v12, v16, vcc
	v_cndmask_b32_e32 v13, v14, v15, vcc
	v_lshlrev_b32_e32 v14, 8, v6
	v_mov_b32_e32 v15, 0x3b800000
	v_lshlrev_b32_e32 v12, 20, v12
	v_and_b32_e32 v14, 0x80000000, v14
	v_lshl_add_u32 v13, v13, 23, v15
	v_or3_b32 v12, v14, v13, v12
.LBB11_1044:
	s_or_b64 exec, exec, s[6:7]
	s_movk_i32 s4, 0xff
	v_and_b32_sdwa v13, v2, s4 dst_sel:DWORD dst_unused:UNUSED_PAD src0_sel:WORD_1 src1_sel:DWORD
	s_movk_i32 s4, 0x7f
	v_cmp_lt_i16_e32 vcc, s4, v13
	s_mov_b64 s[4:5], 0
                                        ; implicit-def: $sgpr10
	s_and_saveexec_b64 s[6:7], vcc
	s_xor_b64 s[6:7], exec, s[6:7]
	s_cbranch_execnz .LBB11_3093
; %bb.1045:
	s_or_saveexec_b64 s[6:7], s[6:7]
	v_mov_b32_e32 v14, s10
	s_xor_b64 exec, exec, s[6:7]
	s_cbranch_execnz .LBB11_3096
.LBB11_1046:
	s_or_b64 exec, exec, s[6:7]
	s_and_saveexec_b64 s[6:7], s[4:5]
	s_cbranch_execz .LBB11_1048
.LBB11_1047:
	v_bfe_u32 v13, v2, 16, 3
	v_ffbh_u32_e32 v16, v13
	v_min_u32_e32 v16, 32, v16
	v_lshrrev_b32_e32 v14, 19, v2
	v_subrev_u32_e32 v17, 28, v16
	v_and_b32_e32 v14, 15, v14
	v_lshlrev_b32_sdwa v17, v17, v2 dst_sel:DWORD dst_unused:UNUSED_PAD src0_sel:DWORD src1_sel:WORD_1
	v_bfe_u32 v15, v2, 19, 4
	v_sub_u32_e32 v16, 29, v16
	v_and_b32_e32 v17, 7, v17
	v_cmp_eq_u16_e32 vcc, 0, v14
	v_cndmask_b32_e32 v13, v13, v17, vcc
	v_cndmask_b32_e32 v14, v15, v16, vcc
	v_lshlrev_b32_e32 v15, 8, v2
	v_mov_b32_e32 v16, 0x3b800000
	v_lshlrev_b32_e32 v13, 20, v13
	v_and_b32_e32 v15, 0x80000000, v15
	v_lshl_add_u32 v14, v14, 23, v16
	v_or3_b32 v14, v15, v14, v13
.LBB11_1048:
	s_or_b64 exec, exec, s[6:7]
	s_nop 0
	v_mfma_f32_16x16x4f32 a[0:3], v12, v14, a[0:3]
	s_movk_i32 s4, 0x7f
	v_cmp_gt_i16_sdwa s[6:7], v6, s4 src0_sel:BYTE_3 src1_sel:DWORD
	s_mov_b64 s[4:5], 0
                                        ; implicit-def: $sgpr10
	s_and_saveexec_b64 s[8:9], s[6:7]
	s_xor_b64 s[6:7], exec, s[8:9]
	s_cbranch_execnz .LBB11_3097
; %bb.1049:
	s_or_saveexec_b64 s[6:7], s[6:7]
	v_mov_b32_e32 v12, s10
	s_xor_b64 exec, exec, s[6:7]
	s_cbranch_execnz .LBB11_3100
.LBB11_1050:
	s_or_b64 exec, exec, s[6:7]
	s_and_saveexec_b64 s[6:7], s[4:5]
	s_cbranch_execz .LBB11_1052
.LBB11_1051:
	v_bfe_u32 v12, v6, 24, 3
	v_ffbh_u32_e32 v16, v12
	v_min_u32_e32 v16, 32, v16
	v_lshrrev_b32_e32 v14, 27, v6
	v_subrev_u32_e32 v17, 28, v16
	v_and_b32_e32 v13, 0x80000000, v6
	v_and_b32_e32 v14, 15, v14
	v_bfe_u32 v15, v6, 27, 4
	v_lshlrev_b32_sdwa v6, v17, v6 dst_sel:DWORD dst_unused:UNUSED_PAD src0_sel:DWORD src1_sel:BYTE_3
	v_sub_u32_e32 v16, 29, v16
	v_and_b32_e32 v6, 7, v6
	v_cmp_eq_u16_e32 vcc, 0, v14
	v_cndmask_b32_e32 v6, v12, v6, vcc
	v_cndmask_b32_e32 v12, v15, v16, vcc
	v_mov_b32_e32 v14, 0x3b800000
	v_lshlrev_b32_e32 v6, 20, v6
	v_lshl_add_u32 v12, v12, 23, v14
	v_or3_b32 v12, v13, v12, v6
.LBB11_1052:
	s_or_b64 exec, exec, s[6:7]
	s_movk_i32 s4, 0x7f
	v_cmp_gt_i16_sdwa s[6:7], v2, s4 src0_sel:BYTE_3 src1_sel:DWORD
	s_mov_b64 s[4:5], 0
                                        ; implicit-def: $sgpr10
	s_and_saveexec_b64 s[8:9], s[6:7]
	s_xor_b64 s[6:7], exec, s[8:9]
	s_cbranch_execnz .LBB11_3101
; %bb.1053:
	s_or_saveexec_b64 s[6:7], s[6:7]
	v_mov_b32_e32 v6, s10
	s_xor_b64 exec, exec, s[6:7]
	s_cbranch_execnz .LBB11_3104
.LBB11_1054:
	s_or_b64 exec, exec, s[6:7]
	s_and_saveexec_b64 s[6:7], s[4:5]
	s_cbranch_execz .LBB11_1056
.LBB11_1055:
	v_bfe_u32 v6, v2, 24, 3
	v_ffbh_u32_e32 v16, v6
	v_min_u32_e32 v16, 32, v16
	v_lshrrev_b32_e32 v14, 27, v2
	v_subrev_u32_e32 v17, 28, v16
	v_and_b32_e32 v13, 0x80000000, v2
	v_and_b32_e32 v14, 15, v14
	v_bfe_u32 v15, v2, 27, 4
	v_lshlrev_b32_sdwa v2, v17, v2 dst_sel:DWORD dst_unused:UNUSED_PAD src0_sel:DWORD src1_sel:BYTE_3
	v_sub_u32_e32 v16, 29, v16
	v_and_b32_e32 v2, 7, v2
	v_cmp_eq_u16_e32 vcc, 0, v14
	v_cndmask_b32_e32 v2, v6, v2, vcc
	v_cndmask_b32_e32 v6, v15, v16, vcc
	v_mov_b32_e32 v14, 0x3b800000
	v_lshlrev_b32_e32 v2, 20, v2
	v_lshl_add_u32 v6, v6, 23, v14
	v_or3_b32 v6, v13, v6, v2
.LBB11_1056:
	s_or_b64 exec, exec, s[6:7]
	s_nop 0
	v_mfma_f32_16x16x4f32 a[0:3], v12, v6, a[0:3]
	s_movk_i32 s4, 0x7f
	v_cmp_gt_i16_sdwa s[6:7], v7, s4 src0_sel:BYTE_0 src1_sel:DWORD
	s_mov_b64 s[4:5], 0
                                        ; implicit-def: $sgpr10
	s_and_saveexec_b64 s[8:9], s[6:7]
	s_xor_b64 s[6:7], exec, s[8:9]
	s_cbranch_execnz .LBB11_3105
; %bb.1057:
	s_or_saveexec_b64 s[6:7], s[6:7]
	v_mov_b32_e32 v2, s10
	s_xor_b64 exec, exec, s[6:7]
	s_cbranch_execnz .LBB11_3108
.LBB11_1058:
	s_or_b64 exec, exec, s[6:7]
	s_and_saveexec_b64 s[6:7], s[4:5]
	s_cbranch_execz .LBB11_1060
.LBB11_1059:
	v_and_b32_e32 v2, 7, v7
	v_ffbh_u32_e32 v12, v2
	v_min_u32_e32 v12, 32, v12
	v_lshrrev_b16_e32 v6, 3, v7
	v_subrev_u32_e32 v13, 28, v12
	v_and_b32_e32 v6, 15, v6
	v_lshlrev_b32_e32 v13, v13, v7
	v_sub_u32_e32 v12, 29, v12
	v_and_b32_e32 v13, 7, v13
	v_cmp_eq_u16_e32 vcc, 0, v6
	v_cndmask_b32_e32 v2, v2, v13, vcc
	v_cndmask_b32_e32 v6, v6, v12, vcc
	v_lshlrev_b32_e32 v12, 24, v7
	v_mov_b32_e32 v13, 0x3b800000
	v_lshlrev_b32_e32 v2, 20, v2
	v_and_b32_e32 v12, 0x80000000, v12
	v_lshl_add_u32 v6, v6, 23, v13
	v_or3_b32 v2, v12, v6, v2
.LBB11_1060:
	s_or_b64 exec, exec, s[6:7]
	s_movk_i32 s4, 0x7f
	v_cmp_gt_i16_sdwa s[6:7], v3, s4 src0_sel:BYTE_0 src1_sel:DWORD
	s_mov_b64 s[4:5], 0
                                        ; implicit-def: $sgpr10
	s_and_saveexec_b64 s[8:9], s[6:7]
	s_xor_b64 s[6:7], exec, s[8:9]
	s_cbranch_execnz .LBB11_3109
; %bb.1061:
	s_or_saveexec_b64 s[6:7], s[6:7]
	v_mov_b32_e32 v6, s10
	s_xor_b64 exec, exec, s[6:7]
	s_cbranch_execnz .LBB11_3112
.LBB11_1062:
	s_or_b64 exec, exec, s[6:7]
	s_and_saveexec_b64 s[6:7], s[4:5]
	s_cbranch_execz .LBB11_1064
.LBB11_1063:
	v_and_b32_e32 v6, 7, v3
	v_ffbh_u32_e32 v13, v6
	v_min_u32_e32 v13, 32, v13
	v_lshrrev_b16_e32 v12, 3, v3
	v_subrev_u32_e32 v14, 28, v13
	v_and_b32_e32 v12, 15, v12
	v_lshlrev_b32_e32 v14, v14, v3
	v_sub_u32_e32 v13, 29, v13
	v_and_b32_e32 v14, 7, v14
	v_cmp_eq_u16_e32 vcc, 0, v12
	v_cndmask_b32_e32 v6, v6, v14, vcc
	v_cndmask_b32_e32 v12, v12, v13, vcc
	v_lshlrev_b32_e32 v13, 24, v3
	v_mov_b32_e32 v14, 0x3b800000
	v_lshlrev_b32_e32 v6, 20, v6
	v_and_b32_e32 v13, 0x80000000, v13
	v_lshl_add_u32 v12, v12, 23, v14
	v_or3_b32 v6, v13, v12, v6
.LBB11_1064:
	s_or_b64 exec, exec, s[6:7]
	s_nop 0
	v_mfma_f32_16x16x4f32 a[0:3], v2, v6, a[0:3]
	v_lshrrev_b32_e32 v6, 8, v7
	s_movk_i32 s4, 0x7f
	v_cmp_gt_i16_sdwa s[6:7], v6, s4 src0_sel:BYTE_0 src1_sel:DWORD
	s_mov_b64 s[4:5], 0
                                        ; implicit-def: $sgpr10
	s_and_saveexec_b64 s[8:9], s[6:7]
	s_xor_b64 s[6:7], exec, s[8:9]
	s_cbranch_execnz .LBB11_3113
; %bb.1065:
	s_or_saveexec_b64 s[6:7], s[6:7]
	v_mov_b32_e32 v2, s10
	s_xor_b64 exec, exec, s[6:7]
	s_cbranch_execnz .LBB11_3116
.LBB11_1066:
	s_or_b64 exec, exec, s[6:7]
	s_and_saveexec_b64 s[6:7], s[4:5]
	s_cbranch_execz .LBB11_1068
.LBB11_1067:
	v_bfe_u32 v2, v7, 8, 3
	v_ffbh_u32_e32 v13, v2
	v_min_u32_e32 v13, 32, v13
	v_lshrrev_b16_e32 v12, 3, v6
	v_subrev_u32_e32 v14, 28, v13
	v_and_b32_e32 v12, 15, v12
	v_lshlrev_b32_e32 v6, v14, v6
	v_sub_u32_e32 v13, 29, v13
	v_and_b32_e32 v6, 7, v6
	v_cmp_eq_u16_e32 vcc, 0, v12
	v_cndmask_b32_e32 v2, v2, v6, vcc
	v_cndmask_b32_e32 v6, v12, v13, vcc
	v_lshlrev_b32_e32 v12, 16, v7
	v_mov_b32_e32 v13, 0x3b800000
	v_lshlrev_b32_e32 v2, 20, v2
	v_and_b32_e32 v12, 0x80000000, v12
	v_lshl_add_u32 v6, v6, 23, v13
	v_or3_b32 v2, v12, v6, v2
.LBB11_1068:
	s_or_b64 exec, exec, s[6:7]
	v_lshrrev_b32_e32 v6, 8, v3
	s_movk_i32 s4, 0x7f
	v_cmp_gt_i16_sdwa s[6:7], v6, s4 src0_sel:BYTE_0 src1_sel:DWORD
	s_mov_b64 s[4:5], 0
                                        ; implicit-def: $sgpr10
	s_and_saveexec_b64 s[8:9], s[6:7]
	s_xor_b64 s[6:7], exec, s[8:9]
	s_cbranch_execnz .LBB11_3117
; %bb.1069:
	s_or_saveexec_b64 s[6:7], s[6:7]
	v_mov_b32_e32 v12, s10
	s_xor_b64 exec, exec, s[6:7]
	s_cbranch_execnz .LBB11_3120
.LBB11_1070:
	s_or_b64 exec, exec, s[6:7]
	s_and_saveexec_b64 s[6:7], s[4:5]
	s_cbranch_execz .LBB11_1072
.LBB11_1071:
	v_bfe_u32 v12, v3, 8, 3
	v_ffbh_u32_e32 v14, v12
	v_min_u32_e32 v14, 32, v14
	v_lshrrev_b16_e32 v13, 3, v6
	v_subrev_u32_e32 v15, 28, v14
	v_and_b32_e32 v13, 15, v13
	v_lshlrev_b32_e32 v6, v15, v6
	v_sub_u32_e32 v14, 29, v14
	v_and_b32_e32 v6, 7, v6
	v_cmp_eq_u16_e32 vcc, 0, v13
	v_cndmask_b32_e32 v6, v12, v6, vcc
	v_cndmask_b32_e32 v12, v13, v14, vcc
	v_lshlrev_b32_e32 v13, 16, v3
	v_mov_b32_e32 v14, 0x3b800000
	v_lshlrev_b32_e32 v6, 20, v6
	v_and_b32_e32 v13, 0x80000000, v13
	v_lshl_add_u32 v12, v12, 23, v14
	v_or3_b32 v12, v13, v12, v6
.LBB11_1072:
	s_or_b64 exec, exec, s[6:7]
	s_nop 0
	v_mfma_f32_16x16x4f32 a[0:3], v2, v12, a[0:3]
	s_movk_i32 s4, 0xff
	v_and_b32_sdwa v6, v7, s4 dst_sel:DWORD dst_unused:UNUSED_PAD src0_sel:WORD_1 src1_sel:DWORD
	s_movk_i32 s4, 0x7f
	v_cmp_lt_i16_e32 vcc, s4, v6
	s_mov_b64 s[4:5], 0
                                        ; implicit-def: $sgpr10
	s_and_saveexec_b64 s[6:7], vcc
	s_xor_b64 s[6:7], exec, s[6:7]
	s_cbranch_execnz .LBB11_3121
; %bb.1073:
	s_or_saveexec_b64 s[6:7], s[6:7]
	v_mov_b32_e32 v2, s10
	s_xor_b64 exec, exec, s[6:7]
	s_cbranch_execnz .LBB11_3124
.LBB11_1074:
	s_or_b64 exec, exec, s[6:7]
	s_and_saveexec_b64 s[6:7], s[4:5]
	s_cbranch_execz .LBB11_1076
.LBB11_1075:
	v_bfe_u32 v2, v7, 16, 3
	v_ffbh_u32_e32 v13, v2
	v_min_u32_e32 v13, 32, v13
	v_lshrrev_b32_e32 v6, 19, v7
	v_subrev_u32_e32 v14, 28, v13
	v_and_b32_e32 v6, 15, v6
	v_lshlrev_b32_sdwa v14, v14, v7 dst_sel:DWORD dst_unused:UNUSED_PAD src0_sel:DWORD src1_sel:WORD_1
	v_bfe_u32 v12, v7, 19, 4
	v_sub_u32_e32 v13, 29, v13
	v_and_b32_e32 v14, 7, v14
	v_cmp_eq_u16_e32 vcc, 0, v6
	v_cndmask_b32_e32 v2, v2, v14, vcc
	v_cndmask_b32_e32 v6, v12, v13, vcc
	v_lshlrev_b32_e32 v12, 8, v7
	v_mov_b32_e32 v13, 0x3b800000
	v_lshlrev_b32_e32 v2, 20, v2
	v_and_b32_e32 v12, 0x80000000, v12
	v_lshl_add_u32 v6, v6, 23, v13
	v_or3_b32 v2, v12, v6, v2
.LBB11_1076:
	s_or_b64 exec, exec, s[6:7]
	s_movk_i32 s4, 0xff
	v_and_b32_sdwa v6, v3, s4 dst_sel:DWORD dst_unused:UNUSED_PAD src0_sel:WORD_1 src1_sel:DWORD
	s_movk_i32 s4, 0x7f
	v_cmp_lt_i16_e32 vcc, s4, v6
	s_mov_b64 s[4:5], 0
                                        ; implicit-def: $sgpr10
	s_and_saveexec_b64 s[6:7], vcc
	s_xor_b64 s[6:7], exec, s[6:7]
	s_cbranch_execnz .LBB11_3125
; %bb.1077:
	s_or_saveexec_b64 s[6:7], s[6:7]
	v_mov_b32_e32 v12, s10
	s_xor_b64 exec, exec, s[6:7]
	s_cbranch_execnz .LBB11_3128
.LBB11_1078:
	s_or_b64 exec, exec, s[6:7]
	s_and_saveexec_b64 s[6:7], s[4:5]
	s_cbranch_execz .LBB11_1080
.LBB11_1079:
	v_bfe_u32 v6, v3, 16, 3
	v_ffbh_u32_e32 v14, v6
	v_min_u32_e32 v14, 32, v14
	v_lshrrev_b32_e32 v12, 19, v3
	v_subrev_u32_e32 v15, 28, v14
	v_and_b32_e32 v12, 15, v12
	v_lshlrev_b32_sdwa v15, v15, v3 dst_sel:DWORD dst_unused:UNUSED_PAD src0_sel:DWORD src1_sel:WORD_1
	v_bfe_u32 v13, v3, 19, 4
	v_sub_u32_e32 v14, 29, v14
	v_and_b32_e32 v15, 7, v15
	v_cmp_eq_u16_e32 vcc, 0, v12
	v_cndmask_b32_e32 v6, v6, v15, vcc
	v_cndmask_b32_e32 v12, v13, v14, vcc
	v_lshlrev_b32_e32 v13, 8, v3
	v_mov_b32_e32 v14, 0x3b800000
	v_lshlrev_b32_e32 v6, 20, v6
	v_and_b32_e32 v13, 0x80000000, v13
	v_lshl_add_u32 v12, v12, 23, v14
	v_or3_b32 v12, v13, v12, v6
.LBB11_1080:
	s_or_b64 exec, exec, s[6:7]
	s_nop 0
	v_mfma_f32_16x16x4f32 a[0:3], v2, v12, a[0:3]
	s_movk_i32 s4, 0x7f
	v_cmp_gt_i16_sdwa s[6:7], v7, s4 src0_sel:BYTE_3 src1_sel:DWORD
	s_mov_b64 s[4:5], 0
                                        ; implicit-def: $sgpr10
	s_and_saveexec_b64 s[8:9], s[6:7]
	s_xor_b64 s[6:7], exec, s[8:9]
	s_cbranch_execnz .LBB11_3129
; %bb.1081:
	s_or_saveexec_b64 s[6:7], s[6:7]
	v_mov_b32_e32 v2, s10
	s_xor_b64 exec, exec, s[6:7]
	s_cbranch_execnz .LBB11_3132
.LBB11_1082:
	s_or_b64 exec, exec, s[6:7]
	s_and_saveexec_b64 s[6:7], s[4:5]
	s_cbranch_execz .LBB11_1084
.LBB11_1083:
	v_bfe_u32 v2, v7, 24, 3
	v_ffbh_u32_e32 v14, v2
	v_min_u32_e32 v14, 32, v14
	v_lshrrev_b32_e32 v12, 27, v7
	v_subrev_u32_e32 v15, 28, v14
	v_and_b32_e32 v6, 0x80000000, v7
	v_and_b32_e32 v12, 15, v12
	v_bfe_u32 v13, v7, 27, 4
	v_lshlrev_b32_sdwa v7, v15, v7 dst_sel:DWORD dst_unused:UNUSED_PAD src0_sel:DWORD src1_sel:BYTE_3
	v_sub_u32_e32 v14, 29, v14
	v_and_b32_e32 v7, 7, v7
	v_cmp_eq_u16_e32 vcc, 0, v12
	v_cndmask_b32_e32 v2, v2, v7, vcc
	v_cndmask_b32_e32 v7, v13, v14, vcc
	v_mov_b32_e32 v12, 0x3b800000
	v_lshlrev_b32_e32 v2, 20, v2
	v_lshl_add_u32 v7, v7, 23, v12
	v_or3_b32 v2, v6, v7, v2
.LBB11_1084:
	s_or_b64 exec, exec, s[6:7]
	s_movk_i32 s4, 0x7f
	v_cmp_gt_i16_sdwa s[6:7], v3, s4 src0_sel:BYTE_3 src1_sel:DWORD
	s_mov_b64 s[4:5], 0
                                        ; implicit-def: $sgpr10
	s_and_saveexec_b64 s[8:9], s[6:7]
	s_xor_b64 s[6:7], exec, s[8:9]
	s_cbranch_execnz .LBB11_3133
; %bb.1085:
	s_or_saveexec_b64 s[6:7], s[6:7]
	v_mov_b32_e32 v6, s10
	s_xor_b64 exec, exec, s[6:7]
	s_cbranch_execnz .LBB11_3136
.LBB11_1086:
	s_or_b64 exec, exec, s[6:7]
	s_and_saveexec_b64 s[6:7], s[4:5]
	s_cbranch_execz .LBB11_1088
.LBB11_1087:
	v_bfe_u32 v6, v3, 24, 3
	v_ffbh_u32_e32 v14, v6
	v_min_u32_e32 v14, 32, v14
	v_lshrrev_b32_e32 v12, 27, v3
	v_subrev_u32_e32 v15, 28, v14
	v_and_b32_e32 v7, 0x80000000, v3
	v_and_b32_e32 v12, 15, v12
	v_bfe_u32 v13, v3, 27, 4
	v_lshlrev_b32_sdwa v3, v15, v3 dst_sel:DWORD dst_unused:UNUSED_PAD src0_sel:DWORD src1_sel:BYTE_3
	v_sub_u32_e32 v14, 29, v14
	v_and_b32_e32 v3, 7, v3
	v_cmp_eq_u16_e32 vcc, 0, v12
	v_cndmask_b32_e32 v3, v6, v3, vcc
	v_cndmask_b32_e32 v6, v13, v14, vcc
	v_mov_b32_e32 v12, 0x3b800000
	v_lshlrev_b32_e32 v3, 20, v3
	v_lshl_add_u32 v6, v6, 23, v12
	v_or3_b32 v6, v7, v6, v3
.LBB11_1088:
	s_or_b64 exec, exec, s[6:7]
	s_nop 0
	v_mfma_f32_16x16x4f32 a[0:3], v2, v6, a[0:3]
	s_movk_i32 s4, 0x7f
	v_cmp_gt_i16_sdwa s[6:7], v8, s4 src0_sel:BYTE_0 src1_sel:DWORD
	s_mov_b64 s[4:5], 0
                                        ; implicit-def: $sgpr10
	s_and_saveexec_b64 s[8:9], s[6:7]
	s_xor_b64 s[6:7], exec, s[8:9]
	s_cbranch_execnz .LBB11_3137
; %bb.1089:
	s_or_saveexec_b64 s[6:7], s[6:7]
	v_mov_b32_e32 v2, s10
	s_xor_b64 exec, exec, s[6:7]
	s_cbranch_execnz .LBB11_3140
.LBB11_1090:
	s_or_b64 exec, exec, s[6:7]
	s_and_saveexec_b64 s[6:7], s[4:5]
	s_cbranch_execz .LBB11_1092
.LBB11_1091:
	v_and_b32_e32 v2, 7, v8
	v_ffbh_u32_e32 v6, v2
	v_min_u32_e32 v6, 32, v6
	v_lshrrev_b16_e32 v3, 3, v8
	v_subrev_u32_e32 v7, 28, v6
	v_and_b32_e32 v3, 15, v3
	v_lshlrev_b32_e32 v7, v7, v8
	v_sub_u32_e32 v6, 29, v6
	v_and_b32_e32 v7, 7, v7
	v_cmp_eq_u16_e32 vcc, 0, v3
	v_cndmask_b32_e32 v2, v2, v7, vcc
	v_cndmask_b32_e32 v3, v3, v6, vcc
	v_lshlrev_b32_e32 v6, 24, v8
	v_mov_b32_e32 v7, 0x3b800000
	v_lshlrev_b32_e32 v2, 20, v2
	v_and_b32_e32 v6, 0x80000000, v6
	v_lshl_add_u32 v3, v3, 23, v7
	v_or3_b32 v2, v6, v3, v2
.LBB11_1092:
	s_or_b64 exec, exec, s[6:7]
	s_movk_i32 s4, 0x7f
	v_cmp_gt_i16_sdwa s[6:7], v4, s4 src0_sel:BYTE_0 src1_sel:DWORD
	s_mov_b64 s[4:5], 0
                                        ; implicit-def: $sgpr10
	s_and_saveexec_b64 s[8:9], s[6:7]
	s_xor_b64 s[6:7], exec, s[8:9]
	s_cbranch_execnz .LBB11_3141
; %bb.1093:
	s_or_saveexec_b64 s[6:7], s[6:7]
	v_mov_b32_e32 v3, s10
	s_xor_b64 exec, exec, s[6:7]
	s_cbranch_execnz .LBB11_3144
.LBB11_1094:
	s_or_b64 exec, exec, s[6:7]
	s_and_saveexec_b64 s[6:7], s[4:5]
	s_cbranch_execz .LBB11_1096
.LBB11_1095:
	v_and_b32_e32 v3, 7, v4
	v_ffbh_u32_e32 v7, v3
	v_min_u32_e32 v7, 32, v7
	v_lshrrev_b16_e32 v6, 3, v4
	v_subrev_u32_e32 v12, 28, v7
	v_and_b32_e32 v6, 15, v6
	v_lshlrev_b32_e32 v12, v12, v4
	v_sub_u32_e32 v7, 29, v7
	v_and_b32_e32 v12, 7, v12
	v_cmp_eq_u16_e32 vcc, 0, v6
	v_cndmask_b32_e32 v3, v3, v12, vcc
	v_cndmask_b32_e32 v6, v6, v7, vcc
	v_lshlrev_b32_e32 v7, 24, v4
	v_mov_b32_e32 v12, 0x3b800000
	v_lshlrev_b32_e32 v3, 20, v3
	v_and_b32_e32 v7, 0x80000000, v7
	v_lshl_add_u32 v6, v6, 23, v12
	v_or3_b32 v3, v7, v6, v3
.LBB11_1096:
	s_or_b64 exec, exec, s[6:7]
	s_nop 0
	v_mfma_f32_16x16x4f32 a[0:3], v2, v3, a[0:3]
	v_lshrrev_b32_e32 v3, 8, v8
	s_movk_i32 s4, 0x7f
	v_cmp_gt_i16_sdwa s[6:7], v3, s4 src0_sel:BYTE_0 src1_sel:DWORD
	s_mov_b64 s[4:5], 0
                                        ; implicit-def: $sgpr10
	s_and_saveexec_b64 s[8:9], s[6:7]
	s_xor_b64 s[6:7], exec, s[8:9]
	s_cbranch_execnz .LBB11_3145
; %bb.1097:
	s_or_saveexec_b64 s[6:7], s[6:7]
	v_mov_b32_e32 v2, s10
	s_xor_b64 exec, exec, s[6:7]
	s_cbranch_execnz .LBB11_3148
.LBB11_1098:
	s_or_b64 exec, exec, s[6:7]
	s_and_saveexec_b64 s[6:7], s[4:5]
	s_cbranch_execz .LBB11_1100
.LBB11_1099:
	v_bfe_u32 v2, v8, 8, 3
	v_ffbh_u32_e32 v7, v2
	v_min_u32_e32 v7, 32, v7
	v_lshrrev_b16_e32 v6, 3, v3
	v_subrev_u32_e32 v12, 28, v7
	v_and_b32_e32 v6, 15, v6
	v_lshlrev_b32_e32 v3, v12, v3
	v_sub_u32_e32 v7, 29, v7
	v_and_b32_e32 v3, 7, v3
	v_cmp_eq_u16_e32 vcc, 0, v6
	v_cndmask_b32_e32 v2, v2, v3, vcc
	v_cndmask_b32_e32 v3, v6, v7, vcc
	v_lshlrev_b32_e32 v6, 16, v8
	v_mov_b32_e32 v7, 0x3b800000
	v_lshlrev_b32_e32 v2, 20, v2
	v_and_b32_e32 v6, 0x80000000, v6
	v_lshl_add_u32 v3, v3, 23, v7
	v_or3_b32 v2, v6, v3, v2
.LBB11_1100:
	s_or_b64 exec, exec, s[6:7]
	v_lshrrev_b32_e32 v3, 8, v4
	s_movk_i32 s4, 0x7f
	v_cmp_gt_i16_sdwa s[6:7], v3, s4 src0_sel:BYTE_0 src1_sel:DWORD
	s_mov_b64 s[4:5], 0
                                        ; implicit-def: $sgpr10
	s_and_saveexec_b64 s[8:9], s[6:7]
	s_xor_b64 s[6:7], exec, s[8:9]
	s_cbranch_execnz .LBB11_3149
; %bb.1101:
	s_or_saveexec_b64 s[6:7], s[6:7]
	v_mov_b32_e32 v6, s10
	s_xor_b64 exec, exec, s[6:7]
	s_cbranch_execnz .LBB11_3152
.LBB11_1102:
	s_or_b64 exec, exec, s[6:7]
	s_and_saveexec_b64 s[6:7], s[4:5]
	s_cbranch_execz .LBB11_1104
.LBB11_1103:
	v_bfe_u32 v6, v4, 8, 3
	v_ffbh_u32_e32 v12, v6
	v_min_u32_e32 v12, 32, v12
	v_lshrrev_b16_e32 v7, 3, v3
	v_subrev_u32_e32 v13, 28, v12
	v_and_b32_e32 v7, 15, v7
	v_lshlrev_b32_e32 v3, v13, v3
	v_sub_u32_e32 v12, 29, v12
	v_and_b32_e32 v3, 7, v3
	v_cmp_eq_u16_e32 vcc, 0, v7
	v_cndmask_b32_e32 v3, v6, v3, vcc
	v_cndmask_b32_e32 v6, v7, v12, vcc
	v_lshlrev_b32_e32 v7, 16, v4
	v_mov_b32_e32 v12, 0x3b800000
	v_lshlrev_b32_e32 v3, 20, v3
	v_and_b32_e32 v7, 0x80000000, v7
	v_lshl_add_u32 v6, v6, 23, v12
	v_or3_b32 v6, v7, v6, v3
.LBB11_1104:
	s_or_b64 exec, exec, s[6:7]
	s_nop 0
	v_mfma_f32_16x16x4f32 a[0:3], v2, v6, a[0:3]
	s_movk_i32 s4, 0xff
	v_and_b32_sdwa v3, v8, s4 dst_sel:DWORD dst_unused:UNUSED_PAD src0_sel:WORD_1 src1_sel:DWORD
	s_movk_i32 s4, 0x7f
	v_cmp_lt_i16_e32 vcc, s4, v3
	s_mov_b64 s[4:5], 0
                                        ; implicit-def: $sgpr10
	s_and_saveexec_b64 s[6:7], vcc
	s_xor_b64 s[6:7], exec, s[6:7]
	s_cbranch_execnz .LBB11_3153
; %bb.1105:
	s_or_saveexec_b64 s[6:7], s[6:7]
	v_mov_b32_e32 v2, s10
	s_xor_b64 exec, exec, s[6:7]
	s_cbranch_execnz .LBB11_3156
.LBB11_1106:
	s_or_b64 exec, exec, s[6:7]
	s_and_saveexec_b64 s[6:7], s[4:5]
	s_cbranch_execz .LBB11_1108
.LBB11_1107:
	v_bfe_u32 v2, v8, 16, 3
	v_ffbh_u32_e32 v7, v2
	v_min_u32_e32 v7, 32, v7
	v_lshrrev_b32_e32 v3, 19, v8
	v_subrev_u32_e32 v12, 28, v7
	v_and_b32_e32 v3, 15, v3
	v_lshlrev_b32_sdwa v12, v12, v8 dst_sel:DWORD dst_unused:UNUSED_PAD src0_sel:DWORD src1_sel:WORD_1
	v_bfe_u32 v6, v8, 19, 4
	v_sub_u32_e32 v7, 29, v7
	v_and_b32_e32 v12, 7, v12
	v_cmp_eq_u16_e32 vcc, 0, v3
	v_cndmask_b32_e32 v2, v2, v12, vcc
	v_cndmask_b32_e32 v3, v6, v7, vcc
	v_lshlrev_b32_e32 v6, 8, v8
	v_mov_b32_e32 v7, 0x3b800000
	v_lshlrev_b32_e32 v2, 20, v2
	v_and_b32_e32 v6, 0x80000000, v6
	v_lshl_add_u32 v3, v3, 23, v7
	v_or3_b32 v2, v6, v3, v2
.LBB11_1108:
	s_or_b64 exec, exec, s[6:7]
	s_movk_i32 s4, 0xff
	v_and_b32_sdwa v3, v4, s4 dst_sel:DWORD dst_unused:UNUSED_PAD src0_sel:WORD_1 src1_sel:DWORD
	s_movk_i32 s4, 0x7f
	v_cmp_lt_i16_e32 vcc, s4, v3
	s_mov_b64 s[4:5], 0
                                        ; implicit-def: $sgpr10
	s_and_saveexec_b64 s[6:7], vcc
	s_xor_b64 s[6:7], exec, s[6:7]
	s_cbranch_execnz .LBB11_3157
; %bb.1109:
	s_or_saveexec_b64 s[6:7], s[6:7]
	v_mov_b32_e32 v6, s10
	s_xor_b64 exec, exec, s[6:7]
	s_cbranch_execnz .LBB11_3160
.LBB11_1110:
	s_or_b64 exec, exec, s[6:7]
	s_and_saveexec_b64 s[6:7], s[4:5]
	s_cbranch_execz .LBB11_1112
.LBB11_1111:
	v_bfe_u32 v3, v4, 16, 3
	v_ffbh_u32_e32 v12, v3
	v_min_u32_e32 v12, 32, v12
	v_lshrrev_b32_e32 v6, 19, v4
	v_subrev_u32_e32 v13, 28, v12
	v_and_b32_e32 v6, 15, v6
	v_lshlrev_b32_sdwa v13, v13, v4 dst_sel:DWORD dst_unused:UNUSED_PAD src0_sel:DWORD src1_sel:WORD_1
	v_bfe_u32 v7, v4, 19, 4
	v_sub_u32_e32 v12, 29, v12
	v_and_b32_e32 v13, 7, v13
	v_cmp_eq_u16_e32 vcc, 0, v6
	v_cndmask_b32_e32 v3, v3, v13, vcc
	v_cndmask_b32_e32 v6, v7, v12, vcc
	v_lshlrev_b32_e32 v7, 8, v4
	v_mov_b32_e32 v12, 0x3b800000
	v_lshlrev_b32_e32 v3, 20, v3
	v_and_b32_e32 v7, 0x80000000, v7
	v_lshl_add_u32 v6, v6, 23, v12
	v_or3_b32 v6, v7, v6, v3
.LBB11_1112:
	s_or_b64 exec, exec, s[6:7]
	s_nop 0
	v_mfma_f32_16x16x4f32 a[0:3], v2, v6, a[0:3]
	s_movk_i32 s4, 0x7f
	v_cmp_gt_i16_sdwa s[6:7], v8, s4 src0_sel:BYTE_3 src1_sel:DWORD
	s_mov_b64 s[4:5], 0
                                        ; implicit-def: $sgpr10
	s_and_saveexec_b64 s[8:9], s[6:7]
	s_xor_b64 s[6:7], exec, s[8:9]
	s_cbranch_execnz .LBB11_3161
; %bb.1113:
	s_or_saveexec_b64 s[6:7], s[6:7]
	v_mov_b32_e32 v2, s10
	s_xor_b64 exec, exec, s[6:7]
	s_cbranch_execnz .LBB11_3164
.LBB11_1114:
	s_or_b64 exec, exec, s[6:7]
	s_and_saveexec_b64 s[6:7], s[4:5]
	s_cbranch_execz .LBB11_1116
.LBB11_1115:
	v_bfe_u32 v2, v8, 24, 3
	v_ffbh_u32_e32 v12, v2
	v_min_u32_e32 v12, 32, v12
	v_lshrrev_b32_e32 v6, 27, v8
	v_subrev_u32_e32 v13, 28, v12
	v_and_b32_e32 v3, 0x80000000, v8
	v_and_b32_e32 v6, 15, v6
	v_bfe_u32 v7, v8, 27, 4
	v_lshlrev_b32_sdwa v8, v13, v8 dst_sel:DWORD dst_unused:UNUSED_PAD src0_sel:DWORD src1_sel:BYTE_3
	v_sub_u32_e32 v12, 29, v12
	v_and_b32_e32 v8, 7, v8
	v_cmp_eq_u16_e32 vcc, 0, v6
	v_cndmask_b32_e32 v2, v2, v8, vcc
	v_cndmask_b32_e32 v6, v7, v12, vcc
	v_mov_b32_e32 v7, 0x3b800000
	v_lshlrev_b32_e32 v2, 20, v2
	v_lshl_add_u32 v6, v6, 23, v7
	v_or3_b32 v2, v3, v6, v2
.LBB11_1116:
	s_or_b64 exec, exec, s[6:7]
	s_movk_i32 s4, 0x7f
	v_cmp_gt_i16_sdwa s[6:7], v4, s4 src0_sel:BYTE_3 src1_sel:DWORD
	s_mov_b64 s[4:5], 0
                                        ; implicit-def: $sgpr10
	s_and_saveexec_b64 s[8:9], s[6:7]
	s_xor_b64 s[6:7], exec, s[8:9]
	s_cbranch_execnz .LBB11_3165
; %bb.1117:
	s_or_saveexec_b64 s[6:7], s[6:7]
	v_mov_b32_e32 v3, s10
	s_xor_b64 exec, exec, s[6:7]
	s_cbranch_execnz .LBB11_3168
.LBB11_1118:
	s_or_b64 exec, exec, s[6:7]
	s_and_saveexec_b64 s[6:7], s[4:5]
	s_cbranch_execz .LBB11_1120
.LBB11_1119:
	v_bfe_u32 v3, v4, 24, 3
	v_ffbh_u32_e32 v12, v3
	v_min_u32_e32 v12, 32, v12
	v_lshrrev_b32_e32 v7, 27, v4
	v_subrev_u32_e32 v13, 28, v12
	v_and_b32_e32 v6, 0x80000000, v4
	v_and_b32_e32 v7, 15, v7
	v_bfe_u32 v8, v4, 27, 4
	v_lshlrev_b32_sdwa v4, v13, v4 dst_sel:DWORD dst_unused:UNUSED_PAD src0_sel:DWORD src1_sel:BYTE_3
	v_sub_u32_e32 v12, 29, v12
	v_and_b32_e32 v4, 7, v4
	v_cmp_eq_u16_e32 vcc, 0, v7
	v_cndmask_b32_e32 v3, v3, v4, vcc
	v_cndmask_b32_e32 v4, v8, v12, vcc
	v_mov_b32_e32 v7, 0x3b800000
	v_lshlrev_b32_e32 v3, 20, v3
	v_lshl_add_u32 v4, v4, 23, v7
	v_or3_b32 v3, v6, v4, v3
.LBB11_1120:
	s_or_b64 exec, exec, s[6:7]
	s_nop 0
	v_mfma_f32_16x16x4f32 a[0:3], v2, v3, a[0:3]
	s_movk_i32 s4, 0x7f
	v_cmp_gt_i16_sdwa s[6:7], v9, s4 src0_sel:BYTE_0 src1_sel:DWORD
	s_mov_b64 s[4:5], 0
                                        ; implicit-def: $sgpr10
	s_and_saveexec_b64 s[8:9], s[6:7]
	s_xor_b64 s[6:7], exec, s[8:9]
	s_cbranch_execnz .LBB11_3169
; %bb.1121:
	s_or_saveexec_b64 s[6:7], s[6:7]
	v_mov_b32_e32 v2, s10
	s_xor_b64 exec, exec, s[6:7]
	s_cbranch_execnz .LBB11_3172
.LBB11_1122:
	s_or_b64 exec, exec, s[6:7]
	s_and_saveexec_b64 s[6:7], s[4:5]
	s_cbranch_execz .LBB11_1124
.LBB11_1123:
	v_mov_b32_e32 v2, 8
	v_and_b32_e32 v3, 7, v9
	v_lshrrev_b32_sdwa v2, v2, v9 dst_sel:BYTE_1 dst_unused:UNUSED_PAD src0_sel:DWORD src1_sel:DWORD
	v_ffbh_u32_e32 v4, v3
	v_or_b32_sdwa v2, v9, v2 dst_sel:DWORD dst_unused:UNUSED_PAD src0_sel:BYTE_0 src1_sel:DWORD
	v_min_u32_e32 v4, 32, v4
	v_lshrrev_b16_e32 v2, 3, v2
	v_subrev_u32_e32 v6, 28, v4
	v_and_b32_e32 v2, 15, v2
	v_lshlrev_b32_e32 v6, v6, v9
	v_sub_u32_e32 v4, 29, v4
	v_and_b32_e32 v6, 7, v6
	v_cmp_eq_u16_e32 vcc, 0, v2
	v_cndmask_b32_e32 v3, v3, v6, vcc
	v_cndmask_b32_e32 v2, v2, v4, vcc
	v_lshlrev_b32_e32 v4, 24, v9
	v_mov_b32_e32 v6, 0x3b800000
	v_lshlrev_b32_e32 v3, 20, v3
	v_and_b32_e32 v4, 0x80000000, v4
	v_lshl_add_u32 v2, v2, 23, v6
	v_or3_b32 v2, v4, v2, v3
.LBB11_1124:
	s_or_b64 exec, exec, s[6:7]
	s_movk_i32 s4, 0x7f
	v_cmp_gt_i16_sdwa s[6:7], v5, s4 src0_sel:BYTE_0 src1_sel:DWORD
	s_mov_b64 s[4:5], 0
                                        ; implicit-def: $sgpr10
	s_and_saveexec_b64 s[8:9], s[6:7]
	s_xor_b64 s[6:7], exec, s[8:9]
	s_cbranch_execnz .LBB11_3173
; %bb.1125:
	s_or_saveexec_b64 s[6:7], s[6:7]
	v_mov_b32_e32 v3, s10
	s_xor_b64 exec, exec, s[6:7]
	s_cbranch_execnz .LBB11_3176
.LBB11_1126:
	s_or_b64 exec, exec, s[6:7]
	s_and_saveexec_b64 s[6:7], s[4:5]
	s_cbranch_execz .LBB11_1128
.LBB11_1127:
	v_mov_b32_e32 v3, 8
	v_and_b32_e32 v4, 7, v5
	v_lshrrev_b32_sdwa v3, v3, v5 dst_sel:BYTE_1 dst_unused:UNUSED_PAD src0_sel:DWORD src1_sel:DWORD
	v_ffbh_u32_e32 v6, v4
	v_or_b32_sdwa v3, v5, v3 dst_sel:DWORD dst_unused:UNUSED_PAD src0_sel:BYTE_0 src1_sel:DWORD
	v_min_u32_e32 v6, 32, v6
	v_lshrrev_b16_e32 v3, 3, v3
	v_subrev_u32_e32 v7, 28, v6
	v_and_b32_e32 v3, 15, v3
	v_lshlrev_b32_e32 v7, v7, v5
	v_sub_u32_e32 v6, 29, v6
	v_and_b32_e32 v7, 7, v7
	v_cmp_eq_u16_e32 vcc, 0, v3
	v_cndmask_b32_e32 v4, v4, v7, vcc
	v_cndmask_b32_e32 v3, v3, v6, vcc
	v_lshlrev_b32_e32 v6, 24, v5
	v_mov_b32_e32 v7, 0x3b800000
	v_lshlrev_b32_e32 v4, 20, v4
	v_and_b32_e32 v6, 0x80000000, v6
	v_lshl_add_u32 v3, v3, 23, v7
	v_or3_b32 v3, v6, v3, v4
.LBB11_1128:
	s_or_b64 exec, exec, s[6:7]
	s_nop 0
	v_mfma_f32_16x16x4f32 a[0:3], v2, v3, a[0:3]
	v_lshrrev_b32_e32 v3, 8, v9
	s_movk_i32 s4, 0x7f
	v_cmp_gt_i16_sdwa s[6:7], v3, s4 src0_sel:BYTE_0 src1_sel:DWORD
	s_mov_b64 s[4:5], 0
                                        ; implicit-def: $sgpr10
	s_and_saveexec_b64 s[8:9], s[6:7]
	s_xor_b64 s[6:7], exec, s[8:9]
	s_cbranch_execnz .LBB11_3177
; %bb.1129:
	s_or_saveexec_b64 s[6:7], s[6:7]
	v_mov_b32_e32 v2, s10
	s_xor_b64 exec, exec, s[6:7]
	s_cbranch_execnz .LBB11_3180
.LBB11_1130:
	s_or_b64 exec, exec, s[6:7]
	s_and_saveexec_b64 s[6:7], s[4:5]
	s_cbranch_execz .LBB11_1132
.LBB11_1131:
	v_bfe_u32 v2, v9, 8, 3
	v_ffbh_u32_e32 v6, v2
	v_min_u32_e32 v6, 32, v6
	v_lshrrev_b16_e32 v4, 3, v3
	v_subrev_u32_e32 v7, 28, v6
	v_and_b32_e32 v4, 15, v4
	v_lshlrev_b32_e32 v3, v7, v3
	v_sub_u32_e32 v6, 29, v6
	v_and_b32_e32 v3, 7, v3
	v_cmp_eq_u16_e32 vcc, 0, v4
	v_cndmask_b32_e32 v2, v2, v3, vcc
	v_cndmask_b32_e32 v3, v4, v6, vcc
	v_lshlrev_b32_e32 v4, 16, v9
	v_mov_b32_e32 v6, 0x3b800000
	v_lshlrev_b32_e32 v2, 20, v2
	v_and_b32_e32 v4, 0x80000000, v4
	v_lshl_add_u32 v3, v3, 23, v6
	v_or3_b32 v2, v4, v3, v2
.LBB11_1132:
	s_or_b64 exec, exec, s[6:7]
	v_lshrrev_b32_e32 v3, 8, v5
	s_movk_i32 s4, 0x7f
	v_cmp_gt_i16_sdwa s[6:7], v3, s4 src0_sel:BYTE_0 src1_sel:DWORD
	s_mov_b64 s[4:5], 0
                                        ; implicit-def: $sgpr10
	s_and_saveexec_b64 s[8:9], s[6:7]
	s_xor_b64 s[6:7], exec, s[8:9]
	s_cbranch_execnz .LBB11_3181
; %bb.1133:
	s_or_saveexec_b64 s[6:7], s[6:7]
	v_mov_b32_e32 v4, s10
	s_xor_b64 exec, exec, s[6:7]
	s_cbranch_execnz .LBB11_3184
.LBB11_1134:
	s_or_b64 exec, exec, s[6:7]
	s_and_saveexec_b64 s[6:7], s[4:5]
	s_cbranch_execz .LBB11_1136
.LBB11_1135:
	v_bfe_u32 v4, v5, 8, 3
	v_ffbh_u32_e32 v7, v4
	v_min_u32_e32 v7, 32, v7
	v_lshrrev_b16_e32 v6, 3, v3
	v_subrev_u32_e32 v8, 28, v7
	v_and_b32_e32 v6, 15, v6
	v_lshlrev_b32_e32 v3, v8, v3
	v_sub_u32_e32 v7, 29, v7
	v_and_b32_e32 v3, 7, v3
	v_cmp_eq_u16_e32 vcc, 0, v6
	v_cndmask_b32_e32 v3, v4, v3, vcc
	v_cndmask_b32_e32 v4, v6, v7, vcc
	v_lshlrev_b32_e32 v6, 16, v5
	v_mov_b32_e32 v7, 0x3b800000
	v_lshlrev_b32_e32 v3, 20, v3
	v_and_b32_e32 v6, 0x80000000, v6
	v_lshl_add_u32 v4, v4, 23, v7
	v_or3_b32 v4, v6, v4, v3
.LBB11_1136:
	s_or_b64 exec, exec, s[6:7]
	s_nop 0
	v_mfma_f32_16x16x4f32 a[0:3], v2, v4, a[0:3]
	s_movk_i32 s4, 0xff
	v_and_b32_sdwa v3, v9, s4 dst_sel:DWORD dst_unused:UNUSED_PAD src0_sel:WORD_1 src1_sel:DWORD
	s_movk_i32 s4, 0x7f
	v_cmp_lt_i16_e32 vcc, s4, v3
	s_mov_b64 s[4:5], 0
                                        ; implicit-def: $sgpr10
	s_and_saveexec_b64 s[6:7], vcc
	s_xor_b64 s[6:7], exec, s[6:7]
	s_cbranch_execnz .LBB11_3185
; %bb.1137:
	s_or_saveexec_b64 s[6:7], s[6:7]
	v_mov_b32_e32 v2, s10
	s_xor_b64 exec, exec, s[6:7]
	s_cbranch_execnz .LBB11_3188
.LBB11_1138:
	s_or_b64 exec, exec, s[6:7]
	s_and_saveexec_b64 s[6:7], s[4:5]
	s_cbranch_execz .LBB11_1140
.LBB11_1139:
	v_bfe_u32 v2, v9, 16, 3
	v_ffbh_u32_e32 v6, v2
	v_min_u32_e32 v6, 32, v6
	v_lshrrev_b32_e32 v3, 19, v9
	v_subrev_u32_e32 v7, 28, v6
	v_and_b32_e32 v3, 15, v3
	v_lshlrev_b32_sdwa v7, v7, v9 dst_sel:DWORD dst_unused:UNUSED_PAD src0_sel:DWORD src1_sel:WORD_1
	v_bfe_u32 v4, v9, 19, 4
	v_sub_u32_e32 v6, 29, v6
	v_and_b32_e32 v7, 7, v7
	v_cmp_eq_u16_e32 vcc, 0, v3
	v_cndmask_b32_e32 v2, v2, v7, vcc
	v_cndmask_b32_e32 v3, v4, v6, vcc
	v_lshlrev_b32_e32 v4, 8, v9
	v_mov_b32_e32 v6, 0x3b800000
	v_lshlrev_b32_e32 v2, 20, v2
	v_and_b32_e32 v4, 0x80000000, v4
	v_lshl_add_u32 v3, v3, 23, v6
	v_or3_b32 v2, v4, v3, v2
.LBB11_1140:
	s_or_b64 exec, exec, s[6:7]
	s_movk_i32 s4, 0xff
	v_and_b32_sdwa v3, v5, s4 dst_sel:DWORD dst_unused:UNUSED_PAD src0_sel:WORD_1 src1_sel:DWORD
	s_movk_i32 s4, 0x7f
	v_cmp_lt_i16_e32 vcc, s4, v3
	s_mov_b64 s[4:5], 0
                                        ; implicit-def: $sgpr10
	s_and_saveexec_b64 s[6:7], vcc
	s_xor_b64 s[6:7], exec, s[6:7]
	s_cbranch_execnz .LBB11_3189
; %bb.1141:
	s_or_saveexec_b64 s[6:7], s[6:7]
	v_mov_b32_e32 v4, s10
	s_xor_b64 exec, exec, s[6:7]
	s_cbranch_execnz .LBB11_3192
.LBB11_1142:
	s_or_b64 exec, exec, s[6:7]
	s_and_saveexec_b64 s[6:7], s[4:5]
	s_cbranch_execz .LBB11_1144
.LBB11_1143:
	v_bfe_u32 v3, v5, 16, 3
	v_ffbh_u32_e32 v7, v3
	v_min_u32_e32 v7, 32, v7
	v_lshrrev_b32_e32 v4, 19, v5
	v_subrev_u32_e32 v8, 28, v7
	v_and_b32_e32 v4, 15, v4
	v_lshlrev_b32_sdwa v8, v8, v5 dst_sel:DWORD dst_unused:UNUSED_PAD src0_sel:DWORD src1_sel:WORD_1
	v_bfe_u32 v6, v5, 19, 4
	v_sub_u32_e32 v7, 29, v7
	v_and_b32_e32 v8, 7, v8
	v_cmp_eq_u16_e32 vcc, 0, v4
	v_cndmask_b32_e32 v3, v3, v8, vcc
	v_cndmask_b32_e32 v4, v6, v7, vcc
	v_lshlrev_b32_e32 v6, 8, v5
	v_mov_b32_e32 v7, 0x3b800000
	v_lshlrev_b32_e32 v3, 20, v3
	v_and_b32_e32 v6, 0x80000000, v6
	v_lshl_add_u32 v4, v4, 23, v7
	v_or3_b32 v4, v6, v4, v3
.LBB11_1144:
	s_or_b64 exec, exec, s[6:7]
	s_nop 0
	v_mfma_f32_16x16x4f32 a[0:3], v2, v4, a[0:3]
	s_movk_i32 s4, 0x7f
	v_cmp_gt_i16_sdwa s[6:7], v9, s4 src0_sel:BYTE_3 src1_sel:DWORD
	s_mov_b64 s[4:5], 0
                                        ; implicit-def: $sgpr10
	s_and_saveexec_b64 s[8:9], s[6:7]
	s_xor_b64 s[6:7], exec, s[8:9]
	s_cbranch_execnz .LBB11_3193
; %bb.1145:
	s_or_saveexec_b64 s[6:7], s[6:7]
	v_mov_b32_e32 v2, s10
	s_xor_b64 exec, exec, s[6:7]
	s_cbranch_execnz .LBB11_3196
.LBB11_1146:
	s_or_b64 exec, exec, s[6:7]
	s_and_saveexec_b64 s[6:7], s[4:5]
	s_cbranch_execz .LBB11_1148
.LBB11_1147:
	v_bfe_u32 v2, v9, 24, 3
	v_ffbh_u32_e32 v7, v2
	v_min_u32_e32 v7, 32, v7
	v_lshrrev_b32_e32 v4, 27, v9
	v_subrev_u32_e32 v8, 28, v7
	v_and_b32_e32 v4, 15, v4
	v_lshlrev_b32_sdwa v8, v8, v9 dst_sel:DWORD dst_unused:UNUSED_PAD src0_sel:DWORD src1_sel:BYTE_3
	v_bfe_u32 v6, v9, 27, 4
	v_sub_u32_e32 v7, 29, v7
	v_and_b32_e32 v8, 7, v8
	v_cmp_eq_u16_e32 vcc, 0, v4
	v_cndmask_b32_e32 v2, v2, v8, vcc
	v_cndmask_b32_e32 v4, v6, v7, vcc
	v_mov_b32_e32 v6, 0x3b800000
	v_and_b32_e32 v3, 0x80000000, v9
	v_lshlrev_b32_e32 v2, 20, v2
	v_lshl_add_u32 v4, v4, 23, v6
	v_or3_b32 v2, v3, v4, v2
.LBB11_1148:
	s_or_b64 exec, exec, s[6:7]
	s_movk_i32 s4, 0x7f
	v_cmp_gt_i16_sdwa s[6:7], v5, s4 src0_sel:BYTE_3 src1_sel:DWORD
	s_mov_b64 s[4:5], 0
                                        ; implicit-def: $sgpr10
	s_and_saveexec_b64 s[8:9], s[6:7]
	s_xor_b64 s[6:7], exec, s[8:9]
	s_cbranch_execnz .LBB11_3197
; %bb.1149:
	s_or_saveexec_b64 s[6:7], s[6:7]
	v_mov_b32_e32 v3, s10
	s_xor_b64 exec, exec, s[6:7]
	s_cbranch_execnz .LBB11_3200
.LBB11_1150:
	s_or_b64 exec, exec, s[6:7]
	s_and_saveexec_b64 s[6:7], s[4:5]
	s_cbranch_execz .LBB11_1152
.LBB11_1151:
	v_bfe_u32 v3, v5, 24, 3
	v_ffbh_u32_e32 v8, v3
	v_min_u32_e32 v8, 32, v8
	v_lshrrev_b32_e32 v6, 27, v5
	v_subrev_u32_e32 v9, 28, v8
	v_and_b32_e32 v4, 0x80000000, v5
	v_and_b32_e32 v6, 15, v6
	v_bfe_u32 v7, v5, 27, 4
	v_lshlrev_b32_sdwa v5, v9, v5 dst_sel:DWORD dst_unused:UNUSED_PAD src0_sel:DWORD src1_sel:BYTE_3
	v_sub_u32_e32 v8, 29, v8
	v_and_b32_e32 v5, 7, v5
	v_cmp_eq_u16_e32 vcc, 0, v6
	v_cndmask_b32_e32 v3, v3, v5, vcc
	v_cndmask_b32_e32 v5, v7, v8, vcc
	v_mov_b32_e32 v6, 0x3b800000
	v_lshlrev_b32_e32 v3, 20, v3
	v_lshl_add_u32 v5, v5, 23, v6
	v_or3_b32 v3, v4, v5, v3
.LBB11_1152:
	s_or_b64 exec, exec, s[6:7]
	s_nop 0
	v_mfma_f32_16x16x4f32 a[0:3], v2, v3, a[0:3]
	s_movk_i32 s4, 0x7f
                                        ; implicit-def: $sgpr10
	s_nop 7
	s_nop 1
	flat_store_dwordx4 v[10:11], a[0:3] offset:128
	flat_load_dwordx4 v[12:15], v[0:1] offset:8
	s_nop 0
	flat_load_dwordx2 v[10:11], v[0:1] offset:32
	s_waitcnt vmcnt(0) lgkmcnt(0)
	flat_load_dwordx4 v[6:9], v[12:13] offset:80
	flat_load_dwordx4 v[2:5], v[14:15] offset:48
	s_waitcnt vmcnt(0) lgkmcnt(0)
	v_cmp_gt_i16_sdwa s[6:7], v6, s4 src0_sel:BYTE_0 src1_sel:DWORD
	s_mov_b64 s[4:5], 0
	s_and_saveexec_b64 s[8:9], s[6:7]
	s_xor_b64 s[6:7], exec, s[8:9]
	s_cbranch_execnz .LBB11_3201
; %bb.1153:
	s_or_saveexec_b64 s[6:7], s[6:7]
	v_mov_b32_e32 v12, s10
	s_xor_b64 exec, exec, s[6:7]
	s_cbranch_execnz .LBB11_3204
.LBB11_1154:
	s_or_b64 exec, exec, s[6:7]
	s_and_saveexec_b64 s[6:7], s[4:5]
	s_cbranch_execz .LBB11_1156
.LBB11_1155:
	v_and_b32_e32 v12, 7, v6
	v_ffbh_u32_e32 v14, v12
	v_min_u32_e32 v14, 32, v14
	v_lshrrev_b16_e32 v13, 3, v6
	v_subrev_u32_e32 v15, 28, v14
	v_and_b32_e32 v13, 15, v13
	v_lshlrev_b32_e32 v15, v15, v6
	v_sub_u32_e32 v14, 29, v14
	v_and_b32_e32 v15, 7, v15
	v_cmp_eq_u16_e32 vcc, 0, v13
	v_cndmask_b32_e32 v12, v12, v15, vcc
	v_cndmask_b32_e32 v13, v13, v14, vcc
	v_lshlrev_b32_e32 v14, 24, v6
	v_mov_b32_e32 v15, 0x3b800000
	v_lshlrev_b32_e32 v12, 20, v12
	v_and_b32_e32 v14, 0x80000000, v14
	v_lshl_add_u32 v13, v13, 23, v15
	v_or3_b32 v12, v14, v13, v12
.LBB11_1156:
	s_or_b64 exec, exec, s[6:7]
	s_movk_i32 s4, 0x7f
	v_cmp_gt_i16_sdwa s[6:7], v2, s4 src0_sel:BYTE_0 src1_sel:DWORD
	s_mov_b64 s[4:5], 0
                                        ; implicit-def: $sgpr10
	s_and_saveexec_b64 s[8:9], s[6:7]
	s_xor_b64 s[6:7], exec, s[8:9]
	s_cbranch_execnz .LBB11_3205
; %bb.1157:
	s_or_saveexec_b64 s[6:7], s[6:7]
	v_mov_b32_e32 v13, s10
	s_xor_b64 exec, exec, s[6:7]
	s_cbranch_execnz .LBB11_3208
.LBB11_1158:
	s_or_b64 exec, exec, s[6:7]
	s_and_saveexec_b64 s[6:7], s[4:5]
	s_cbranch_execz .LBB11_1160
.LBB11_1159:
	v_and_b32_e32 v13, 7, v2
	v_ffbh_u32_e32 v15, v13
	v_min_u32_e32 v15, 32, v15
	v_lshrrev_b16_e32 v14, 3, v2
	v_subrev_u32_e32 v16, 28, v15
	v_and_b32_e32 v14, 15, v14
	v_lshlrev_b32_e32 v16, v16, v2
	v_sub_u32_e32 v15, 29, v15
	v_and_b32_e32 v16, 7, v16
	v_cmp_eq_u16_e32 vcc, 0, v14
	v_cndmask_b32_e32 v13, v13, v16, vcc
	v_cndmask_b32_e32 v14, v14, v15, vcc
	v_lshlrev_b32_e32 v15, 24, v2
	v_mov_b32_e32 v16, 0x3b800000
	v_lshlrev_b32_e32 v13, 20, v13
	v_and_b32_e32 v15, 0x80000000, v15
	v_lshl_add_u32 v14, v14, 23, v16
	v_or3_b32 v13, v15, v14, v13
.LBB11_1160:
	s_or_b64 exec, exec, s[6:7]
	flat_load_dwordx4 a[0:3], v[10:11] offset:144
	s_movk_i32 s4, 0x7f
                                        ; implicit-def: $sgpr10
	s_waitcnt vmcnt(0) lgkmcnt(0)
	v_mfma_f32_16x16x4f32 a[0:3], v12, v13, a[0:3]
	v_lshrrev_b32_e32 v13, 8, v6
	v_cmp_gt_i16_sdwa s[6:7], v13, s4 src0_sel:BYTE_0 src1_sel:DWORD
	s_mov_b64 s[4:5], 0
	s_and_saveexec_b64 s[8:9], s[6:7]
	s_xor_b64 s[6:7], exec, s[8:9]
	s_cbranch_execnz .LBB11_3209
; %bb.1161:
	s_or_saveexec_b64 s[6:7], s[6:7]
	v_mov_b32_e32 v12, s10
	s_xor_b64 exec, exec, s[6:7]
	s_cbranch_execnz .LBB11_3212
.LBB11_1162:
	s_or_b64 exec, exec, s[6:7]
	s_and_saveexec_b64 s[6:7], s[4:5]
	s_cbranch_execz .LBB11_1164
.LBB11_1163:
	v_bfe_u32 v12, v6, 8, 3
	v_ffbh_u32_e32 v15, v12
	v_min_u32_e32 v15, 32, v15
	v_lshrrev_b16_e32 v14, 3, v13
	v_subrev_u32_e32 v16, 28, v15
	v_and_b32_e32 v14, 15, v14
	v_lshlrev_b32_e32 v13, v16, v13
	v_sub_u32_e32 v15, 29, v15
	v_and_b32_e32 v13, 7, v13
	v_cmp_eq_u16_e32 vcc, 0, v14
	v_cndmask_b32_e32 v12, v12, v13, vcc
	v_cndmask_b32_e32 v13, v14, v15, vcc
	v_lshlrev_b32_e32 v14, 16, v6
	v_mov_b32_e32 v15, 0x3b800000
	v_lshlrev_b32_e32 v12, 20, v12
	v_and_b32_e32 v14, 0x80000000, v14
	v_lshl_add_u32 v13, v13, 23, v15
	v_or3_b32 v12, v14, v13, v12
.LBB11_1164:
	s_or_b64 exec, exec, s[6:7]
	v_lshrrev_b32_e32 v13, 8, v2
	s_movk_i32 s4, 0x7f
	v_cmp_gt_i16_sdwa s[6:7], v13, s4 src0_sel:BYTE_0 src1_sel:DWORD
	s_mov_b64 s[4:5], 0
                                        ; implicit-def: $sgpr10
	s_and_saveexec_b64 s[8:9], s[6:7]
	s_xor_b64 s[6:7], exec, s[8:9]
	s_cbranch_execnz .LBB11_3213
; %bb.1165:
	s_or_saveexec_b64 s[6:7], s[6:7]
	v_mov_b32_e32 v14, s10
	s_xor_b64 exec, exec, s[6:7]
	s_cbranch_execnz .LBB11_3216
.LBB11_1166:
	s_or_b64 exec, exec, s[6:7]
	s_and_saveexec_b64 s[6:7], s[4:5]
	s_cbranch_execz .LBB11_1168
.LBB11_1167:
	v_bfe_u32 v14, v2, 8, 3
	v_ffbh_u32_e32 v16, v14
	v_min_u32_e32 v16, 32, v16
	v_lshrrev_b16_e32 v15, 3, v13
	v_subrev_u32_e32 v17, 28, v16
	v_and_b32_e32 v15, 15, v15
	v_lshlrev_b32_e32 v13, v17, v13
	v_sub_u32_e32 v16, 29, v16
	v_and_b32_e32 v13, 7, v13
	v_cmp_eq_u16_e32 vcc, 0, v15
	v_cndmask_b32_e32 v13, v14, v13, vcc
	v_cndmask_b32_e32 v14, v15, v16, vcc
	v_lshlrev_b32_e32 v15, 16, v2
	v_mov_b32_e32 v16, 0x3b800000
	v_lshlrev_b32_e32 v13, 20, v13
	v_and_b32_e32 v15, 0x80000000, v15
	v_lshl_add_u32 v14, v14, 23, v16
	v_or3_b32 v14, v15, v14, v13
.LBB11_1168:
	s_or_b64 exec, exec, s[6:7]
	s_nop 0
	v_mfma_f32_16x16x4f32 a[0:3], v12, v14, a[0:3]
	s_movk_i32 s4, 0xff
	v_and_b32_sdwa v13, v6, s4 dst_sel:DWORD dst_unused:UNUSED_PAD src0_sel:WORD_1 src1_sel:DWORD
	s_movk_i32 s4, 0x7f
	v_cmp_lt_i16_e32 vcc, s4, v13
	s_mov_b64 s[4:5], 0
                                        ; implicit-def: $sgpr10
	s_and_saveexec_b64 s[6:7], vcc
	s_xor_b64 s[6:7], exec, s[6:7]
	s_cbranch_execnz .LBB11_3217
; %bb.1169:
	s_or_saveexec_b64 s[6:7], s[6:7]
	v_mov_b32_e32 v12, s10
	s_xor_b64 exec, exec, s[6:7]
	s_cbranch_execnz .LBB11_3220
.LBB11_1170:
	s_or_b64 exec, exec, s[6:7]
	s_and_saveexec_b64 s[6:7], s[4:5]
	s_cbranch_execz .LBB11_1172
.LBB11_1171:
	v_bfe_u32 v12, v6, 16, 3
	v_ffbh_u32_e32 v15, v12
	v_min_u32_e32 v15, 32, v15
	v_lshrrev_b32_e32 v13, 19, v6
	v_subrev_u32_e32 v16, 28, v15
	v_and_b32_e32 v13, 15, v13
	v_lshlrev_b32_sdwa v16, v16, v6 dst_sel:DWORD dst_unused:UNUSED_PAD src0_sel:DWORD src1_sel:WORD_1
	v_bfe_u32 v14, v6, 19, 4
	v_sub_u32_e32 v15, 29, v15
	v_and_b32_e32 v16, 7, v16
	v_cmp_eq_u16_e32 vcc, 0, v13
	v_cndmask_b32_e32 v12, v12, v16, vcc
	v_cndmask_b32_e32 v13, v14, v15, vcc
	v_lshlrev_b32_e32 v14, 8, v6
	v_mov_b32_e32 v15, 0x3b800000
	v_lshlrev_b32_e32 v12, 20, v12
	v_and_b32_e32 v14, 0x80000000, v14
	v_lshl_add_u32 v13, v13, 23, v15
	v_or3_b32 v12, v14, v13, v12
.LBB11_1172:
	s_or_b64 exec, exec, s[6:7]
	s_movk_i32 s4, 0xff
	v_and_b32_sdwa v13, v2, s4 dst_sel:DWORD dst_unused:UNUSED_PAD src0_sel:WORD_1 src1_sel:DWORD
	s_movk_i32 s4, 0x7f
	v_cmp_lt_i16_e32 vcc, s4, v13
	s_mov_b64 s[4:5], 0
                                        ; implicit-def: $sgpr10
	s_and_saveexec_b64 s[6:7], vcc
	s_xor_b64 s[6:7], exec, s[6:7]
	s_cbranch_execnz .LBB11_3221
; %bb.1173:
	s_or_saveexec_b64 s[6:7], s[6:7]
	v_mov_b32_e32 v14, s10
	s_xor_b64 exec, exec, s[6:7]
	s_cbranch_execnz .LBB11_3224
.LBB11_1174:
	s_or_b64 exec, exec, s[6:7]
	s_and_saveexec_b64 s[6:7], s[4:5]
	s_cbranch_execz .LBB11_1176
.LBB11_1175:
	v_bfe_u32 v13, v2, 16, 3
	v_ffbh_u32_e32 v16, v13
	v_min_u32_e32 v16, 32, v16
	v_lshrrev_b32_e32 v14, 19, v2
	v_subrev_u32_e32 v17, 28, v16
	v_and_b32_e32 v14, 15, v14
	v_lshlrev_b32_sdwa v17, v17, v2 dst_sel:DWORD dst_unused:UNUSED_PAD src0_sel:DWORD src1_sel:WORD_1
	v_bfe_u32 v15, v2, 19, 4
	v_sub_u32_e32 v16, 29, v16
	v_and_b32_e32 v17, 7, v17
	v_cmp_eq_u16_e32 vcc, 0, v14
	v_cndmask_b32_e32 v13, v13, v17, vcc
	v_cndmask_b32_e32 v14, v15, v16, vcc
	v_lshlrev_b32_e32 v15, 8, v2
	v_mov_b32_e32 v16, 0x3b800000
	v_lshlrev_b32_e32 v13, 20, v13
	v_and_b32_e32 v15, 0x80000000, v15
	v_lshl_add_u32 v14, v14, 23, v16
	v_or3_b32 v14, v15, v14, v13
.LBB11_1176:
	s_or_b64 exec, exec, s[6:7]
	s_nop 0
	v_mfma_f32_16x16x4f32 a[0:3], v12, v14, a[0:3]
	s_movk_i32 s4, 0x7f
	v_cmp_gt_i16_sdwa s[6:7], v6, s4 src0_sel:BYTE_3 src1_sel:DWORD
	s_mov_b64 s[4:5], 0
                                        ; implicit-def: $sgpr10
	s_and_saveexec_b64 s[8:9], s[6:7]
	s_xor_b64 s[6:7], exec, s[8:9]
	s_cbranch_execnz .LBB11_3225
; %bb.1177:
	s_or_saveexec_b64 s[6:7], s[6:7]
	v_mov_b32_e32 v12, s10
	s_xor_b64 exec, exec, s[6:7]
	s_cbranch_execnz .LBB11_3228
.LBB11_1178:
	s_or_b64 exec, exec, s[6:7]
	s_and_saveexec_b64 s[6:7], s[4:5]
	s_cbranch_execz .LBB11_1180
.LBB11_1179:
	v_bfe_u32 v12, v6, 24, 3
	v_ffbh_u32_e32 v16, v12
	v_min_u32_e32 v16, 32, v16
	v_lshrrev_b32_e32 v14, 27, v6
	v_subrev_u32_e32 v17, 28, v16
	v_and_b32_e32 v13, 0x80000000, v6
	v_and_b32_e32 v14, 15, v14
	v_bfe_u32 v15, v6, 27, 4
	v_lshlrev_b32_sdwa v6, v17, v6 dst_sel:DWORD dst_unused:UNUSED_PAD src0_sel:DWORD src1_sel:BYTE_3
	v_sub_u32_e32 v16, 29, v16
	v_and_b32_e32 v6, 7, v6
	v_cmp_eq_u16_e32 vcc, 0, v14
	v_cndmask_b32_e32 v6, v12, v6, vcc
	v_cndmask_b32_e32 v12, v15, v16, vcc
	v_mov_b32_e32 v14, 0x3b800000
	v_lshlrev_b32_e32 v6, 20, v6
	v_lshl_add_u32 v12, v12, 23, v14
	v_or3_b32 v12, v13, v12, v6
.LBB11_1180:
	s_or_b64 exec, exec, s[6:7]
	s_movk_i32 s4, 0x7f
	v_cmp_gt_i16_sdwa s[6:7], v2, s4 src0_sel:BYTE_3 src1_sel:DWORD
	s_mov_b64 s[4:5], 0
                                        ; implicit-def: $sgpr10
	s_and_saveexec_b64 s[8:9], s[6:7]
	s_xor_b64 s[6:7], exec, s[8:9]
	s_cbranch_execnz .LBB11_3229
; %bb.1181:
	s_or_saveexec_b64 s[6:7], s[6:7]
	v_mov_b32_e32 v6, s10
	s_xor_b64 exec, exec, s[6:7]
	s_cbranch_execnz .LBB11_3232
.LBB11_1182:
	s_or_b64 exec, exec, s[6:7]
	s_and_saveexec_b64 s[6:7], s[4:5]
	s_cbranch_execz .LBB11_1184
.LBB11_1183:
	v_bfe_u32 v6, v2, 24, 3
	v_ffbh_u32_e32 v16, v6
	v_min_u32_e32 v16, 32, v16
	v_lshrrev_b32_e32 v14, 27, v2
	v_subrev_u32_e32 v17, 28, v16
	v_and_b32_e32 v13, 0x80000000, v2
	v_and_b32_e32 v14, 15, v14
	v_bfe_u32 v15, v2, 27, 4
	v_lshlrev_b32_sdwa v2, v17, v2 dst_sel:DWORD dst_unused:UNUSED_PAD src0_sel:DWORD src1_sel:BYTE_3
	v_sub_u32_e32 v16, 29, v16
	v_and_b32_e32 v2, 7, v2
	v_cmp_eq_u16_e32 vcc, 0, v14
	v_cndmask_b32_e32 v2, v6, v2, vcc
	v_cndmask_b32_e32 v6, v15, v16, vcc
	v_mov_b32_e32 v14, 0x3b800000
	v_lshlrev_b32_e32 v2, 20, v2
	v_lshl_add_u32 v6, v6, 23, v14
	v_or3_b32 v6, v13, v6, v2
.LBB11_1184:
	s_or_b64 exec, exec, s[6:7]
	s_nop 0
	v_mfma_f32_16x16x4f32 a[0:3], v12, v6, a[0:3]
	s_movk_i32 s4, 0x7f
	v_cmp_gt_i16_sdwa s[6:7], v7, s4 src0_sel:BYTE_0 src1_sel:DWORD
	s_mov_b64 s[4:5], 0
                                        ; implicit-def: $sgpr10
	s_and_saveexec_b64 s[8:9], s[6:7]
	s_xor_b64 s[6:7], exec, s[8:9]
	s_cbranch_execnz .LBB11_3233
; %bb.1185:
	s_or_saveexec_b64 s[6:7], s[6:7]
	v_mov_b32_e32 v2, s10
	s_xor_b64 exec, exec, s[6:7]
	s_cbranch_execnz .LBB11_3236
.LBB11_1186:
	s_or_b64 exec, exec, s[6:7]
	s_and_saveexec_b64 s[6:7], s[4:5]
	s_cbranch_execz .LBB11_1188
.LBB11_1187:
	v_and_b32_e32 v2, 7, v7
	v_ffbh_u32_e32 v12, v2
	v_min_u32_e32 v12, 32, v12
	v_lshrrev_b16_e32 v6, 3, v7
	v_subrev_u32_e32 v13, 28, v12
	v_and_b32_e32 v6, 15, v6
	v_lshlrev_b32_e32 v13, v13, v7
	v_sub_u32_e32 v12, 29, v12
	v_and_b32_e32 v13, 7, v13
	v_cmp_eq_u16_e32 vcc, 0, v6
	v_cndmask_b32_e32 v2, v2, v13, vcc
	v_cndmask_b32_e32 v6, v6, v12, vcc
	v_lshlrev_b32_e32 v12, 24, v7
	v_mov_b32_e32 v13, 0x3b800000
	v_lshlrev_b32_e32 v2, 20, v2
	v_and_b32_e32 v12, 0x80000000, v12
	v_lshl_add_u32 v6, v6, 23, v13
	v_or3_b32 v2, v12, v6, v2
.LBB11_1188:
	s_or_b64 exec, exec, s[6:7]
	s_movk_i32 s4, 0x7f
	v_cmp_gt_i16_sdwa s[6:7], v3, s4 src0_sel:BYTE_0 src1_sel:DWORD
	s_mov_b64 s[4:5], 0
                                        ; implicit-def: $sgpr10
	s_and_saveexec_b64 s[8:9], s[6:7]
	s_xor_b64 s[6:7], exec, s[8:9]
	s_cbranch_execnz .LBB11_3237
; %bb.1189:
	s_or_saveexec_b64 s[6:7], s[6:7]
	v_mov_b32_e32 v6, s10
	s_xor_b64 exec, exec, s[6:7]
	s_cbranch_execnz .LBB11_3240
.LBB11_1190:
	s_or_b64 exec, exec, s[6:7]
	s_and_saveexec_b64 s[6:7], s[4:5]
	s_cbranch_execz .LBB11_1192
.LBB11_1191:
	v_and_b32_e32 v6, 7, v3
	v_ffbh_u32_e32 v13, v6
	v_min_u32_e32 v13, 32, v13
	v_lshrrev_b16_e32 v12, 3, v3
	v_subrev_u32_e32 v14, 28, v13
	v_and_b32_e32 v12, 15, v12
	v_lshlrev_b32_e32 v14, v14, v3
	v_sub_u32_e32 v13, 29, v13
	v_and_b32_e32 v14, 7, v14
	v_cmp_eq_u16_e32 vcc, 0, v12
	v_cndmask_b32_e32 v6, v6, v14, vcc
	v_cndmask_b32_e32 v12, v12, v13, vcc
	v_lshlrev_b32_e32 v13, 24, v3
	v_mov_b32_e32 v14, 0x3b800000
	v_lshlrev_b32_e32 v6, 20, v6
	v_and_b32_e32 v13, 0x80000000, v13
	v_lshl_add_u32 v12, v12, 23, v14
	v_or3_b32 v6, v13, v12, v6
.LBB11_1192:
	s_or_b64 exec, exec, s[6:7]
	s_nop 0
	v_mfma_f32_16x16x4f32 a[0:3], v2, v6, a[0:3]
	v_lshrrev_b32_e32 v6, 8, v7
	s_movk_i32 s4, 0x7f
	v_cmp_gt_i16_sdwa s[6:7], v6, s4 src0_sel:BYTE_0 src1_sel:DWORD
	s_mov_b64 s[4:5], 0
                                        ; implicit-def: $sgpr10
	s_and_saveexec_b64 s[8:9], s[6:7]
	s_xor_b64 s[6:7], exec, s[8:9]
	s_cbranch_execnz .LBB11_3241
; %bb.1193:
	s_or_saveexec_b64 s[6:7], s[6:7]
	v_mov_b32_e32 v2, s10
	s_xor_b64 exec, exec, s[6:7]
	s_cbranch_execnz .LBB11_3244
.LBB11_1194:
	s_or_b64 exec, exec, s[6:7]
	s_and_saveexec_b64 s[6:7], s[4:5]
	s_cbranch_execz .LBB11_1196
.LBB11_1195:
	v_bfe_u32 v2, v7, 8, 3
	v_ffbh_u32_e32 v13, v2
	v_min_u32_e32 v13, 32, v13
	v_lshrrev_b16_e32 v12, 3, v6
	v_subrev_u32_e32 v14, 28, v13
	v_and_b32_e32 v12, 15, v12
	v_lshlrev_b32_e32 v6, v14, v6
	v_sub_u32_e32 v13, 29, v13
	v_and_b32_e32 v6, 7, v6
	v_cmp_eq_u16_e32 vcc, 0, v12
	v_cndmask_b32_e32 v2, v2, v6, vcc
	v_cndmask_b32_e32 v6, v12, v13, vcc
	v_lshlrev_b32_e32 v12, 16, v7
	v_mov_b32_e32 v13, 0x3b800000
	v_lshlrev_b32_e32 v2, 20, v2
	v_and_b32_e32 v12, 0x80000000, v12
	v_lshl_add_u32 v6, v6, 23, v13
	v_or3_b32 v2, v12, v6, v2
.LBB11_1196:
	s_or_b64 exec, exec, s[6:7]
	v_lshrrev_b32_e32 v6, 8, v3
	s_movk_i32 s4, 0x7f
	v_cmp_gt_i16_sdwa s[6:7], v6, s4 src0_sel:BYTE_0 src1_sel:DWORD
	s_mov_b64 s[4:5], 0
                                        ; implicit-def: $sgpr10
	s_and_saveexec_b64 s[8:9], s[6:7]
	s_xor_b64 s[6:7], exec, s[8:9]
	s_cbranch_execnz .LBB11_3245
; %bb.1197:
	s_or_saveexec_b64 s[6:7], s[6:7]
	v_mov_b32_e32 v12, s10
	s_xor_b64 exec, exec, s[6:7]
	s_cbranch_execnz .LBB11_3248
.LBB11_1198:
	s_or_b64 exec, exec, s[6:7]
	s_and_saveexec_b64 s[6:7], s[4:5]
	s_cbranch_execz .LBB11_1200
.LBB11_1199:
	v_bfe_u32 v12, v3, 8, 3
	v_ffbh_u32_e32 v14, v12
	v_min_u32_e32 v14, 32, v14
	v_lshrrev_b16_e32 v13, 3, v6
	v_subrev_u32_e32 v15, 28, v14
	v_and_b32_e32 v13, 15, v13
	v_lshlrev_b32_e32 v6, v15, v6
	v_sub_u32_e32 v14, 29, v14
	v_and_b32_e32 v6, 7, v6
	v_cmp_eq_u16_e32 vcc, 0, v13
	v_cndmask_b32_e32 v6, v12, v6, vcc
	v_cndmask_b32_e32 v12, v13, v14, vcc
	v_lshlrev_b32_e32 v13, 16, v3
	v_mov_b32_e32 v14, 0x3b800000
	v_lshlrev_b32_e32 v6, 20, v6
	v_and_b32_e32 v13, 0x80000000, v13
	v_lshl_add_u32 v12, v12, 23, v14
	v_or3_b32 v12, v13, v12, v6
.LBB11_1200:
	s_or_b64 exec, exec, s[6:7]
	s_nop 0
	v_mfma_f32_16x16x4f32 a[0:3], v2, v12, a[0:3]
	s_movk_i32 s4, 0xff
	v_and_b32_sdwa v6, v7, s4 dst_sel:DWORD dst_unused:UNUSED_PAD src0_sel:WORD_1 src1_sel:DWORD
	s_movk_i32 s4, 0x7f
	v_cmp_lt_i16_e32 vcc, s4, v6
	s_mov_b64 s[4:5], 0
                                        ; implicit-def: $sgpr10
	s_and_saveexec_b64 s[6:7], vcc
	s_xor_b64 s[6:7], exec, s[6:7]
	s_cbranch_execnz .LBB11_3249
; %bb.1201:
	s_or_saveexec_b64 s[6:7], s[6:7]
	v_mov_b32_e32 v2, s10
	s_xor_b64 exec, exec, s[6:7]
	s_cbranch_execnz .LBB11_3252
.LBB11_1202:
	s_or_b64 exec, exec, s[6:7]
	s_and_saveexec_b64 s[6:7], s[4:5]
	s_cbranch_execz .LBB11_1204
.LBB11_1203:
	v_bfe_u32 v2, v7, 16, 3
	v_ffbh_u32_e32 v13, v2
	v_min_u32_e32 v13, 32, v13
	v_lshrrev_b32_e32 v6, 19, v7
	v_subrev_u32_e32 v14, 28, v13
	v_and_b32_e32 v6, 15, v6
	v_lshlrev_b32_sdwa v14, v14, v7 dst_sel:DWORD dst_unused:UNUSED_PAD src0_sel:DWORD src1_sel:WORD_1
	v_bfe_u32 v12, v7, 19, 4
	v_sub_u32_e32 v13, 29, v13
	v_and_b32_e32 v14, 7, v14
	v_cmp_eq_u16_e32 vcc, 0, v6
	v_cndmask_b32_e32 v2, v2, v14, vcc
	v_cndmask_b32_e32 v6, v12, v13, vcc
	v_lshlrev_b32_e32 v12, 8, v7
	v_mov_b32_e32 v13, 0x3b800000
	v_lshlrev_b32_e32 v2, 20, v2
	v_and_b32_e32 v12, 0x80000000, v12
	v_lshl_add_u32 v6, v6, 23, v13
	v_or3_b32 v2, v12, v6, v2
.LBB11_1204:
	s_or_b64 exec, exec, s[6:7]
	s_movk_i32 s4, 0xff
	v_and_b32_sdwa v6, v3, s4 dst_sel:DWORD dst_unused:UNUSED_PAD src0_sel:WORD_1 src1_sel:DWORD
	s_movk_i32 s4, 0x7f
	v_cmp_lt_i16_e32 vcc, s4, v6
	s_mov_b64 s[4:5], 0
                                        ; implicit-def: $sgpr10
	s_and_saveexec_b64 s[6:7], vcc
	s_xor_b64 s[6:7], exec, s[6:7]
	s_cbranch_execnz .LBB11_3253
; %bb.1205:
	s_or_saveexec_b64 s[6:7], s[6:7]
	v_mov_b32_e32 v12, s10
	s_xor_b64 exec, exec, s[6:7]
	s_cbranch_execnz .LBB11_3256
.LBB11_1206:
	s_or_b64 exec, exec, s[6:7]
	s_and_saveexec_b64 s[6:7], s[4:5]
	s_cbranch_execz .LBB11_1208
.LBB11_1207:
	v_bfe_u32 v6, v3, 16, 3
	v_ffbh_u32_e32 v14, v6
	v_min_u32_e32 v14, 32, v14
	v_lshrrev_b32_e32 v12, 19, v3
	v_subrev_u32_e32 v15, 28, v14
	v_and_b32_e32 v12, 15, v12
	v_lshlrev_b32_sdwa v15, v15, v3 dst_sel:DWORD dst_unused:UNUSED_PAD src0_sel:DWORD src1_sel:WORD_1
	v_bfe_u32 v13, v3, 19, 4
	v_sub_u32_e32 v14, 29, v14
	v_and_b32_e32 v15, 7, v15
	v_cmp_eq_u16_e32 vcc, 0, v12
	v_cndmask_b32_e32 v6, v6, v15, vcc
	v_cndmask_b32_e32 v12, v13, v14, vcc
	v_lshlrev_b32_e32 v13, 8, v3
	v_mov_b32_e32 v14, 0x3b800000
	v_lshlrev_b32_e32 v6, 20, v6
	v_and_b32_e32 v13, 0x80000000, v13
	v_lshl_add_u32 v12, v12, 23, v14
	v_or3_b32 v12, v13, v12, v6
.LBB11_1208:
	s_or_b64 exec, exec, s[6:7]
	s_nop 0
	v_mfma_f32_16x16x4f32 a[0:3], v2, v12, a[0:3]
	s_movk_i32 s4, 0x7f
	v_cmp_gt_i16_sdwa s[6:7], v7, s4 src0_sel:BYTE_3 src1_sel:DWORD
	s_mov_b64 s[4:5], 0
                                        ; implicit-def: $sgpr10
	s_and_saveexec_b64 s[8:9], s[6:7]
	s_xor_b64 s[6:7], exec, s[8:9]
	s_cbranch_execnz .LBB11_3257
; %bb.1209:
	s_or_saveexec_b64 s[6:7], s[6:7]
	v_mov_b32_e32 v2, s10
	s_xor_b64 exec, exec, s[6:7]
	s_cbranch_execnz .LBB11_3260
.LBB11_1210:
	s_or_b64 exec, exec, s[6:7]
	s_and_saveexec_b64 s[6:7], s[4:5]
	s_cbranch_execz .LBB11_1212
.LBB11_1211:
	v_bfe_u32 v2, v7, 24, 3
	v_ffbh_u32_e32 v14, v2
	v_min_u32_e32 v14, 32, v14
	v_lshrrev_b32_e32 v12, 27, v7
	v_subrev_u32_e32 v15, 28, v14
	v_and_b32_e32 v6, 0x80000000, v7
	v_and_b32_e32 v12, 15, v12
	v_bfe_u32 v13, v7, 27, 4
	v_lshlrev_b32_sdwa v7, v15, v7 dst_sel:DWORD dst_unused:UNUSED_PAD src0_sel:DWORD src1_sel:BYTE_3
	v_sub_u32_e32 v14, 29, v14
	v_and_b32_e32 v7, 7, v7
	v_cmp_eq_u16_e32 vcc, 0, v12
	v_cndmask_b32_e32 v2, v2, v7, vcc
	v_cndmask_b32_e32 v7, v13, v14, vcc
	v_mov_b32_e32 v12, 0x3b800000
	v_lshlrev_b32_e32 v2, 20, v2
	v_lshl_add_u32 v7, v7, 23, v12
	v_or3_b32 v2, v6, v7, v2
.LBB11_1212:
	s_or_b64 exec, exec, s[6:7]
	s_movk_i32 s4, 0x7f
	v_cmp_gt_i16_sdwa s[6:7], v3, s4 src0_sel:BYTE_3 src1_sel:DWORD
	s_mov_b64 s[4:5], 0
                                        ; implicit-def: $sgpr10
	s_and_saveexec_b64 s[8:9], s[6:7]
	s_xor_b64 s[6:7], exec, s[8:9]
	s_cbranch_execnz .LBB11_3261
; %bb.1213:
	s_or_saveexec_b64 s[6:7], s[6:7]
	v_mov_b32_e32 v6, s10
	s_xor_b64 exec, exec, s[6:7]
	s_cbranch_execnz .LBB11_3264
.LBB11_1214:
	s_or_b64 exec, exec, s[6:7]
	s_and_saveexec_b64 s[6:7], s[4:5]
	s_cbranch_execz .LBB11_1216
.LBB11_1215:
	v_bfe_u32 v6, v3, 24, 3
	v_ffbh_u32_e32 v14, v6
	v_min_u32_e32 v14, 32, v14
	v_lshrrev_b32_e32 v12, 27, v3
	v_subrev_u32_e32 v15, 28, v14
	v_and_b32_e32 v7, 0x80000000, v3
	v_and_b32_e32 v12, 15, v12
	v_bfe_u32 v13, v3, 27, 4
	v_lshlrev_b32_sdwa v3, v15, v3 dst_sel:DWORD dst_unused:UNUSED_PAD src0_sel:DWORD src1_sel:BYTE_3
	v_sub_u32_e32 v14, 29, v14
	v_and_b32_e32 v3, 7, v3
	v_cmp_eq_u16_e32 vcc, 0, v12
	v_cndmask_b32_e32 v3, v6, v3, vcc
	v_cndmask_b32_e32 v6, v13, v14, vcc
	v_mov_b32_e32 v12, 0x3b800000
	v_lshlrev_b32_e32 v3, 20, v3
	v_lshl_add_u32 v6, v6, 23, v12
	v_or3_b32 v6, v7, v6, v3
.LBB11_1216:
	s_or_b64 exec, exec, s[6:7]
	s_nop 0
	v_mfma_f32_16x16x4f32 a[0:3], v2, v6, a[0:3]
	s_movk_i32 s4, 0x7f
	v_cmp_gt_i16_sdwa s[6:7], v8, s4 src0_sel:BYTE_0 src1_sel:DWORD
	s_mov_b64 s[4:5], 0
                                        ; implicit-def: $sgpr10
	s_and_saveexec_b64 s[8:9], s[6:7]
	s_xor_b64 s[6:7], exec, s[8:9]
	s_cbranch_execnz .LBB11_3265
; %bb.1217:
	s_or_saveexec_b64 s[6:7], s[6:7]
	v_mov_b32_e32 v2, s10
	s_xor_b64 exec, exec, s[6:7]
	s_cbranch_execnz .LBB11_3268
.LBB11_1218:
	s_or_b64 exec, exec, s[6:7]
	s_and_saveexec_b64 s[6:7], s[4:5]
	s_cbranch_execz .LBB11_1220
.LBB11_1219:
	v_and_b32_e32 v2, 7, v8
	v_ffbh_u32_e32 v6, v2
	v_min_u32_e32 v6, 32, v6
	v_lshrrev_b16_e32 v3, 3, v8
	v_subrev_u32_e32 v7, 28, v6
	v_and_b32_e32 v3, 15, v3
	v_lshlrev_b32_e32 v7, v7, v8
	v_sub_u32_e32 v6, 29, v6
	v_and_b32_e32 v7, 7, v7
	v_cmp_eq_u16_e32 vcc, 0, v3
	v_cndmask_b32_e32 v2, v2, v7, vcc
	v_cndmask_b32_e32 v3, v3, v6, vcc
	v_lshlrev_b32_e32 v6, 24, v8
	v_mov_b32_e32 v7, 0x3b800000
	v_lshlrev_b32_e32 v2, 20, v2
	v_and_b32_e32 v6, 0x80000000, v6
	v_lshl_add_u32 v3, v3, 23, v7
	v_or3_b32 v2, v6, v3, v2
.LBB11_1220:
	s_or_b64 exec, exec, s[6:7]
	s_movk_i32 s4, 0x7f
	v_cmp_gt_i16_sdwa s[6:7], v4, s4 src0_sel:BYTE_0 src1_sel:DWORD
	s_mov_b64 s[4:5], 0
                                        ; implicit-def: $sgpr10
	s_and_saveexec_b64 s[8:9], s[6:7]
	s_xor_b64 s[6:7], exec, s[8:9]
	s_cbranch_execnz .LBB11_3269
; %bb.1221:
	s_or_saveexec_b64 s[6:7], s[6:7]
	v_mov_b32_e32 v3, s10
	s_xor_b64 exec, exec, s[6:7]
	s_cbranch_execnz .LBB11_3272
.LBB11_1222:
	s_or_b64 exec, exec, s[6:7]
	s_and_saveexec_b64 s[6:7], s[4:5]
	s_cbranch_execz .LBB11_1224
.LBB11_1223:
	v_and_b32_e32 v3, 7, v4
	v_ffbh_u32_e32 v7, v3
	v_min_u32_e32 v7, 32, v7
	v_lshrrev_b16_e32 v6, 3, v4
	v_subrev_u32_e32 v12, 28, v7
	v_and_b32_e32 v6, 15, v6
	v_lshlrev_b32_e32 v12, v12, v4
	v_sub_u32_e32 v7, 29, v7
	v_and_b32_e32 v12, 7, v12
	v_cmp_eq_u16_e32 vcc, 0, v6
	v_cndmask_b32_e32 v3, v3, v12, vcc
	v_cndmask_b32_e32 v6, v6, v7, vcc
	v_lshlrev_b32_e32 v7, 24, v4
	v_mov_b32_e32 v12, 0x3b800000
	v_lshlrev_b32_e32 v3, 20, v3
	v_and_b32_e32 v7, 0x80000000, v7
	v_lshl_add_u32 v6, v6, 23, v12
	v_or3_b32 v3, v7, v6, v3
.LBB11_1224:
	s_or_b64 exec, exec, s[6:7]
	s_nop 0
	v_mfma_f32_16x16x4f32 a[0:3], v2, v3, a[0:3]
	v_lshrrev_b32_e32 v3, 8, v8
	s_movk_i32 s4, 0x7f
	v_cmp_gt_i16_sdwa s[6:7], v3, s4 src0_sel:BYTE_0 src1_sel:DWORD
	s_mov_b64 s[4:5], 0
                                        ; implicit-def: $sgpr10
	s_and_saveexec_b64 s[8:9], s[6:7]
	s_xor_b64 s[6:7], exec, s[8:9]
	s_cbranch_execnz .LBB11_3273
; %bb.1225:
	s_or_saveexec_b64 s[6:7], s[6:7]
	v_mov_b32_e32 v2, s10
	s_xor_b64 exec, exec, s[6:7]
	s_cbranch_execnz .LBB11_3276
.LBB11_1226:
	s_or_b64 exec, exec, s[6:7]
	s_and_saveexec_b64 s[6:7], s[4:5]
	s_cbranch_execz .LBB11_1228
.LBB11_1227:
	v_bfe_u32 v2, v8, 8, 3
	v_ffbh_u32_e32 v7, v2
	v_min_u32_e32 v7, 32, v7
	v_lshrrev_b16_e32 v6, 3, v3
	v_subrev_u32_e32 v12, 28, v7
	v_and_b32_e32 v6, 15, v6
	v_lshlrev_b32_e32 v3, v12, v3
	v_sub_u32_e32 v7, 29, v7
	v_and_b32_e32 v3, 7, v3
	v_cmp_eq_u16_e32 vcc, 0, v6
	v_cndmask_b32_e32 v2, v2, v3, vcc
	v_cndmask_b32_e32 v3, v6, v7, vcc
	v_lshlrev_b32_e32 v6, 16, v8
	v_mov_b32_e32 v7, 0x3b800000
	v_lshlrev_b32_e32 v2, 20, v2
	v_and_b32_e32 v6, 0x80000000, v6
	v_lshl_add_u32 v3, v3, 23, v7
	v_or3_b32 v2, v6, v3, v2
.LBB11_1228:
	s_or_b64 exec, exec, s[6:7]
	v_lshrrev_b32_e32 v3, 8, v4
	s_movk_i32 s4, 0x7f
	v_cmp_gt_i16_sdwa s[6:7], v3, s4 src0_sel:BYTE_0 src1_sel:DWORD
	s_mov_b64 s[4:5], 0
                                        ; implicit-def: $sgpr10
	s_and_saveexec_b64 s[8:9], s[6:7]
	s_xor_b64 s[6:7], exec, s[8:9]
	s_cbranch_execnz .LBB11_3277
; %bb.1229:
	s_or_saveexec_b64 s[6:7], s[6:7]
	v_mov_b32_e32 v6, s10
	s_xor_b64 exec, exec, s[6:7]
	s_cbranch_execnz .LBB11_3280
.LBB11_1230:
	s_or_b64 exec, exec, s[6:7]
	s_and_saveexec_b64 s[6:7], s[4:5]
	s_cbranch_execz .LBB11_1232
.LBB11_1231:
	v_bfe_u32 v6, v4, 8, 3
	v_ffbh_u32_e32 v12, v6
	v_min_u32_e32 v12, 32, v12
	v_lshrrev_b16_e32 v7, 3, v3
	v_subrev_u32_e32 v13, 28, v12
	v_and_b32_e32 v7, 15, v7
	v_lshlrev_b32_e32 v3, v13, v3
	v_sub_u32_e32 v12, 29, v12
	v_and_b32_e32 v3, 7, v3
	v_cmp_eq_u16_e32 vcc, 0, v7
	v_cndmask_b32_e32 v3, v6, v3, vcc
	v_cndmask_b32_e32 v6, v7, v12, vcc
	v_lshlrev_b32_e32 v7, 16, v4
	v_mov_b32_e32 v12, 0x3b800000
	v_lshlrev_b32_e32 v3, 20, v3
	v_and_b32_e32 v7, 0x80000000, v7
	v_lshl_add_u32 v6, v6, 23, v12
	v_or3_b32 v6, v7, v6, v3
.LBB11_1232:
	s_or_b64 exec, exec, s[6:7]
	s_nop 0
	v_mfma_f32_16x16x4f32 a[0:3], v2, v6, a[0:3]
	s_movk_i32 s4, 0xff
	v_and_b32_sdwa v3, v8, s4 dst_sel:DWORD dst_unused:UNUSED_PAD src0_sel:WORD_1 src1_sel:DWORD
	s_movk_i32 s4, 0x7f
	v_cmp_lt_i16_e32 vcc, s4, v3
	s_mov_b64 s[4:5], 0
                                        ; implicit-def: $sgpr10
	s_and_saveexec_b64 s[6:7], vcc
	s_xor_b64 s[6:7], exec, s[6:7]
	s_cbranch_execnz .LBB11_3281
; %bb.1233:
	s_or_saveexec_b64 s[6:7], s[6:7]
	v_mov_b32_e32 v2, s10
	s_xor_b64 exec, exec, s[6:7]
	s_cbranch_execnz .LBB11_3284
.LBB11_1234:
	s_or_b64 exec, exec, s[6:7]
	s_and_saveexec_b64 s[6:7], s[4:5]
	s_cbranch_execz .LBB11_1236
.LBB11_1235:
	v_bfe_u32 v2, v8, 16, 3
	v_ffbh_u32_e32 v7, v2
	v_min_u32_e32 v7, 32, v7
	v_lshrrev_b32_e32 v3, 19, v8
	v_subrev_u32_e32 v12, 28, v7
	v_and_b32_e32 v3, 15, v3
	v_lshlrev_b32_sdwa v12, v12, v8 dst_sel:DWORD dst_unused:UNUSED_PAD src0_sel:DWORD src1_sel:WORD_1
	v_bfe_u32 v6, v8, 19, 4
	v_sub_u32_e32 v7, 29, v7
	v_and_b32_e32 v12, 7, v12
	v_cmp_eq_u16_e32 vcc, 0, v3
	v_cndmask_b32_e32 v2, v2, v12, vcc
	v_cndmask_b32_e32 v3, v6, v7, vcc
	v_lshlrev_b32_e32 v6, 8, v8
	v_mov_b32_e32 v7, 0x3b800000
	v_lshlrev_b32_e32 v2, 20, v2
	v_and_b32_e32 v6, 0x80000000, v6
	v_lshl_add_u32 v3, v3, 23, v7
	v_or3_b32 v2, v6, v3, v2
.LBB11_1236:
	s_or_b64 exec, exec, s[6:7]
	s_movk_i32 s4, 0xff
	v_and_b32_sdwa v3, v4, s4 dst_sel:DWORD dst_unused:UNUSED_PAD src0_sel:WORD_1 src1_sel:DWORD
	s_movk_i32 s4, 0x7f
	v_cmp_lt_i16_e32 vcc, s4, v3
	s_mov_b64 s[4:5], 0
                                        ; implicit-def: $sgpr10
	s_and_saveexec_b64 s[6:7], vcc
	s_xor_b64 s[6:7], exec, s[6:7]
	s_cbranch_execnz .LBB11_3285
; %bb.1237:
	s_or_saveexec_b64 s[6:7], s[6:7]
	v_mov_b32_e32 v6, s10
	s_xor_b64 exec, exec, s[6:7]
	s_cbranch_execnz .LBB11_3288
.LBB11_1238:
	s_or_b64 exec, exec, s[6:7]
	s_and_saveexec_b64 s[6:7], s[4:5]
	s_cbranch_execz .LBB11_1240
.LBB11_1239:
	v_bfe_u32 v3, v4, 16, 3
	v_ffbh_u32_e32 v12, v3
	v_min_u32_e32 v12, 32, v12
	v_lshrrev_b32_e32 v6, 19, v4
	v_subrev_u32_e32 v13, 28, v12
	v_and_b32_e32 v6, 15, v6
	v_lshlrev_b32_sdwa v13, v13, v4 dst_sel:DWORD dst_unused:UNUSED_PAD src0_sel:DWORD src1_sel:WORD_1
	v_bfe_u32 v7, v4, 19, 4
	v_sub_u32_e32 v12, 29, v12
	v_and_b32_e32 v13, 7, v13
	v_cmp_eq_u16_e32 vcc, 0, v6
	v_cndmask_b32_e32 v3, v3, v13, vcc
	v_cndmask_b32_e32 v6, v7, v12, vcc
	v_lshlrev_b32_e32 v7, 8, v4
	v_mov_b32_e32 v12, 0x3b800000
	v_lshlrev_b32_e32 v3, 20, v3
	v_and_b32_e32 v7, 0x80000000, v7
	v_lshl_add_u32 v6, v6, 23, v12
	v_or3_b32 v6, v7, v6, v3
.LBB11_1240:
	s_or_b64 exec, exec, s[6:7]
	s_nop 0
	v_mfma_f32_16x16x4f32 a[0:3], v2, v6, a[0:3]
	s_movk_i32 s4, 0x7f
	v_cmp_gt_i16_sdwa s[6:7], v8, s4 src0_sel:BYTE_3 src1_sel:DWORD
	s_mov_b64 s[4:5], 0
                                        ; implicit-def: $sgpr10
	s_and_saveexec_b64 s[8:9], s[6:7]
	s_xor_b64 s[6:7], exec, s[8:9]
	s_cbranch_execnz .LBB11_3289
; %bb.1241:
	s_or_saveexec_b64 s[6:7], s[6:7]
	v_mov_b32_e32 v2, s10
	s_xor_b64 exec, exec, s[6:7]
	s_cbranch_execnz .LBB11_3292
.LBB11_1242:
	s_or_b64 exec, exec, s[6:7]
	s_and_saveexec_b64 s[6:7], s[4:5]
	s_cbranch_execz .LBB11_1244
.LBB11_1243:
	v_bfe_u32 v2, v8, 24, 3
	v_ffbh_u32_e32 v12, v2
	v_min_u32_e32 v12, 32, v12
	v_lshrrev_b32_e32 v6, 27, v8
	v_subrev_u32_e32 v13, 28, v12
	v_and_b32_e32 v3, 0x80000000, v8
	v_and_b32_e32 v6, 15, v6
	v_bfe_u32 v7, v8, 27, 4
	v_lshlrev_b32_sdwa v8, v13, v8 dst_sel:DWORD dst_unused:UNUSED_PAD src0_sel:DWORD src1_sel:BYTE_3
	v_sub_u32_e32 v12, 29, v12
	v_and_b32_e32 v8, 7, v8
	v_cmp_eq_u16_e32 vcc, 0, v6
	v_cndmask_b32_e32 v2, v2, v8, vcc
	v_cndmask_b32_e32 v6, v7, v12, vcc
	v_mov_b32_e32 v7, 0x3b800000
	v_lshlrev_b32_e32 v2, 20, v2
	v_lshl_add_u32 v6, v6, 23, v7
	v_or3_b32 v2, v3, v6, v2
.LBB11_1244:
	s_or_b64 exec, exec, s[6:7]
	s_movk_i32 s4, 0x7f
	v_cmp_gt_i16_sdwa s[6:7], v4, s4 src0_sel:BYTE_3 src1_sel:DWORD
	s_mov_b64 s[4:5], 0
                                        ; implicit-def: $sgpr10
	s_and_saveexec_b64 s[8:9], s[6:7]
	s_xor_b64 s[6:7], exec, s[8:9]
	s_cbranch_execnz .LBB11_3293
; %bb.1245:
	s_or_saveexec_b64 s[6:7], s[6:7]
	v_mov_b32_e32 v3, s10
	s_xor_b64 exec, exec, s[6:7]
	s_cbranch_execnz .LBB11_3296
.LBB11_1246:
	s_or_b64 exec, exec, s[6:7]
	s_and_saveexec_b64 s[6:7], s[4:5]
	s_cbranch_execz .LBB11_1248
.LBB11_1247:
	v_bfe_u32 v3, v4, 24, 3
	v_ffbh_u32_e32 v12, v3
	v_min_u32_e32 v12, 32, v12
	v_lshrrev_b32_e32 v7, 27, v4
	v_subrev_u32_e32 v13, 28, v12
	v_and_b32_e32 v6, 0x80000000, v4
	v_and_b32_e32 v7, 15, v7
	v_bfe_u32 v8, v4, 27, 4
	v_lshlrev_b32_sdwa v4, v13, v4 dst_sel:DWORD dst_unused:UNUSED_PAD src0_sel:DWORD src1_sel:BYTE_3
	v_sub_u32_e32 v12, 29, v12
	v_and_b32_e32 v4, 7, v4
	v_cmp_eq_u16_e32 vcc, 0, v7
	v_cndmask_b32_e32 v3, v3, v4, vcc
	v_cndmask_b32_e32 v4, v8, v12, vcc
	v_mov_b32_e32 v7, 0x3b800000
	v_lshlrev_b32_e32 v3, 20, v3
	v_lshl_add_u32 v4, v4, 23, v7
	v_or3_b32 v3, v6, v4, v3
.LBB11_1248:
	s_or_b64 exec, exec, s[6:7]
	s_nop 0
	v_mfma_f32_16x16x4f32 a[0:3], v2, v3, a[0:3]
	s_movk_i32 s4, 0x7f
	v_cmp_gt_i16_sdwa s[6:7], v9, s4 src0_sel:BYTE_0 src1_sel:DWORD
	s_mov_b64 s[4:5], 0
                                        ; implicit-def: $sgpr10
	s_and_saveexec_b64 s[8:9], s[6:7]
	s_xor_b64 s[6:7], exec, s[8:9]
	s_cbranch_execnz .LBB11_3297
; %bb.1249:
	s_or_saveexec_b64 s[6:7], s[6:7]
	v_mov_b32_e32 v2, s10
	s_xor_b64 exec, exec, s[6:7]
	s_cbranch_execnz .LBB11_3300
.LBB11_1250:
	s_or_b64 exec, exec, s[6:7]
	s_and_saveexec_b64 s[6:7], s[4:5]
	s_cbranch_execz .LBB11_1252
.LBB11_1251:
	v_mov_b32_e32 v2, 8
	v_and_b32_e32 v3, 7, v9
	v_lshrrev_b32_sdwa v2, v2, v9 dst_sel:BYTE_1 dst_unused:UNUSED_PAD src0_sel:DWORD src1_sel:DWORD
	v_ffbh_u32_e32 v4, v3
	v_or_b32_sdwa v2, v9, v2 dst_sel:DWORD dst_unused:UNUSED_PAD src0_sel:BYTE_0 src1_sel:DWORD
	v_min_u32_e32 v4, 32, v4
	v_lshrrev_b16_e32 v2, 3, v2
	v_subrev_u32_e32 v6, 28, v4
	v_and_b32_e32 v2, 15, v2
	v_lshlrev_b32_e32 v6, v6, v9
	v_sub_u32_e32 v4, 29, v4
	v_and_b32_e32 v6, 7, v6
	v_cmp_eq_u16_e32 vcc, 0, v2
	v_cndmask_b32_e32 v3, v3, v6, vcc
	v_cndmask_b32_e32 v2, v2, v4, vcc
	v_lshlrev_b32_e32 v4, 24, v9
	v_mov_b32_e32 v6, 0x3b800000
	v_lshlrev_b32_e32 v3, 20, v3
	v_and_b32_e32 v4, 0x80000000, v4
	v_lshl_add_u32 v2, v2, 23, v6
	v_or3_b32 v2, v4, v2, v3
.LBB11_1252:
	s_or_b64 exec, exec, s[6:7]
	s_movk_i32 s4, 0x7f
	v_cmp_gt_i16_sdwa s[6:7], v5, s4 src0_sel:BYTE_0 src1_sel:DWORD
	s_mov_b64 s[4:5], 0
                                        ; implicit-def: $sgpr10
	s_and_saveexec_b64 s[8:9], s[6:7]
	s_xor_b64 s[6:7], exec, s[8:9]
	s_cbranch_execnz .LBB11_3301
; %bb.1253:
	s_or_saveexec_b64 s[6:7], s[6:7]
	v_mov_b32_e32 v3, s10
	s_xor_b64 exec, exec, s[6:7]
	s_cbranch_execnz .LBB11_3304
.LBB11_1254:
	s_or_b64 exec, exec, s[6:7]
	s_and_saveexec_b64 s[6:7], s[4:5]
	s_cbranch_execz .LBB11_1256
.LBB11_1255:
	v_mov_b32_e32 v3, 8
	v_and_b32_e32 v4, 7, v5
	v_lshrrev_b32_sdwa v3, v3, v5 dst_sel:BYTE_1 dst_unused:UNUSED_PAD src0_sel:DWORD src1_sel:DWORD
	v_ffbh_u32_e32 v6, v4
	v_or_b32_sdwa v3, v5, v3 dst_sel:DWORD dst_unused:UNUSED_PAD src0_sel:BYTE_0 src1_sel:DWORD
	v_min_u32_e32 v6, 32, v6
	v_lshrrev_b16_e32 v3, 3, v3
	v_subrev_u32_e32 v7, 28, v6
	v_and_b32_e32 v3, 15, v3
	v_lshlrev_b32_e32 v7, v7, v5
	v_sub_u32_e32 v6, 29, v6
	v_and_b32_e32 v7, 7, v7
	v_cmp_eq_u16_e32 vcc, 0, v3
	v_cndmask_b32_e32 v4, v4, v7, vcc
	v_cndmask_b32_e32 v3, v3, v6, vcc
	v_lshlrev_b32_e32 v6, 24, v5
	v_mov_b32_e32 v7, 0x3b800000
	v_lshlrev_b32_e32 v4, 20, v4
	v_and_b32_e32 v6, 0x80000000, v6
	v_lshl_add_u32 v3, v3, 23, v7
	v_or3_b32 v3, v6, v3, v4
.LBB11_1256:
	s_or_b64 exec, exec, s[6:7]
	s_nop 0
	v_mfma_f32_16x16x4f32 a[0:3], v2, v3, a[0:3]
	v_lshrrev_b32_e32 v3, 8, v9
	s_movk_i32 s4, 0x7f
	v_cmp_gt_i16_sdwa s[6:7], v3, s4 src0_sel:BYTE_0 src1_sel:DWORD
	s_mov_b64 s[4:5], 0
                                        ; implicit-def: $sgpr10
	s_and_saveexec_b64 s[8:9], s[6:7]
	s_xor_b64 s[6:7], exec, s[8:9]
	s_cbranch_execnz .LBB11_3305
; %bb.1257:
	s_or_saveexec_b64 s[6:7], s[6:7]
	v_mov_b32_e32 v2, s10
	s_xor_b64 exec, exec, s[6:7]
	s_cbranch_execnz .LBB11_3308
.LBB11_1258:
	s_or_b64 exec, exec, s[6:7]
	s_and_saveexec_b64 s[6:7], s[4:5]
	s_cbranch_execz .LBB11_1260
.LBB11_1259:
	v_bfe_u32 v2, v9, 8, 3
	v_ffbh_u32_e32 v6, v2
	v_min_u32_e32 v6, 32, v6
	v_lshrrev_b16_e32 v4, 3, v3
	v_subrev_u32_e32 v7, 28, v6
	v_and_b32_e32 v4, 15, v4
	v_lshlrev_b32_e32 v3, v7, v3
	v_sub_u32_e32 v6, 29, v6
	v_and_b32_e32 v3, 7, v3
	v_cmp_eq_u16_e32 vcc, 0, v4
	v_cndmask_b32_e32 v2, v2, v3, vcc
	v_cndmask_b32_e32 v3, v4, v6, vcc
	v_lshlrev_b32_e32 v4, 16, v9
	v_mov_b32_e32 v6, 0x3b800000
	v_lshlrev_b32_e32 v2, 20, v2
	v_and_b32_e32 v4, 0x80000000, v4
	v_lshl_add_u32 v3, v3, 23, v6
	v_or3_b32 v2, v4, v3, v2
.LBB11_1260:
	s_or_b64 exec, exec, s[6:7]
	v_lshrrev_b32_e32 v3, 8, v5
	s_movk_i32 s4, 0x7f
	v_cmp_gt_i16_sdwa s[6:7], v3, s4 src0_sel:BYTE_0 src1_sel:DWORD
	s_mov_b64 s[4:5], 0
                                        ; implicit-def: $sgpr10
	s_and_saveexec_b64 s[8:9], s[6:7]
	s_xor_b64 s[6:7], exec, s[8:9]
	s_cbranch_execnz .LBB11_3309
; %bb.1261:
	s_or_saveexec_b64 s[6:7], s[6:7]
	v_mov_b32_e32 v4, s10
	s_xor_b64 exec, exec, s[6:7]
	s_cbranch_execnz .LBB11_3312
.LBB11_1262:
	s_or_b64 exec, exec, s[6:7]
	s_and_saveexec_b64 s[6:7], s[4:5]
	s_cbranch_execz .LBB11_1264
.LBB11_1263:
	v_bfe_u32 v4, v5, 8, 3
	v_ffbh_u32_e32 v7, v4
	v_min_u32_e32 v7, 32, v7
	v_lshrrev_b16_e32 v6, 3, v3
	v_subrev_u32_e32 v8, 28, v7
	v_and_b32_e32 v6, 15, v6
	v_lshlrev_b32_e32 v3, v8, v3
	v_sub_u32_e32 v7, 29, v7
	v_and_b32_e32 v3, 7, v3
	v_cmp_eq_u16_e32 vcc, 0, v6
	v_cndmask_b32_e32 v3, v4, v3, vcc
	v_cndmask_b32_e32 v4, v6, v7, vcc
	v_lshlrev_b32_e32 v6, 16, v5
	v_mov_b32_e32 v7, 0x3b800000
	v_lshlrev_b32_e32 v3, 20, v3
	v_and_b32_e32 v6, 0x80000000, v6
	v_lshl_add_u32 v4, v4, 23, v7
	v_or3_b32 v4, v6, v4, v3
.LBB11_1264:
	s_or_b64 exec, exec, s[6:7]
	s_nop 0
	v_mfma_f32_16x16x4f32 a[0:3], v2, v4, a[0:3]
	s_movk_i32 s4, 0xff
	v_and_b32_sdwa v3, v9, s4 dst_sel:DWORD dst_unused:UNUSED_PAD src0_sel:WORD_1 src1_sel:DWORD
	s_movk_i32 s4, 0x7f
	v_cmp_lt_i16_e32 vcc, s4, v3
	s_mov_b64 s[4:5], 0
                                        ; implicit-def: $sgpr10
	s_and_saveexec_b64 s[6:7], vcc
	s_xor_b64 s[6:7], exec, s[6:7]
	s_cbranch_execnz .LBB11_3313
; %bb.1265:
	s_or_saveexec_b64 s[6:7], s[6:7]
	v_mov_b32_e32 v2, s10
	s_xor_b64 exec, exec, s[6:7]
	s_cbranch_execnz .LBB11_3316
.LBB11_1266:
	s_or_b64 exec, exec, s[6:7]
	s_and_saveexec_b64 s[6:7], s[4:5]
	s_cbranch_execz .LBB11_1268
.LBB11_1267:
	v_bfe_u32 v2, v9, 16, 3
	v_ffbh_u32_e32 v6, v2
	v_min_u32_e32 v6, 32, v6
	v_lshrrev_b32_e32 v3, 19, v9
	v_subrev_u32_e32 v7, 28, v6
	v_and_b32_e32 v3, 15, v3
	v_lshlrev_b32_sdwa v7, v7, v9 dst_sel:DWORD dst_unused:UNUSED_PAD src0_sel:DWORD src1_sel:WORD_1
	v_bfe_u32 v4, v9, 19, 4
	v_sub_u32_e32 v6, 29, v6
	v_and_b32_e32 v7, 7, v7
	v_cmp_eq_u16_e32 vcc, 0, v3
	v_cndmask_b32_e32 v2, v2, v7, vcc
	v_cndmask_b32_e32 v3, v4, v6, vcc
	v_lshlrev_b32_e32 v4, 8, v9
	v_mov_b32_e32 v6, 0x3b800000
	v_lshlrev_b32_e32 v2, 20, v2
	v_and_b32_e32 v4, 0x80000000, v4
	v_lshl_add_u32 v3, v3, 23, v6
	v_or3_b32 v2, v4, v3, v2
.LBB11_1268:
	s_or_b64 exec, exec, s[6:7]
	s_movk_i32 s4, 0xff
	v_and_b32_sdwa v3, v5, s4 dst_sel:DWORD dst_unused:UNUSED_PAD src0_sel:WORD_1 src1_sel:DWORD
	s_movk_i32 s4, 0x7f
	v_cmp_lt_i16_e32 vcc, s4, v3
	s_mov_b64 s[4:5], 0
                                        ; implicit-def: $sgpr10
	s_and_saveexec_b64 s[6:7], vcc
	s_xor_b64 s[6:7], exec, s[6:7]
	s_cbranch_execnz .LBB11_3317
; %bb.1269:
	s_or_saveexec_b64 s[6:7], s[6:7]
	v_mov_b32_e32 v4, s10
	s_xor_b64 exec, exec, s[6:7]
	s_cbranch_execnz .LBB11_3320
.LBB11_1270:
	s_or_b64 exec, exec, s[6:7]
	s_and_saveexec_b64 s[6:7], s[4:5]
	s_cbranch_execz .LBB11_1272
.LBB11_1271:
	v_bfe_u32 v3, v5, 16, 3
	v_ffbh_u32_e32 v7, v3
	v_min_u32_e32 v7, 32, v7
	v_lshrrev_b32_e32 v4, 19, v5
	v_subrev_u32_e32 v8, 28, v7
	v_and_b32_e32 v4, 15, v4
	v_lshlrev_b32_sdwa v8, v8, v5 dst_sel:DWORD dst_unused:UNUSED_PAD src0_sel:DWORD src1_sel:WORD_1
	v_bfe_u32 v6, v5, 19, 4
	v_sub_u32_e32 v7, 29, v7
	v_and_b32_e32 v8, 7, v8
	v_cmp_eq_u16_e32 vcc, 0, v4
	v_cndmask_b32_e32 v3, v3, v8, vcc
	v_cndmask_b32_e32 v4, v6, v7, vcc
	v_lshlrev_b32_e32 v6, 8, v5
	v_mov_b32_e32 v7, 0x3b800000
	v_lshlrev_b32_e32 v3, 20, v3
	v_and_b32_e32 v6, 0x80000000, v6
	v_lshl_add_u32 v4, v4, 23, v7
	v_or3_b32 v4, v6, v4, v3
.LBB11_1272:
	s_or_b64 exec, exec, s[6:7]
	s_nop 0
	v_mfma_f32_16x16x4f32 a[0:3], v2, v4, a[0:3]
	s_movk_i32 s4, 0x7f
	v_cmp_gt_i16_sdwa s[6:7], v9, s4 src0_sel:BYTE_3 src1_sel:DWORD
	s_mov_b64 s[4:5], 0
                                        ; implicit-def: $sgpr10
	s_and_saveexec_b64 s[8:9], s[6:7]
	s_xor_b64 s[6:7], exec, s[8:9]
	s_cbranch_execnz .LBB11_3321
; %bb.1273:
	s_or_saveexec_b64 s[6:7], s[6:7]
	v_mov_b32_e32 v2, s10
	s_xor_b64 exec, exec, s[6:7]
	s_cbranch_execnz .LBB11_3324
.LBB11_1274:
	s_or_b64 exec, exec, s[6:7]
	s_and_saveexec_b64 s[6:7], s[4:5]
	s_cbranch_execz .LBB11_1276
.LBB11_1275:
	v_bfe_u32 v2, v9, 24, 3
	v_ffbh_u32_e32 v7, v2
	v_min_u32_e32 v7, 32, v7
	v_lshrrev_b32_e32 v4, 27, v9
	v_subrev_u32_e32 v8, 28, v7
	v_and_b32_e32 v4, 15, v4
	v_lshlrev_b32_sdwa v8, v8, v9 dst_sel:DWORD dst_unused:UNUSED_PAD src0_sel:DWORD src1_sel:BYTE_3
	v_bfe_u32 v6, v9, 27, 4
	v_sub_u32_e32 v7, 29, v7
	v_and_b32_e32 v8, 7, v8
	v_cmp_eq_u16_e32 vcc, 0, v4
	v_cndmask_b32_e32 v2, v2, v8, vcc
	v_cndmask_b32_e32 v4, v6, v7, vcc
	v_mov_b32_e32 v6, 0x3b800000
	v_and_b32_e32 v3, 0x80000000, v9
	v_lshlrev_b32_e32 v2, 20, v2
	v_lshl_add_u32 v4, v4, 23, v6
	v_or3_b32 v2, v3, v4, v2
.LBB11_1276:
	s_or_b64 exec, exec, s[6:7]
	s_movk_i32 s4, 0x7f
	v_cmp_gt_i16_sdwa s[6:7], v5, s4 src0_sel:BYTE_3 src1_sel:DWORD
	s_mov_b64 s[4:5], 0
                                        ; implicit-def: $sgpr10
	s_and_saveexec_b64 s[8:9], s[6:7]
	s_xor_b64 s[6:7], exec, s[8:9]
	s_cbranch_execnz .LBB11_3325
; %bb.1277:
	s_or_saveexec_b64 s[6:7], s[6:7]
	v_mov_b32_e32 v3, s10
	s_xor_b64 exec, exec, s[6:7]
	s_cbranch_execnz .LBB11_3328
.LBB11_1278:
	s_or_b64 exec, exec, s[6:7]
	s_and_saveexec_b64 s[6:7], s[4:5]
	s_cbranch_execz .LBB11_1280
.LBB11_1279:
	v_bfe_u32 v3, v5, 24, 3
	v_ffbh_u32_e32 v8, v3
	v_min_u32_e32 v8, 32, v8
	v_lshrrev_b32_e32 v6, 27, v5
	v_subrev_u32_e32 v9, 28, v8
	v_and_b32_e32 v4, 0x80000000, v5
	v_and_b32_e32 v6, 15, v6
	v_bfe_u32 v7, v5, 27, 4
	v_lshlrev_b32_sdwa v5, v9, v5 dst_sel:DWORD dst_unused:UNUSED_PAD src0_sel:DWORD src1_sel:BYTE_3
	v_sub_u32_e32 v8, 29, v8
	v_and_b32_e32 v5, 7, v5
	v_cmp_eq_u16_e32 vcc, 0, v6
	v_cndmask_b32_e32 v3, v3, v5, vcc
	v_cndmask_b32_e32 v5, v7, v8, vcc
	v_mov_b32_e32 v6, 0x3b800000
	v_lshlrev_b32_e32 v3, 20, v3
	v_lshl_add_u32 v5, v5, 23, v6
	v_or3_b32 v3, v4, v5, v3
.LBB11_1280:
	s_or_b64 exec, exec, s[6:7]
	s_nop 0
	v_mfma_f32_16x16x4f32 a[0:3], v2, v3, a[0:3]
	s_movk_i32 s4, 0x7f
                                        ; implicit-def: $sgpr10
	s_nop 7
	s_nop 1
	flat_store_dwordx4 v[10:11], a[0:3] offset:144
	flat_load_dwordx4 v[12:15], v[0:1] offset:8
	s_nop 0
	flat_load_dwordx2 v[10:11], v[0:1] offset:32
	s_waitcnt vmcnt(0) lgkmcnt(0)
	flat_load_dwordx4 v[6:9], v[12:13] offset:80
	flat_load_dwordx4 v[2:5], v[14:15] offset:80
	s_waitcnt vmcnt(0) lgkmcnt(0)
	v_cmp_gt_i16_sdwa s[6:7], v6, s4 src0_sel:BYTE_0 src1_sel:DWORD
	s_mov_b64 s[4:5], 0
	s_and_saveexec_b64 s[8:9], s[6:7]
	s_xor_b64 s[6:7], exec, s[8:9]
	s_cbranch_execnz .LBB11_3329
; %bb.1281:
	s_or_saveexec_b64 s[6:7], s[6:7]
	v_mov_b32_e32 v12, s10
	s_xor_b64 exec, exec, s[6:7]
	s_cbranch_execnz .LBB11_3332
.LBB11_1282:
	s_or_b64 exec, exec, s[6:7]
	s_and_saveexec_b64 s[6:7], s[4:5]
	s_cbranch_execz .LBB11_1284
.LBB11_1283:
	v_and_b32_e32 v12, 7, v6
	v_ffbh_u32_e32 v14, v12
	v_min_u32_e32 v14, 32, v14
	v_lshrrev_b16_e32 v13, 3, v6
	v_subrev_u32_e32 v15, 28, v14
	v_and_b32_e32 v13, 15, v13
	v_lshlrev_b32_e32 v15, v15, v6
	v_sub_u32_e32 v14, 29, v14
	v_and_b32_e32 v15, 7, v15
	v_cmp_eq_u16_e32 vcc, 0, v13
	v_cndmask_b32_e32 v12, v12, v15, vcc
	v_cndmask_b32_e32 v13, v13, v14, vcc
	v_lshlrev_b32_e32 v14, 24, v6
	v_mov_b32_e32 v15, 0x3b800000
	v_lshlrev_b32_e32 v12, 20, v12
	v_and_b32_e32 v14, 0x80000000, v14
	v_lshl_add_u32 v13, v13, 23, v15
	v_or3_b32 v12, v14, v13, v12
.LBB11_1284:
	s_or_b64 exec, exec, s[6:7]
	s_movk_i32 s4, 0x7f
	v_cmp_gt_i16_sdwa s[6:7], v2, s4 src0_sel:BYTE_0 src1_sel:DWORD
	s_mov_b64 s[4:5], 0
                                        ; implicit-def: $sgpr10
	s_and_saveexec_b64 s[8:9], s[6:7]
	s_xor_b64 s[6:7], exec, s[8:9]
	s_cbranch_execnz .LBB11_3333
; %bb.1285:
	s_or_saveexec_b64 s[6:7], s[6:7]
	v_mov_b32_e32 v13, s10
	s_xor_b64 exec, exec, s[6:7]
	s_cbranch_execnz .LBB11_3336
.LBB11_1286:
	s_or_b64 exec, exec, s[6:7]
	s_and_saveexec_b64 s[6:7], s[4:5]
	s_cbranch_execz .LBB11_1288
.LBB11_1287:
	v_and_b32_e32 v13, 7, v2
	v_ffbh_u32_e32 v15, v13
	v_min_u32_e32 v15, 32, v15
	v_lshrrev_b16_e32 v14, 3, v2
	v_subrev_u32_e32 v16, 28, v15
	v_and_b32_e32 v14, 15, v14
	v_lshlrev_b32_e32 v16, v16, v2
	v_sub_u32_e32 v15, 29, v15
	v_and_b32_e32 v16, 7, v16
	v_cmp_eq_u16_e32 vcc, 0, v14
	v_cndmask_b32_e32 v13, v13, v16, vcc
	v_cndmask_b32_e32 v14, v14, v15, vcc
	v_lshlrev_b32_e32 v15, 24, v2
	v_mov_b32_e32 v16, 0x3b800000
	v_lshlrev_b32_e32 v13, 20, v13
	v_and_b32_e32 v15, 0x80000000, v15
	v_lshl_add_u32 v14, v14, 23, v16
	v_or3_b32 v13, v15, v14, v13
.LBB11_1288:
	s_or_b64 exec, exec, s[6:7]
	flat_load_dwordx4 a[0:3], v[10:11] offset:160
	s_movk_i32 s4, 0x7f
                                        ; implicit-def: $sgpr10
	s_waitcnt vmcnt(0) lgkmcnt(0)
	v_mfma_f32_16x16x4f32 a[0:3], v12, v13, a[0:3]
	v_lshrrev_b32_e32 v13, 8, v6
	v_cmp_gt_i16_sdwa s[6:7], v13, s4 src0_sel:BYTE_0 src1_sel:DWORD
	s_mov_b64 s[4:5], 0
	s_and_saveexec_b64 s[8:9], s[6:7]
	s_xor_b64 s[6:7], exec, s[8:9]
	s_cbranch_execnz .LBB11_3337
; %bb.1289:
	s_or_saveexec_b64 s[6:7], s[6:7]
	v_mov_b32_e32 v12, s10
	s_xor_b64 exec, exec, s[6:7]
	s_cbranch_execnz .LBB11_3340
.LBB11_1290:
	s_or_b64 exec, exec, s[6:7]
	s_and_saveexec_b64 s[6:7], s[4:5]
	s_cbranch_execz .LBB11_1292
.LBB11_1291:
	v_bfe_u32 v12, v6, 8, 3
	v_ffbh_u32_e32 v15, v12
	v_min_u32_e32 v15, 32, v15
	v_lshrrev_b16_e32 v14, 3, v13
	v_subrev_u32_e32 v16, 28, v15
	v_and_b32_e32 v14, 15, v14
	v_lshlrev_b32_e32 v13, v16, v13
	v_sub_u32_e32 v15, 29, v15
	v_and_b32_e32 v13, 7, v13
	v_cmp_eq_u16_e32 vcc, 0, v14
	v_cndmask_b32_e32 v12, v12, v13, vcc
	v_cndmask_b32_e32 v13, v14, v15, vcc
	v_lshlrev_b32_e32 v14, 16, v6
	v_mov_b32_e32 v15, 0x3b800000
	v_lshlrev_b32_e32 v12, 20, v12
	v_and_b32_e32 v14, 0x80000000, v14
	v_lshl_add_u32 v13, v13, 23, v15
	v_or3_b32 v12, v14, v13, v12
.LBB11_1292:
	s_or_b64 exec, exec, s[6:7]
	v_lshrrev_b32_e32 v13, 8, v2
	s_movk_i32 s4, 0x7f
	v_cmp_gt_i16_sdwa s[6:7], v13, s4 src0_sel:BYTE_0 src1_sel:DWORD
	s_mov_b64 s[4:5], 0
                                        ; implicit-def: $sgpr10
	s_and_saveexec_b64 s[8:9], s[6:7]
	s_xor_b64 s[6:7], exec, s[8:9]
	s_cbranch_execnz .LBB11_3341
; %bb.1293:
	s_or_saveexec_b64 s[6:7], s[6:7]
	v_mov_b32_e32 v14, s10
	s_xor_b64 exec, exec, s[6:7]
	s_cbranch_execnz .LBB11_3344
.LBB11_1294:
	s_or_b64 exec, exec, s[6:7]
	s_and_saveexec_b64 s[6:7], s[4:5]
	s_cbranch_execz .LBB11_1296
.LBB11_1295:
	v_bfe_u32 v14, v2, 8, 3
	v_ffbh_u32_e32 v16, v14
	v_min_u32_e32 v16, 32, v16
	v_lshrrev_b16_e32 v15, 3, v13
	v_subrev_u32_e32 v17, 28, v16
	v_and_b32_e32 v15, 15, v15
	v_lshlrev_b32_e32 v13, v17, v13
	v_sub_u32_e32 v16, 29, v16
	v_and_b32_e32 v13, 7, v13
	v_cmp_eq_u16_e32 vcc, 0, v15
	v_cndmask_b32_e32 v13, v14, v13, vcc
	v_cndmask_b32_e32 v14, v15, v16, vcc
	v_lshlrev_b32_e32 v15, 16, v2
	v_mov_b32_e32 v16, 0x3b800000
	v_lshlrev_b32_e32 v13, 20, v13
	v_and_b32_e32 v15, 0x80000000, v15
	v_lshl_add_u32 v14, v14, 23, v16
	v_or3_b32 v14, v15, v14, v13
.LBB11_1296:
	s_or_b64 exec, exec, s[6:7]
	s_nop 0
	v_mfma_f32_16x16x4f32 a[0:3], v12, v14, a[0:3]
	s_movk_i32 s4, 0xff
	v_and_b32_sdwa v13, v6, s4 dst_sel:DWORD dst_unused:UNUSED_PAD src0_sel:WORD_1 src1_sel:DWORD
	s_movk_i32 s4, 0x7f
	v_cmp_lt_i16_e32 vcc, s4, v13
	s_mov_b64 s[4:5], 0
                                        ; implicit-def: $sgpr10
	s_and_saveexec_b64 s[6:7], vcc
	s_xor_b64 s[6:7], exec, s[6:7]
	s_cbranch_execnz .LBB11_3345
; %bb.1297:
	s_or_saveexec_b64 s[6:7], s[6:7]
	v_mov_b32_e32 v12, s10
	s_xor_b64 exec, exec, s[6:7]
	s_cbranch_execnz .LBB11_3348
.LBB11_1298:
	s_or_b64 exec, exec, s[6:7]
	s_and_saveexec_b64 s[6:7], s[4:5]
	s_cbranch_execz .LBB11_1300
.LBB11_1299:
	v_bfe_u32 v12, v6, 16, 3
	v_ffbh_u32_e32 v15, v12
	v_min_u32_e32 v15, 32, v15
	v_lshrrev_b32_e32 v13, 19, v6
	v_subrev_u32_e32 v16, 28, v15
	v_and_b32_e32 v13, 15, v13
	v_lshlrev_b32_sdwa v16, v16, v6 dst_sel:DWORD dst_unused:UNUSED_PAD src0_sel:DWORD src1_sel:WORD_1
	v_bfe_u32 v14, v6, 19, 4
	v_sub_u32_e32 v15, 29, v15
	v_and_b32_e32 v16, 7, v16
	v_cmp_eq_u16_e32 vcc, 0, v13
	v_cndmask_b32_e32 v12, v12, v16, vcc
	v_cndmask_b32_e32 v13, v14, v15, vcc
	v_lshlrev_b32_e32 v14, 8, v6
	v_mov_b32_e32 v15, 0x3b800000
	v_lshlrev_b32_e32 v12, 20, v12
	v_and_b32_e32 v14, 0x80000000, v14
	v_lshl_add_u32 v13, v13, 23, v15
	v_or3_b32 v12, v14, v13, v12
.LBB11_1300:
	s_or_b64 exec, exec, s[6:7]
	s_movk_i32 s4, 0xff
	v_and_b32_sdwa v13, v2, s4 dst_sel:DWORD dst_unused:UNUSED_PAD src0_sel:WORD_1 src1_sel:DWORD
	s_movk_i32 s4, 0x7f
	v_cmp_lt_i16_e32 vcc, s4, v13
	s_mov_b64 s[4:5], 0
                                        ; implicit-def: $sgpr10
	s_and_saveexec_b64 s[6:7], vcc
	s_xor_b64 s[6:7], exec, s[6:7]
	s_cbranch_execnz .LBB11_3349
; %bb.1301:
	s_or_saveexec_b64 s[6:7], s[6:7]
	v_mov_b32_e32 v14, s10
	s_xor_b64 exec, exec, s[6:7]
	s_cbranch_execnz .LBB11_3352
.LBB11_1302:
	s_or_b64 exec, exec, s[6:7]
	s_and_saveexec_b64 s[6:7], s[4:5]
	s_cbranch_execz .LBB11_1304
.LBB11_1303:
	v_bfe_u32 v13, v2, 16, 3
	v_ffbh_u32_e32 v16, v13
	v_min_u32_e32 v16, 32, v16
	v_lshrrev_b32_e32 v14, 19, v2
	v_subrev_u32_e32 v17, 28, v16
	v_and_b32_e32 v14, 15, v14
	v_lshlrev_b32_sdwa v17, v17, v2 dst_sel:DWORD dst_unused:UNUSED_PAD src0_sel:DWORD src1_sel:WORD_1
	v_bfe_u32 v15, v2, 19, 4
	v_sub_u32_e32 v16, 29, v16
	v_and_b32_e32 v17, 7, v17
	v_cmp_eq_u16_e32 vcc, 0, v14
	v_cndmask_b32_e32 v13, v13, v17, vcc
	v_cndmask_b32_e32 v14, v15, v16, vcc
	v_lshlrev_b32_e32 v15, 8, v2
	v_mov_b32_e32 v16, 0x3b800000
	v_lshlrev_b32_e32 v13, 20, v13
	v_and_b32_e32 v15, 0x80000000, v15
	v_lshl_add_u32 v14, v14, 23, v16
	v_or3_b32 v14, v15, v14, v13
.LBB11_1304:
	s_or_b64 exec, exec, s[6:7]
	s_nop 0
	v_mfma_f32_16x16x4f32 a[0:3], v12, v14, a[0:3]
	s_movk_i32 s4, 0x7f
	v_cmp_gt_i16_sdwa s[6:7], v6, s4 src0_sel:BYTE_3 src1_sel:DWORD
	s_mov_b64 s[4:5], 0
                                        ; implicit-def: $sgpr10
	s_and_saveexec_b64 s[8:9], s[6:7]
	s_xor_b64 s[6:7], exec, s[8:9]
	s_cbranch_execnz .LBB11_3353
; %bb.1305:
	s_or_saveexec_b64 s[6:7], s[6:7]
	v_mov_b32_e32 v12, s10
	s_xor_b64 exec, exec, s[6:7]
	s_cbranch_execnz .LBB11_3356
.LBB11_1306:
	s_or_b64 exec, exec, s[6:7]
	s_and_saveexec_b64 s[6:7], s[4:5]
	s_cbranch_execz .LBB11_1308
.LBB11_1307:
	v_bfe_u32 v12, v6, 24, 3
	v_ffbh_u32_e32 v16, v12
	v_min_u32_e32 v16, 32, v16
	v_lshrrev_b32_e32 v14, 27, v6
	v_subrev_u32_e32 v17, 28, v16
	v_and_b32_e32 v13, 0x80000000, v6
	v_and_b32_e32 v14, 15, v14
	v_bfe_u32 v15, v6, 27, 4
	v_lshlrev_b32_sdwa v6, v17, v6 dst_sel:DWORD dst_unused:UNUSED_PAD src0_sel:DWORD src1_sel:BYTE_3
	v_sub_u32_e32 v16, 29, v16
	v_and_b32_e32 v6, 7, v6
	v_cmp_eq_u16_e32 vcc, 0, v14
	v_cndmask_b32_e32 v6, v12, v6, vcc
	v_cndmask_b32_e32 v12, v15, v16, vcc
	v_mov_b32_e32 v14, 0x3b800000
	v_lshlrev_b32_e32 v6, 20, v6
	v_lshl_add_u32 v12, v12, 23, v14
	v_or3_b32 v12, v13, v12, v6
.LBB11_1308:
	s_or_b64 exec, exec, s[6:7]
	s_movk_i32 s4, 0x7f
	v_cmp_gt_i16_sdwa s[6:7], v2, s4 src0_sel:BYTE_3 src1_sel:DWORD
	s_mov_b64 s[4:5], 0
                                        ; implicit-def: $sgpr10
	s_and_saveexec_b64 s[8:9], s[6:7]
	s_xor_b64 s[6:7], exec, s[8:9]
	s_cbranch_execnz .LBB11_3357
; %bb.1309:
	s_or_saveexec_b64 s[6:7], s[6:7]
	v_mov_b32_e32 v6, s10
	s_xor_b64 exec, exec, s[6:7]
	s_cbranch_execnz .LBB11_3360
.LBB11_1310:
	s_or_b64 exec, exec, s[6:7]
	s_and_saveexec_b64 s[6:7], s[4:5]
	s_cbranch_execz .LBB11_1312
.LBB11_1311:
	v_bfe_u32 v6, v2, 24, 3
	v_ffbh_u32_e32 v16, v6
	v_min_u32_e32 v16, 32, v16
	v_lshrrev_b32_e32 v14, 27, v2
	v_subrev_u32_e32 v17, 28, v16
	v_and_b32_e32 v13, 0x80000000, v2
	v_and_b32_e32 v14, 15, v14
	v_bfe_u32 v15, v2, 27, 4
	v_lshlrev_b32_sdwa v2, v17, v2 dst_sel:DWORD dst_unused:UNUSED_PAD src0_sel:DWORD src1_sel:BYTE_3
	v_sub_u32_e32 v16, 29, v16
	v_and_b32_e32 v2, 7, v2
	v_cmp_eq_u16_e32 vcc, 0, v14
	v_cndmask_b32_e32 v2, v6, v2, vcc
	v_cndmask_b32_e32 v6, v15, v16, vcc
	v_mov_b32_e32 v14, 0x3b800000
	v_lshlrev_b32_e32 v2, 20, v2
	v_lshl_add_u32 v6, v6, 23, v14
	v_or3_b32 v6, v13, v6, v2
.LBB11_1312:
	s_or_b64 exec, exec, s[6:7]
	s_nop 0
	v_mfma_f32_16x16x4f32 a[0:3], v12, v6, a[0:3]
	s_movk_i32 s4, 0x7f
	v_cmp_gt_i16_sdwa s[6:7], v7, s4 src0_sel:BYTE_0 src1_sel:DWORD
	s_mov_b64 s[4:5], 0
                                        ; implicit-def: $sgpr10
	s_and_saveexec_b64 s[8:9], s[6:7]
	s_xor_b64 s[6:7], exec, s[8:9]
	s_cbranch_execnz .LBB11_3361
; %bb.1313:
	s_or_saveexec_b64 s[6:7], s[6:7]
	v_mov_b32_e32 v2, s10
	s_xor_b64 exec, exec, s[6:7]
	s_cbranch_execnz .LBB11_3364
.LBB11_1314:
	s_or_b64 exec, exec, s[6:7]
	s_and_saveexec_b64 s[6:7], s[4:5]
	s_cbranch_execz .LBB11_1316
.LBB11_1315:
	v_and_b32_e32 v2, 7, v7
	v_ffbh_u32_e32 v12, v2
	v_min_u32_e32 v12, 32, v12
	v_lshrrev_b16_e32 v6, 3, v7
	v_subrev_u32_e32 v13, 28, v12
	v_and_b32_e32 v6, 15, v6
	v_lshlrev_b32_e32 v13, v13, v7
	v_sub_u32_e32 v12, 29, v12
	v_and_b32_e32 v13, 7, v13
	v_cmp_eq_u16_e32 vcc, 0, v6
	v_cndmask_b32_e32 v2, v2, v13, vcc
	v_cndmask_b32_e32 v6, v6, v12, vcc
	v_lshlrev_b32_e32 v12, 24, v7
	v_mov_b32_e32 v13, 0x3b800000
	v_lshlrev_b32_e32 v2, 20, v2
	v_and_b32_e32 v12, 0x80000000, v12
	v_lshl_add_u32 v6, v6, 23, v13
	v_or3_b32 v2, v12, v6, v2
.LBB11_1316:
	s_or_b64 exec, exec, s[6:7]
	s_movk_i32 s4, 0x7f
	v_cmp_gt_i16_sdwa s[6:7], v3, s4 src0_sel:BYTE_0 src1_sel:DWORD
	s_mov_b64 s[4:5], 0
                                        ; implicit-def: $sgpr10
	s_and_saveexec_b64 s[8:9], s[6:7]
	s_xor_b64 s[6:7], exec, s[8:9]
	s_cbranch_execnz .LBB11_3365
; %bb.1317:
	s_or_saveexec_b64 s[6:7], s[6:7]
	v_mov_b32_e32 v6, s10
	s_xor_b64 exec, exec, s[6:7]
	s_cbranch_execnz .LBB11_3368
.LBB11_1318:
	s_or_b64 exec, exec, s[6:7]
	s_and_saveexec_b64 s[6:7], s[4:5]
	s_cbranch_execz .LBB11_1320
.LBB11_1319:
	v_and_b32_e32 v6, 7, v3
	v_ffbh_u32_e32 v13, v6
	v_min_u32_e32 v13, 32, v13
	v_lshrrev_b16_e32 v12, 3, v3
	v_subrev_u32_e32 v14, 28, v13
	v_and_b32_e32 v12, 15, v12
	v_lshlrev_b32_e32 v14, v14, v3
	v_sub_u32_e32 v13, 29, v13
	v_and_b32_e32 v14, 7, v14
	v_cmp_eq_u16_e32 vcc, 0, v12
	v_cndmask_b32_e32 v6, v6, v14, vcc
	v_cndmask_b32_e32 v12, v12, v13, vcc
	v_lshlrev_b32_e32 v13, 24, v3
	v_mov_b32_e32 v14, 0x3b800000
	v_lshlrev_b32_e32 v6, 20, v6
	v_and_b32_e32 v13, 0x80000000, v13
	v_lshl_add_u32 v12, v12, 23, v14
	v_or3_b32 v6, v13, v12, v6
.LBB11_1320:
	s_or_b64 exec, exec, s[6:7]
	s_nop 0
	v_mfma_f32_16x16x4f32 a[0:3], v2, v6, a[0:3]
	v_lshrrev_b32_e32 v6, 8, v7
	s_movk_i32 s4, 0x7f
	v_cmp_gt_i16_sdwa s[6:7], v6, s4 src0_sel:BYTE_0 src1_sel:DWORD
	s_mov_b64 s[4:5], 0
                                        ; implicit-def: $sgpr10
	s_and_saveexec_b64 s[8:9], s[6:7]
	s_xor_b64 s[6:7], exec, s[8:9]
	s_cbranch_execnz .LBB11_3369
; %bb.1321:
	s_or_saveexec_b64 s[6:7], s[6:7]
	v_mov_b32_e32 v2, s10
	s_xor_b64 exec, exec, s[6:7]
	s_cbranch_execnz .LBB11_3372
.LBB11_1322:
	s_or_b64 exec, exec, s[6:7]
	s_and_saveexec_b64 s[6:7], s[4:5]
	s_cbranch_execz .LBB11_1324
.LBB11_1323:
	v_bfe_u32 v2, v7, 8, 3
	v_ffbh_u32_e32 v13, v2
	v_min_u32_e32 v13, 32, v13
	v_lshrrev_b16_e32 v12, 3, v6
	v_subrev_u32_e32 v14, 28, v13
	v_and_b32_e32 v12, 15, v12
	v_lshlrev_b32_e32 v6, v14, v6
	v_sub_u32_e32 v13, 29, v13
	v_and_b32_e32 v6, 7, v6
	v_cmp_eq_u16_e32 vcc, 0, v12
	v_cndmask_b32_e32 v2, v2, v6, vcc
	v_cndmask_b32_e32 v6, v12, v13, vcc
	v_lshlrev_b32_e32 v12, 16, v7
	v_mov_b32_e32 v13, 0x3b800000
	v_lshlrev_b32_e32 v2, 20, v2
	v_and_b32_e32 v12, 0x80000000, v12
	v_lshl_add_u32 v6, v6, 23, v13
	v_or3_b32 v2, v12, v6, v2
.LBB11_1324:
	s_or_b64 exec, exec, s[6:7]
	v_lshrrev_b32_e32 v6, 8, v3
	s_movk_i32 s4, 0x7f
	v_cmp_gt_i16_sdwa s[6:7], v6, s4 src0_sel:BYTE_0 src1_sel:DWORD
	s_mov_b64 s[4:5], 0
                                        ; implicit-def: $sgpr10
	s_and_saveexec_b64 s[8:9], s[6:7]
	s_xor_b64 s[6:7], exec, s[8:9]
	s_cbranch_execnz .LBB11_3373
; %bb.1325:
	s_or_saveexec_b64 s[6:7], s[6:7]
	v_mov_b32_e32 v12, s10
	s_xor_b64 exec, exec, s[6:7]
	s_cbranch_execnz .LBB11_3376
.LBB11_1326:
	s_or_b64 exec, exec, s[6:7]
	s_and_saveexec_b64 s[6:7], s[4:5]
	s_cbranch_execz .LBB11_1328
.LBB11_1327:
	v_bfe_u32 v12, v3, 8, 3
	v_ffbh_u32_e32 v14, v12
	v_min_u32_e32 v14, 32, v14
	v_lshrrev_b16_e32 v13, 3, v6
	v_subrev_u32_e32 v15, 28, v14
	v_and_b32_e32 v13, 15, v13
	v_lshlrev_b32_e32 v6, v15, v6
	v_sub_u32_e32 v14, 29, v14
	v_and_b32_e32 v6, 7, v6
	v_cmp_eq_u16_e32 vcc, 0, v13
	v_cndmask_b32_e32 v6, v12, v6, vcc
	v_cndmask_b32_e32 v12, v13, v14, vcc
	v_lshlrev_b32_e32 v13, 16, v3
	v_mov_b32_e32 v14, 0x3b800000
	v_lshlrev_b32_e32 v6, 20, v6
	v_and_b32_e32 v13, 0x80000000, v13
	v_lshl_add_u32 v12, v12, 23, v14
	v_or3_b32 v12, v13, v12, v6
.LBB11_1328:
	s_or_b64 exec, exec, s[6:7]
	s_nop 0
	v_mfma_f32_16x16x4f32 a[0:3], v2, v12, a[0:3]
	s_movk_i32 s4, 0xff
	v_and_b32_sdwa v6, v7, s4 dst_sel:DWORD dst_unused:UNUSED_PAD src0_sel:WORD_1 src1_sel:DWORD
	s_movk_i32 s4, 0x7f
	v_cmp_lt_i16_e32 vcc, s4, v6
	s_mov_b64 s[4:5], 0
                                        ; implicit-def: $sgpr10
	s_and_saveexec_b64 s[6:7], vcc
	s_xor_b64 s[6:7], exec, s[6:7]
	s_cbranch_execnz .LBB11_3377
; %bb.1329:
	s_or_saveexec_b64 s[6:7], s[6:7]
	v_mov_b32_e32 v2, s10
	s_xor_b64 exec, exec, s[6:7]
	s_cbranch_execnz .LBB11_3380
.LBB11_1330:
	s_or_b64 exec, exec, s[6:7]
	s_and_saveexec_b64 s[6:7], s[4:5]
	s_cbranch_execz .LBB11_1332
.LBB11_1331:
	v_bfe_u32 v2, v7, 16, 3
	v_ffbh_u32_e32 v13, v2
	v_min_u32_e32 v13, 32, v13
	v_lshrrev_b32_e32 v6, 19, v7
	v_subrev_u32_e32 v14, 28, v13
	v_and_b32_e32 v6, 15, v6
	v_lshlrev_b32_sdwa v14, v14, v7 dst_sel:DWORD dst_unused:UNUSED_PAD src0_sel:DWORD src1_sel:WORD_1
	v_bfe_u32 v12, v7, 19, 4
	v_sub_u32_e32 v13, 29, v13
	v_and_b32_e32 v14, 7, v14
	v_cmp_eq_u16_e32 vcc, 0, v6
	v_cndmask_b32_e32 v2, v2, v14, vcc
	v_cndmask_b32_e32 v6, v12, v13, vcc
	v_lshlrev_b32_e32 v12, 8, v7
	v_mov_b32_e32 v13, 0x3b800000
	v_lshlrev_b32_e32 v2, 20, v2
	v_and_b32_e32 v12, 0x80000000, v12
	v_lshl_add_u32 v6, v6, 23, v13
	v_or3_b32 v2, v12, v6, v2
.LBB11_1332:
	s_or_b64 exec, exec, s[6:7]
	s_movk_i32 s4, 0xff
	v_and_b32_sdwa v6, v3, s4 dst_sel:DWORD dst_unused:UNUSED_PAD src0_sel:WORD_1 src1_sel:DWORD
	s_movk_i32 s4, 0x7f
	v_cmp_lt_i16_e32 vcc, s4, v6
	s_mov_b64 s[4:5], 0
                                        ; implicit-def: $sgpr10
	s_and_saveexec_b64 s[6:7], vcc
	s_xor_b64 s[6:7], exec, s[6:7]
	s_cbranch_execnz .LBB11_3381
; %bb.1333:
	s_or_saveexec_b64 s[6:7], s[6:7]
	v_mov_b32_e32 v12, s10
	s_xor_b64 exec, exec, s[6:7]
	s_cbranch_execnz .LBB11_3384
.LBB11_1334:
	s_or_b64 exec, exec, s[6:7]
	s_and_saveexec_b64 s[6:7], s[4:5]
	s_cbranch_execz .LBB11_1336
.LBB11_1335:
	v_bfe_u32 v6, v3, 16, 3
	v_ffbh_u32_e32 v14, v6
	v_min_u32_e32 v14, 32, v14
	v_lshrrev_b32_e32 v12, 19, v3
	v_subrev_u32_e32 v15, 28, v14
	v_and_b32_e32 v12, 15, v12
	v_lshlrev_b32_sdwa v15, v15, v3 dst_sel:DWORD dst_unused:UNUSED_PAD src0_sel:DWORD src1_sel:WORD_1
	v_bfe_u32 v13, v3, 19, 4
	v_sub_u32_e32 v14, 29, v14
	v_and_b32_e32 v15, 7, v15
	v_cmp_eq_u16_e32 vcc, 0, v12
	v_cndmask_b32_e32 v6, v6, v15, vcc
	v_cndmask_b32_e32 v12, v13, v14, vcc
	v_lshlrev_b32_e32 v13, 8, v3
	v_mov_b32_e32 v14, 0x3b800000
	v_lshlrev_b32_e32 v6, 20, v6
	v_and_b32_e32 v13, 0x80000000, v13
	v_lshl_add_u32 v12, v12, 23, v14
	v_or3_b32 v12, v13, v12, v6
.LBB11_1336:
	s_or_b64 exec, exec, s[6:7]
	s_nop 0
	v_mfma_f32_16x16x4f32 a[0:3], v2, v12, a[0:3]
	s_movk_i32 s4, 0x7f
	v_cmp_gt_i16_sdwa s[6:7], v7, s4 src0_sel:BYTE_3 src1_sel:DWORD
	s_mov_b64 s[4:5], 0
                                        ; implicit-def: $sgpr10
	s_and_saveexec_b64 s[8:9], s[6:7]
	s_xor_b64 s[6:7], exec, s[8:9]
	s_cbranch_execnz .LBB11_3385
; %bb.1337:
	s_or_saveexec_b64 s[6:7], s[6:7]
	v_mov_b32_e32 v2, s10
	s_xor_b64 exec, exec, s[6:7]
	s_cbranch_execnz .LBB11_3388
.LBB11_1338:
	s_or_b64 exec, exec, s[6:7]
	s_and_saveexec_b64 s[6:7], s[4:5]
	s_cbranch_execz .LBB11_1340
.LBB11_1339:
	v_bfe_u32 v2, v7, 24, 3
	v_ffbh_u32_e32 v14, v2
	v_min_u32_e32 v14, 32, v14
	v_lshrrev_b32_e32 v12, 27, v7
	v_subrev_u32_e32 v15, 28, v14
	v_and_b32_e32 v6, 0x80000000, v7
	v_and_b32_e32 v12, 15, v12
	v_bfe_u32 v13, v7, 27, 4
	v_lshlrev_b32_sdwa v7, v15, v7 dst_sel:DWORD dst_unused:UNUSED_PAD src0_sel:DWORD src1_sel:BYTE_3
	v_sub_u32_e32 v14, 29, v14
	v_and_b32_e32 v7, 7, v7
	v_cmp_eq_u16_e32 vcc, 0, v12
	v_cndmask_b32_e32 v2, v2, v7, vcc
	v_cndmask_b32_e32 v7, v13, v14, vcc
	v_mov_b32_e32 v12, 0x3b800000
	v_lshlrev_b32_e32 v2, 20, v2
	v_lshl_add_u32 v7, v7, 23, v12
	v_or3_b32 v2, v6, v7, v2
.LBB11_1340:
	s_or_b64 exec, exec, s[6:7]
	s_movk_i32 s4, 0x7f
	v_cmp_gt_i16_sdwa s[6:7], v3, s4 src0_sel:BYTE_3 src1_sel:DWORD
	s_mov_b64 s[4:5], 0
                                        ; implicit-def: $sgpr10
	s_and_saveexec_b64 s[8:9], s[6:7]
	s_xor_b64 s[6:7], exec, s[8:9]
	s_cbranch_execnz .LBB11_3389
; %bb.1341:
	s_or_saveexec_b64 s[6:7], s[6:7]
	v_mov_b32_e32 v6, s10
	s_xor_b64 exec, exec, s[6:7]
	s_cbranch_execnz .LBB11_3392
.LBB11_1342:
	s_or_b64 exec, exec, s[6:7]
	s_and_saveexec_b64 s[6:7], s[4:5]
	s_cbranch_execz .LBB11_1344
.LBB11_1343:
	v_bfe_u32 v6, v3, 24, 3
	v_ffbh_u32_e32 v14, v6
	v_min_u32_e32 v14, 32, v14
	v_lshrrev_b32_e32 v12, 27, v3
	v_subrev_u32_e32 v15, 28, v14
	v_and_b32_e32 v7, 0x80000000, v3
	v_and_b32_e32 v12, 15, v12
	v_bfe_u32 v13, v3, 27, 4
	v_lshlrev_b32_sdwa v3, v15, v3 dst_sel:DWORD dst_unused:UNUSED_PAD src0_sel:DWORD src1_sel:BYTE_3
	v_sub_u32_e32 v14, 29, v14
	v_and_b32_e32 v3, 7, v3
	v_cmp_eq_u16_e32 vcc, 0, v12
	v_cndmask_b32_e32 v3, v6, v3, vcc
	v_cndmask_b32_e32 v6, v13, v14, vcc
	v_mov_b32_e32 v12, 0x3b800000
	v_lshlrev_b32_e32 v3, 20, v3
	v_lshl_add_u32 v6, v6, 23, v12
	v_or3_b32 v6, v7, v6, v3
.LBB11_1344:
	s_or_b64 exec, exec, s[6:7]
	s_nop 0
	v_mfma_f32_16x16x4f32 a[0:3], v2, v6, a[0:3]
	s_movk_i32 s4, 0x7f
	v_cmp_gt_i16_sdwa s[6:7], v8, s4 src0_sel:BYTE_0 src1_sel:DWORD
	s_mov_b64 s[4:5], 0
                                        ; implicit-def: $sgpr10
	s_and_saveexec_b64 s[8:9], s[6:7]
	s_xor_b64 s[6:7], exec, s[8:9]
	s_cbranch_execnz .LBB11_3393
; %bb.1345:
	s_or_saveexec_b64 s[6:7], s[6:7]
	v_mov_b32_e32 v2, s10
	s_xor_b64 exec, exec, s[6:7]
	s_cbranch_execnz .LBB11_3396
.LBB11_1346:
	s_or_b64 exec, exec, s[6:7]
	s_and_saveexec_b64 s[6:7], s[4:5]
	s_cbranch_execz .LBB11_1348
.LBB11_1347:
	v_and_b32_e32 v2, 7, v8
	v_ffbh_u32_e32 v6, v2
	v_min_u32_e32 v6, 32, v6
	v_lshrrev_b16_e32 v3, 3, v8
	v_subrev_u32_e32 v7, 28, v6
	v_and_b32_e32 v3, 15, v3
	v_lshlrev_b32_e32 v7, v7, v8
	v_sub_u32_e32 v6, 29, v6
	v_and_b32_e32 v7, 7, v7
	v_cmp_eq_u16_e32 vcc, 0, v3
	v_cndmask_b32_e32 v2, v2, v7, vcc
	v_cndmask_b32_e32 v3, v3, v6, vcc
	v_lshlrev_b32_e32 v6, 24, v8
	v_mov_b32_e32 v7, 0x3b800000
	v_lshlrev_b32_e32 v2, 20, v2
	v_and_b32_e32 v6, 0x80000000, v6
	v_lshl_add_u32 v3, v3, 23, v7
	v_or3_b32 v2, v6, v3, v2
.LBB11_1348:
	s_or_b64 exec, exec, s[6:7]
	s_movk_i32 s4, 0x7f
	v_cmp_gt_i16_sdwa s[6:7], v4, s4 src0_sel:BYTE_0 src1_sel:DWORD
	s_mov_b64 s[4:5], 0
                                        ; implicit-def: $sgpr10
	s_and_saveexec_b64 s[8:9], s[6:7]
	s_xor_b64 s[6:7], exec, s[8:9]
	s_cbranch_execnz .LBB11_3397
; %bb.1349:
	s_or_saveexec_b64 s[6:7], s[6:7]
	v_mov_b32_e32 v3, s10
	s_xor_b64 exec, exec, s[6:7]
	s_cbranch_execnz .LBB11_3400
.LBB11_1350:
	s_or_b64 exec, exec, s[6:7]
	s_and_saveexec_b64 s[6:7], s[4:5]
	s_cbranch_execz .LBB11_1352
.LBB11_1351:
	v_and_b32_e32 v3, 7, v4
	v_ffbh_u32_e32 v7, v3
	v_min_u32_e32 v7, 32, v7
	v_lshrrev_b16_e32 v6, 3, v4
	v_subrev_u32_e32 v12, 28, v7
	v_and_b32_e32 v6, 15, v6
	v_lshlrev_b32_e32 v12, v12, v4
	v_sub_u32_e32 v7, 29, v7
	v_and_b32_e32 v12, 7, v12
	v_cmp_eq_u16_e32 vcc, 0, v6
	v_cndmask_b32_e32 v3, v3, v12, vcc
	v_cndmask_b32_e32 v6, v6, v7, vcc
	v_lshlrev_b32_e32 v7, 24, v4
	v_mov_b32_e32 v12, 0x3b800000
	v_lshlrev_b32_e32 v3, 20, v3
	v_and_b32_e32 v7, 0x80000000, v7
	v_lshl_add_u32 v6, v6, 23, v12
	v_or3_b32 v3, v7, v6, v3
.LBB11_1352:
	s_or_b64 exec, exec, s[6:7]
	s_nop 0
	v_mfma_f32_16x16x4f32 a[0:3], v2, v3, a[0:3]
	v_lshrrev_b32_e32 v3, 8, v8
	s_movk_i32 s4, 0x7f
	v_cmp_gt_i16_sdwa s[6:7], v3, s4 src0_sel:BYTE_0 src1_sel:DWORD
	s_mov_b64 s[4:5], 0
                                        ; implicit-def: $sgpr10
	s_and_saveexec_b64 s[8:9], s[6:7]
	s_xor_b64 s[6:7], exec, s[8:9]
	s_cbranch_execnz .LBB11_3401
; %bb.1353:
	s_or_saveexec_b64 s[6:7], s[6:7]
	v_mov_b32_e32 v2, s10
	s_xor_b64 exec, exec, s[6:7]
	s_cbranch_execnz .LBB11_3404
.LBB11_1354:
	s_or_b64 exec, exec, s[6:7]
	s_and_saveexec_b64 s[6:7], s[4:5]
	s_cbranch_execz .LBB11_1356
.LBB11_1355:
	v_bfe_u32 v2, v8, 8, 3
	v_ffbh_u32_e32 v7, v2
	v_min_u32_e32 v7, 32, v7
	v_lshrrev_b16_e32 v6, 3, v3
	v_subrev_u32_e32 v12, 28, v7
	v_and_b32_e32 v6, 15, v6
	v_lshlrev_b32_e32 v3, v12, v3
	v_sub_u32_e32 v7, 29, v7
	v_and_b32_e32 v3, 7, v3
	v_cmp_eq_u16_e32 vcc, 0, v6
	v_cndmask_b32_e32 v2, v2, v3, vcc
	v_cndmask_b32_e32 v3, v6, v7, vcc
	v_lshlrev_b32_e32 v6, 16, v8
	v_mov_b32_e32 v7, 0x3b800000
	v_lshlrev_b32_e32 v2, 20, v2
	v_and_b32_e32 v6, 0x80000000, v6
	v_lshl_add_u32 v3, v3, 23, v7
	v_or3_b32 v2, v6, v3, v2
.LBB11_1356:
	s_or_b64 exec, exec, s[6:7]
	v_lshrrev_b32_e32 v3, 8, v4
	s_movk_i32 s4, 0x7f
	v_cmp_gt_i16_sdwa s[6:7], v3, s4 src0_sel:BYTE_0 src1_sel:DWORD
	s_mov_b64 s[4:5], 0
                                        ; implicit-def: $sgpr10
	s_and_saveexec_b64 s[8:9], s[6:7]
	s_xor_b64 s[6:7], exec, s[8:9]
	s_cbranch_execnz .LBB11_3405
; %bb.1357:
	s_or_saveexec_b64 s[6:7], s[6:7]
	v_mov_b32_e32 v6, s10
	s_xor_b64 exec, exec, s[6:7]
	s_cbranch_execnz .LBB11_3408
.LBB11_1358:
	s_or_b64 exec, exec, s[6:7]
	s_and_saveexec_b64 s[6:7], s[4:5]
	s_cbranch_execz .LBB11_1360
.LBB11_1359:
	v_bfe_u32 v6, v4, 8, 3
	v_ffbh_u32_e32 v12, v6
	v_min_u32_e32 v12, 32, v12
	v_lshrrev_b16_e32 v7, 3, v3
	v_subrev_u32_e32 v13, 28, v12
	v_and_b32_e32 v7, 15, v7
	v_lshlrev_b32_e32 v3, v13, v3
	v_sub_u32_e32 v12, 29, v12
	v_and_b32_e32 v3, 7, v3
	v_cmp_eq_u16_e32 vcc, 0, v7
	v_cndmask_b32_e32 v3, v6, v3, vcc
	v_cndmask_b32_e32 v6, v7, v12, vcc
	v_lshlrev_b32_e32 v7, 16, v4
	v_mov_b32_e32 v12, 0x3b800000
	v_lshlrev_b32_e32 v3, 20, v3
	v_and_b32_e32 v7, 0x80000000, v7
	v_lshl_add_u32 v6, v6, 23, v12
	v_or3_b32 v6, v7, v6, v3
.LBB11_1360:
	s_or_b64 exec, exec, s[6:7]
	s_nop 0
	v_mfma_f32_16x16x4f32 a[0:3], v2, v6, a[0:3]
	s_movk_i32 s4, 0xff
	v_and_b32_sdwa v3, v8, s4 dst_sel:DWORD dst_unused:UNUSED_PAD src0_sel:WORD_1 src1_sel:DWORD
	s_movk_i32 s4, 0x7f
	v_cmp_lt_i16_e32 vcc, s4, v3
	s_mov_b64 s[4:5], 0
                                        ; implicit-def: $sgpr10
	s_and_saveexec_b64 s[6:7], vcc
	s_xor_b64 s[6:7], exec, s[6:7]
	s_cbranch_execnz .LBB11_3409
; %bb.1361:
	s_or_saveexec_b64 s[6:7], s[6:7]
	v_mov_b32_e32 v2, s10
	s_xor_b64 exec, exec, s[6:7]
	s_cbranch_execnz .LBB11_3412
.LBB11_1362:
	s_or_b64 exec, exec, s[6:7]
	s_and_saveexec_b64 s[6:7], s[4:5]
	s_cbranch_execz .LBB11_1364
.LBB11_1363:
	v_bfe_u32 v2, v8, 16, 3
	v_ffbh_u32_e32 v7, v2
	v_min_u32_e32 v7, 32, v7
	v_lshrrev_b32_e32 v3, 19, v8
	v_subrev_u32_e32 v12, 28, v7
	v_and_b32_e32 v3, 15, v3
	v_lshlrev_b32_sdwa v12, v12, v8 dst_sel:DWORD dst_unused:UNUSED_PAD src0_sel:DWORD src1_sel:WORD_1
	v_bfe_u32 v6, v8, 19, 4
	v_sub_u32_e32 v7, 29, v7
	v_and_b32_e32 v12, 7, v12
	v_cmp_eq_u16_e32 vcc, 0, v3
	v_cndmask_b32_e32 v2, v2, v12, vcc
	v_cndmask_b32_e32 v3, v6, v7, vcc
	v_lshlrev_b32_e32 v6, 8, v8
	v_mov_b32_e32 v7, 0x3b800000
	v_lshlrev_b32_e32 v2, 20, v2
	v_and_b32_e32 v6, 0x80000000, v6
	v_lshl_add_u32 v3, v3, 23, v7
	v_or3_b32 v2, v6, v3, v2
.LBB11_1364:
	s_or_b64 exec, exec, s[6:7]
	s_movk_i32 s4, 0xff
	v_and_b32_sdwa v3, v4, s4 dst_sel:DWORD dst_unused:UNUSED_PAD src0_sel:WORD_1 src1_sel:DWORD
	s_movk_i32 s4, 0x7f
	v_cmp_lt_i16_e32 vcc, s4, v3
	s_mov_b64 s[4:5], 0
                                        ; implicit-def: $sgpr10
	s_and_saveexec_b64 s[6:7], vcc
	s_xor_b64 s[6:7], exec, s[6:7]
	s_cbranch_execnz .LBB11_3413
; %bb.1365:
	s_or_saveexec_b64 s[6:7], s[6:7]
	v_mov_b32_e32 v6, s10
	s_xor_b64 exec, exec, s[6:7]
	s_cbranch_execnz .LBB11_3416
.LBB11_1366:
	s_or_b64 exec, exec, s[6:7]
	s_and_saveexec_b64 s[6:7], s[4:5]
	s_cbranch_execz .LBB11_1368
.LBB11_1367:
	v_bfe_u32 v3, v4, 16, 3
	v_ffbh_u32_e32 v12, v3
	v_min_u32_e32 v12, 32, v12
	v_lshrrev_b32_e32 v6, 19, v4
	v_subrev_u32_e32 v13, 28, v12
	v_and_b32_e32 v6, 15, v6
	v_lshlrev_b32_sdwa v13, v13, v4 dst_sel:DWORD dst_unused:UNUSED_PAD src0_sel:DWORD src1_sel:WORD_1
	v_bfe_u32 v7, v4, 19, 4
	v_sub_u32_e32 v12, 29, v12
	v_and_b32_e32 v13, 7, v13
	v_cmp_eq_u16_e32 vcc, 0, v6
	v_cndmask_b32_e32 v3, v3, v13, vcc
	v_cndmask_b32_e32 v6, v7, v12, vcc
	v_lshlrev_b32_e32 v7, 8, v4
	v_mov_b32_e32 v12, 0x3b800000
	v_lshlrev_b32_e32 v3, 20, v3
	v_and_b32_e32 v7, 0x80000000, v7
	v_lshl_add_u32 v6, v6, 23, v12
	v_or3_b32 v6, v7, v6, v3
.LBB11_1368:
	s_or_b64 exec, exec, s[6:7]
	s_nop 0
	v_mfma_f32_16x16x4f32 a[0:3], v2, v6, a[0:3]
	s_movk_i32 s4, 0x7f
	v_cmp_gt_i16_sdwa s[6:7], v8, s4 src0_sel:BYTE_3 src1_sel:DWORD
	s_mov_b64 s[4:5], 0
                                        ; implicit-def: $sgpr10
	s_and_saveexec_b64 s[8:9], s[6:7]
	s_xor_b64 s[6:7], exec, s[8:9]
	s_cbranch_execnz .LBB11_3417
; %bb.1369:
	s_or_saveexec_b64 s[6:7], s[6:7]
	v_mov_b32_e32 v2, s10
	s_xor_b64 exec, exec, s[6:7]
	s_cbranch_execnz .LBB11_3420
.LBB11_1370:
	s_or_b64 exec, exec, s[6:7]
	s_and_saveexec_b64 s[6:7], s[4:5]
	s_cbranch_execz .LBB11_1372
.LBB11_1371:
	v_bfe_u32 v2, v8, 24, 3
	v_ffbh_u32_e32 v12, v2
	v_min_u32_e32 v12, 32, v12
	v_lshrrev_b32_e32 v6, 27, v8
	v_subrev_u32_e32 v13, 28, v12
	v_and_b32_e32 v3, 0x80000000, v8
	v_and_b32_e32 v6, 15, v6
	v_bfe_u32 v7, v8, 27, 4
	v_lshlrev_b32_sdwa v8, v13, v8 dst_sel:DWORD dst_unused:UNUSED_PAD src0_sel:DWORD src1_sel:BYTE_3
	v_sub_u32_e32 v12, 29, v12
	v_and_b32_e32 v8, 7, v8
	v_cmp_eq_u16_e32 vcc, 0, v6
	v_cndmask_b32_e32 v2, v2, v8, vcc
	v_cndmask_b32_e32 v6, v7, v12, vcc
	v_mov_b32_e32 v7, 0x3b800000
	v_lshlrev_b32_e32 v2, 20, v2
	v_lshl_add_u32 v6, v6, 23, v7
	v_or3_b32 v2, v3, v6, v2
.LBB11_1372:
	s_or_b64 exec, exec, s[6:7]
	s_movk_i32 s4, 0x7f
	v_cmp_gt_i16_sdwa s[6:7], v4, s4 src0_sel:BYTE_3 src1_sel:DWORD
	s_mov_b64 s[4:5], 0
                                        ; implicit-def: $sgpr10
	s_and_saveexec_b64 s[8:9], s[6:7]
	s_xor_b64 s[6:7], exec, s[8:9]
	s_cbranch_execnz .LBB11_3421
; %bb.1373:
	s_or_saveexec_b64 s[6:7], s[6:7]
	v_mov_b32_e32 v3, s10
	s_xor_b64 exec, exec, s[6:7]
	s_cbranch_execnz .LBB11_3424
.LBB11_1374:
	s_or_b64 exec, exec, s[6:7]
	s_and_saveexec_b64 s[6:7], s[4:5]
	s_cbranch_execz .LBB11_1376
.LBB11_1375:
	v_bfe_u32 v3, v4, 24, 3
	v_ffbh_u32_e32 v12, v3
	v_min_u32_e32 v12, 32, v12
	v_lshrrev_b32_e32 v7, 27, v4
	v_subrev_u32_e32 v13, 28, v12
	v_and_b32_e32 v6, 0x80000000, v4
	v_and_b32_e32 v7, 15, v7
	v_bfe_u32 v8, v4, 27, 4
	v_lshlrev_b32_sdwa v4, v13, v4 dst_sel:DWORD dst_unused:UNUSED_PAD src0_sel:DWORD src1_sel:BYTE_3
	v_sub_u32_e32 v12, 29, v12
	v_and_b32_e32 v4, 7, v4
	v_cmp_eq_u16_e32 vcc, 0, v7
	v_cndmask_b32_e32 v3, v3, v4, vcc
	v_cndmask_b32_e32 v4, v8, v12, vcc
	v_mov_b32_e32 v7, 0x3b800000
	v_lshlrev_b32_e32 v3, 20, v3
	v_lshl_add_u32 v4, v4, 23, v7
	v_or3_b32 v3, v6, v4, v3
.LBB11_1376:
	s_or_b64 exec, exec, s[6:7]
	s_nop 0
	v_mfma_f32_16x16x4f32 a[0:3], v2, v3, a[0:3]
	s_movk_i32 s4, 0x7f
	v_cmp_gt_i16_sdwa s[6:7], v9, s4 src0_sel:BYTE_0 src1_sel:DWORD
	s_mov_b64 s[4:5], 0
                                        ; implicit-def: $sgpr10
	s_and_saveexec_b64 s[8:9], s[6:7]
	s_xor_b64 s[6:7], exec, s[8:9]
	s_cbranch_execnz .LBB11_3425
; %bb.1377:
	s_or_saveexec_b64 s[6:7], s[6:7]
	v_mov_b32_e32 v2, s10
	s_xor_b64 exec, exec, s[6:7]
	s_cbranch_execnz .LBB11_3428
.LBB11_1378:
	s_or_b64 exec, exec, s[6:7]
	s_and_saveexec_b64 s[6:7], s[4:5]
	s_cbranch_execz .LBB11_1380
.LBB11_1379:
	v_mov_b32_e32 v2, 8
	v_and_b32_e32 v3, 7, v9
	v_lshrrev_b32_sdwa v2, v2, v9 dst_sel:BYTE_1 dst_unused:UNUSED_PAD src0_sel:DWORD src1_sel:DWORD
	v_ffbh_u32_e32 v4, v3
	v_or_b32_sdwa v2, v9, v2 dst_sel:DWORD dst_unused:UNUSED_PAD src0_sel:BYTE_0 src1_sel:DWORD
	v_min_u32_e32 v4, 32, v4
	v_lshrrev_b16_e32 v2, 3, v2
	v_subrev_u32_e32 v6, 28, v4
	v_and_b32_e32 v2, 15, v2
	v_lshlrev_b32_e32 v6, v6, v9
	v_sub_u32_e32 v4, 29, v4
	v_and_b32_e32 v6, 7, v6
	v_cmp_eq_u16_e32 vcc, 0, v2
	v_cndmask_b32_e32 v3, v3, v6, vcc
	v_cndmask_b32_e32 v2, v2, v4, vcc
	v_lshlrev_b32_e32 v4, 24, v9
	v_mov_b32_e32 v6, 0x3b800000
	v_lshlrev_b32_e32 v3, 20, v3
	v_and_b32_e32 v4, 0x80000000, v4
	v_lshl_add_u32 v2, v2, 23, v6
	v_or3_b32 v2, v4, v2, v3
.LBB11_1380:
	s_or_b64 exec, exec, s[6:7]
	s_movk_i32 s4, 0x7f
	v_cmp_gt_i16_sdwa s[6:7], v5, s4 src0_sel:BYTE_0 src1_sel:DWORD
	s_mov_b64 s[4:5], 0
                                        ; implicit-def: $sgpr10
	s_and_saveexec_b64 s[8:9], s[6:7]
	s_xor_b64 s[6:7], exec, s[8:9]
	s_cbranch_execnz .LBB11_3429
; %bb.1381:
	s_or_saveexec_b64 s[6:7], s[6:7]
	v_mov_b32_e32 v3, s10
	s_xor_b64 exec, exec, s[6:7]
	s_cbranch_execnz .LBB11_3432
.LBB11_1382:
	s_or_b64 exec, exec, s[6:7]
	s_and_saveexec_b64 s[6:7], s[4:5]
	s_cbranch_execz .LBB11_1384
.LBB11_1383:
	v_mov_b32_e32 v3, 8
	v_and_b32_e32 v4, 7, v5
	v_lshrrev_b32_sdwa v3, v3, v5 dst_sel:BYTE_1 dst_unused:UNUSED_PAD src0_sel:DWORD src1_sel:DWORD
	v_ffbh_u32_e32 v6, v4
	v_or_b32_sdwa v3, v5, v3 dst_sel:DWORD dst_unused:UNUSED_PAD src0_sel:BYTE_0 src1_sel:DWORD
	v_min_u32_e32 v6, 32, v6
	v_lshrrev_b16_e32 v3, 3, v3
	v_subrev_u32_e32 v7, 28, v6
	v_and_b32_e32 v3, 15, v3
	v_lshlrev_b32_e32 v7, v7, v5
	v_sub_u32_e32 v6, 29, v6
	v_and_b32_e32 v7, 7, v7
	v_cmp_eq_u16_e32 vcc, 0, v3
	v_cndmask_b32_e32 v4, v4, v7, vcc
	v_cndmask_b32_e32 v3, v3, v6, vcc
	v_lshlrev_b32_e32 v6, 24, v5
	v_mov_b32_e32 v7, 0x3b800000
	v_lshlrev_b32_e32 v4, 20, v4
	v_and_b32_e32 v6, 0x80000000, v6
	v_lshl_add_u32 v3, v3, 23, v7
	v_or3_b32 v3, v6, v3, v4
.LBB11_1384:
	s_or_b64 exec, exec, s[6:7]
	s_nop 0
	v_mfma_f32_16x16x4f32 a[0:3], v2, v3, a[0:3]
	v_lshrrev_b32_e32 v3, 8, v9
	s_movk_i32 s4, 0x7f
	v_cmp_gt_i16_sdwa s[6:7], v3, s4 src0_sel:BYTE_0 src1_sel:DWORD
	s_mov_b64 s[4:5], 0
                                        ; implicit-def: $sgpr10
	s_and_saveexec_b64 s[8:9], s[6:7]
	s_xor_b64 s[6:7], exec, s[8:9]
	s_cbranch_execnz .LBB11_3433
; %bb.1385:
	s_or_saveexec_b64 s[6:7], s[6:7]
	v_mov_b32_e32 v2, s10
	s_xor_b64 exec, exec, s[6:7]
	s_cbranch_execnz .LBB11_3436
.LBB11_1386:
	s_or_b64 exec, exec, s[6:7]
	s_and_saveexec_b64 s[6:7], s[4:5]
	s_cbranch_execz .LBB11_1388
.LBB11_1387:
	v_bfe_u32 v2, v9, 8, 3
	v_ffbh_u32_e32 v6, v2
	v_min_u32_e32 v6, 32, v6
	v_lshrrev_b16_e32 v4, 3, v3
	v_subrev_u32_e32 v7, 28, v6
	v_and_b32_e32 v4, 15, v4
	v_lshlrev_b32_e32 v3, v7, v3
	v_sub_u32_e32 v6, 29, v6
	v_and_b32_e32 v3, 7, v3
	v_cmp_eq_u16_e32 vcc, 0, v4
	v_cndmask_b32_e32 v2, v2, v3, vcc
	v_cndmask_b32_e32 v3, v4, v6, vcc
	v_lshlrev_b32_e32 v4, 16, v9
	v_mov_b32_e32 v6, 0x3b800000
	v_lshlrev_b32_e32 v2, 20, v2
	v_and_b32_e32 v4, 0x80000000, v4
	v_lshl_add_u32 v3, v3, 23, v6
	v_or3_b32 v2, v4, v3, v2
.LBB11_1388:
	s_or_b64 exec, exec, s[6:7]
	v_lshrrev_b32_e32 v3, 8, v5
	s_movk_i32 s4, 0x7f
	v_cmp_gt_i16_sdwa s[6:7], v3, s4 src0_sel:BYTE_0 src1_sel:DWORD
	s_mov_b64 s[4:5], 0
                                        ; implicit-def: $sgpr10
	s_and_saveexec_b64 s[8:9], s[6:7]
	s_xor_b64 s[6:7], exec, s[8:9]
	s_cbranch_execnz .LBB11_3437
; %bb.1389:
	s_or_saveexec_b64 s[6:7], s[6:7]
	v_mov_b32_e32 v4, s10
	s_xor_b64 exec, exec, s[6:7]
	s_cbranch_execnz .LBB11_3440
.LBB11_1390:
	s_or_b64 exec, exec, s[6:7]
	s_and_saveexec_b64 s[6:7], s[4:5]
	s_cbranch_execz .LBB11_1392
.LBB11_1391:
	v_bfe_u32 v4, v5, 8, 3
	v_ffbh_u32_e32 v7, v4
	v_min_u32_e32 v7, 32, v7
	v_lshrrev_b16_e32 v6, 3, v3
	v_subrev_u32_e32 v8, 28, v7
	v_and_b32_e32 v6, 15, v6
	v_lshlrev_b32_e32 v3, v8, v3
	v_sub_u32_e32 v7, 29, v7
	v_and_b32_e32 v3, 7, v3
	v_cmp_eq_u16_e32 vcc, 0, v6
	v_cndmask_b32_e32 v3, v4, v3, vcc
	v_cndmask_b32_e32 v4, v6, v7, vcc
	v_lshlrev_b32_e32 v6, 16, v5
	v_mov_b32_e32 v7, 0x3b800000
	v_lshlrev_b32_e32 v3, 20, v3
	v_and_b32_e32 v6, 0x80000000, v6
	v_lshl_add_u32 v4, v4, 23, v7
	v_or3_b32 v4, v6, v4, v3
.LBB11_1392:
	s_or_b64 exec, exec, s[6:7]
	s_nop 0
	v_mfma_f32_16x16x4f32 a[0:3], v2, v4, a[0:3]
	s_movk_i32 s4, 0xff
	v_and_b32_sdwa v3, v9, s4 dst_sel:DWORD dst_unused:UNUSED_PAD src0_sel:WORD_1 src1_sel:DWORD
	s_movk_i32 s4, 0x7f
	v_cmp_lt_i16_e32 vcc, s4, v3
	s_mov_b64 s[4:5], 0
                                        ; implicit-def: $sgpr10
	s_and_saveexec_b64 s[6:7], vcc
	s_xor_b64 s[6:7], exec, s[6:7]
	s_cbranch_execnz .LBB11_3441
; %bb.1393:
	s_or_saveexec_b64 s[6:7], s[6:7]
	v_mov_b32_e32 v2, s10
	s_xor_b64 exec, exec, s[6:7]
	s_cbranch_execnz .LBB11_3444
.LBB11_1394:
	s_or_b64 exec, exec, s[6:7]
	s_and_saveexec_b64 s[6:7], s[4:5]
	s_cbranch_execz .LBB11_1396
.LBB11_1395:
	v_bfe_u32 v2, v9, 16, 3
	v_ffbh_u32_e32 v6, v2
	v_min_u32_e32 v6, 32, v6
	v_lshrrev_b32_e32 v3, 19, v9
	v_subrev_u32_e32 v7, 28, v6
	v_and_b32_e32 v3, 15, v3
	v_lshlrev_b32_sdwa v7, v7, v9 dst_sel:DWORD dst_unused:UNUSED_PAD src0_sel:DWORD src1_sel:WORD_1
	v_bfe_u32 v4, v9, 19, 4
	v_sub_u32_e32 v6, 29, v6
	v_and_b32_e32 v7, 7, v7
	v_cmp_eq_u16_e32 vcc, 0, v3
	v_cndmask_b32_e32 v2, v2, v7, vcc
	v_cndmask_b32_e32 v3, v4, v6, vcc
	v_lshlrev_b32_e32 v4, 8, v9
	v_mov_b32_e32 v6, 0x3b800000
	v_lshlrev_b32_e32 v2, 20, v2
	v_and_b32_e32 v4, 0x80000000, v4
	v_lshl_add_u32 v3, v3, 23, v6
	v_or3_b32 v2, v4, v3, v2
.LBB11_1396:
	s_or_b64 exec, exec, s[6:7]
	s_movk_i32 s4, 0xff
	v_and_b32_sdwa v3, v5, s4 dst_sel:DWORD dst_unused:UNUSED_PAD src0_sel:WORD_1 src1_sel:DWORD
	s_movk_i32 s4, 0x7f
	v_cmp_lt_i16_e32 vcc, s4, v3
	s_mov_b64 s[4:5], 0
                                        ; implicit-def: $sgpr10
	s_and_saveexec_b64 s[6:7], vcc
	s_xor_b64 s[6:7], exec, s[6:7]
	s_cbranch_execnz .LBB11_3445
; %bb.1397:
	s_or_saveexec_b64 s[6:7], s[6:7]
	v_mov_b32_e32 v4, s10
	s_xor_b64 exec, exec, s[6:7]
	s_cbranch_execnz .LBB11_3448
.LBB11_1398:
	s_or_b64 exec, exec, s[6:7]
	s_and_saveexec_b64 s[6:7], s[4:5]
	s_cbranch_execz .LBB11_1400
.LBB11_1399:
	v_bfe_u32 v3, v5, 16, 3
	v_ffbh_u32_e32 v7, v3
	v_min_u32_e32 v7, 32, v7
	v_lshrrev_b32_e32 v4, 19, v5
	v_subrev_u32_e32 v8, 28, v7
	v_and_b32_e32 v4, 15, v4
	v_lshlrev_b32_sdwa v8, v8, v5 dst_sel:DWORD dst_unused:UNUSED_PAD src0_sel:DWORD src1_sel:WORD_1
	v_bfe_u32 v6, v5, 19, 4
	v_sub_u32_e32 v7, 29, v7
	v_and_b32_e32 v8, 7, v8
	v_cmp_eq_u16_e32 vcc, 0, v4
	v_cndmask_b32_e32 v3, v3, v8, vcc
	v_cndmask_b32_e32 v4, v6, v7, vcc
	v_lshlrev_b32_e32 v6, 8, v5
	v_mov_b32_e32 v7, 0x3b800000
	v_lshlrev_b32_e32 v3, 20, v3
	v_and_b32_e32 v6, 0x80000000, v6
	v_lshl_add_u32 v4, v4, 23, v7
	v_or3_b32 v4, v6, v4, v3
.LBB11_1400:
	s_or_b64 exec, exec, s[6:7]
	s_nop 0
	v_mfma_f32_16x16x4f32 a[0:3], v2, v4, a[0:3]
	s_movk_i32 s4, 0x7f
	v_cmp_gt_i16_sdwa s[6:7], v9, s4 src0_sel:BYTE_3 src1_sel:DWORD
	s_mov_b64 s[4:5], 0
                                        ; implicit-def: $sgpr10
	s_and_saveexec_b64 s[8:9], s[6:7]
	s_xor_b64 s[6:7], exec, s[8:9]
	s_cbranch_execnz .LBB11_3449
; %bb.1401:
	s_or_saveexec_b64 s[6:7], s[6:7]
	v_mov_b32_e32 v2, s10
	s_xor_b64 exec, exec, s[6:7]
	s_cbranch_execnz .LBB11_3452
.LBB11_1402:
	s_or_b64 exec, exec, s[6:7]
	s_and_saveexec_b64 s[6:7], s[4:5]
	s_cbranch_execz .LBB11_1404
.LBB11_1403:
	v_bfe_u32 v2, v9, 24, 3
	v_ffbh_u32_e32 v7, v2
	v_min_u32_e32 v7, 32, v7
	v_lshrrev_b32_e32 v4, 27, v9
	v_subrev_u32_e32 v8, 28, v7
	v_and_b32_e32 v4, 15, v4
	v_lshlrev_b32_sdwa v8, v8, v9 dst_sel:DWORD dst_unused:UNUSED_PAD src0_sel:DWORD src1_sel:BYTE_3
	v_bfe_u32 v6, v9, 27, 4
	v_sub_u32_e32 v7, 29, v7
	v_and_b32_e32 v8, 7, v8
	v_cmp_eq_u16_e32 vcc, 0, v4
	v_cndmask_b32_e32 v2, v2, v8, vcc
	v_cndmask_b32_e32 v4, v6, v7, vcc
	v_mov_b32_e32 v6, 0x3b800000
	v_and_b32_e32 v3, 0x80000000, v9
	v_lshlrev_b32_e32 v2, 20, v2
	v_lshl_add_u32 v4, v4, 23, v6
	v_or3_b32 v2, v3, v4, v2
.LBB11_1404:
	s_or_b64 exec, exec, s[6:7]
	s_movk_i32 s4, 0x7f
	v_cmp_gt_i16_sdwa s[6:7], v5, s4 src0_sel:BYTE_3 src1_sel:DWORD
	s_mov_b64 s[4:5], 0
                                        ; implicit-def: $sgpr10
	s_and_saveexec_b64 s[8:9], s[6:7]
	s_xor_b64 s[6:7], exec, s[8:9]
	s_cbranch_execnz .LBB11_3453
; %bb.1405:
	s_or_saveexec_b64 s[6:7], s[6:7]
	v_mov_b32_e32 v3, s10
	s_xor_b64 exec, exec, s[6:7]
	s_cbranch_execnz .LBB11_3456
.LBB11_1406:
	s_or_b64 exec, exec, s[6:7]
	s_and_saveexec_b64 s[6:7], s[4:5]
	s_cbranch_execz .LBB11_1408
.LBB11_1407:
	v_bfe_u32 v3, v5, 24, 3
	v_ffbh_u32_e32 v8, v3
	v_min_u32_e32 v8, 32, v8
	v_lshrrev_b32_e32 v6, 27, v5
	v_subrev_u32_e32 v9, 28, v8
	v_and_b32_e32 v4, 0x80000000, v5
	v_and_b32_e32 v6, 15, v6
	v_bfe_u32 v7, v5, 27, 4
	v_lshlrev_b32_sdwa v5, v9, v5 dst_sel:DWORD dst_unused:UNUSED_PAD src0_sel:DWORD src1_sel:BYTE_3
	v_sub_u32_e32 v8, 29, v8
	v_and_b32_e32 v5, 7, v5
	v_cmp_eq_u16_e32 vcc, 0, v6
	v_cndmask_b32_e32 v3, v3, v5, vcc
	v_cndmask_b32_e32 v5, v7, v8, vcc
	v_mov_b32_e32 v6, 0x3b800000
	v_lshlrev_b32_e32 v3, 20, v3
	v_lshl_add_u32 v5, v5, 23, v6
	v_or3_b32 v3, v4, v5, v3
.LBB11_1408:
	s_or_b64 exec, exec, s[6:7]
	s_nop 0
	v_mfma_f32_16x16x4f32 a[0:3], v2, v3, a[0:3]
	s_movk_i32 s4, 0x7f
                                        ; implicit-def: $sgpr10
	s_nop 7
	s_nop 1
	flat_store_dwordx4 v[10:11], a[0:3] offset:160
	flat_load_dwordx4 v[12:15], v[0:1] offset:8
	s_nop 0
	flat_load_dwordx2 v[10:11], v[0:1] offset:32
	s_waitcnt vmcnt(0) lgkmcnt(0)
	flat_load_dwordx4 v[6:9], v[12:13] offset:80
	flat_load_dwordx4 v[2:5], v[14:15] offset:112
	s_waitcnt vmcnt(0) lgkmcnt(0)
	v_cmp_gt_i16_sdwa s[6:7], v6, s4 src0_sel:BYTE_0 src1_sel:DWORD
	s_mov_b64 s[4:5], 0
	s_and_saveexec_b64 s[8:9], s[6:7]
	s_xor_b64 s[6:7], exec, s[8:9]
	s_cbranch_execnz .LBB11_3457
; %bb.1409:
	s_or_saveexec_b64 s[6:7], s[6:7]
	v_mov_b32_e32 v12, s10
	s_xor_b64 exec, exec, s[6:7]
	s_cbranch_execnz .LBB11_3460
.LBB11_1410:
	s_or_b64 exec, exec, s[6:7]
	s_and_saveexec_b64 s[6:7], s[4:5]
	s_cbranch_execz .LBB11_1412
.LBB11_1411:
	v_and_b32_e32 v12, 7, v6
	v_ffbh_u32_e32 v14, v12
	v_min_u32_e32 v14, 32, v14
	v_lshrrev_b16_e32 v13, 3, v6
	v_subrev_u32_e32 v15, 28, v14
	v_and_b32_e32 v13, 15, v13
	v_lshlrev_b32_e32 v15, v15, v6
	v_sub_u32_e32 v14, 29, v14
	v_and_b32_e32 v15, 7, v15
	v_cmp_eq_u16_e32 vcc, 0, v13
	v_cndmask_b32_e32 v12, v12, v15, vcc
	v_cndmask_b32_e32 v13, v13, v14, vcc
	v_lshlrev_b32_e32 v14, 24, v6
	v_mov_b32_e32 v15, 0x3b800000
	v_lshlrev_b32_e32 v12, 20, v12
	v_and_b32_e32 v14, 0x80000000, v14
	v_lshl_add_u32 v13, v13, 23, v15
	v_or3_b32 v12, v14, v13, v12
.LBB11_1412:
	s_or_b64 exec, exec, s[6:7]
	s_movk_i32 s4, 0x7f
	v_cmp_gt_i16_sdwa s[6:7], v2, s4 src0_sel:BYTE_0 src1_sel:DWORD
	s_mov_b64 s[4:5], 0
                                        ; implicit-def: $sgpr10
	s_and_saveexec_b64 s[8:9], s[6:7]
	s_xor_b64 s[6:7], exec, s[8:9]
	s_cbranch_execnz .LBB11_3461
; %bb.1413:
	s_or_saveexec_b64 s[6:7], s[6:7]
	v_mov_b32_e32 v13, s10
	s_xor_b64 exec, exec, s[6:7]
	s_cbranch_execnz .LBB11_3464
.LBB11_1414:
	s_or_b64 exec, exec, s[6:7]
	s_and_saveexec_b64 s[6:7], s[4:5]
	s_cbranch_execz .LBB11_1416
.LBB11_1415:
	v_and_b32_e32 v13, 7, v2
	v_ffbh_u32_e32 v15, v13
	v_min_u32_e32 v15, 32, v15
	v_lshrrev_b16_e32 v14, 3, v2
	v_subrev_u32_e32 v16, 28, v15
	v_and_b32_e32 v14, 15, v14
	v_lshlrev_b32_e32 v16, v16, v2
	v_sub_u32_e32 v15, 29, v15
	v_and_b32_e32 v16, 7, v16
	v_cmp_eq_u16_e32 vcc, 0, v14
	v_cndmask_b32_e32 v13, v13, v16, vcc
	v_cndmask_b32_e32 v14, v14, v15, vcc
	v_lshlrev_b32_e32 v15, 24, v2
	v_mov_b32_e32 v16, 0x3b800000
	v_lshlrev_b32_e32 v13, 20, v13
	v_and_b32_e32 v15, 0x80000000, v15
	v_lshl_add_u32 v14, v14, 23, v16
	v_or3_b32 v13, v15, v14, v13
.LBB11_1416:
	s_or_b64 exec, exec, s[6:7]
	flat_load_dwordx4 a[0:3], v[10:11] offset:176
	s_movk_i32 s4, 0x7f
                                        ; implicit-def: $sgpr10
	s_waitcnt vmcnt(0) lgkmcnt(0)
	v_mfma_f32_16x16x4f32 a[0:3], v12, v13, a[0:3]
	v_lshrrev_b32_e32 v13, 8, v6
	v_cmp_gt_i16_sdwa s[6:7], v13, s4 src0_sel:BYTE_0 src1_sel:DWORD
	s_mov_b64 s[4:5], 0
	s_and_saveexec_b64 s[8:9], s[6:7]
	s_xor_b64 s[6:7], exec, s[8:9]
	s_cbranch_execnz .LBB11_3465
; %bb.1417:
	s_or_saveexec_b64 s[6:7], s[6:7]
	v_mov_b32_e32 v12, s10
	s_xor_b64 exec, exec, s[6:7]
	s_cbranch_execnz .LBB11_3468
.LBB11_1418:
	s_or_b64 exec, exec, s[6:7]
	s_and_saveexec_b64 s[6:7], s[4:5]
	s_cbranch_execz .LBB11_1420
.LBB11_1419:
	v_bfe_u32 v12, v6, 8, 3
	v_ffbh_u32_e32 v15, v12
	v_min_u32_e32 v15, 32, v15
	v_lshrrev_b16_e32 v14, 3, v13
	v_subrev_u32_e32 v16, 28, v15
	v_and_b32_e32 v14, 15, v14
	v_lshlrev_b32_e32 v13, v16, v13
	v_sub_u32_e32 v15, 29, v15
	v_and_b32_e32 v13, 7, v13
	v_cmp_eq_u16_e32 vcc, 0, v14
	v_cndmask_b32_e32 v12, v12, v13, vcc
	v_cndmask_b32_e32 v13, v14, v15, vcc
	v_lshlrev_b32_e32 v14, 16, v6
	v_mov_b32_e32 v15, 0x3b800000
	v_lshlrev_b32_e32 v12, 20, v12
	v_and_b32_e32 v14, 0x80000000, v14
	v_lshl_add_u32 v13, v13, 23, v15
	v_or3_b32 v12, v14, v13, v12
.LBB11_1420:
	s_or_b64 exec, exec, s[6:7]
	v_lshrrev_b32_e32 v13, 8, v2
	s_movk_i32 s4, 0x7f
	v_cmp_gt_i16_sdwa s[6:7], v13, s4 src0_sel:BYTE_0 src1_sel:DWORD
	s_mov_b64 s[4:5], 0
                                        ; implicit-def: $sgpr10
	s_and_saveexec_b64 s[8:9], s[6:7]
	s_xor_b64 s[6:7], exec, s[8:9]
	s_cbranch_execnz .LBB11_3469
; %bb.1421:
	s_or_saveexec_b64 s[6:7], s[6:7]
	v_mov_b32_e32 v14, s10
	s_xor_b64 exec, exec, s[6:7]
	s_cbranch_execnz .LBB11_3472
.LBB11_1422:
	s_or_b64 exec, exec, s[6:7]
	s_and_saveexec_b64 s[6:7], s[4:5]
	s_cbranch_execz .LBB11_1424
.LBB11_1423:
	v_bfe_u32 v14, v2, 8, 3
	v_ffbh_u32_e32 v16, v14
	v_min_u32_e32 v16, 32, v16
	v_lshrrev_b16_e32 v15, 3, v13
	v_subrev_u32_e32 v17, 28, v16
	v_and_b32_e32 v15, 15, v15
	v_lshlrev_b32_e32 v13, v17, v13
	v_sub_u32_e32 v16, 29, v16
	v_and_b32_e32 v13, 7, v13
	v_cmp_eq_u16_e32 vcc, 0, v15
	v_cndmask_b32_e32 v13, v14, v13, vcc
	v_cndmask_b32_e32 v14, v15, v16, vcc
	v_lshlrev_b32_e32 v15, 16, v2
	v_mov_b32_e32 v16, 0x3b800000
	v_lshlrev_b32_e32 v13, 20, v13
	v_and_b32_e32 v15, 0x80000000, v15
	v_lshl_add_u32 v14, v14, 23, v16
	v_or3_b32 v14, v15, v14, v13
.LBB11_1424:
	s_or_b64 exec, exec, s[6:7]
	s_nop 0
	v_mfma_f32_16x16x4f32 a[0:3], v12, v14, a[0:3]
	s_movk_i32 s4, 0xff
	v_and_b32_sdwa v13, v6, s4 dst_sel:DWORD dst_unused:UNUSED_PAD src0_sel:WORD_1 src1_sel:DWORD
	s_movk_i32 s4, 0x7f
	v_cmp_lt_i16_e32 vcc, s4, v13
	s_mov_b64 s[4:5], 0
                                        ; implicit-def: $sgpr10
	s_and_saveexec_b64 s[6:7], vcc
	s_xor_b64 s[6:7], exec, s[6:7]
	s_cbranch_execnz .LBB11_3473
; %bb.1425:
	s_or_saveexec_b64 s[6:7], s[6:7]
	v_mov_b32_e32 v12, s10
	s_xor_b64 exec, exec, s[6:7]
	s_cbranch_execnz .LBB11_3476
.LBB11_1426:
	s_or_b64 exec, exec, s[6:7]
	s_and_saveexec_b64 s[6:7], s[4:5]
	s_cbranch_execz .LBB11_1428
.LBB11_1427:
	v_bfe_u32 v12, v6, 16, 3
	v_ffbh_u32_e32 v15, v12
	v_min_u32_e32 v15, 32, v15
	v_lshrrev_b32_e32 v13, 19, v6
	v_subrev_u32_e32 v16, 28, v15
	v_and_b32_e32 v13, 15, v13
	v_lshlrev_b32_sdwa v16, v16, v6 dst_sel:DWORD dst_unused:UNUSED_PAD src0_sel:DWORD src1_sel:WORD_1
	v_bfe_u32 v14, v6, 19, 4
	v_sub_u32_e32 v15, 29, v15
	v_and_b32_e32 v16, 7, v16
	v_cmp_eq_u16_e32 vcc, 0, v13
	v_cndmask_b32_e32 v12, v12, v16, vcc
	v_cndmask_b32_e32 v13, v14, v15, vcc
	v_lshlrev_b32_e32 v14, 8, v6
	v_mov_b32_e32 v15, 0x3b800000
	v_lshlrev_b32_e32 v12, 20, v12
	v_and_b32_e32 v14, 0x80000000, v14
	v_lshl_add_u32 v13, v13, 23, v15
	v_or3_b32 v12, v14, v13, v12
.LBB11_1428:
	s_or_b64 exec, exec, s[6:7]
	s_movk_i32 s4, 0xff
	v_and_b32_sdwa v13, v2, s4 dst_sel:DWORD dst_unused:UNUSED_PAD src0_sel:WORD_1 src1_sel:DWORD
	s_movk_i32 s4, 0x7f
	v_cmp_lt_i16_e32 vcc, s4, v13
	s_mov_b64 s[4:5], 0
                                        ; implicit-def: $sgpr10
	s_and_saveexec_b64 s[6:7], vcc
	s_xor_b64 s[6:7], exec, s[6:7]
	s_cbranch_execnz .LBB11_3477
; %bb.1429:
	s_or_saveexec_b64 s[6:7], s[6:7]
	v_mov_b32_e32 v14, s10
	s_xor_b64 exec, exec, s[6:7]
	s_cbranch_execnz .LBB11_3480
.LBB11_1430:
	s_or_b64 exec, exec, s[6:7]
	s_and_saveexec_b64 s[6:7], s[4:5]
	s_cbranch_execz .LBB11_1432
.LBB11_1431:
	v_bfe_u32 v13, v2, 16, 3
	v_ffbh_u32_e32 v16, v13
	v_min_u32_e32 v16, 32, v16
	v_lshrrev_b32_e32 v14, 19, v2
	v_subrev_u32_e32 v17, 28, v16
	v_and_b32_e32 v14, 15, v14
	v_lshlrev_b32_sdwa v17, v17, v2 dst_sel:DWORD dst_unused:UNUSED_PAD src0_sel:DWORD src1_sel:WORD_1
	v_bfe_u32 v15, v2, 19, 4
	v_sub_u32_e32 v16, 29, v16
	v_and_b32_e32 v17, 7, v17
	v_cmp_eq_u16_e32 vcc, 0, v14
	v_cndmask_b32_e32 v13, v13, v17, vcc
	v_cndmask_b32_e32 v14, v15, v16, vcc
	v_lshlrev_b32_e32 v15, 8, v2
	v_mov_b32_e32 v16, 0x3b800000
	v_lshlrev_b32_e32 v13, 20, v13
	v_and_b32_e32 v15, 0x80000000, v15
	v_lshl_add_u32 v14, v14, 23, v16
	v_or3_b32 v14, v15, v14, v13
.LBB11_1432:
	s_or_b64 exec, exec, s[6:7]
	s_nop 0
	v_mfma_f32_16x16x4f32 a[0:3], v12, v14, a[0:3]
	s_movk_i32 s4, 0x7f
	v_cmp_gt_i16_sdwa s[6:7], v6, s4 src0_sel:BYTE_3 src1_sel:DWORD
	s_mov_b64 s[4:5], 0
                                        ; implicit-def: $sgpr10
	s_and_saveexec_b64 s[8:9], s[6:7]
	s_xor_b64 s[6:7], exec, s[8:9]
	s_cbranch_execnz .LBB11_3481
; %bb.1433:
	s_or_saveexec_b64 s[6:7], s[6:7]
	v_mov_b32_e32 v12, s10
	s_xor_b64 exec, exec, s[6:7]
	s_cbranch_execnz .LBB11_3484
.LBB11_1434:
	s_or_b64 exec, exec, s[6:7]
	s_and_saveexec_b64 s[6:7], s[4:5]
	s_cbranch_execz .LBB11_1436
.LBB11_1435:
	v_bfe_u32 v12, v6, 24, 3
	v_ffbh_u32_e32 v16, v12
	v_min_u32_e32 v16, 32, v16
	v_lshrrev_b32_e32 v14, 27, v6
	v_subrev_u32_e32 v17, 28, v16
	v_and_b32_e32 v13, 0x80000000, v6
	v_and_b32_e32 v14, 15, v14
	v_bfe_u32 v15, v6, 27, 4
	v_lshlrev_b32_sdwa v6, v17, v6 dst_sel:DWORD dst_unused:UNUSED_PAD src0_sel:DWORD src1_sel:BYTE_3
	v_sub_u32_e32 v16, 29, v16
	v_and_b32_e32 v6, 7, v6
	v_cmp_eq_u16_e32 vcc, 0, v14
	v_cndmask_b32_e32 v6, v12, v6, vcc
	v_cndmask_b32_e32 v12, v15, v16, vcc
	v_mov_b32_e32 v14, 0x3b800000
	v_lshlrev_b32_e32 v6, 20, v6
	v_lshl_add_u32 v12, v12, 23, v14
	v_or3_b32 v12, v13, v12, v6
.LBB11_1436:
	s_or_b64 exec, exec, s[6:7]
	s_movk_i32 s4, 0x7f
	v_cmp_gt_i16_sdwa s[6:7], v2, s4 src0_sel:BYTE_3 src1_sel:DWORD
	s_mov_b64 s[4:5], 0
                                        ; implicit-def: $sgpr10
	s_and_saveexec_b64 s[8:9], s[6:7]
	s_xor_b64 s[6:7], exec, s[8:9]
	s_cbranch_execnz .LBB11_3485
; %bb.1437:
	s_or_saveexec_b64 s[6:7], s[6:7]
	v_mov_b32_e32 v6, s10
	s_xor_b64 exec, exec, s[6:7]
	s_cbranch_execnz .LBB11_3488
.LBB11_1438:
	s_or_b64 exec, exec, s[6:7]
	s_and_saveexec_b64 s[6:7], s[4:5]
	s_cbranch_execz .LBB11_1440
.LBB11_1439:
	v_bfe_u32 v6, v2, 24, 3
	v_ffbh_u32_e32 v16, v6
	v_min_u32_e32 v16, 32, v16
	v_lshrrev_b32_e32 v14, 27, v2
	v_subrev_u32_e32 v17, 28, v16
	v_and_b32_e32 v13, 0x80000000, v2
	v_and_b32_e32 v14, 15, v14
	v_bfe_u32 v15, v2, 27, 4
	v_lshlrev_b32_sdwa v2, v17, v2 dst_sel:DWORD dst_unused:UNUSED_PAD src0_sel:DWORD src1_sel:BYTE_3
	v_sub_u32_e32 v16, 29, v16
	v_and_b32_e32 v2, 7, v2
	v_cmp_eq_u16_e32 vcc, 0, v14
	v_cndmask_b32_e32 v2, v6, v2, vcc
	v_cndmask_b32_e32 v6, v15, v16, vcc
	v_mov_b32_e32 v14, 0x3b800000
	v_lshlrev_b32_e32 v2, 20, v2
	v_lshl_add_u32 v6, v6, 23, v14
	v_or3_b32 v6, v13, v6, v2
.LBB11_1440:
	s_or_b64 exec, exec, s[6:7]
	s_nop 0
	v_mfma_f32_16x16x4f32 a[0:3], v12, v6, a[0:3]
	s_movk_i32 s4, 0x7f
	v_cmp_gt_i16_sdwa s[6:7], v7, s4 src0_sel:BYTE_0 src1_sel:DWORD
	s_mov_b64 s[4:5], 0
                                        ; implicit-def: $sgpr10
	s_and_saveexec_b64 s[8:9], s[6:7]
	s_xor_b64 s[6:7], exec, s[8:9]
	s_cbranch_execnz .LBB11_3489
; %bb.1441:
	s_or_saveexec_b64 s[6:7], s[6:7]
	v_mov_b32_e32 v2, s10
	s_xor_b64 exec, exec, s[6:7]
	s_cbranch_execnz .LBB11_3492
.LBB11_1442:
	s_or_b64 exec, exec, s[6:7]
	s_and_saveexec_b64 s[6:7], s[4:5]
	s_cbranch_execz .LBB11_1444
.LBB11_1443:
	v_and_b32_e32 v2, 7, v7
	v_ffbh_u32_e32 v12, v2
	v_min_u32_e32 v12, 32, v12
	v_lshrrev_b16_e32 v6, 3, v7
	v_subrev_u32_e32 v13, 28, v12
	v_and_b32_e32 v6, 15, v6
	v_lshlrev_b32_e32 v13, v13, v7
	v_sub_u32_e32 v12, 29, v12
	v_and_b32_e32 v13, 7, v13
	v_cmp_eq_u16_e32 vcc, 0, v6
	v_cndmask_b32_e32 v2, v2, v13, vcc
	v_cndmask_b32_e32 v6, v6, v12, vcc
	v_lshlrev_b32_e32 v12, 24, v7
	v_mov_b32_e32 v13, 0x3b800000
	v_lshlrev_b32_e32 v2, 20, v2
	v_and_b32_e32 v12, 0x80000000, v12
	v_lshl_add_u32 v6, v6, 23, v13
	v_or3_b32 v2, v12, v6, v2
.LBB11_1444:
	s_or_b64 exec, exec, s[6:7]
	s_movk_i32 s4, 0x7f
	v_cmp_gt_i16_sdwa s[6:7], v3, s4 src0_sel:BYTE_0 src1_sel:DWORD
	s_mov_b64 s[4:5], 0
                                        ; implicit-def: $sgpr10
	s_and_saveexec_b64 s[8:9], s[6:7]
	s_xor_b64 s[6:7], exec, s[8:9]
	s_cbranch_execnz .LBB11_3493
; %bb.1445:
	s_or_saveexec_b64 s[6:7], s[6:7]
	v_mov_b32_e32 v6, s10
	s_xor_b64 exec, exec, s[6:7]
	s_cbranch_execnz .LBB11_3496
.LBB11_1446:
	s_or_b64 exec, exec, s[6:7]
	s_and_saveexec_b64 s[6:7], s[4:5]
	s_cbranch_execz .LBB11_1448
.LBB11_1447:
	v_and_b32_e32 v6, 7, v3
	v_ffbh_u32_e32 v13, v6
	v_min_u32_e32 v13, 32, v13
	v_lshrrev_b16_e32 v12, 3, v3
	v_subrev_u32_e32 v14, 28, v13
	v_and_b32_e32 v12, 15, v12
	v_lshlrev_b32_e32 v14, v14, v3
	v_sub_u32_e32 v13, 29, v13
	v_and_b32_e32 v14, 7, v14
	v_cmp_eq_u16_e32 vcc, 0, v12
	v_cndmask_b32_e32 v6, v6, v14, vcc
	v_cndmask_b32_e32 v12, v12, v13, vcc
	v_lshlrev_b32_e32 v13, 24, v3
	v_mov_b32_e32 v14, 0x3b800000
	v_lshlrev_b32_e32 v6, 20, v6
	v_and_b32_e32 v13, 0x80000000, v13
	v_lshl_add_u32 v12, v12, 23, v14
	v_or3_b32 v6, v13, v12, v6
.LBB11_1448:
	s_or_b64 exec, exec, s[6:7]
	s_nop 0
	v_mfma_f32_16x16x4f32 a[0:3], v2, v6, a[0:3]
	v_lshrrev_b32_e32 v6, 8, v7
	s_movk_i32 s4, 0x7f
	v_cmp_gt_i16_sdwa s[6:7], v6, s4 src0_sel:BYTE_0 src1_sel:DWORD
	s_mov_b64 s[4:5], 0
                                        ; implicit-def: $sgpr10
	s_and_saveexec_b64 s[8:9], s[6:7]
	s_xor_b64 s[6:7], exec, s[8:9]
	s_cbranch_execnz .LBB11_3497
; %bb.1449:
	s_or_saveexec_b64 s[6:7], s[6:7]
	v_mov_b32_e32 v2, s10
	s_xor_b64 exec, exec, s[6:7]
	s_cbranch_execnz .LBB11_3500
.LBB11_1450:
	s_or_b64 exec, exec, s[6:7]
	s_and_saveexec_b64 s[6:7], s[4:5]
	s_cbranch_execz .LBB11_1452
.LBB11_1451:
	v_bfe_u32 v2, v7, 8, 3
	v_ffbh_u32_e32 v13, v2
	v_min_u32_e32 v13, 32, v13
	v_lshrrev_b16_e32 v12, 3, v6
	v_subrev_u32_e32 v14, 28, v13
	v_and_b32_e32 v12, 15, v12
	v_lshlrev_b32_e32 v6, v14, v6
	v_sub_u32_e32 v13, 29, v13
	v_and_b32_e32 v6, 7, v6
	v_cmp_eq_u16_e32 vcc, 0, v12
	v_cndmask_b32_e32 v2, v2, v6, vcc
	v_cndmask_b32_e32 v6, v12, v13, vcc
	v_lshlrev_b32_e32 v12, 16, v7
	v_mov_b32_e32 v13, 0x3b800000
	v_lshlrev_b32_e32 v2, 20, v2
	v_and_b32_e32 v12, 0x80000000, v12
	v_lshl_add_u32 v6, v6, 23, v13
	v_or3_b32 v2, v12, v6, v2
.LBB11_1452:
	s_or_b64 exec, exec, s[6:7]
	v_lshrrev_b32_e32 v6, 8, v3
	s_movk_i32 s4, 0x7f
	v_cmp_gt_i16_sdwa s[6:7], v6, s4 src0_sel:BYTE_0 src1_sel:DWORD
	s_mov_b64 s[4:5], 0
                                        ; implicit-def: $sgpr10
	s_and_saveexec_b64 s[8:9], s[6:7]
	s_xor_b64 s[6:7], exec, s[8:9]
	s_cbranch_execnz .LBB11_3501
; %bb.1453:
	s_or_saveexec_b64 s[6:7], s[6:7]
	v_mov_b32_e32 v12, s10
	s_xor_b64 exec, exec, s[6:7]
	s_cbranch_execnz .LBB11_3504
.LBB11_1454:
	s_or_b64 exec, exec, s[6:7]
	s_and_saveexec_b64 s[6:7], s[4:5]
	s_cbranch_execz .LBB11_1456
.LBB11_1455:
	v_bfe_u32 v12, v3, 8, 3
	v_ffbh_u32_e32 v14, v12
	v_min_u32_e32 v14, 32, v14
	v_lshrrev_b16_e32 v13, 3, v6
	v_subrev_u32_e32 v15, 28, v14
	v_and_b32_e32 v13, 15, v13
	v_lshlrev_b32_e32 v6, v15, v6
	v_sub_u32_e32 v14, 29, v14
	v_and_b32_e32 v6, 7, v6
	v_cmp_eq_u16_e32 vcc, 0, v13
	v_cndmask_b32_e32 v6, v12, v6, vcc
	v_cndmask_b32_e32 v12, v13, v14, vcc
	v_lshlrev_b32_e32 v13, 16, v3
	v_mov_b32_e32 v14, 0x3b800000
	v_lshlrev_b32_e32 v6, 20, v6
	v_and_b32_e32 v13, 0x80000000, v13
	v_lshl_add_u32 v12, v12, 23, v14
	v_or3_b32 v12, v13, v12, v6
.LBB11_1456:
	s_or_b64 exec, exec, s[6:7]
	s_nop 0
	v_mfma_f32_16x16x4f32 a[0:3], v2, v12, a[0:3]
	s_movk_i32 s4, 0xff
	v_and_b32_sdwa v6, v7, s4 dst_sel:DWORD dst_unused:UNUSED_PAD src0_sel:WORD_1 src1_sel:DWORD
	s_movk_i32 s4, 0x7f
	v_cmp_lt_i16_e32 vcc, s4, v6
	s_mov_b64 s[4:5], 0
                                        ; implicit-def: $sgpr10
	s_and_saveexec_b64 s[6:7], vcc
	s_xor_b64 s[6:7], exec, s[6:7]
	s_cbranch_execnz .LBB11_3505
; %bb.1457:
	s_or_saveexec_b64 s[6:7], s[6:7]
	v_mov_b32_e32 v2, s10
	s_xor_b64 exec, exec, s[6:7]
	s_cbranch_execnz .LBB11_3508
.LBB11_1458:
	s_or_b64 exec, exec, s[6:7]
	s_and_saveexec_b64 s[6:7], s[4:5]
	s_cbranch_execz .LBB11_1460
.LBB11_1459:
	v_bfe_u32 v2, v7, 16, 3
	v_ffbh_u32_e32 v13, v2
	v_min_u32_e32 v13, 32, v13
	v_lshrrev_b32_e32 v6, 19, v7
	v_subrev_u32_e32 v14, 28, v13
	v_and_b32_e32 v6, 15, v6
	v_lshlrev_b32_sdwa v14, v14, v7 dst_sel:DWORD dst_unused:UNUSED_PAD src0_sel:DWORD src1_sel:WORD_1
	v_bfe_u32 v12, v7, 19, 4
	v_sub_u32_e32 v13, 29, v13
	v_and_b32_e32 v14, 7, v14
	v_cmp_eq_u16_e32 vcc, 0, v6
	v_cndmask_b32_e32 v2, v2, v14, vcc
	v_cndmask_b32_e32 v6, v12, v13, vcc
	v_lshlrev_b32_e32 v12, 8, v7
	v_mov_b32_e32 v13, 0x3b800000
	v_lshlrev_b32_e32 v2, 20, v2
	v_and_b32_e32 v12, 0x80000000, v12
	v_lshl_add_u32 v6, v6, 23, v13
	v_or3_b32 v2, v12, v6, v2
.LBB11_1460:
	s_or_b64 exec, exec, s[6:7]
	s_movk_i32 s4, 0xff
	v_and_b32_sdwa v6, v3, s4 dst_sel:DWORD dst_unused:UNUSED_PAD src0_sel:WORD_1 src1_sel:DWORD
	s_movk_i32 s4, 0x7f
	v_cmp_lt_i16_e32 vcc, s4, v6
	s_mov_b64 s[4:5], 0
                                        ; implicit-def: $sgpr10
	s_and_saveexec_b64 s[6:7], vcc
	s_xor_b64 s[6:7], exec, s[6:7]
	s_cbranch_execnz .LBB11_3509
; %bb.1461:
	s_or_saveexec_b64 s[6:7], s[6:7]
	v_mov_b32_e32 v12, s10
	s_xor_b64 exec, exec, s[6:7]
	s_cbranch_execnz .LBB11_3512
.LBB11_1462:
	s_or_b64 exec, exec, s[6:7]
	s_and_saveexec_b64 s[6:7], s[4:5]
	s_cbranch_execz .LBB11_1464
.LBB11_1463:
	v_bfe_u32 v6, v3, 16, 3
	v_ffbh_u32_e32 v14, v6
	v_min_u32_e32 v14, 32, v14
	v_lshrrev_b32_e32 v12, 19, v3
	v_subrev_u32_e32 v15, 28, v14
	v_and_b32_e32 v12, 15, v12
	v_lshlrev_b32_sdwa v15, v15, v3 dst_sel:DWORD dst_unused:UNUSED_PAD src0_sel:DWORD src1_sel:WORD_1
	v_bfe_u32 v13, v3, 19, 4
	v_sub_u32_e32 v14, 29, v14
	v_and_b32_e32 v15, 7, v15
	v_cmp_eq_u16_e32 vcc, 0, v12
	v_cndmask_b32_e32 v6, v6, v15, vcc
	v_cndmask_b32_e32 v12, v13, v14, vcc
	v_lshlrev_b32_e32 v13, 8, v3
	v_mov_b32_e32 v14, 0x3b800000
	v_lshlrev_b32_e32 v6, 20, v6
	v_and_b32_e32 v13, 0x80000000, v13
	v_lshl_add_u32 v12, v12, 23, v14
	v_or3_b32 v12, v13, v12, v6
.LBB11_1464:
	s_or_b64 exec, exec, s[6:7]
	s_nop 0
	v_mfma_f32_16x16x4f32 a[0:3], v2, v12, a[0:3]
	s_movk_i32 s4, 0x7f
	v_cmp_gt_i16_sdwa s[6:7], v7, s4 src0_sel:BYTE_3 src1_sel:DWORD
	s_mov_b64 s[4:5], 0
                                        ; implicit-def: $sgpr10
	s_and_saveexec_b64 s[8:9], s[6:7]
	s_xor_b64 s[6:7], exec, s[8:9]
	s_cbranch_execnz .LBB11_3513
; %bb.1465:
	s_or_saveexec_b64 s[6:7], s[6:7]
	v_mov_b32_e32 v2, s10
	s_xor_b64 exec, exec, s[6:7]
	s_cbranch_execnz .LBB11_3516
.LBB11_1466:
	s_or_b64 exec, exec, s[6:7]
	s_and_saveexec_b64 s[6:7], s[4:5]
	s_cbranch_execz .LBB11_1468
.LBB11_1467:
	v_bfe_u32 v2, v7, 24, 3
	v_ffbh_u32_e32 v14, v2
	v_min_u32_e32 v14, 32, v14
	v_lshrrev_b32_e32 v12, 27, v7
	v_subrev_u32_e32 v15, 28, v14
	v_and_b32_e32 v6, 0x80000000, v7
	v_and_b32_e32 v12, 15, v12
	v_bfe_u32 v13, v7, 27, 4
	v_lshlrev_b32_sdwa v7, v15, v7 dst_sel:DWORD dst_unused:UNUSED_PAD src0_sel:DWORD src1_sel:BYTE_3
	v_sub_u32_e32 v14, 29, v14
	v_and_b32_e32 v7, 7, v7
	v_cmp_eq_u16_e32 vcc, 0, v12
	v_cndmask_b32_e32 v2, v2, v7, vcc
	v_cndmask_b32_e32 v7, v13, v14, vcc
	v_mov_b32_e32 v12, 0x3b800000
	v_lshlrev_b32_e32 v2, 20, v2
	v_lshl_add_u32 v7, v7, 23, v12
	v_or3_b32 v2, v6, v7, v2
.LBB11_1468:
	s_or_b64 exec, exec, s[6:7]
	s_movk_i32 s4, 0x7f
	v_cmp_gt_i16_sdwa s[6:7], v3, s4 src0_sel:BYTE_3 src1_sel:DWORD
	s_mov_b64 s[4:5], 0
                                        ; implicit-def: $sgpr10
	s_and_saveexec_b64 s[8:9], s[6:7]
	s_xor_b64 s[6:7], exec, s[8:9]
	s_cbranch_execnz .LBB11_3517
; %bb.1469:
	s_or_saveexec_b64 s[6:7], s[6:7]
	v_mov_b32_e32 v6, s10
	s_xor_b64 exec, exec, s[6:7]
	s_cbranch_execnz .LBB11_3520
.LBB11_1470:
	s_or_b64 exec, exec, s[6:7]
	s_and_saveexec_b64 s[6:7], s[4:5]
	s_cbranch_execz .LBB11_1472
.LBB11_1471:
	v_bfe_u32 v6, v3, 24, 3
	v_ffbh_u32_e32 v14, v6
	v_min_u32_e32 v14, 32, v14
	v_lshrrev_b32_e32 v12, 27, v3
	v_subrev_u32_e32 v15, 28, v14
	v_and_b32_e32 v7, 0x80000000, v3
	v_and_b32_e32 v12, 15, v12
	v_bfe_u32 v13, v3, 27, 4
	v_lshlrev_b32_sdwa v3, v15, v3 dst_sel:DWORD dst_unused:UNUSED_PAD src0_sel:DWORD src1_sel:BYTE_3
	v_sub_u32_e32 v14, 29, v14
	v_and_b32_e32 v3, 7, v3
	v_cmp_eq_u16_e32 vcc, 0, v12
	v_cndmask_b32_e32 v3, v6, v3, vcc
	v_cndmask_b32_e32 v6, v13, v14, vcc
	v_mov_b32_e32 v12, 0x3b800000
	v_lshlrev_b32_e32 v3, 20, v3
	v_lshl_add_u32 v6, v6, 23, v12
	v_or3_b32 v6, v7, v6, v3
.LBB11_1472:
	s_or_b64 exec, exec, s[6:7]
	s_nop 0
	v_mfma_f32_16x16x4f32 a[0:3], v2, v6, a[0:3]
	s_movk_i32 s4, 0x7f
	v_cmp_gt_i16_sdwa s[6:7], v8, s4 src0_sel:BYTE_0 src1_sel:DWORD
	s_mov_b64 s[4:5], 0
                                        ; implicit-def: $sgpr10
	s_and_saveexec_b64 s[8:9], s[6:7]
	s_xor_b64 s[6:7], exec, s[8:9]
	s_cbranch_execnz .LBB11_3521
; %bb.1473:
	s_or_saveexec_b64 s[6:7], s[6:7]
	v_mov_b32_e32 v2, s10
	s_xor_b64 exec, exec, s[6:7]
	s_cbranch_execnz .LBB11_3524
.LBB11_1474:
	s_or_b64 exec, exec, s[6:7]
	s_and_saveexec_b64 s[6:7], s[4:5]
	s_cbranch_execz .LBB11_1476
.LBB11_1475:
	v_and_b32_e32 v2, 7, v8
	v_ffbh_u32_e32 v6, v2
	v_min_u32_e32 v6, 32, v6
	v_lshrrev_b16_e32 v3, 3, v8
	v_subrev_u32_e32 v7, 28, v6
	v_and_b32_e32 v3, 15, v3
	v_lshlrev_b32_e32 v7, v7, v8
	v_sub_u32_e32 v6, 29, v6
	v_and_b32_e32 v7, 7, v7
	v_cmp_eq_u16_e32 vcc, 0, v3
	v_cndmask_b32_e32 v2, v2, v7, vcc
	v_cndmask_b32_e32 v3, v3, v6, vcc
	v_lshlrev_b32_e32 v6, 24, v8
	v_mov_b32_e32 v7, 0x3b800000
	v_lshlrev_b32_e32 v2, 20, v2
	v_and_b32_e32 v6, 0x80000000, v6
	v_lshl_add_u32 v3, v3, 23, v7
	v_or3_b32 v2, v6, v3, v2
.LBB11_1476:
	s_or_b64 exec, exec, s[6:7]
	s_movk_i32 s4, 0x7f
	v_cmp_gt_i16_sdwa s[6:7], v4, s4 src0_sel:BYTE_0 src1_sel:DWORD
	s_mov_b64 s[4:5], 0
                                        ; implicit-def: $sgpr10
	s_and_saveexec_b64 s[8:9], s[6:7]
	s_xor_b64 s[6:7], exec, s[8:9]
	s_cbranch_execnz .LBB11_3525
; %bb.1477:
	s_or_saveexec_b64 s[6:7], s[6:7]
	v_mov_b32_e32 v3, s10
	s_xor_b64 exec, exec, s[6:7]
	s_cbranch_execnz .LBB11_3528
.LBB11_1478:
	s_or_b64 exec, exec, s[6:7]
	s_and_saveexec_b64 s[6:7], s[4:5]
	s_cbranch_execz .LBB11_1480
.LBB11_1479:
	v_and_b32_e32 v3, 7, v4
	v_ffbh_u32_e32 v7, v3
	v_min_u32_e32 v7, 32, v7
	v_lshrrev_b16_e32 v6, 3, v4
	v_subrev_u32_e32 v12, 28, v7
	v_and_b32_e32 v6, 15, v6
	v_lshlrev_b32_e32 v12, v12, v4
	v_sub_u32_e32 v7, 29, v7
	v_and_b32_e32 v12, 7, v12
	v_cmp_eq_u16_e32 vcc, 0, v6
	v_cndmask_b32_e32 v3, v3, v12, vcc
	v_cndmask_b32_e32 v6, v6, v7, vcc
	v_lshlrev_b32_e32 v7, 24, v4
	v_mov_b32_e32 v12, 0x3b800000
	v_lshlrev_b32_e32 v3, 20, v3
	v_and_b32_e32 v7, 0x80000000, v7
	v_lshl_add_u32 v6, v6, 23, v12
	v_or3_b32 v3, v7, v6, v3
.LBB11_1480:
	s_or_b64 exec, exec, s[6:7]
	s_nop 0
	v_mfma_f32_16x16x4f32 a[0:3], v2, v3, a[0:3]
	v_lshrrev_b32_e32 v3, 8, v8
	s_movk_i32 s4, 0x7f
	v_cmp_gt_i16_sdwa s[6:7], v3, s4 src0_sel:BYTE_0 src1_sel:DWORD
	s_mov_b64 s[4:5], 0
                                        ; implicit-def: $sgpr10
	s_and_saveexec_b64 s[8:9], s[6:7]
	s_xor_b64 s[6:7], exec, s[8:9]
	s_cbranch_execnz .LBB11_3529
; %bb.1481:
	s_or_saveexec_b64 s[6:7], s[6:7]
	v_mov_b32_e32 v2, s10
	s_xor_b64 exec, exec, s[6:7]
	s_cbranch_execnz .LBB11_3532
.LBB11_1482:
	s_or_b64 exec, exec, s[6:7]
	s_and_saveexec_b64 s[6:7], s[4:5]
	s_cbranch_execz .LBB11_1484
.LBB11_1483:
	v_bfe_u32 v2, v8, 8, 3
	v_ffbh_u32_e32 v7, v2
	v_min_u32_e32 v7, 32, v7
	v_lshrrev_b16_e32 v6, 3, v3
	v_subrev_u32_e32 v12, 28, v7
	v_and_b32_e32 v6, 15, v6
	v_lshlrev_b32_e32 v3, v12, v3
	v_sub_u32_e32 v7, 29, v7
	v_and_b32_e32 v3, 7, v3
	v_cmp_eq_u16_e32 vcc, 0, v6
	v_cndmask_b32_e32 v2, v2, v3, vcc
	v_cndmask_b32_e32 v3, v6, v7, vcc
	v_lshlrev_b32_e32 v6, 16, v8
	v_mov_b32_e32 v7, 0x3b800000
	v_lshlrev_b32_e32 v2, 20, v2
	v_and_b32_e32 v6, 0x80000000, v6
	v_lshl_add_u32 v3, v3, 23, v7
	v_or3_b32 v2, v6, v3, v2
.LBB11_1484:
	s_or_b64 exec, exec, s[6:7]
	v_lshrrev_b32_e32 v3, 8, v4
	s_movk_i32 s4, 0x7f
	v_cmp_gt_i16_sdwa s[6:7], v3, s4 src0_sel:BYTE_0 src1_sel:DWORD
	s_mov_b64 s[4:5], 0
                                        ; implicit-def: $sgpr10
	s_and_saveexec_b64 s[8:9], s[6:7]
	s_xor_b64 s[6:7], exec, s[8:9]
	s_cbranch_execnz .LBB11_3533
; %bb.1485:
	s_or_saveexec_b64 s[6:7], s[6:7]
	v_mov_b32_e32 v6, s10
	s_xor_b64 exec, exec, s[6:7]
	s_cbranch_execnz .LBB11_3536
.LBB11_1486:
	s_or_b64 exec, exec, s[6:7]
	s_and_saveexec_b64 s[6:7], s[4:5]
	s_cbranch_execz .LBB11_1488
.LBB11_1487:
	v_bfe_u32 v6, v4, 8, 3
	v_ffbh_u32_e32 v12, v6
	v_min_u32_e32 v12, 32, v12
	v_lshrrev_b16_e32 v7, 3, v3
	v_subrev_u32_e32 v13, 28, v12
	v_and_b32_e32 v7, 15, v7
	v_lshlrev_b32_e32 v3, v13, v3
	v_sub_u32_e32 v12, 29, v12
	v_and_b32_e32 v3, 7, v3
	v_cmp_eq_u16_e32 vcc, 0, v7
	v_cndmask_b32_e32 v3, v6, v3, vcc
	v_cndmask_b32_e32 v6, v7, v12, vcc
	v_lshlrev_b32_e32 v7, 16, v4
	v_mov_b32_e32 v12, 0x3b800000
	v_lshlrev_b32_e32 v3, 20, v3
	v_and_b32_e32 v7, 0x80000000, v7
	v_lshl_add_u32 v6, v6, 23, v12
	v_or3_b32 v6, v7, v6, v3
.LBB11_1488:
	s_or_b64 exec, exec, s[6:7]
	s_nop 0
	v_mfma_f32_16x16x4f32 a[0:3], v2, v6, a[0:3]
	s_movk_i32 s4, 0xff
	v_and_b32_sdwa v3, v8, s4 dst_sel:DWORD dst_unused:UNUSED_PAD src0_sel:WORD_1 src1_sel:DWORD
	s_movk_i32 s4, 0x7f
	v_cmp_lt_i16_e32 vcc, s4, v3
	s_mov_b64 s[4:5], 0
                                        ; implicit-def: $sgpr10
	s_and_saveexec_b64 s[6:7], vcc
	s_xor_b64 s[6:7], exec, s[6:7]
	s_cbranch_execnz .LBB11_3537
; %bb.1489:
	s_or_saveexec_b64 s[6:7], s[6:7]
	v_mov_b32_e32 v2, s10
	s_xor_b64 exec, exec, s[6:7]
	s_cbranch_execnz .LBB11_3540
.LBB11_1490:
	s_or_b64 exec, exec, s[6:7]
	s_and_saveexec_b64 s[6:7], s[4:5]
	s_cbranch_execz .LBB11_1492
.LBB11_1491:
	v_bfe_u32 v2, v8, 16, 3
	v_ffbh_u32_e32 v7, v2
	v_min_u32_e32 v7, 32, v7
	v_lshrrev_b32_e32 v3, 19, v8
	v_subrev_u32_e32 v12, 28, v7
	v_and_b32_e32 v3, 15, v3
	v_lshlrev_b32_sdwa v12, v12, v8 dst_sel:DWORD dst_unused:UNUSED_PAD src0_sel:DWORD src1_sel:WORD_1
	v_bfe_u32 v6, v8, 19, 4
	v_sub_u32_e32 v7, 29, v7
	v_and_b32_e32 v12, 7, v12
	v_cmp_eq_u16_e32 vcc, 0, v3
	v_cndmask_b32_e32 v2, v2, v12, vcc
	v_cndmask_b32_e32 v3, v6, v7, vcc
	v_lshlrev_b32_e32 v6, 8, v8
	v_mov_b32_e32 v7, 0x3b800000
	v_lshlrev_b32_e32 v2, 20, v2
	v_and_b32_e32 v6, 0x80000000, v6
	v_lshl_add_u32 v3, v3, 23, v7
	v_or3_b32 v2, v6, v3, v2
.LBB11_1492:
	s_or_b64 exec, exec, s[6:7]
	s_movk_i32 s4, 0xff
	v_and_b32_sdwa v3, v4, s4 dst_sel:DWORD dst_unused:UNUSED_PAD src0_sel:WORD_1 src1_sel:DWORD
	s_movk_i32 s4, 0x7f
	v_cmp_lt_i16_e32 vcc, s4, v3
	s_mov_b64 s[4:5], 0
                                        ; implicit-def: $sgpr10
	s_and_saveexec_b64 s[6:7], vcc
	s_xor_b64 s[6:7], exec, s[6:7]
	s_cbranch_execnz .LBB11_3541
; %bb.1493:
	s_or_saveexec_b64 s[6:7], s[6:7]
	v_mov_b32_e32 v6, s10
	s_xor_b64 exec, exec, s[6:7]
	s_cbranch_execnz .LBB11_3544
.LBB11_1494:
	s_or_b64 exec, exec, s[6:7]
	s_and_saveexec_b64 s[6:7], s[4:5]
	s_cbranch_execz .LBB11_1496
.LBB11_1495:
	v_bfe_u32 v3, v4, 16, 3
	v_ffbh_u32_e32 v12, v3
	v_min_u32_e32 v12, 32, v12
	v_lshrrev_b32_e32 v6, 19, v4
	v_subrev_u32_e32 v13, 28, v12
	v_and_b32_e32 v6, 15, v6
	v_lshlrev_b32_sdwa v13, v13, v4 dst_sel:DWORD dst_unused:UNUSED_PAD src0_sel:DWORD src1_sel:WORD_1
	v_bfe_u32 v7, v4, 19, 4
	v_sub_u32_e32 v12, 29, v12
	v_and_b32_e32 v13, 7, v13
	v_cmp_eq_u16_e32 vcc, 0, v6
	v_cndmask_b32_e32 v3, v3, v13, vcc
	v_cndmask_b32_e32 v6, v7, v12, vcc
	v_lshlrev_b32_e32 v7, 8, v4
	v_mov_b32_e32 v12, 0x3b800000
	v_lshlrev_b32_e32 v3, 20, v3
	v_and_b32_e32 v7, 0x80000000, v7
	v_lshl_add_u32 v6, v6, 23, v12
	v_or3_b32 v6, v7, v6, v3
.LBB11_1496:
	s_or_b64 exec, exec, s[6:7]
	s_nop 0
	v_mfma_f32_16x16x4f32 a[0:3], v2, v6, a[0:3]
	s_movk_i32 s4, 0x7f
	v_cmp_gt_i16_sdwa s[6:7], v8, s4 src0_sel:BYTE_3 src1_sel:DWORD
	s_mov_b64 s[4:5], 0
                                        ; implicit-def: $sgpr10
	s_and_saveexec_b64 s[8:9], s[6:7]
	s_xor_b64 s[6:7], exec, s[8:9]
	s_cbranch_execnz .LBB11_3545
; %bb.1497:
	s_or_saveexec_b64 s[6:7], s[6:7]
	v_mov_b32_e32 v2, s10
	s_xor_b64 exec, exec, s[6:7]
	s_cbranch_execnz .LBB11_3548
.LBB11_1498:
	s_or_b64 exec, exec, s[6:7]
	s_and_saveexec_b64 s[6:7], s[4:5]
	s_cbranch_execz .LBB11_1500
.LBB11_1499:
	v_bfe_u32 v2, v8, 24, 3
	v_ffbh_u32_e32 v12, v2
	v_min_u32_e32 v12, 32, v12
	v_lshrrev_b32_e32 v6, 27, v8
	v_subrev_u32_e32 v13, 28, v12
	v_and_b32_e32 v3, 0x80000000, v8
	v_and_b32_e32 v6, 15, v6
	v_bfe_u32 v7, v8, 27, 4
	v_lshlrev_b32_sdwa v8, v13, v8 dst_sel:DWORD dst_unused:UNUSED_PAD src0_sel:DWORD src1_sel:BYTE_3
	v_sub_u32_e32 v12, 29, v12
	v_and_b32_e32 v8, 7, v8
	v_cmp_eq_u16_e32 vcc, 0, v6
	v_cndmask_b32_e32 v2, v2, v8, vcc
	v_cndmask_b32_e32 v6, v7, v12, vcc
	v_mov_b32_e32 v7, 0x3b800000
	v_lshlrev_b32_e32 v2, 20, v2
	v_lshl_add_u32 v6, v6, 23, v7
	v_or3_b32 v2, v3, v6, v2
.LBB11_1500:
	s_or_b64 exec, exec, s[6:7]
	s_movk_i32 s4, 0x7f
	v_cmp_gt_i16_sdwa s[6:7], v4, s4 src0_sel:BYTE_3 src1_sel:DWORD
	s_mov_b64 s[4:5], 0
                                        ; implicit-def: $sgpr10
	s_and_saveexec_b64 s[8:9], s[6:7]
	s_xor_b64 s[6:7], exec, s[8:9]
	s_cbranch_execnz .LBB11_3549
; %bb.1501:
	s_or_saveexec_b64 s[6:7], s[6:7]
	v_mov_b32_e32 v3, s10
	s_xor_b64 exec, exec, s[6:7]
	s_cbranch_execnz .LBB11_3552
.LBB11_1502:
	s_or_b64 exec, exec, s[6:7]
	s_and_saveexec_b64 s[6:7], s[4:5]
	s_cbranch_execz .LBB11_1504
.LBB11_1503:
	v_bfe_u32 v3, v4, 24, 3
	v_ffbh_u32_e32 v12, v3
	v_min_u32_e32 v12, 32, v12
	v_lshrrev_b32_e32 v7, 27, v4
	v_subrev_u32_e32 v13, 28, v12
	v_and_b32_e32 v6, 0x80000000, v4
	v_and_b32_e32 v7, 15, v7
	v_bfe_u32 v8, v4, 27, 4
	v_lshlrev_b32_sdwa v4, v13, v4 dst_sel:DWORD dst_unused:UNUSED_PAD src0_sel:DWORD src1_sel:BYTE_3
	v_sub_u32_e32 v12, 29, v12
	v_and_b32_e32 v4, 7, v4
	v_cmp_eq_u16_e32 vcc, 0, v7
	v_cndmask_b32_e32 v3, v3, v4, vcc
	v_cndmask_b32_e32 v4, v8, v12, vcc
	v_mov_b32_e32 v7, 0x3b800000
	v_lshlrev_b32_e32 v3, 20, v3
	v_lshl_add_u32 v4, v4, 23, v7
	v_or3_b32 v3, v6, v4, v3
.LBB11_1504:
	s_or_b64 exec, exec, s[6:7]
	s_nop 0
	v_mfma_f32_16x16x4f32 a[0:3], v2, v3, a[0:3]
	s_movk_i32 s4, 0x7f
	v_cmp_gt_i16_sdwa s[6:7], v9, s4 src0_sel:BYTE_0 src1_sel:DWORD
	s_mov_b64 s[4:5], 0
                                        ; implicit-def: $sgpr10
	s_and_saveexec_b64 s[8:9], s[6:7]
	s_xor_b64 s[6:7], exec, s[8:9]
	s_cbranch_execnz .LBB11_3553
; %bb.1505:
	s_or_saveexec_b64 s[6:7], s[6:7]
	v_mov_b32_e32 v2, s10
	s_xor_b64 exec, exec, s[6:7]
	s_cbranch_execnz .LBB11_3556
.LBB11_1506:
	s_or_b64 exec, exec, s[6:7]
	s_and_saveexec_b64 s[6:7], s[4:5]
	s_cbranch_execz .LBB11_1508
.LBB11_1507:
	v_mov_b32_e32 v2, 8
	v_and_b32_e32 v3, 7, v9
	v_lshrrev_b32_sdwa v2, v2, v9 dst_sel:BYTE_1 dst_unused:UNUSED_PAD src0_sel:DWORD src1_sel:DWORD
	v_ffbh_u32_e32 v4, v3
	v_or_b32_sdwa v2, v9, v2 dst_sel:DWORD dst_unused:UNUSED_PAD src0_sel:BYTE_0 src1_sel:DWORD
	v_min_u32_e32 v4, 32, v4
	v_lshrrev_b16_e32 v2, 3, v2
	v_subrev_u32_e32 v6, 28, v4
	v_and_b32_e32 v2, 15, v2
	v_lshlrev_b32_e32 v6, v6, v9
	v_sub_u32_e32 v4, 29, v4
	v_and_b32_e32 v6, 7, v6
	v_cmp_eq_u16_e32 vcc, 0, v2
	v_cndmask_b32_e32 v3, v3, v6, vcc
	v_cndmask_b32_e32 v2, v2, v4, vcc
	v_lshlrev_b32_e32 v4, 24, v9
	v_mov_b32_e32 v6, 0x3b800000
	v_lshlrev_b32_e32 v3, 20, v3
	v_and_b32_e32 v4, 0x80000000, v4
	v_lshl_add_u32 v2, v2, 23, v6
	v_or3_b32 v2, v4, v2, v3
.LBB11_1508:
	s_or_b64 exec, exec, s[6:7]
	s_movk_i32 s4, 0x7f
	v_cmp_gt_i16_sdwa s[6:7], v5, s4 src0_sel:BYTE_0 src1_sel:DWORD
	s_mov_b64 s[4:5], 0
                                        ; implicit-def: $sgpr10
	s_and_saveexec_b64 s[8:9], s[6:7]
	s_xor_b64 s[6:7], exec, s[8:9]
	s_cbranch_execnz .LBB11_3557
; %bb.1509:
	s_or_saveexec_b64 s[6:7], s[6:7]
	v_mov_b32_e32 v3, s10
	s_xor_b64 exec, exec, s[6:7]
	s_cbranch_execnz .LBB11_3560
.LBB11_1510:
	s_or_b64 exec, exec, s[6:7]
	s_and_saveexec_b64 s[6:7], s[4:5]
	s_cbranch_execz .LBB11_1512
.LBB11_1511:
	v_mov_b32_e32 v3, 8
	v_and_b32_e32 v4, 7, v5
	v_lshrrev_b32_sdwa v3, v3, v5 dst_sel:BYTE_1 dst_unused:UNUSED_PAD src0_sel:DWORD src1_sel:DWORD
	v_ffbh_u32_e32 v6, v4
	v_or_b32_sdwa v3, v5, v3 dst_sel:DWORD dst_unused:UNUSED_PAD src0_sel:BYTE_0 src1_sel:DWORD
	v_min_u32_e32 v6, 32, v6
	v_lshrrev_b16_e32 v3, 3, v3
	v_subrev_u32_e32 v7, 28, v6
	v_and_b32_e32 v3, 15, v3
	v_lshlrev_b32_e32 v7, v7, v5
	v_sub_u32_e32 v6, 29, v6
	v_and_b32_e32 v7, 7, v7
	v_cmp_eq_u16_e32 vcc, 0, v3
	v_cndmask_b32_e32 v4, v4, v7, vcc
	v_cndmask_b32_e32 v3, v3, v6, vcc
	v_lshlrev_b32_e32 v6, 24, v5
	v_mov_b32_e32 v7, 0x3b800000
	v_lshlrev_b32_e32 v4, 20, v4
	v_and_b32_e32 v6, 0x80000000, v6
	v_lshl_add_u32 v3, v3, 23, v7
	v_or3_b32 v3, v6, v3, v4
.LBB11_1512:
	s_or_b64 exec, exec, s[6:7]
	s_nop 0
	v_mfma_f32_16x16x4f32 a[0:3], v2, v3, a[0:3]
	v_lshrrev_b32_e32 v3, 8, v9
	s_movk_i32 s4, 0x7f
	v_cmp_gt_i16_sdwa s[6:7], v3, s4 src0_sel:BYTE_0 src1_sel:DWORD
	s_mov_b64 s[4:5], 0
                                        ; implicit-def: $sgpr10
	s_and_saveexec_b64 s[8:9], s[6:7]
	s_xor_b64 s[6:7], exec, s[8:9]
	s_cbranch_execnz .LBB11_3561
; %bb.1513:
	s_or_saveexec_b64 s[6:7], s[6:7]
	v_mov_b32_e32 v2, s10
	s_xor_b64 exec, exec, s[6:7]
	s_cbranch_execnz .LBB11_3564
.LBB11_1514:
	s_or_b64 exec, exec, s[6:7]
	s_and_saveexec_b64 s[6:7], s[4:5]
	s_cbranch_execz .LBB11_1516
.LBB11_1515:
	v_bfe_u32 v2, v9, 8, 3
	v_ffbh_u32_e32 v6, v2
	v_min_u32_e32 v6, 32, v6
	v_lshrrev_b16_e32 v4, 3, v3
	v_subrev_u32_e32 v7, 28, v6
	v_and_b32_e32 v4, 15, v4
	v_lshlrev_b32_e32 v3, v7, v3
	v_sub_u32_e32 v6, 29, v6
	v_and_b32_e32 v3, 7, v3
	v_cmp_eq_u16_e32 vcc, 0, v4
	v_cndmask_b32_e32 v2, v2, v3, vcc
	v_cndmask_b32_e32 v3, v4, v6, vcc
	v_lshlrev_b32_e32 v4, 16, v9
	v_mov_b32_e32 v6, 0x3b800000
	v_lshlrev_b32_e32 v2, 20, v2
	v_and_b32_e32 v4, 0x80000000, v4
	v_lshl_add_u32 v3, v3, 23, v6
	v_or3_b32 v2, v4, v3, v2
.LBB11_1516:
	s_or_b64 exec, exec, s[6:7]
	v_lshrrev_b32_e32 v3, 8, v5
	s_movk_i32 s4, 0x7f
	v_cmp_gt_i16_sdwa s[6:7], v3, s4 src0_sel:BYTE_0 src1_sel:DWORD
	s_mov_b64 s[4:5], 0
                                        ; implicit-def: $sgpr10
	s_and_saveexec_b64 s[8:9], s[6:7]
	s_xor_b64 s[6:7], exec, s[8:9]
	s_cbranch_execnz .LBB11_3565
; %bb.1517:
	s_or_saveexec_b64 s[6:7], s[6:7]
	v_mov_b32_e32 v4, s10
	s_xor_b64 exec, exec, s[6:7]
	s_cbranch_execnz .LBB11_3568
.LBB11_1518:
	s_or_b64 exec, exec, s[6:7]
	s_and_saveexec_b64 s[6:7], s[4:5]
	s_cbranch_execz .LBB11_1520
.LBB11_1519:
	v_bfe_u32 v4, v5, 8, 3
	v_ffbh_u32_e32 v7, v4
	v_min_u32_e32 v7, 32, v7
	v_lshrrev_b16_e32 v6, 3, v3
	v_subrev_u32_e32 v8, 28, v7
	v_and_b32_e32 v6, 15, v6
	v_lshlrev_b32_e32 v3, v8, v3
	v_sub_u32_e32 v7, 29, v7
	v_and_b32_e32 v3, 7, v3
	v_cmp_eq_u16_e32 vcc, 0, v6
	v_cndmask_b32_e32 v3, v4, v3, vcc
	v_cndmask_b32_e32 v4, v6, v7, vcc
	v_lshlrev_b32_e32 v6, 16, v5
	v_mov_b32_e32 v7, 0x3b800000
	v_lshlrev_b32_e32 v3, 20, v3
	v_and_b32_e32 v6, 0x80000000, v6
	v_lshl_add_u32 v4, v4, 23, v7
	v_or3_b32 v4, v6, v4, v3
.LBB11_1520:
	s_or_b64 exec, exec, s[6:7]
	s_nop 0
	v_mfma_f32_16x16x4f32 a[0:3], v2, v4, a[0:3]
	s_movk_i32 s4, 0xff
	v_and_b32_sdwa v3, v9, s4 dst_sel:DWORD dst_unused:UNUSED_PAD src0_sel:WORD_1 src1_sel:DWORD
	s_movk_i32 s4, 0x7f
	v_cmp_lt_i16_e32 vcc, s4, v3
	s_mov_b64 s[4:5], 0
                                        ; implicit-def: $sgpr10
	s_and_saveexec_b64 s[6:7], vcc
	s_xor_b64 s[6:7], exec, s[6:7]
	s_cbranch_execnz .LBB11_3569
; %bb.1521:
	s_or_saveexec_b64 s[6:7], s[6:7]
	v_mov_b32_e32 v2, s10
	s_xor_b64 exec, exec, s[6:7]
	s_cbranch_execnz .LBB11_3572
.LBB11_1522:
	s_or_b64 exec, exec, s[6:7]
	s_and_saveexec_b64 s[6:7], s[4:5]
	s_cbranch_execz .LBB11_1524
.LBB11_1523:
	v_bfe_u32 v2, v9, 16, 3
	v_ffbh_u32_e32 v6, v2
	v_min_u32_e32 v6, 32, v6
	v_lshrrev_b32_e32 v3, 19, v9
	v_subrev_u32_e32 v7, 28, v6
	v_and_b32_e32 v3, 15, v3
	v_lshlrev_b32_sdwa v7, v7, v9 dst_sel:DWORD dst_unused:UNUSED_PAD src0_sel:DWORD src1_sel:WORD_1
	v_bfe_u32 v4, v9, 19, 4
	v_sub_u32_e32 v6, 29, v6
	v_and_b32_e32 v7, 7, v7
	v_cmp_eq_u16_e32 vcc, 0, v3
	v_cndmask_b32_e32 v2, v2, v7, vcc
	v_cndmask_b32_e32 v3, v4, v6, vcc
	v_lshlrev_b32_e32 v4, 8, v9
	v_mov_b32_e32 v6, 0x3b800000
	v_lshlrev_b32_e32 v2, 20, v2
	v_and_b32_e32 v4, 0x80000000, v4
	v_lshl_add_u32 v3, v3, 23, v6
	v_or3_b32 v2, v4, v3, v2
.LBB11_1524:
	s_or_b64 exec, exec, s[6:7]
	s_movk_i32 s4, 0xff
	v_and_b32_sdwa v3, v5, s4 dst_sel:DWORD dst_unused:UNUSED_PAD src0_sel:WORD_1 src1_sel:DWORD
	s_movk_i32 s4, 0x7f
	v_cmp_lt_i16_e32 vcc, s4, v3
	s_mov_b64 s[4:5], 0
                                        ; implicit-def: $sgpr10
	s_and_saveexec_b64 s[6:7], vcc
	s_xor_b64 s[6:7], exec, s[6:7]
	s_cbranch_execnz .LBB11_3573
; %bb.1525:
	s_or_saveexec_b64 s[6:7], s[6:7]
	v_mov_b32_e32 v4, s10
	s_xor_b64 exec, exec, s[6:7]
	s_cbranch_execnz .LBB11_3576
.LBB11_1526:
	s_or_b64 exec, exec, s[6:7]
	s_and_saveexec_b64 s[6:7], s[4:5]
	s_cbranch_execz .LBB11_1528
.LBB11_1527:
	v_bfe_u32 v3, v5, 16, 3
	v_ffbh_u32_e32 v7, v3
	v_min_u32_e32 v7, 32, v7
	v_lshrrev_b32_e32 v4, 19, v5
	v_subrev_u32_e32 v8, 28, v7
	v_and_b32_e32 v4, 15, v4
	v_lshlrev_b32_sdwa v8, v8, v5 dst_sel:DWORD dst_unused:UNUSED_PAD src0_sel:DWORD src1_sel:WORD_1
	v_bfe_u32 v6, v5, 19, 4
	v_sub_u32_e32 v7, 29, v7
	v_and_b32_e32 v8, 7, v8
	v_cmp_eq_u16_e32 vcc, 0, v4
	v_cndmask_b32_e32 v3, v3, v8, vcc
	v_cndmask_b32_e32 v4, v6, v7, vcc
	v_lshlrev_b32_e32 v6, 8, v5
	v_mov_b32_e32 v7, 0x3b800000
	v_lshlrev_b32_e32 v3, 20, v3
	v_and_b32_e32 v6, 0x80000000, v6
	v_lshl_add_u32 v4, v4, 23, v7
	v_or3_b32 v4, v6, v4, v3
.LBB11_1528:
	s_or_b64 exec, exec, s[6:7]
	s_nop 0
	v_mfma_f32_16x16x4f32 a[0:3], v2, v4, a[0:3]
	s_movk_i32 s4, 0x7f
	v_cmp_gt_i16_sdwa s[6:7], v9, s4 src0_sel:BYTE_3 src1_sel:DWORD
	s_mov_b64 s[4:5], 0
                                        ; implicit-def: $sgpr10
	s_and_saveexec_b64 s[8:9], s[6:7]
	s_xor_b64 s[6:7], exec, s[8:9]
	s_cbranch_execnz .LBB11_3577
; %bb.1529:
	s_or_saveexec_b64 s[6:7], s[6:7]
	v_mov_b32_e32 v2, s10
	s_xor_b64 exec, exec, s[6:7]
	s_cbranch_execnz .LBB11_3580
.LBB11_1530:
	s_or_b64 exec, exec, s[6:7]
	s_and_saveexec_b64 s[6:7], s[4:5]
	s_cbranch_execz .LBB11_1532
.LBB11_1531:
	v_bfe_u32 v2, v9, 24, 3
	v_ffbh_u32_e32 v7, v2
	v_min_u32_e32 v7, 32, v7
	v_lshrrev_b32_e32 v4, 27, v9
	v_subrev_u32_e32 v8, 28, v7
	v_and_b32_e32 v4, 15, v4
	v_lshlrev_b32_sdwa v8, v8, v9 dst_sel:DWORD dst_unused:UNUSED_PAD src0_sel:DWORD src1_sel:BYTE_3
	v_bfe_u32 v6, v9, 27, 4
	v_sub_u32_e32 v7, 29, v7
	v_and_b32_e32 v8, 7, v8
	v_cmp_eq_u16_e32 vcc, 0, v4
	v_cndmask_b32_e32 v2, v2, v8, vcc
	v_cndmask_b32_e32 v4, v6, v7, vcc
	v_mov_b32_e32 v6, 0x3b800000
	v_and_b32_e32 v3, 0x80000000, v9
	v_lshlrev_b32_e32 v2, 20, v2
	v_lshl_add_u32 v4, v4, 23, v6
	v_or3_b32 v2, v3, v4, v2
.LBB11_1532:
	s_or_b64 exec, exec, s[6:7]
	s_movk_i32 s4, 0x7f
	v_cmp_gt_i16_sdwa s[6:7], v5, s4 src0_sel:BYTE_3 src1_sel:DWORD
	s_mov_b64 s[4:5], 0
                                        ; implicit-def: $sgpr10
	s_and_saveexec_b64 s[8:9], s[6:7]
	s_xor_b64 s[6:7], exec, s[8:9]
	s_cbranch_execnz .LBB11_3581
; %bb.1533:
	s_or_saveexec_b64 s[6:7], s[6:7]
	v_mov_b32_e32 v3, s10
	s_xor_b64 exec, exec, s[6:7]
	s_cbranch_execnz .LBB11_3584
.LBB11_1534:
	s_or_b64 exec, exec, s[6:7]
	s_and_saveexec_b64 s[6:7], s[4:5]
	s_cbranch_execz .LBB11_1536
.LBB11_1535:
	v_bfe_u32 v3, v5, 24, 3
	v_ffbh_u32_e32 v8, v3
	v_min_u32_e32 v8, 32, v8
	v_lshrrev_b32_e32 v6, 27, v5
	v_subrev_u32_e32 v9, 28, v8
	v_and_b32_e32 v4, 0x80000000, v5
	v_and_b32_e32 v6, 15, v6
	v_bfe_u32 v7, v5, 27, 4
	v_lshlrev_b32_sdwa v5, v9, v5 dst_sel:DWORD dst_unused:UNUSED_PAD src0_sel:DWORD src1_sel:BYTE_3
	v_sub_u32_e32 v8, 29, v8
	v_and_b32_e32 v5, 7, v5
	v_cmp_eq_u16_e32 vcc, 0, v6
	v_cndmask_b32_e32 v3, v3, v5, vcc
	v_cndmask_b32_e32 v5, v7, v8, vcc
	v_mov_b32_e32 v6, 0x3b800000
	v_lshlrev_b32_e32 v3, 20, v3
	v_lshl_add_u32 v5, v5, 23, v6
	v_or3_b32 v3, v4, v5, v3
.LBB11_1536:
	s_or_b64 exec, exec, s[6:7]
	s_nop 0
	v_mfma_f32_16x16x4f32 a[0:3], v2, v3, a[0:3]
	s_movk_i32 s4, 0x7f
                                        ; implicit-def: $sgpr10
	s_nop 7
	s_nop 1
	flat_store_dwordx4 v[10:11], a[0:3] offset:176
	flat_load_dwordx4 v[12:15], v[0:1] offset:8
	s_nop 0
	flat_load_dwordx2 v[10:11], v[0:1] offset:32
	s_waitcnt vmcnt(0) lgkmcnt(0)
	flat_load_dwordx4 v[6:9], v[12:13] offset:112
	flat_load_dwordx4 v[2:5], v[14:15] offset:16
	s_waitcnt vmcnt(0) lgkmcnt(0)
	v_cmp_gt_i16_sdwa s[6:7], v6, s4 src0_sel:BYTE_0 src1_sel:DWORD
	s_mov_b64 s[4:5], 0
	s_and_saveexec_b64 s[8:9], s[6:7]
	s_xor_b64 s[6:7], exec, s[8:9]
	s_cbranch_execnz .LBB11_3585
; %bb.1537:
	s_or_saveexec_b64 s[6:7], s[6:7]
	v_mov_b32_e32 v12, s10
	s_xor_b64 exec, exec, s[6:7]
	s_cbranch_execnz .LBB11_3588
.LBB11_1538:
	s_or_b64 exec, exec, s[6:7]
	s_and_saveexec_b64 s[6:7], s[4:5]
	s_cbranch_execz .LBB11_1540
.LBB11_1539:
	v_and_b32_e32 v12, 7, v6
	v_ffbh_u32_e32 v14, v12
	v_min_u32_e32 v14, 32, v14
	v_lshrrev_b16_e32 v13, 3, v6
	v_subrev_u32_e32 v15, 28, v14
	v_and_b32_e32 v13, 15, v13
	v_lshlrev_b32_e32 v15, v15, v6
	v_sub_u32_e32 v14, 29, v14
	v_and_b32_e32 v15, 7, v15
	v_cmp_eq_u16_e32 vcc, 0, v13
	v_cndmask_b32_e32 v12, v12, v15, vcc
	v_cndmask_b32_e32 v13, v13, v14, vcc
	v_lshlrev_b32_e32 v14, 24, v6
	v_mov_b32_e32 v15, 0x3b800000
	v_lshlrev_b32_e32 v12, 20, v12
	v_and_b32_e32 v14, 0x80000000, v14
	v_lshl_add_u32 v13, v13, 23, v15
	v_or3_b32 v12, v14, v13, v12
.LBB11_1540:
	s_or_b64 exec, exec, s[6:7]
	s_movk_i32 s4, 0x7f
	v_cmp_gt_i16_sdwa s[6:7], v2, s4 src0_sel:BYTE_0 src1_sel:DWORD
	s_mov_b64 s[4:5], 0
                                        ; implicit-def: $sgpr10
	s_and_saveexec_b64 s[8:9], s[6:7]
	s_xor_b64 s[6:7], exec, s[8:9]
	s_cbranch_execnz .LBB11_3589
; %bb.1541:
	s_or_saveexec_b64 s[6:7], s[6:7]
	v_mov_b32_e32 v13, s10
	s_xor_b64 exec, exec, s[6:7]
	s_cbranch_execnz .LBB11_3592
.LBB11_1542:
	s_or_b64 exec, exec, s[6:7]
	s_and_saveexec_b64 s[6:7], s[4:5]
	s_cbranch_execz .LBB11_1544
.LBB11_1543:
	v_and_b32_e32 v13, 7, v2
	v_ffbh_u32_e32 v15, v13
	v_min_u32_e32 v15, 32, v15
	v_lshrrev_b16_e32 v14, 3, v2
	v_subrev_u32_e32 v16, 28, v15
	v_and_b32_e32 v14, 15, v14
	v_lshlrev_b32_e32 v16, v16, v2
	v_sub_u32_e32 v15, 29, v15
	v_and_b32_e32 v16, 7, v16
	v_cmp_eq_u16_e32 vcc, 0, v14
	v_cndmask_b32_e32 v13, v13, v16, vcc
	v_cndmask_b32_e32 v14, v14, v15, vcc
	v_lshlrev_b32_e32 v15, 24, v2
	v_mov_b32_e32 v16, 0x3b800000
	v_lshlrev_b32_e32 v13, 20, v13
	v_and_b32_e32 v15, 0x80000000, v15
	v_lshl_add_u32 v14, v14, 23, v16
	v_or3_b32 v13, v15, v14, v13
.LBB11_1544:
	s_or_b64 exec, exec, s[6:7]
	flat_load_dwordx4 a[0:3], v[10:11] offset:192
	s_movk_i32 s4, 0x7f
                                        ; implicit-def: $sgpr10
	s_waitcnt vmcnt(0) lgkmcnt(0)
	v_mfma_f32_16x16x4f32 a[0:3], v12, v13, a[0:3]
	v_lshrrev_b32_e32 v13, 8, v6
	v_cmp_gt_i16_sdwa s[6:7], v13, s4 src0_sel:BYTE_0 src1_sel:DWORD
	s_mov_b64 s[4:5], 0
	s_and_saveexec_b64 s[8:9], s[6:7]
	s_xor_b64 s[6:7], exec, s[8:9]
	s_cbranch_execnz .LBB11_3593
; %bb.1545:
	s_or_saveexec_b64 s[6:7], s[6:7]
	v_mov_b32_e32 v12, s10
	s_xor_b64 exec, exec, s[6:7]
	s_cbranch_execnz .LBB11_3596
.LBB11_1546:
	s_or_b64 exec, exec, s[6:7]
	s_and_saveexec_b64 s[6:7], s[4:5]
	s_cbranch_execz .LBB11_1548
.LBB11_1547:
	v_bfe_u32 v12, v6, 8, 3
	v_ffbh_u32_e32 v15, v12
	v_min_u32_e32 v15, 32, v15
	v_lshrrev_b16_e32 v14, 3, v13
	v_subrev_u32_e32 v16, 28, v15
	v_and_b32_e32 v14, 15, v14
	v_lshlrev_b32_e32 v13, v16, v13
	v_sub_u32_e32 v15, 29, v15
	v_and_b32_e32 v13, 7, v13
	v_cmp_eq_u16_e32 vcc, 0, v14
	v_cndmask_b32_e32 v12, v12, v13, vcc
	v_cndmask_b32_e32 v13, v14, v15, vcc
	v_lshlrev_b32_e32 v14, 16, v6
	v_mov_b32_e32 v15, 0x3b800000
	v_lshlrev_b32_e32 v12, 20, v12
	v_and_b32_e32 v14, 0x80000000, v14
	v_lshl_add_u32 v13, v13, 23, v15
	v_or3_b32 v12, v14, v13, v12
.LBB11_1548:
	s_or_b64 exec, exec, s[6:7]
	v_lshrrev_b32_e32 v13, 8, v2
	s_movk_i32 s4, 0x7f
	v_cmp_gt_i16_sdwa s[6:7], v13, s4 src0_sel:BYTE_0 src1_sel:DWORD
	s_mov_b64 s[4:5], 0
                                        ; implicit-def: $sgpr10
	s_and_saveexec_b64 s[8:9], s[6:7]
	s_xor_b64 s[6:7], exec, s[8:9]
	s_cbranch_execnz .LBB11_3597
; %bb.1549:
	s_or_saveexec_b64 s[6:7], s[6:7]
	v_mov_b32_e32 v14, s10
	s_xor_b64 exec, exec, s[6:7]
	s_cbranch_execnz .LBB11_3600
.LBB11_1550:
	s_or_b64 exec, exec, s[6:7]
	s_and_saveexec_b64 s[6:7], s[4:5]
	s_cbranch_execz .LBB11_1552
.LBB11_1551:
	v_bfe_u32 v14, v2, 8, 3
	v_ffbh_u32_e32 v16, v14
	v_min_u32_e32 v16, 32, v16
	v_lshrrev_b16_e32 v15, 3, v13
	v_subrev_u32_e32 v17, 28, v16
	v_and_b32_e32 v15, 15, v15
	v_lshlrev_b32_e32 v13, v17, v13
	v_sub_u32_e32 v16, 29, v16
	v_and_b32_e32 v13, 7, v13
	v_cmp_eq_u16_e32 vcc, 0, v15
	v_cndmask_b32_e32 v13, v14, v13, vcc
	v_cndmask_b32_e32 v14, v15, v16, vcc
	v_lshlrev_b32_e32 v15, 16, v2
	v_mov_b32_e32 v16, 0x3b800000
	v_lshlrev_b32_e32 v13, 20, v13
	v_and_b32_e32 v15, 0x80000000, v15
	v_lshl_add_u32 v14, v14, 23, v16
	v_or3_b32 v14, v15, v14, v13
.LBB11_1552:
	s_or_b64 exec, exec, s[6:7]
	s_nop 0
	v_mfma_f32_16x16x4f32 a[0:3], v12, v14, a[0:3]
	s_movk_i32 s4, 0xff
	v_and_b32_sdwa v13, v6, s4 dst_sel:DWORD dst_unused:UNUSED_PAD src0_sel:WORD_1 src1_sel:DWORD
	s_movk_i32 s4, 0x7f
	v_cmp_lt_i16_e32 vcc, s4, v13
	s_mov_b64 s[4:5], 0
                                        ; implicit-def: $sgpr10
	s_and_saveexec_b64 s[6:7], vcc
	s_xor_b64 s[6:7], exec, s[6:7]
	s_cbranch_execnz .LBB11_3601
; %bb.1553:
	s_or_saveexec_b64 s[6:7], s[6:7]
	v_mov_b32_e32 v12, s10
	s_xor_b64 exec, exec, s[6:7]
	s_cbranch_execnz .LBB11_3604
.LBB11_1554:
	s_or_b64 exec, exec, s[6:7]
	s_and_saveexec_b64 s[6:7], s[4:5]
	s_cbranch_execz .LBB11_1556
.LBB11_1555:
	v_bfe_u32 v12, v6, 16, 3
	v_ffbh_u32_e32 v15, v12
	v_min_u32_e32 v15, 32, v15
	v_lshrrev_b32_e32 v13, 19, v6
	v_subrev_u32_e32 v16, 28, v15
	v_and_b32_e32 v13, 15, v13
	v_lshlrev_b32_sdwa v16, v16, v6 dst_sel:DWORD dst_unused:UNUSED_PAD src0_sel:DWORD src1_sel:WORD_1
	v_bfe_u32 v14, v6, 19, 4
	v_sub_u32_e32 v15, 29, v15
	v_and_b32_e32 v16, 7, v16
	v_cmp_eq_u16_e32 vcc, 0, v13
	v_cndmask_b32_e32 v12, v12, v16, vcc
	v_cndmask_b32_e32 v13, v14, v15, vcc
	v_lshlrev_b32_e32 v14, 8, v6
	v_mov_b32_e32 v15, 0x3b800000
	v_lshlrev_b32_e32 v12, 20, v12
	v_and_b32_e32 v14, 0x80000000, v14
	v_lshl_add_u32 v13, v13, 23, v15
	v_or3_b32 v12, v14, v13, v12
.LBB11_1556:
	s_or_b64 exec, exec, s[6:7]
	s_movk_i32 s4, 0xff
	v_and_b32_sdwa v13, v2, s4 dst_sel:DWORD dst_unused:UNUSED_PAD src0_sel:WORD_1 src1_sel:DWORD
	s_movk_i32 s4, 0x7f
	v_cmp_lt_i16_e32 vcc, s4, v13
	s_mov_b64 s[4:5], 0
                                        ; implicit-def: $sgpr10
	s_and_saveexec_b64 s[6:7], vcc
	s_xor_b64 s[6:7], exec, s[6:7]
	s_cbranch_execnz .LBB11_3605
; %bb.1557:
	s_or_saveexec_b64 s[6:7], s[6:7]
	v_mov_b32_e32 v14, s10
	s_xor_b64 exec, exec, s[6:7]
	s_cbranch_execnz .LBB11_3608
.LBB11_1558:
	s_or_b64 exec, exec, s[6:7]
	s_and_saveexec_b64 s[6:7], s[4:5]
	s_cbranch_execz .LBB11_1560
.LBB11_1559:
	v_bfe_u32 v13, v2, 16, 3
	v_ffbh_u32_e32 v16, v13
	v_min_u32_e32 v16, 32, v16
	v_lshrrev_b32_e32 v14, 19, v2
	v_subrev_u32_e32 v17, 28, v16
	v_and_b32_e32 v14, 15, v14
	v_lshlrev_b32_sdwa v17, v17, v2 dst_sel:DWORD dst_unused:UNUSED_PAD src0_sel:DWORD src1_sel:WORD_1
	v_bfe_u32 v15, v2, 19, 4
	v_sub_u32_e32 v16, 29, v16
	v_and_b32_e32 v17, 7, v17
	v_cmp_eq_u16_e32 vcc, 0, v14
	v_cndmask_b32_e32 v13, v13, v17, vcc
	v_cndmask_b32_e32 v14, v15, v16, vcc
	v_lshlrev_b32_e32 v15, 8, v2
	v_mov_b32_e32 v16, 0x3b800000
	v_lshlrev_b32_e32 v13, 20, v13
	v_and_b32_e32 v15, 0x80000000, v15
	v_lshl_add_u32 v14, v14, 23, v16
	v_or3_b32 v14, v15, v14, v13
.LBB11_1560:
	s_or_b64 exec, exec, s[6:7]
	s_nop 0
	v_mfma_f32_16x16x4f32 a[0:3], v12, v14, a[0:3]
	s_movk_i32 s4, 0x7f
	v_cmp_gt_i16_sdwa s[6:7], v6, s4 src0_sel:BYTE_3 src1_sel:DWORD
	s_mov_b64 s[4:5], 0
                                        ; implicit-def: $sgpr10
	s_and_saveexec_b64 s[8:9], s[6:7]
	s_xor_b64 s[6:7], exec, s[8:9]
	s_cbranch_execnz .LBB11_3609
; %bb.1561:
	s_or_saveexec_b64 s[6:7], s[6:7]
	v_mov_b32_e32 v12, s10
	s_xor_b64 exec, exec, s[6:7]
	s_cbranch_execnz .LBB11_3612
.LBB11_1562:
	s_or_b64 exec, exec, s[6:7]
	s_and_saveexec_b64 s[6:7], s[4:5]
	s_cbranch_execz .LBB11_1564
.LBB11_1563:
	v_bfe_u32 v12, v6, 24, 3
	v_ffbh_u32_e32 v16, v12
	v_min_u32_e32 v16, 32, v16
	v_lshrrev_b32_e32 v14, 27, v6
	v_subrev_u32_e32 v17, 28, v16
	v_and_b32_e32 v13, 0x80000000, v6
	v_and_b32_e32 v14, 15, v14
	v_bfe_u32 v15, v6, 27, 4
	v_lshlrev_b32_sdwa v6, v17, v6 dst_sel:DWORD dst_unused:UNUSED_PAD src0_sel:DWORD src1_sel:BYTE_3
	v_sub_u32_e32 v16, 29, v16
	v_and_b32_e32 v6, 7, v6
	v_cmp_eq_u16_e32 vcc, 0, v14
	v_cndmask_b32_e32 v6, v12, v6, vcc
	v_cndmask_b32_e32 v12, v15, v16, vcc
	v_mov_b32_e32 v14, 0x3b800000
	v_lshlrev_b32_e32 v6, 20, v6
	v_lshl_add_u32 v12, v12, 23, v14
	v_or3_b32 v12, v13, v12, v6
.LBB11_1564:
	s_or_b64 exec, exec, s[6:7]
	s_movk_i32 s4, 0x7f
	v_cmp_gt_i16_sdwa s[6:7], v2, s4 src0_sel:BYTE_3 src1_sel:DWORD
	s_mov_b64 s[4:5], 0
                                        ; implicit-def: $sgpr10
	s_and_saveexec_b64 s[8:9], s[6:7]
	s_xor_b64 s[6:7], exec, s[8:9]
	s_cbranch_execnz .LBB11_3613
; %bb.1565:
	s_or_saveexec_b64 s[6:7], s[6:7]
	v_mov_b32_e32 v6, s10
	s_xor_b64 exec, exec, s[6:7]
	s_cbranch_execnz .LBB11_3616
.LBB11_1566:
	s_or_b64 exec, exec, s[6:7]
	s_and_saveexec_b64 s[6:7], s[4:5]
	s_cbranch_execz .LBB11_1568
.LBB11_1567:
	v_bfe_u32 v6, v2, 24, 3
	v_ffbh_u32_e32 v16, v6
	v_min_u32_e32 v16, 32, v16
	v_lshrrev_b32_e32 v14, 27, v2
	v_subrev_u32_e32 v17, 28, v16
	v_and_b32_e32 v13, 0x80000000, v2
	v_and_b32_e32 v14, 15, v14
	v_bfe_u32 v15, v2, 27, 4
	v_lshlrev_b32_sdwa v2, v17, v2 dst_sel:DWORD dst_unused:UNUSED_PAD src0_sel:DWORD src1_sel:BYTE_3
	v_sub_u32_e32 v16, 29, v16
	v_and_b32_e32 v2, 7, v2
	v_cmp_eq_u16_e32 vcc, 0, v14
	v_cndmask_b32_e32 v2, v6, v2, vcc
	v_cndmask_b32_e32 v6, v15, v16, vcc
	v_mov_b32_e32 v14, 0x3b800000
	v_lshlrev_b32_e32 v2, 20, v2
	v_lshl_add_u32 v6, v6, 23, v14
	v_or3_b32 v6, v13, v6, v2
.LBB11_1568:
	s_or_b64 exec, exec, s[6:7]
	s_nop 0
	v_mfma_f32_16x16x4f32 a[0:3], v12, v6, a[0:3]
	s_movk_i32 s4, 0x7f
	v_cmp_gt_i16_sdwa s[6:7], v7, s4 src0_sel:BYTE_0 src1_sel:DWORD
	s_mov_b64 s[4:5], 0
                                        ; implicit-def: $sgpr10
	s_and_saveexec_b64 s[8:9], s[6:7]
	s_xor_b64 s[6:7], exec, s[8:9]
	s_cbranch_execnz .LBB11_3617
; %bb.1569:
	s_or_saveexec_b64 s[6:7], s[6:7]
	v_mov_b32_e32 v2, s10
	s_xor_b64 exec, exec, s[6:7]
	s_cbranch_execnz .LBB11_3620
.LBB11_1570:
	s_or_b64 exec, exec, s[6:7]
	s_and_saveexec_b64 s[6:7], s[4:5]
	s_cbranch_execz .LBB11_1572
.LBB11_1571:
	v_and_b32_e32 v2, 7, v7
	v_ffbh_u32_e32 v12, v2
	v_min_u32_e32 v12, 32, v12
	v_lshrrev_b16_e32 v6, 3, v7
	v_subrev_u32_e32 v13, 28, v12
	v_and_b32_e32 v6, 15, v6
	v_lshlrev_b32_e32 v13, v13, v7
	v_sub_u32_e32 v12, 29, v12
	v_and_b32_e32 v13, 7, v13
	v_cmp_eq_u16_e32 vcc, 0, v6
	v_cndmask_b32_e32 v2, v2, v13, vcc
	v_cndmask_b32_e32 v6, v6, v12, vcc
	v_lshlrev_b32_e32 v12, 24, v7
	v_mov_b32_e32 v13, 0x3b800000
	v_lshlrev_b32_e32 v2, 20, v2
	v_and_b32_e32 v12, 0x80000000, v12
	v_lshl_add_u32 v6, v6, 23, v13
	v_or3_b32 v2, v12, v6, v2
.LBB11_1572:
	s_or_b64 exec, exec, s[6:7]
	s_movk_i32 s4, 0x7f
	v_cmp_gt_i16_sdwa s[6:7], v3, s4 src0_sel:BYTE_0 src1_sel:DWORD
	s_mov_b64 s[4:5], 0
                                        ; implicit-def: $sgpr10
	s_and_saveexec_b64 s[8:9], s[6:7]
	s_xor_b64 s[6:7], exec, s[8:9]
	s_cbranch_execnz .LBB11_3621
; %bb.1573:
	s_or_saveexec_b64 s[6:7], s[6:7]
	v_mov_b32_e32 v6, s10
	s_xor_b64 exec, exec, s[6:7]
	s_cbranch_execnz .LBB11_3624
.LBB11_1574:
	s_or_b64 exec, exec, s[6:7]
	s_and_saveexec_b64 s[6:7], s[4:5]
	s_cbranch_execz .LBB11_1576
.LBB11_1575:
	v_and_b32_e32 v6, 7, v3
	v_ffbh_u32_e32 v13, v6
	v_min_u32_e32 v13, 32, v13
	v_lshrrev_b16_e32 v12, 3, v3
	v_subrev_u32_e32 v14, 28, v13
	v_and_b32_e32 v12, 15, v12
	v_lshlrev_b32_e32 v14, v14, v3
	v_sub_u32_e32 v13, 29, v13
	v_and_b32_e32 v14, 7, v14
	v_cmp_eq_u16_e32 vcc, 0, v12
	v_cndmask_b32_e32 v6, v6, v14, vcc
	v_cndmask_b32_e32 v12, v12, v13, vcc
	v_lshlrev_b32_e32 v13, 24, v3
	v_mov_b32_e32 v14, 0x3b800000
	v_lshlrev_b32_e32 v6, 20, v6
	v_and_b32_e32 v13, 0x80000000, v13
	v_lshl_add_u32 v12, v12, 23, v14
	v_or3_b32 v6, v13, v12, v6
.LBB11_1576:
	s_or_b64 exec, exec, s[6:7]
	s_nop 0
	v_mfma_f32_16x16x4f32 a[0:3], v2, v6, a[0:3]
	v_lshrrev_b32_e32 v6, 8, v7
	s_movk_i32 s4, 0x7f
	v_cmp_gt_i16_sdwa s[6:7], v6, s4 src0_sel:BYTE_0 src1_sel:DWORD
	s_mov_b64 s[4:5], 0
                                        ; implicit-def: $sgpr10
	s_and_saveexec_b64 s[8:9], s[6:7]
	s_xor_b64 s[6:7], exec, s[8:9]
	s_cbranch_execnz .LBB11_3625
; %bb.1577:
	s_or_saveexec_b64 s[6:7], s[6:7]
	v_mov_b32_e32 v2, s10
	s_xor_b64 exec, exec, s[6:7]
	s_cbranch_execnz .LBB11_3628
.LBB11_1578:
	s_or_b64 exec, exec, s[6:7]
	s_and_saveexec_b64 s[6:7], s[4:5]
	s_cbranch_execz .LBB11_1580
.LBB11_1579:
	v_bfe_u32 v2, v7, 8, 3
	v_ffbh_u32_e32 v13, v2
	v_min_u32_e32 v13, 32, v13
	v_lshrrev_b16_e32 v12, 3, v6
	v_subrev_u32_e32 v14, 28, v13
	v_and_b32_e32 v12, 15, v12
	v_lshlrev_b32_e32 v6, v14, v6
	v_sub_u32_e32 v13, 29, v13
	v_and_b32_e32 v6, 7, v6
	v_cmp_eq_u16_e32 vcc, 0, v12
	v_cndmask_b32_e32 v2, v2, v6, vcc
	v_cndmask_b32_e32 v6, v12, v13, vcc
	v_lshlrev_b32_e32 v12, 16, v7
	v_mov_b32_e32 v13, 0x3b800000
	v_lshlrev_b32_e32 v2, 20, v2
	v_and_b32_e32 v12, 0x80000000, v12
	v_lshl_add_u32 v6, v6, 23, v13
	v_or3_b32 v2, v12, v6, v2
.LBB11_1580:
	s_or_b64 exec, exec, s[6:7]
	v_lshrrev_b32_e32 v6, 8, v3
	s_movk_i32 s4, 0x7f
	v_cmp_gt_i16_sdwa s[6:7], v6, s4 src0_sel:BYTE_0 src1_sel:DWORD
	s_mov_b64 s[4:5], 0
                                        ; implicit-def: $sgpr10
	s_and_saveexec_b64 s[8:9], s[6:7]
	s_xor_b64 s[6:7], exec, s[8:9]
	s_cbranch_execnz .LBB11_3629
; %bb.1581:
	s_or_saveexec_b64 s[6:7], s[6:7]
	v_mov_b32_e32 v12, s10
	s_xor_b64 exec, exec, s[6:7]
	s_cbranch_execnz .LBB11_3632
.LBB11_1582:
	s_or_b64 exec, exec, s[6:7]
	s_and_saveexec_b64 s[6:7], s[4:5]
	s_cbranch_execz .LBB11_1584
.LBB11_1583:
	v_bfe_u32 v12, v3, 8, 3
	v_ffbh_u32_e32 v14, v12
	v_min_u32_e32 v14, 32, v14
	v_lshrrev_b16_e32 v13, 3, v6
	v_subrev_u32_e32 v15, 28, v14
	v_and_b32_e32 v13, 15, v13
	v_lshlrev_b32_e32 v6, v15, v6
	v_sub_u32_e32 v14, 29, v14
	v_and_b32_e32 v6, 7, v6
	v_cmp_eq_u16_e32 vcc, 0, v13
	v_cndmask_b32_e32 v6, v12, v6, vcc
	v_cndmask_b32_e32 v12, v13, v14, vcc
	v_lshlrev_b32_e32 v13, 16, v3
	v_mov_b32_e32 v14, 0x3b800000
	v_lshlrev_b32_e32 v6, 20, v6
	v_and_b32_e32 v13, 0x80000000, v13
	v_lshl_add_u32 v12, v12, 23, v14
	v_or3_b32 v12, v13, v12, v6
.LBB11_1584:
	s_or_b64 exec, exec, s[6:7]
	s_nop 0
	v_mfma_f32_16x16x4f32 a[0:3], v2, v12, a[0:3]
	s_movk_i32 s4, 0xff
	v_and_b32_sdwa v6, v7, s4 dst_sel:DWORD dst_unused:UNUSED_PAD src0_sel:WORD_1 src1_sel:DWORD
	s_movk_i32 s4, 0x7f
	v_cmp_lt_i16_e32 vcc, s4, v6
	s_mov_b64 s[4:5], 0
                                        ; implicit-def: $sgpr10
	s_and_saveexec_b64 s[6:7], vcc
	s_xor_b64 s[6:7], exec, s[6:7]
	s_cbranch_execnz .LBB11_3633
; %bb.1585:
	s_or_saveexec_b64 s[6:7], s[6:7]
	v_mov_b32_e32 v2, s10
	s_xor_b64 exec, exec, s[6:7]
	s_cbranch_execnz .LBB11_3636
.LBB11_1586:
	s_or_b64 exec, exec, s[6:7]
	s_and_saveexec_b64 s[6:7], s[4:5]
	s_cbranch_execz .LBB11_1588
.LBB11_1587:
	v_bfe_u32 v2, v7, 16, 3
	v_ffbh_u32_e32 v13, v2
	v_min_u32_e32 v13, 32, v13
	v_lshrrev_b32_e32 v6, 19, v7
	v_subrev_u32_e32 v14, 28, v13
	v_and_b32_e32 v6, 15, v6
	v_lshlrev_b32_sdwa v14, v14, v7 dst_sel:DWORD dst_unused:UNUSED_PAD src0_sel:DWORD src1_sel:WORD_1
	v_bfe_u32 v12, v7, 19, 4
	v_sub_u32_e32 v13, 29, v13
	v_and_b32_e32 v14, 7, v14
	v_cmp_eq_u16_e32 vcc, 0, v6
	v_cndmask_b32_e32 v2, v2, v14, vcc
	v_cndmask_b32_e32 v6, v12, v13, vcc
	v_lshlrev_b32_e32 v12, 8, v7
	v_mov_b32_e32 v13, 0x3b800000
	v_lshlrev_b32_e32 v2, 20, v2
	v_and_b32_e32 v12, 0x80000000, v12
	v_lshl_add_u32 v6, v6, 23, v13
	v_or3_b32 v2, v12, v6, v2
.LBB11_1588:
	s_or_b64 exec, exec, s[6:7]
	s_movk_i32 s4, 0xff
	v_and_b32_sdwa v6, v3, s4 dst_sel:DWORD dst_unused:UNUSED_PAD src0_sel:WORD_1 src1_sel:DWORD
	s_movk_i32 s4, 0x7f
	v_cmp_lt_i16_e32 vcc, s4, v6
	s_mov_b64 s[4:5], 0
                                        ; implicit-def: $sgpr10
	s_and_saveexec_b64 s[6:7], vcc
	s_xor_b64 s[6:7], exec, s[6:7]
	s_cbranch_execnz .LBB11_3637
; %bb.1589:
	s_or_saveexec_b64 s[6:7], s[6:7]
	v_mov_b32_e32 v12, s10
	s_xor_b64 exec, exec, s[6:7]
	s_cbranch_execnz .LBB11_3640
.LBB11_1590:
	s_or_b64 exec, exec, s[6:7]
	s_and_saveexec_b64 s[6:7], s[4:5]
	s_cbranch_execz .LBB11_1592
.LBB11_1591:
	v_bfe_u32 v6, v3, 16, 3
	v_ffbh_u32_e32 v14, v6
	v_min_u32_e32 v14, 32, v14
	v_lshrrev_b32_e32 v12, 19, v3
	v_subrev_u32_e32 v15, 28, v14
	v_and_b32_e32 v12, 15, v12
	v_lshlrev_b32_sdwa v15, v15, v3 dst_sel:DWORD dst_unused:UNUSED_PAD src0_sel:DWORD src1_sel:WORD_1
	v_bfe_u32 v13, v3, 19, 4
	v_sub_u32_e32 v14, 29, v14
	v_and_b32_e32 v15, 7, v15
	v_cmp_eq_u16_e32 vcc, 0, v12
	v_cndmask_b32_e32 v6, v6, v15, vcc
	v_cndmask_b32_e32 v12, v13, v14, vcc
	v_lshlrev_b32_e32 v13, 8, v3
	v_mov_b32_e32 v14, 0x3b800000
	v_lshlrev_b32_e32 v6, 20, v6
	v_and_b32_e32 v13, 0x80000000, v13
	v_lshl_add_u32 v12, v12, 23, v14
	v_or3_b32 v12, v13, v12, v6
.LBB11_1592:
	s_or_b64 exec, exec, s[6:7]
	s_nop 0
	v_mfma_f32_16x16x4f32 a[0:3], v2, v12, a[0:3]
	s_movk_i32 s4, 0x7f
	v_cmp_gt_i16_sdwa s[6:7], v7, s4 src0_sel:BYTE_3 src1_sel:DWORD
	s_mov_b64 s[4:5], 0
                                        ; implicit-def: $sgpr10
	s_and_saveexec_b64 s[8:9], s[6:7]
	s_xor_b64 s[6:7], exec, s[8:9]
	s_cbranch_execnz .LBB11_3641
; %bb.1593:
	s_or_saveexec_b64 s[6:7], s[6:7]
	v_mov_b32_e32 v2, s10
	s_xor_b64 exec, exec, s[6:7]
	s_cbranch_execnz .LBB11_3644
.LBB11_1594:
	s_or_b64 exec, exec, s[6:7]
	s_and_saveexec_b64 s[6:7], s[4:5]
	s_cbranch_execz .LBB11_1596
.LBB11_1595:
	v_bfe_u32 v2, v7, 24, 3
	v_ffbh_u32_e32 v14, v2
	v_min_u32_e32 v14, 32, v14
	v_lshrrev_b32_e32 v12, 27, v7
	v_subrev_u32_e32 v15, 28, v14
	v_and_b32_e32 v6, 0x80000000, v7
	v_and_b32_e32 v12, 15, v12
	v_bfe_u32 v13, v7, 27, 4
	v_lshlrev_b32_sdwa v7, v15, v7 dst_sel:DWORD dst_unused:UNUSED_PAD src0_sel:DWORD src1_sel:BYTE_3
	v_sub_u32_e32 v14, 29, v14
	v_and_b32_e32 v7, 7, v7
	v_cmp_eq_u16_e32 vcc, 0, v12
	v_cndmask_b32_e32 v2, v2, v7, vcc
	v_cndmask_b32_e32 v7, v13, v14, vcc
	v_mov_b32_e32 v12, 0x3b800000
	v_lshlrev_b32_e32 v2, 20, v2
	v_lshl_add_u32 v7, v7, 23, v12
	v_or3_b32 v2, v6, v7, v2
.LBB11_1596:
	s_or_b64 exec, exec, s[6:7]
	s_movk_i32 s4, 0x7f
	v_cmp_gt_i16_sdwa s[6:7], v3, s4 src0_sel:BYTE_3 src1_sel:DWORD
	s_mov_b64 s[4:5], 0
                                        ; implicit-def: $sgpr10
	s_and_saveexec_b64 s[8:9], s[6:7]
	s_xor_b64 s[6:7], exec, s[8:9]
	s_cbranch_execnz .LBB11_3645
; %bb.1597:
	s_or_saveexec_b64 s[6:7], s[6:7]
	v_mov_b32_e32 v6, s10
	s_xor_b64 exec, exec, s[6:7]
	s_cbranch_execnz .LBB11_3648
.LBB11_1598:
	s_or_b64 exec, exec, s[6:7]
	s_and_saveexec_b64 s[6:7], s[4:5]
	s_cbranch_execz .LBB11_1600
.LBB11_1599:
	v_bfe_u32 v6, v3, 24, 3
	v_ffbh_u32_e32 v14, v6
	v_min_u32_e32 v14, 32, v14
	v_lshrrev_b32_e32 v12, 27, v3
	v_subrev_u32_e32 v15, 28, v14
	v_and_b32_e32 v7, 0x80000000, v3
	v_and_b32_e32 v12, 15, v12
	v_bfe_u32 v13, v3, 27, 4
	v_lshlrev_b32_sdwa v3, v15, v3 dst_sel:DWORD dst_unused:UNUSED_PAD src0_sel:DWORD src1_sel:BYTE_3
	v_sub_u32_e32 v14, 29, v14
	v_and_b32_e32 v3, 7, v3
	v_cmp_eq_u16_e32 vcc, 0, v12
	v_cndmask_b32_e32 v3, v6, v3, vcc
	v_cndmask_b32_e32 v6, v13, v14, vcc
	v_mov_b32_e32 v12, 0x3b800000
	v_lshlrev_b32_e32 v3, 20, v3
	v_lshl_add_u32 v6, v6, 23, v12
	v_or3_b32 v6, v7, v6, v3
.LBB11_1600:
	s_or_b64 exec, exec, s[6:7]
	s_nop 0
	v_mfma_f32_16x16x4f32 a[0:3], v2, v6, a[0:3]
	s_movk_i32 s4, 0x7f
	v_cmp_gt_i16_sdwa s[6:7], v8, s4 src0_sel:BYTE_0 src1_sel:DWORD
	s_mov_b64 s[4:5], 0
                                        ; implicit-def: $sgpr10
	s_and_saveexec_b64 s[8:9], s[6:7]
	s_xor_b64 s[6:7], exec, s[8:9]
	s_cbranch_execnz .LBB11_3649
; %bb.1601:
	s_or_saveexec_b64 s[6:7], s[6:7]
	v_mov_b32_e32 v2, s10
	s_xor_b64 exec, exec, s[6:7]
	s_cbranch_execnz .LBB11_3652
.LBB11_1602:
	s_or_b64 exec, exec, s[6:7]
	s_and_saveexec_b64 s[6:7], s[4:5]
	s_cbranch_execz .LBB11_1604
.LBB11_1603:
	v_and_b32_e32 v2, 7, v8
	v_ffbh_u32_e32 v6, v2
	v_min_u32_e32 v6, 32, v6
	v_lshrrev_b16_e32 v3, 3, v8
	v_subrev_u32_e32 v7, 28, v6
	v_and_b32_e32 v3, 15, v3
	v_lshlrev_b32_e32 v7, v7, v8
	v_sub_u32_e32 v6, 29, v6
	v_and_b32_e32 v7, 7, v7
	v_cmp_eq_u16_e32 vcc, 0, v3
	v_cndmask_b32_e32 v2, v2, v7, vcc
	v_cndmask_b32_e32 v3, v3, v6, vcc
	v_lshlrev_b32_e32 v6, 24, v8
	v_mov_b32_e32 v7, 0x3b800000
	v_lshlrev_b32_e32 v2, 20, v2
	v_and_b32_e32 v6, 0x80000000, v6
	v_lshl_add_u32 v3, v3, 23, v7
	v_or3_b32 v2, v6, v3, v2
.LBB11_1604:
	s_or_b64 exec, exec, s[6:7]
	s_movk_i32 s4, 0x7f
	v_cmp_gt_i16_sdwa s[6:7], v4, s4 src0_sel:BYTE_0 src1_sel:DWORD
	s_mov_b64 s[4:5], 0
                                        ; implicit-def: $sgpr10
	s_and_saveexec_b64 s[8:9], s[6:7]
	s_xor_b64 s[6:7], exec, s[8:9]
	s_cbranch_execnz .LBB11_3653
; %bb.1605:
	s_or_saveexec_b64 s[6:7], s[6:7]
	v_mov_b32_e32 v3, s10
	s_xor_b64 exec, exec, s[6:7]
	s_cbranch_execnz .LBB11_3656
.LBB11_1606:
	s_or_b64 exec, exec, s[6:7]
	s_and_saveexec_b64 s[6:7], s[4:5]
	s_cbranch_execz .LBB11_1608
.LBB11_1607:
	v_and_b32_e32 v3, 7, v4
	v_ffbh_u32_e32 v7, v3
	v_min_u32_e32 v7, 32, v7
	v_lshrrev_b16_e32 v6, 3, v4
	v_subrev_u32_e32 v12, 28, v7
	v_and_b32_e32 v6, 15, v6
	v_lshlrev_b32_e32 v12, v12, v4
	v_sub_u32_e32 v7, 29, v7
	v_and_b32_e32 v12, 7, v12
	v_cmp_eq_u16_e32 vcc, 0, v6
	v_cndmask_b32_e32 v3, v3, v12, vcc
	v_cndmask_b32_e32 v6, v6, v7, vcc
	v_lshlrev_b32_e32 v7, 24, v4
	v_mov_b32_e32 v12, 0x3b800000
	v_lshlrev_b32_e32 v3, 20, v3
	v_and_b32_e32 v7, 0x80000000, v7
	v_lshl_add_u32 v6, v6, 23, v12
	v_or3_b32 v3, v7, v6, v3
.LBB11_1608:
	s_or_b64 exec, exec, s[6:7]
	s_nop 0
	v_mfma_f32_16x16x4f32 a[0:3], v2, v3, a[0:3]
	v_lshrrev_b32_e32 v3, 8, v8
	s_movk_i32 s4, 0x7f
	v_cmp_gt_i16_sdwa s[6:7], v3, s4 src0_sel:BYTE_0 src1_sel:DWORD
	s_mov_b64 s[4:5], 0
                                        ; implicit-def: $sgpr10
	s_and_saveexec_b64 s[8:9], s[6:7]
	s_xor_b64 s[6:7], exec, s[8:9]
	s_cbranch_execnz .LBB11_3657
; %bb.1609:
	s_or_saveexec_b64 s[6:7], s[6:7]
	v_mov_b32_e32 v2, s10
	s_xor_b64 exec, exec, s[6:7]
	s_cbranch_execnz .LBB11_3660
.LBB11_1610:
	s_or_b64 exec, exec, s[6:7]
	s_and_saveexec_b64 s[6:7], s[4:5]
	s_cbranch_execz .LBB11_1612
.LBB11_1611:
	v_bfe_u32 v2, v8, 8, 3
	v_ffbh_u32_e32 v7, v2
	v_min_u32_e32 v7, 32, v7
	v_lshrrev_b16_e32 v6, 3, v3
	v_subrev_u32_e32 v12, 28, v7
	v_and_b32_e32 v6, 15, v6
	v_lshlrev_b32_e32 v3, v12, v3
	v_sub_u32_e32 v7, 29, v7
	v_and_b32_e32 v3, 7, v3
	v_cmp_eq_u16_e32 vcc, 0, v6
	v_cndmask_b32_e32 v2, v2, v3, vcc
	v_cndmask_b32_e32 v3, v6, v7, vcc
	v_lshlrev_b32_e32 v6, 16, v8
	v_mov_b32_e32 v7, 0x3b800000
	v_lshlrev_b32_e32 v2, 20, v2
	v_and_b32_e32 v6, 0x80000000, v6
	v_lshl_add_u32 v3, v3, 23, v7
	v_or3_b32 v2, v6, v3, v2
.LBB11_1612:
	s_or_b64 exec, exec, s[6:7]
	v_lshrrev_b32_e32 v3, 8, v4
	s_movk_i32 s4, 0x7f
	v_cmp_gt_i16_sdwa s[6:7], v3, s4 src0_sel:BYTE_0 src1_sel:DWORD
	s_mov_b64 s[4:5], 0
                                        ; implicit-def: $sgpr10
	s_and_saveexec_b64 s[8:9], s[6:7]
	s_xor_b64 s[6:7], exec, s[8:9]
	s_cbranch_execnz .LBB11_3661
; %bb.1613:
	s_or_saveexec_b64 s[6:7], s[6:7]
	v_mov_b32_e32 v6, s10
	s_xor_b64 exec, exec, s[6:7]
	s_cbranch_execnz .LBB11_3664
.LBB11_1614:
	s_or_b64 exec, exec, s[6:7]
	s_and_saveexec_b64 s[6:7], s[4:5]
	s_cbranch_execz .LBB11_1616
.LBB11_1615:
	v_bfe_u32 v6, v4, 8, 3
	v_ffbh_u32_e32 v12, v6
	v_min_u32_e32 v12, 32, v12
	v_lshrrev_b16_e32 v7, 3, v3
	v_subrev_u32_e32 v13, 28, v12
	v_and_b32_e32 v7, 15, v7
	v_lshlrev_b32_e32 v3, v13, v3
	v_sub_u32_e32 v12, 29, v12
	v_and_b32_e32 v3, 7, v3
	v_cmp_eq_u16_e32 vcc, 0, v7
	v_cndmask_b32_e32 v3, v6, v3, vcc
	v_cndmask_b32_e32 v6, v7, v12, vcc
	v_lshlrev_b32_e32 v7, 16, v4
	v_mov_b32_e32 v12, 0x3b800000
	v_lshlrev_b32_e32 v3, 20, v3
	v_and_b32_e32 v7, 0x80000000, v7
	v_lshl_add_u32 v6, v6, 23, v12
	v_or3_b32 v6, v7, v6, v3
.LBB11_1616:
	s_or_b64 exec, exec, s[6:7]
	s_nop 0
	v_mfma_f32_16x16x4f32 a[0:3], v2, v6, a[0:3]
	s_movk_i32 s4, 0xff
	v_and_b32_sdwa v3, v8, s4 dst_sel:DWORD dst_unused:UNUSED_PAD src0_sel:WORD_1 src1_sel:DWORD
	s_movk_i32 s4, 0x7f
	v_cmp_lt_i16_e32 vcc, s4, v3
	s_mov_b64 s[4:5], 0
                                        ; implicit-def: $sgpr10
	s_and_saveexec_b64 s[6:7], vcc
	s_xor_b64 s[6:7], exec, s[6:7]
	s_cbranch_execnz .LBB11_3665
; %bb.1617:
	s_or_saveexec_b64 s[6:7], s[6:7]
	v_mov_b32_e32 v2, s10
	s_xor_b64 exec, exec, s[6:7]
	s_cbranch_execnz .LBB11_3668
.LBB11_1618:
	s_or_b64 exec, exec, s[6:7]
	s_and_saveexec_b64 s[6:7], s[4:5]
	s_cbranch_execz .LBB11_1620
.LBB11_1619:
	v_bfe_u32 v2, v8, 16, 3
	v_ffbh_u32_e32 v7, v2
	v_min_u32_e32 v7, 32, v7
	v_lshrrev_b32_e32 v3, 19, v8
	v_subrev_u32_e32 v12, 28, v7
	v_and_b32_e32 v3, 15, v3
	v_lshlrev_b32_sdwa v12, v12, v8 dst_sel:DWORD dst_unused:UNUSED_PAD src0_sel:DWORD src1_sel:WORD_1
	v_bfe_u32 v6, v8, 19, 4
	v_sub_u32_e32 v7, 29, v7
	v_and_b32_e32 v12, 7, v12
	v_cmp_eq_u16_e32 vcc, 0, v3
	v_cndmask_b32_e32 v2, v2, v12, vcc
	v_cndmask_b32_e32 v3, v6, v7, vcc
	v_lshlrev_b32_e32 v6, 8, v8
	v_mov_b32_e32 v7, 0x3b800000
	v_lshlrev_b32_e32 v2, 20, v2
	v_and_b32_e32 v6, 0x80000000, v6
	v_lshl_add_u32 v3, v3, 23, v7
	v_or3_b32 v2, v6, v3, v2
.LBB11_1620:
	s_or_b64 exec, exec, s[6:7]
	s_movk_i32 s4, 0xff
	v_and_b32_sdwa v3, v4, s4 dst_sel:DWORD dst_unused:UNUSED_PAD src0_sel:WORD_1 src1_sel:DWORD
	s_movk_i32 s4, 0x7f
	v_cmp_lt_i16_e32 vcc, s4, v3
	s_mov_b64 s[4:5], 0
                                        ; implicit-def: $sgpr10
	s_and_saveexec_b64 s[6:7], vcc
	s_xor_b64 s[6:7], exec, s[6:7]
	s_cbranch_execnz .LBB11_3669
; %bb.1621:
	s_or_saveexec_b64 s[6:7], s[6:7]
	v_mov_b32_e32 v6, s10
	s_xor_b64 exec, exec, s[6:7]
	s_cbranch_execnz .LBB11_3672
.LBB11_1622:
	s_or_b64 exec, exec, s[6:7]
	s_and_saveexec_b64 s[6:7], s[4:5]
	s_cbranch_execz .LBB11_1624
.LBB11_1623:
	v_bfe_u32 v3, v4, 16, 3
	v_ffbh_u32_e32 v12, v3
	v_min_u32_e32 v12, 32, v12
	v_lshrrev_b32_e32 v6, 19, v4
	v_subrev_u32_e32 v13, 28, v12
	v_and_b32_e32 v6, 15, v6
	v_lshlrev_b32_sdwa v13, v13, v4 dst_sel:DWORD dst_unused:UNUSED_PAD src0_sel:DWORD src1_sel:WORD_1
	v_bfe_u32 v7, v4, 19, 4
	v_sub_u32_e32 v12, 29, v12
	v_and_b32_e32 v13, 7, v13
	v_cmp_eq_u16_e32 vcc, 0, v6
	v_cndmask_b32_e32 v3, v3, v13, vcc
	v_cndmask_b32_e32 v6, v7, v12, vcc
	v_lshlrev_b32_e32 v7, 8, v4
	v_mov_b32_e32 v12, 0x3b800000
	v_lshlrev_b32_e32 v3, 20, v3
	v_and_b32_e32 v7, 0x80000000, v7
	v_lshl_add_u32 v6, v6, 23, v12
	v_or3_b32 v6, v7, v6, v3
.LBB11_1624:
	s_or_b64 exec, exec, s[6:7]
	s_nop 0
	v_mfma_f32_16x16x4f32 a[0:3], v2, v6, a[0:3]
	s_movk_i32 s4, 0x7f
	v_cmp_gt_i16_sdwa s[6:7], v8, s4 src0_sel:BYTE_3 src1_sel:DWORD
	s_mov_b64 s[4:5], 0
                                        ; implicit-def: $sgpr10
	s_and_saveexec_b64 s[8:9], s[6:7]
	s_xor_b64 s[6:7], exec, s[8:9]
	s_cbranch_execnz .LBB11_3673
; %bb.1625:
	s_or_saveexec_b64 s[6:7], s[6:7]
	v_mov_b32_e32 v2, s10
	s_xor_b64 exec, exec, s[6:7]
	s_cbranch_execnz .LBB11_3676
.LBB11_1626:
	s_or_b64 exec, exec, s[6:7]
	s_and_saveexec_b64 s[6:7], s[4:5]
	s_cbranch_execz .LBB11_1628
.LBB11_1627:
	v_bfe_u32 v2, v8, 24, 3
	v_ffbh_u32_e32 v12, v2
	v_min_u32_e32 v12, 32, v12
	v_lshrrev_b32_e32 v6, 27, v8
	v_subrev_u32_e32 v13, 28, v12
	v_and_b32_e32 v3, 0x80000000, v8
	v_and_b32_e32 v6, 15, v6
	v_bfe_u32 v7, v8, 27, 4
	v_lshlrev_b32_sdwa v8, v13, v8 dst_sel:DWORD dst_unused:UNUSED_PAD src0_sel:DWORD src1_sel:BYTE_3
	v_sub_u32_e32 v12, 29, v12
	v_and_b32_e32 v8, 7, v8
	v_cmp_eq_u16_e32 vcc, 0, v6
	v_cndmask_b32_e32 v2, v2, v8, vcc
	v_cndmask_b32_e32 v6, v7, v12, vcc
	v_mov_b32_e32 v7, 0x3b800000
	v_lshlrev_b32_e32 v2, 20, v2
	v_lshl_add_u32 v6, v6, 23, v7
	v_or3_b32 v2, v3, v6, v2
.LBB11_1628:
	s_or_b64 exec, exec, s[6:7]
	s_movk_i32 s4, 0x7f
	v_cmp_gt_i16_sdwa s[6:7], v4, s4 src0_sel:BYTE_3 src1_sel:DWORD
	s_mov_b64 s[4:5], 0
                                        ; implicit-def: $sgpr10
	s_and_saveexec_b64 s[8:9], s[6:7]
	s_xor_b64 s[6:7], exec, s[8:9]
	s_cbranch_execnz .LBB11_3677
; %bb.1629:
	s_or_saveexec_b64 s[6:7], s[6:7]
	v_mov_b32_e32 v3, s10
	s_xor_b64 exec, exec, s[6:7]
	s_cbranch_execnz .LBB11_3680
.LBB11_1630:
	s_or_b64 exec, exec, s[6:7]
	s_and_saveexec_b64 s[6:7], s[4:5]
	s_cbranch_execz .LBB11_1632
.LBB11_1631:
	v_bfe_u32 v3, v4, 24, 3
	v_ffbh_u32_e32 v12, v3
	v_min_u32_e32 v12, 32, v12
	v_lshrrev_b32_e32 v7, 27, v4
	v_subrev_u32_e32 v13, 28, v12
	v_and_b32_e32 v6, 0x80000000, v4
	v_and_b32_e32 v7, 15, v7
	v_bfe_u32 v8, v4, 27, 4
	v_lshlrev_b32_sdwa v4, v13, v4 dst_sel:DWORD dst_unused:UNUSED_PAD src0_sel:DWORD src1_sel:BYTE_3
	v_sub_u32_e32 v12, 29, v12
	v_and_b32_e32 v4, 7, v4
	v_cmp_eq_u16_e32 vcc, 0, v7
	v_cndmask_b32_e32 v3, v3, v4, vcc
	v_cndmask_b32_e32 v4, v8, v12, vcc
	v_mov_b32_e32 v7, 0x3b800000
	v_lshlrev_b32_e32 v3, 20, v3
	v_lshl_add_u32 v4, v4, 23, v7
	v_or3_b32 v3, v6, v4, v3
.LBB11_1632:
	s_or_b64 exec, exec, s[6:7]
	s_nop 0
	v_mfma_f32_16x16x4f32 a[0:3], v2, v3, a[0:3]
	s_movk_i32 s4, 0x7f
	v_cmp_gt_i16_sdwa s[6:7], v9, s4 src0_sel:BYTE_0 src1_sel:DWORD
	s_mov_b64 s[4:5], 0
                                        ; implicit-def: $sgpr10
	s_and_saveexec_b64 s[8:9], s[6:7]
	s_xor_b64 s[6:7], exec, s[8:9]
	s_cbranch_execnz .LBB11_3681
; %bb.1633:
	s_or_saveexec_b64 s[6:7], s[6:7]
	v_mov_b32_e32 v2, s10
	s_xor_b64 exec, exec, s[6:7]
	s_cbranch_execnz .LBB11_3684
.LBB11_1634:
	s_or_b64 exec, exec, s[6:7]
	s_and_saveexec_b64 s[6:7], s[4:5]
	s_cbranch_execz .LBB11_1636
.LBB11_1635:
	v_mov_b32_e32 v2, 8
	v_and_b32_e32 v3, 7, v9
	v_lshrrev_b32_sdwa v2, v2, v9 dst_sel:BYTE_1 dst_unused:UNUSED_PAD src0_sel:DWORD src1_sel:DWORD
	v_ffbh_u32_e32 v4, v3
	v_or_b32_sdwa v2, v9, v2 dst_sel:DWORD dst_unused:UNUSED_PAD src0_sel:BYTE_0 src1_sel:DWORD
	v_min_u32_e32 v4, 32, v4
	v_lshrrev_b16_e32 v2, 3, v2
	v_subrev_u32_e32 v6, 28, v4
	v_and_b32_e32 v2, 15, v2
	v_lshlrev_b32_e32 v6, v6, v9
	v_sub_u32_e32 v4, 29, v4
	v_and_b32_e32 v6, 7, v6
	v_cmp_eq_u16_e32 vcc, 0, v2
	v_cndmask_b32_e32 v3, v3, v6, vcc
	v_cndmask_b32_e32 v2, v2, v4, vcc
	v_lshlrev_b32_e32 v4, 24, v9
	v_mov_b32_e32 v6, 0x3b800000
	v_lshlrev_b32_e32 v3, 20, v3
	v_and_b32_e32 v4, 0x80000000, v4
	v_lshl_add_u32 v2, v2, 23, v6
	v_or3_b32 v2, v4, v2, v3
.LBB11_1636:
	s_or_b64 exec, exec, s[6:7]
	s_movk_i32 s4, 0x7f
	v_cmp_gt_i16_sdwa s[6:7], v5, s4 src0_sel:BYTE_0 src1_sel:DWORD
	s_mov_b64 s[4:5], 0
                                        ; implicit-def: $sgpr10
	s_and_saveexec_b64 s[8:9], s[6:7]
	s_xor_b64 s[6:7], exec, s[8:9]
	s_cbranch_execnz .LBB11_3685
; %bb.1637:
	s_or_saveexec_b64 s[6:7], s[6:7]
	v_mov_b32_e32 v3, s10
	s_xor_b64 exec, exec, s[6:7]
	s_cbranch_execnz .LBB11_3688
.LBB11_1638:
	s_or_b64 exec, exec, s[6:7]
	s_and_saveexec_b64 s[6:7], s[4:5]
	s_cbranch_execz .LBB11_1640
.LBB11_1639:
	v_mov_b32_e32 v3, 8
	v_and_b32_e32 v4, 7, v5
	v_lshrrev_b32_sdwa v3, v3, v5 dst_sel:BYTE_1 dst_unused:UNUSED_PAD src0_sel:DWORD src1_sel:DWORD
	v_ffbh_u32_e32 v6, v4
	v_or_b32_sdwa v3, v5, v3 dst_sel:DWORD dst_unused:UNUSED_PAD src0_sel:BYTE_0 src1_sel:DWORD
	v_min_u32_e32 v6, 32, v6
	v_lshrrev_b16_e32 v3, 3, v3
	v_subrev_u32_e32 v7, 28, v6
	v_and_b32_e32 v3, 15, v3
	v_lshlrev_b32_e32 v7, v7, v5
	v_sub_u32_e32 v6, 29, v6
	v_and_b32_e32 v7, 7, v7
	v_cmp_eq_u16_e32 vcc, 0, v3
	v_cndmask_b32_e32 v4, v4, v7, vcc
	v_cndmask_b32_e32 v3, v3, v6, vcc
	v_lshlrev_b32_e32 v6, 24, v5
	v_mov_b32_e32 v7, 0x3b800000
	v_lshlrev_b32_e32 v4, 20, v4
	v_and_b32_e32 v6, 0x80000000, v6
	v_lshl_add_u32 v3, v3, 23, v7
	v_or3_b32 v3, v6, v3, v4
.LBB11_1640:
	s_or_b64 exec, exec, s[6:7]
	s_nop 0
	v_mfma_f32_16x16x4f32 a[0:3], v2, v3, a[0:3]
	v_lshrrev_b32_e32 v3, 8, v9
	s_movk_i32 s4, 0x7f
	v_cmp_gt_i16_sdwa s[6:7], v3, s4 src0_sel:BYTE_0 src1_sel:DWORD
	s_mov_b64 s[4:5], 0
                                        ; implicit-def: $sgpr10
	s_and_saveexec_b64 s[8:9], s[6:7]
	s_xor_b64 s[6:7], exec, s[8:9]
	s_cbranch_execnz .LBB11_3689
; %bb.1641:
	s_or_saveexec_b64 s[6:7], s[6:7]
	v_mov_b32_e32 v2, s10
	s_xor_b64 exec, exec, s[6:7]
	s_cbranch_execnz .LBB11_3692
.LBB11_1642:
	s_or_b64 exec, exec, s[6:7]
	s_and_saveexec_b64 s[6:7], s[4:5]
	s_cbranch_execz .LBB11_1644
.LBB11_1643:
	v_bfe_u32 v2, v9, 8, 3
	v_ffbh_u32_e32 v6, v2
	v_min_u32_e32 v6, 32, v6
	v_lshrrev_b16_e32 v4, 3, v3
	v_subrev_u32_e32 v7, 28, v6
	v_and_b32_e32 v4, 15, v4
	v_lshlrev_b32_e32 v3, v7, v3
	v_sub_u32_e32 v6, 29, v6
	v_and_b32_e32 v3, 7, v3
	v_cmp_eq_u16_e32 vcc, 0, v4
	v_cndmask_b32_e32 v2, v2, v3, vcc
	v_cndmask_b32_e32 v3, v4, v6, vcc
	v_lshlrev_b32_e32 v4, 16, v9
	v_mov_b32_e32 v6, 0x3b800000
	v_lshlrev_b32_e32 v2, 20, v2
	v_and_b32_e32 v4, 0x80000000, v4
	v_lshl_add_u32 v3, v3, 23, v6
	v_or3_b32 v2, v4, v3, v2
.LBB11_1644:
	s_or_b64 exec, exec, s[6:7]
	v_lshrrev_b32_e32 v3, 8, v5
	s_movk_i32 s4, 0x7f
	v_cmp_gt_i16_sdwa s[6:7], v3, s4 src0_sel:BYTE_0 src1_sel:DWORD
	s_mov_b64 s[4:5], 0
                                        ; implicit-def: $sgpr10
	s_and_saveexec_b64 s[8:9], s[6:7]
	s_xor_b64 s[6:7], exec, s[8:9]
	s_cbranch_execnz .LBB11_3693
; %bb.1645:
	s_or_saveexec_b64 s[6:7], s[6:7]
	v_mov_b32_e32 v4, s10
	s_xor_b64 exec, exec, s[6:7]
	s_cbranch_execnz .LBB11_3696
.LBB11_1646:
	s_or_b64 exec, exec, s[6:7]
	s_and_saveexec_b64 s[6:7], s[4:5]
	s_cbranch_execz .LBB11_1648
.LBB11_1647:
	v_bfe_u32 v4, v5, 8, 3
	v_ffbh_u32_e32 v7, v4
	v_min_u32_e32 v7, 32, v7
	v_lshrrev_b16_e32 v6, 3, v3
	v_subrev_u32_e32 v8, 28, v7
	v_and_b32_e32 v6, 15, v6
	v_lshlrev_b32_e32 v3, v8, v3
	v_sub_u32_e32 v7, 29, v7
	v_and_b32_e32 v3, 7, v3
	v_cmp_eq_u16_e32 vcc, 0, v6
	v_cndmask_b32_e32 v3, v4, v3, vcc
	v_cndmask_b32_e32 v4, v6, v7, vcc
	v_lshlrev_b32_e32 v6, 16, v5
	v_mov_b32_e32 v7, 0x3b800000
	v_lshlrev_b32_e32 v3, 20, v3
	v_and_b32_e32 v6, 0x80000000, v6
	v_lshl_add_u32 v4, v4, 23, v7
	v_or3_b32 v4, v6, v4, v3
.LBB11_1648:
	s_or_b64 exec, exec, s[6:7]
	s_nop 0
	v_mfma_f32_16x16x4f32 a[0:3], v2, v4, a[0:3]
	s_movk_i32 s4, 0xff
	v_and_b32_sdwa v3, v9, s4 dst_sel:DWORD dst_unused:UNUSED_PAD src0_sel:WORD_1 src1_sel:DWORD
	s_movk_i32 s4, 0x7f
	v_cmp_lt_i16_e32 vcc, s4, v3
	s_mov_b64 s[4:5], 0
                                        ; implicit-def: $sgpr10
	s_and_saveexec_b64 s[6:7], vcc
	s_xor_b64 s[6:7], exec, s[6:7]
	s_cbranch_execnz .LBB11_3697
; %bb.1649:
	s_or_saveexec_b64 s[6:7], s[6:7]
	v_mov_b32_e32 v2, s10
	s_xor_b64 exec, exec, s[6:7]
	s_cbranch_execnz .LBB11_3700
.LBB11_1650:
	s_or_b64 exec, exec, s[6:7]
	s_and_saveexec_b64 s[6:7], s[4:5]
	s_cbranch_execz .LBB11_1652
.LBB11_1651:
	v_bfe_u32 v2, v9, 16, 3
	v_ffbh_u32_e32 v6, v2
	v_min_u32_e32 v6, 32, v6
	v_lshrrev_b32_e32 v3, 19, v9
	v_subrev_u32_e32 v7, 28, v6
	v_and_b32_e32 v3, 15, v3
	v_lshlrev_b32_sdwa v7, v7, v9 dst_sel:DWORD dst_unused:UNUSED_PAD src0_sel:DWORD src1_sel:WORD_1
	v_bfe_u32 v4, v9, 19, 4
	v_sub_u32_e32 v6, 29, v6
	v_and_b32_e32 v7, 7, v7
	v_cmp_eq_u16_e32 vcc, 0, v3
	v_cndmask_b32_e32 v2, v2, v7, vcc
	v_cndmask_b32_e32 v3, v4, v6, vcc
	v_lshlrev_b32_e32 v4, 8, v9
	v_mov_b32_e32 v6, 0x3b800000
	v_lshlrev_b32_e32 v2, 20, v2
	v_and_b32_e32 v4, 0x80000000, v4
	v_lshl_add_u32 v3, v3, 23, v6
	v_or3_b32 v2, v4, v3, v2
.LBB11_1652:
	s_or_b64 exec, exec, s[6:7]
	s_movk_i32 s4, 0xff
	v_and_b32_sdwa v3, v5, s4 dst_sel:DWORD dst_unused:UNUSED_PAD src0_sel:WORD_1 src1_sel:DWORD
	s_movk_i32 s4, 0x7f
	v_cmp_lt_i16_e32 vcc, s4, v3
	s_mov_b64 s[4:5], 0
                                        ; implicit-def: $sgpr10
	s_and_saveexec_b64 s[6:7], vcc
	s_xor_b64 s[6:7], exec, s[6:7]
	s_cbranch_execnz .LBB11_3701
; %bb.1653:
	s_or_saveexec_b64 s[6:7], s[6:7]
	v_mov_b32_e32 v4, s10
	s_xor_b64 exec, exec, s[6:7]
	s_cbranch_execnz .LBB11_3704
.LBB11_1654:
	s_or_b64 exec, exec, s[6:7]
	s_and_saveexec_b64 s[6:7], s[4:5]
	s_cbranch_execz .LBB11_1656
.LBB11_1655:
	v_bfe_u32 v3, v5, 16, 3
	v_ffbh_u32_e32 v7, v3
	v_min_u32_e32 v7, 32, v7
	v_lshrrev_b32_e32 v4, 19, v5
	v_subrev_u32_e32 v8, 28, v7
	v_and_b32_e32 v4, 15, v4
	v_lshlrev_b32_sdwa v8, v8, v5 dst_sel:DWORD dst_unused:UNUSED_PAD src0_sel:DWORD src1_sel:WORD_1
	v_bfe_u32 v6, v5, 19, 4
	v_sub_u32_e32 v7, 29, v7
	v_and_b32_e32 v8, 7, v8
	v_cmp_eq_u16_e32 vcc, 0, v4
	v_cndmask_b32_e32 v3, v3, v8, vcc
	v_cndmask_b32_e32 v4, v6, v7, vcc
	v_lshlrev_b32_e32 v6, 8, v5
	v_mov_b32_e32 v7, 0x3b800000
	v_lshlrev_b32_e32 v3, 20, v3
	v_and_b32_e32 v6, 0x80000000, v6
	v_lshl_add_u32 v4, v4, 23, v7
	v_or3_b32 v4, v6, v4, v3
.LBB11_1656:
	s_or_b64 exec, exec, s[6:7]
	s_nop 0
	v_mfma_f32_16x16x4f32 a[0:3], v2, v4, a[0:3]
	s_movk_i32 s4, 0x7f
	v_cmp_gt_i16_sdwa s[6:7], v9, s4 src0_sel:BYTE_3 src1_sel:DWORD
	s_mov_b64 s[4:5], 0
                                        ; implicit-def: $sgpr10
	s_and_saveexec_b64 s[8:9], s[6:7]
	s_xor_b64 s[6:7], exec, s[8:9]
	s_cbranch_execnz .LBB11_3705
; %bb.1657:
	s_or_saveexec_b64 s[6:7], s[6:7]
	v_mov_b32_e32 v2, s10
	s_xor_b64 exec, exec, s[6:7]
	s_cbranch_execnz .LBB11_3708
.LBB11_1658:
	s_or_b64 exec, exec, s[6:7]
	s_and_saveexec_b64 s[6:7], s[4:5]
	s_cbranch_execz .LBB11_1660
.LBB11_1659:
	v_bfe_u32 v2, v9, 24, 3
	v_ffbh_u32_e32 v7, v2
	v_min_u32_e32 v7, 32, v7
	v_lshrrev_b32_e32 v4, 27, v9
	v_subrev_u32_e32 v8, 28, v7
	v_and_b32_e32 v4, 15, v4
	v_lshlrev_b32_sdwa v8, v8, v9 dst_sel:DWORD dst_unused:UNUSED_PAD src0_sel:DWORD src1_sel:BYTE_3
	v_bfe_u32 v6, v9, 27, 4
	v_sub_u32_e32 v7, 29, v7
	v_and_b32_e32 v8, 7, v8
	v_cmp_eq_u16_e32 vcc, 0, v4
	v_cndmask_b32_e32 v2, v2, v8, vcc
	v_cndmask_b32_e32 v4, v6, v7, vcc
	v_mov_b32_e32 v6, 0x3b800000
	v_and_b32_e32 v3, 0x80000000, v9
	v_lshlrev_b32_e32 v2, 20, v2
	v_lshl_add_u32 v4, v4, 23, v6
	v_or3_b32 v2, v3, v4, v2
.LBB11_1660:
	s_or_b64 exec, exec, s[6:7]
	s_movk_i32 s4, 0x7f
	v_cmp_gt_i16_sdwa s[6:7], v5, s4 src0_sel:BYTE_3 src1_sel:DWORD
	s_mov_b64 s[4:5], 0
                                        ; implicit-def: $sgpr10
	s_and_saveexec_b64 s[8:9], s[6:7]
	s_xor_b64 s[6:7], exec, s[8:9]
	s_cbranch_execnz .LBB11_3709
; %bb.1661:
	s_or_saveexec_b64 s[6:7], s[6:7]
	v_mov_b32_e32 v3, s10
	s_xor_b64 exec, exec, s[6:7]
	s_cbranch_execnz .LBB11_3712
.LBB11_1662:
	s_or_b64 exec, exec, s[6:7]
	s_and_saveexec_b64 s[6:7], s[4:5]
	s_cbranch_execz .LBB11_1664
.LBB11_1663:
	v_bfe_u32 v3, v5, 24, 3
	v_ffbh_u32_e32 v8, v3
	v_min_u32_e32 v8, 32, v8
	v_lshrrev_b32_e32 v6, 27, v5
	v_subrev_u32_e32 v9, 28, v8
	v_and_b32_e32 v4, 0x80000000, v5
	v_and_b32_e32 v6, 15, v6
	v_bfe_u32 v7, v5, 27, 4
	v_lshlrev_b32_sdwa v5, v9, v5 dst_sel:DWORD dst_unused:UNUSED_PAD src0_sel:DWORD src1_sel:BYTE_3
	v_sub_u32_e32 v8, 29, v8
	v_and_b32_e32 v5, 7, v5
	v_cmp_eq_u16_e32 vcc, 0, v6
	v_cndmask_b32_e32 v3, v3, v5, vcc
	v_cndmask_b32_e32 v5, v7, v8, vcc
	v_mov_b32_e32 v6, 0x3b800000
	v_lshlrev_b32_e32 v3, 20, v3
	v_lshl_add_u32 v5, v5, 23, v6
	v_or3_b32 v3, v4, v5, v3
.LBB11_1664:
	s_or_b64 exec, exec, s[6:7]
	s_nop 0
	v_mfma_f32_16x16x4f32 a[0:3], v2, v3, a[0:3]
	s_movk_i32 s4, 0x7f
                                        ; implicit-def: $sgpr10
	s_nop 7
	s_nop 1
	flat_store_dwordx4 v[10:11], a[0:3] offset:192
	flat_load_dwordx4 v[12:15], v[0:1] offset:8
	s_nop 0
	flat_load_dwordx2 v[10:11], v[0:1] offset:32
	s_waitcnt vmcnt(0) lgkmcnt(0)
	flat_load_dwordx4 v[6:9], v[12:13] offset:112
	flat_load_dwordx4 v[2:5], v[14:15] offset:48
	s_waitcnt vmcnt(0) lgkmcnt(0)
	v_cmp_gt_i16_sdwa s[6:7], v6, s4 src0_sel:BYTE_0 src1_sel:DWORD
	s_mov_b64 s[4:5], 0
	s_and_saveexec_b64 s[8:9], s[6:7]
	s_xor_b64 s[6:7], exec, s[8:9]
	s_cbranch_execnz .LBB11_3713
; %bb.1665:
	s_or_saveexec_b64 s[6:7], s[6:7]
	v_mov_b32_e32 v12, s10
	s_xor_b64 exec, exec, s[6:7]
	s_cbranch_execnz .LBB11_3716
.LBB11_1666:
	s_or_b64 exec, exec, s[6:7]
	s_and_saveexec_b64 s[6:7], s[4:5]
	s_cbranch_execz .LBB11_1668
.LBB11_1667:
	v_and_b32_e32 v12, 7, v6
	v_ffbh_u32_e32 v14, v12
	v_min_u32_e32 v14, 32, v14
	v_lshrrev_b16_e32 v13, 3, v6
	v_subrev_u32_e32 v15, 28, v14
	v_and_b32_e32 v13, 15, v13
	v_lshlrev_b32_e32 v15, v15, v6
	v_sub_u32_e32 v14, 29, v14
	v_and_b32_e32 v15, 7, v15
	v_cmp_eq_u16_e32 vcc, 0, v13
	v_cndmask_b32_e32 v12, v12, v15, vcc
	v_cndmask_b32_e32 v13, v13, v14, vcc
	v_lshlrev_b32_e32 v14, 24, v6
	v_mov_b32_e32 v15, 0x3b800000
	v_lshlrev_b32_e32 v12, 20, v12
	v_and_b32_e32 v14, 0x80000000, v14
	v_lshl_add_u32 v13, v13, 23, v15
	v_or3_b32 v12, v14, v13, v12
.LBB11_1668:
	s_or_b64 exec, exec, s[6:7]
	s_movk_i32 s4, 0x7f
	v_cmp_gt_i16_sdwa s[6:7], v2, s4 src0_sel:BYTE_0 src1_sel:DWORD
	s_mov_b64 s[4:5], 0
                                        ; implicit-def: $sgpr10
	s_and_saveexec_b64 s[8:9], s[6:7]
	s_xor_b64 s[6:7], exec, s[8:9]
	s_cbranch_execnz .LBB11_3717
; %bb.1669:
	s_or_saveexec_b64 s[6:7], s[6:7]
	v_mov_b32_e32 v13, s10
	s_xor_b64 exec, exec, s[6:7]
	s_cbranch_execnz .LBB11_3720
.LBB11_1670:
	s_or_b64 exec, exec, s[6:7]
	s_and_saveexec_b64 s[6:7], s[4:5]
	s_cbranch_execz .LBB11_1672
.LBB11_1671:
	v_and_b32_e32 v13, 7, v2
	v_ffbh_u32_e32 v15, v13
	v_min_u32_e32 v15, 32, v15
	v_lshrrev_b16_e32 v14, 3, v2
	v_subrev_u32_e32 v16, 28, v15
	v_and_b32_e32 v14, 15, v14
	v_lshlrev_b32_e32 v16, v16, v2
	v_sub_u32_e32 v15, 29, v15
	v_and_b32_e32 v16, 7, v16
	v_cmp_eq_u16_e32 vcc, 0, v14
	v_cndmask_b32_e32 v13, v13, v16, vcc
	v_cndmask_b32_e32 v14, v14, v15, vcc
	v_lshlrev_b32_e32 v15, 24, v2
	v_mov_b32_e32 v16, 0x3b800000
	v_lshlrev_b32_e32 v13, 20, v13
	v_and_b32_e32 v15, 0x80000000, v15
	v_lshl_add_u32 v14, v14, 23, v16
	v_or3_b32 v13, v15, v14, v13
.LBB11_1672:
	s_or_b64 exec, exec, s[6:7]
	flat_load_dwordx4 a[0:3], v[10:11] offset:208
	s_movk_i32 s4, 0x7f
                                        ; implicit-def: $sgpr10
	s_waitcnt vmcnt(0) lgkmcnt(0)
	v_mfma_f32_16x16x4f32 a[0:3], v12, v13, a[0:3]
	v_lshrrev_b32_e32 v13, 8, v6
	v_cmp_gt_i16_sdwa s[6:7], v13, s4 src0_sel:BYTE_0 src1_sel:DWORD
	s_mov_b64 s[4:5], 0
	s_and_saveexec_b64 s[8:9], s[6:7]
	s_xor_b64 s[6:7], exec, s[8:9]
	s_cbranch_execnz .LBB11_3721
; %bb.1673:
	s_or_saveexec_b64 s[6:7], s[6:7]
	v_mov_b32_e32 v12, s10
	s_xor_b64 exec, exec, s[6:7]
	s_cbranch_execnz .LBB11_3724
.LBB11_1674:
	s_or_b64 exec, exec, s[6:7]
	s_and_saveexec_b64 s[6:7], s[4:5]
	s_cbranch_execz .LBB11_1676
.LBB11_1675:
	v_bfe_u32 v12, v6, 8, 3
	v_ffbh_u32_e32 v15, v12
	v_min_u32_e32 v15, 32, v15
	v_lshrrev_b16_e32 v14, 3, v13
	v_subrev_u32_e32 v16, 28, v15
	v_and_b32_e32 v14, 15, v14
	v_lshlrev_b32_e32 v13, v16, v13
	v_sub_u32_e32 v15, 29, v15
	v_and_b32_e32 v13, 7, v13
	v_cmp_eq_u16_e32 vcc, 0, v14
	v_cndmask_b32_e32 v12, v12, v13, vcc
	v_cndmask_b32_e32 v13, v14, v15, vcc
	v_lshlrev_b32_e32 v14, 16, v6
	v_mov_b32_e32 v15, 0x3b800000
	v_lshlrev_b32_e32 v12, 20, v12
	v_and_b32_e32 v14, 0x80000000, v14
	v_lshl_add_u32 v13, v13, 23, v15
	v_or3_b32 v12, v14, v13, v12
.LBB11_1676:
	s_or_b64 exec, exec, s[6:7]
	v_lshrrev_b32_e32 v13, 8, v2
	s_movk_i32 s4, 0x7f
	v_cmp_gt_i16_sdwa s[6:7], v13, s4 src0_sel:BYTE_0 src1_sel:DWORD
	s_mov_b64 s[4:5], 0
                                        ; implicit-def: $sgpr10
	s_and_saveexec_b64 s[8:9], s[6:7]
	s_xor_b64 s[6:7], exec, s[8:9]
	s_cbranch_execnz .LBB11_3725
; %bb.1677:
	s_or_saveexec_b64 s[6:7], s[6:7]
	v_mov_b32_e32 v14, s10
	s_xor_b64 exec, exec, s[6:7]
	s_cbranch_execnz .LBB11_3728
.LBB11_1678:
	s_or_b64 exec, exec, s[6:7]
	s_and_saveexec_b64 s[6:7], s[4:5]
	s_cbranch_execz .LBB11_1680
.LBB11_1679:
	v_bfe_u32 v14, v2, 8, 3
	v_ffbh_u32_e32 v16, v14
	v_min_u32_e32 v16, 32, v16
	v_lshrrev_b16_e32 v15, 3, v13
	v_subrev_u32_e32 v17, 28, v16
	v_and_b32_e32 v15, 15, v15
	v_lshlrev_b32_e32 v13, v17, v13
	v_sub_u32_e32 v16, 29, v16
	v_and_b32_e32 v13, 7, v13
	v_cmp_eq_u16_e32 vcc, 0, v15
	v_cndmask_b32_e32 v13, v14, v13, vcc
	v_cndmask_b32_e32 v14, v15, v16, vcc
	v_lshlrev_b32_e32 v15, 16, v2
	v_mov_b32_e32 v16, 0x3b800000
	v_lshlrev_b32_e32 v13, 20, v13
	v_and_b32_e32 v15, 0x80000000, v15
	v_lshl_add_u32 v14, v14, 23, v16
	v_or3_b32 v14, v15, v14, v13
.LBB11_1680:
	s_or_b64 exec, exec, s[6:7]
	s_nop 0
	v_mfma_f32_16x16x4f32 a[0:3], v12, v14, a[0:3]
	s_movk_i32 s4, 0xff
	v_and_b32_sdwa v13, v6, s4 dst_sel:DWORD dst_unused:UNUSED_PAD src0_sel:WORD_1 src1_sel:DWORD
	s_movk_i32 s4, 0x7f
	v_cmp_lt_i16_e32 vcc, s4, v13
	s_mov_b64 s[4:5], 0
                                        ; implicit-def: $sgpr10
	s_and_saveexec_b64 s[6:7], vcc
	s_xor_b64 s[6:7], exec, s[6:7]
	s_cbranch_execnz .LBB11_3729
; %bb.1681:
	s_or_saveexec_b64 s[6:7], s[6:7]
	v_mov_b32_e32 v12, s10
	s_xor_b64 exec, exec, s[6:7]
	s_cbranch_execnz .LBB11_3732
.LBB11_1682:
	s_or_b64 exec, exec, s[6:7]
	s_and_saveexec_b64 s[6:7], s[4:5]
	s_cbranch_execz .LBB11_1684
.LBB11_1683:
	v_bfe_u32 v12, v6, 16, 3
	v_ffbh_u32_e32 v15, v12
	v_min_u32_e32 v15, 32, v15
	v_lshrrev_b32_e32 v13, 19, v6
	v_subrev_u32_e32 v16, 28, v15
	v_and_b32_e32 v13, 15, v13
	v_lshlrev_b32_sdwa v16, v16, v6 dst_sel:DWORD dst_unused:UNUSED_PAD src0_sel:DWORD src1_sel:WORD_1
	v_bfe_u32 v14, v6, 19, 4
	v_sub_u32_e32 v15, 29, v15
	v_and_b32_e32 v16, 7, v16
	v_cmp_eq_u16_e32 vcc, 0, v13
	v_cndmask_b32_e32 v12, v12, v16, vcc
	v_cndmask_b32_e32 v13, v14, v15, vcc
	v_lshlrev_b32_e32 v14, 8, v6
	v_mov_b32_e32 v15, 0x3b800000
	v_lshlrev_b32_e32 v12, 20, v12
	v_and_b32_e32 v14, 0x80000000, v14
	v_lshl_add_u32 v13, v13, 23, v15
	v_or3_b32 v12, v14, v13, v12
.LBB11_1684:
	s_or_b64 exec, exec, s[6:7]
	s_movk_i32 s4, 0xff
	v_and_b32_sdwa v13, v2, s4 dst_sel:DWORD dst_unused:UNUSED_PAD src0_sel:WORD_1 src1_sel:DWORD
	s_movk_i32 s4, 0x7f
	v_cmp_lt_i16_e32 vcc, s4, v13
	s_mov_b64 s[4:5], 0
                                        ; implicit-def: $sgpr10
	s_and_saveexec_b64 s[6:7], vcc
	s_xor_b64 s[6:7], exec, s[6:7]
	s_cbranch_execnz .LBB11_3733
; %bb.1685:
	s_or_saveexec_b64 s[6:7], s[6:7]
	v_mov_b32_e32 v14, s10
	s_xor_b64 exec, exec, s[6:7]
	s_cbranch_execnz .LBB11_3736
.LBB11_1686:
	s_or_b64 exec, exec, s[6:7]
	s_and_saveexec_b64 s[6:7], s[4:5]
	s_cbranch_execz .LBB11_1688
.LBB11_1687:
	v_bfe_u32 v13, v2, 16, 3
	v_ffbh_u32_e32 v16, v13
	v_min_u32_e32 v16, 32, v16
	v_lshrrev_b32_e32 v14, 19, v2
	v_subrev_u32_e32 v17, 28, v16
	v_and_b32_e32 v14, 15, v14
	v_lshlrev_b32_sdwa v17, v17, v2 dst_sel:DWORD dst_unused:UNUSED_PAD src0_sel:DWORD src1_sel:WORD_1
	v_bfe_u32 v15, v2, 19, 4
	v_sub_u32_e32 v16, 29, v16
	v_and_b32_e32 v17, 7, v17
	v_cmp_eq_u16_e32 vcc, 0, v14
	v_cndmask_b32_e32 v13, v13, v17, vcc
	v_cndmask_b32_e32 v14, v15, v16, vcc
	v_lshlrev_b32_e32 v15, 8, v2
	v_mov_b32_e32 v16, 0x3b800000
	v_lshlrev_b32_e32 v13, 20, v13
	v_and_b32_e32 v15, 0x80000000, v15
	v_lshl_add_u32 v14, v14, 23, v16
	v_or3_b32 v14, v15, v14, v13
.LBB11_1688:
	s_or_b64 exec, exec, s[6:7]
	s_nop 0
	v_mfma_f32_16x16x4f32 a[0:3], v12, v14, a[0:3]
	s_movk_i32 s4, 0x7f
	v_cmp_gt_i16_sdwa s[6:7], v6, s4 src0_sel:BYTE_3 src1_sel:DWORD
	s_mov_b64 s[4:5], 0
                                        ; implicit-def: $sgpr10
	s_and_saveexec_b64 s[8:9], s[6:7]
	s_xor_b64 s[6:7], exec, s[8:9]
	s_cbranch_execnz .LBB11_3737
; %bb.1689:
	s_or_saveexec_b64 s[6:7], s[6:7]
	v_mov_b32_e32 v12, s10
	s_xor_b64 exec, exec, s[6:7]
	s_cbranch_execnz .LBB11_3740
.LBB11_1690:
	s_or_b64 exec, exec, s[6:7]
	s_and_saveexec_b64 s[6:7], s[4:5]
	s_cbranch_execz .LBB11_1692
.LBB11_1691:
	v_bfe_u32 v12, v6, 24, 3
	v_ffbh_u32_e32 v16, v12
	v_min_u32_e32 v16, 32, v16
	v_lshrrev_b32_e32 v14, 27, v6
	v_subrev_u32_e32 v17, 28, v16
	v_and_b32_e32 v13, 0x80000000, v6
	v_and_b32_e32 v14, 15, v14
	v_bfe_u32 v15, v6, 27, 4
	v_lshlrev_b32_sdwa v6, v17, v6 dst_sel:DWORD dst_unused:UNUSED_PAD src0_sel:DWORD src1_sel:BYTE_3
	v_sub_u32_e32 v16, 29, v16
	v_and_b32_e32 v6, 7, v6
	v_cmp_eq_u16_e32 vcc, 0, v14
	v_cndmask_b32_e32 v6, v12, v6, vcc
	v_cndmask_b32_e32 v12, v15, v16, vcc
	v_mov_b32_e32 v14, 0x3b800000
	v_lshlrev_b32_e32 v6, 20, v6
	v_lshl_add_u32 v12, v12, 23, v14
	v_or3_b32 v12, v13, v12, v6
.LBB11_1692:
	s_or_b64 exec, exec, s[6:7]
	s_movk_i32 s4, 0x7f
	v_cmp_gt_i16_sdwa s[6:7], v2, s4 src0_sel:BYTE_3 src1_sel:DWORD
	s_mov_b64 s[4:5], 0
                                        ; implicit-def: $sgpr10
	s_and_saveexec_b64 s[8:9], s[6:7]
	s_xor_b64 s[6:7], exec, s[8:9]
	s_cbranch_execnz .LBB11_3741
; %bb.1693:
	s_or_saveexec_b64 s[6:7], s[6:7]
	v_mov_b32_e32 v6, s10
	s_xor_b64 exec, exec, s[6:7]
	s_cbranch_execnz .LBB11_3744
.LBB11_1694:
	s_or_b64 exec, exec, s[6:7]
	s_and_saveexec_b64 s[6:7], s[4:5]
	s_cbranch_execz .LBB11_1696
.LBB11_1695:
	v_bfe_u32 v6, v2, 24, 3
	v_ffbh_u32_e32 v16, v6
	v_min_u32_e32 v16, 32, v16
	v_lshrrev_b32_e32 v14, 27, v2
	v_subrev_u32_e32 v17, 28, v16
	v_and_b32_e32 v13, 0x80000000, v2
	v_and_b32_e32 v14, 15, v14
	v_bfe_u32 v15, v2, 27, 4
	v_lshlrev_b32_sdwa v2, v17, v2 dst_sel:DWORD dst_unused:UNUSED_PAD src0_sel:DWORD src1_sel:BYTE_3
	v_sub_u32_e32 v16, 29, v16
	v_and_b32_e32 v2, 7, v2
	v_cmp_eq_u16_e32 vcc, 0, v14
	v_cndmask_b32_e32 v2, v6, v2, vcc
	v_cndmask_b32_e32 v6, v15, v16, vcc
	v_mov_b32_e32 v14, 0x3b800000
	v_lshlrev_b32_e32 v2, 20, v2
	v_lshl_add_u32 v6, v6, 23, v14
	v_or3_b32 v6, v13, v6, v2
.LBB11_1696:
	s_or_b64 exec, exec, s[6:7]
	s_nop 0
	v_mfma_f32_16x16x4f32 a[0:3], v12, v6, a[0:3]
	s_movk_i32 s4, 0x7f
	v_cmp_gt_i16_sdwa s[6:7], v7, s4 src0_sel:BYTE_0 src1_sel:DWORD
	s_mov_b64 s[4:5], 0
                                        ; implicit-def: $sgpr10
	s_and_saveexec_b64 s[8:9], s[6:7]
	s_xor_b64 s[6:7], exec, s[8:9]
	s_cbranch_execnz .LBB11_3745
; %bb.1697:
	s_or_saveexec_b64 s[6:7], s[6:7]
	v_mov_b32_e32 v2, s10
	s_xor_b64 exec, exec, s[6:7]
	s_cbranch_execnz .LBB11_3748
.LBB11_1698:
	s_or_b64 exec, exec, s[6:7]
	s_and_saveexec_b64 s[6:7], s[4:5]
	s_cbranch_execz .LBB11_1700
.LBB11_1699:
	v_and_b32_e32 v2, 7, v7
	v_ffbh_u32_e32 v12, v2
	v_min_u32_e32 v12, 32, v12
	v_lshrrev_b16_e32 v6, 3, v7
	v_subrev_u32_e32 v13, 28, v12
	v_and_b32_e32 v6, 15, v6
	v_lshlrev_b32_e32 v13, v13, v7
	v_sub_u32_e32 v12, 29, v12
	v_and_b32_e32 v13, 7, v13
	v_cmp_eq_u16_e32 vcc, 0, v6
	v_cndmask_b32_e32 v2, v2, v13, vcc
	v_cndmask_b32_e32 v6, v6, v12, vcc
	v_lshlrev_b32_e32 v12, 24, v7
	v_mov_b32_e32 v13, 0x3b800000
	v_lshlrev_b32_e32 v2, 20, v2
	v_and_b32_e32 v12, 0x80000000, v12
	v_lshl_add_u32 v6, v6, 23, v13
	v_or3_b32 v2, v12, v6, v2
.LBB11_1700:
	s_or_b64 exec, exec, s[6:7]
	s_movk_i32 s4, 0x7f
	v_cmp_gt_i16_sdwa s[6:7], v3, s4 src0_sel:BYTE_0 src1_sel:DWORD
	s_mov_b64 s[4:5], 0
                                        ; implicit-def: $sgpr10
	s_and_saveexec_b64 s[8:9], s[6:7]
	s_xor_b64 s[6:7], exec, s[8:9]
	s_cbranch_execnz .LBB11_3749
; %bb.1701:
	s_or_saveexec_b64 s[6:7], s[6:7]
	v_mov_b32_e32 v6, s10
	s_xor_b64 exec, exec, s[6:7]
	s_cbranch_execnz .LBB11_3752
.LBB11_1702:
	s_or_b64 exec, exec, s[6:7]
	s_and_saveexec_b64 s[6:7], s[4:5]
	s_cbranch_execz .LBB11_1704
.LBB11_1703:
	v_and_b32_e32 v6, 7, v3
	v_ffbh_u32_e32 v13, v6
	v_min_u32_e32 v13, 32, v13
	v_lshrrev_b16_e32 v12, 3, v3
	v_subrev_u32_e32 v14, 28, v13
	v_and_b32_e32 v12, 15, v12
	v_lshlrev_b32_e32 v14, v14, v3
	v_sub_u32_e32 v13, 29, v13
	v_and_b32_e32 v14, 7, v14
	v_cmp_eq_u16_e32 vcc, 0, v12
	v_cndmask_b32_e32 v6, v6, v14, vcc
	v_cndmask_b32_e32 v12, v12, v13, vcc
	v_lshlrev_b32_e32 v13, 24, v3
	v_mov_b32_e32 v14, 0x3b800000
	v_lshlrev_b32_e32 v6, 20, v6
	v_and_b32_e32 v13, 0x80000000, v13
	v_lshl_add_u32 v12, v12, 23, v14
	v_or3_b32 v6, v13, v12, v6
.LBB11_1704:
	s_or_b64 exec, exec, s[6:7]
	s_nop 0
	v_mfma_f32_16x16x4f32 a[0:3], v2, v6, a[0:3]
	v_lshrrev_b32_e32 v6, 8, v7
	s_movk_i32 s4, 0x7f
	v_cmp_gt_i16_sdwa s[6:7], v6, s4 src0_sel:BYTE_0 src1_sel:DWORD
	s_mov_b64 s[4:5], 0
                                        ; implicit-def: $sgpr10
	s_and_saveexec_b64 s[8:9], s[6:7]
	s_xor_b64 s[6:7], exec, s[8:9]
	s_cbranch_execnz .LBB11_3753
; %bb.1705:
	s_or_saveexec_b64 s[6:7], s[6:7]
	v_mov_b32_e32 v2, s10
	s_xor_b64 exec, exec, s[6:7]
	s_cbranch_execnz .LBB11_3756
.LBB11_1706:
	s_or_b64 exec, exec, s[6:7]
	s_and_saveexec_b64 s[6:7], s[4:5]
	s_cbranch_execz .LBB11_1708
.LBB11_1707:
	v_bfe_u32 v2, v7, 8, 3
	v_ffbh_u32_e32 v13, v2
	v_min_u32_e32 v13, 32, v13
	v_lshrrev_b16_e32 v12, 3, v6
	v_subrev_u32_e32 v14, 28, v13
	v_and_b32_e32 v12, 15, v12
	v_lshlrev_b32_e32 v6, v14, v6
	v_sub_u32_e32 v13, 29, v13
	v_and_b32_e32 v6, 7, v6
	v_cmp_eq_u16_e32 vcc, 0, v12
	v_cndmask_b32_e32 v2, v2, v6, vcc
	v_cndmask_b32_e32 v6, v12, v13, vcc
	v_lshlrev_b32_e32 v12, 16, v7
	v_mov_b32_e32 v13, 0x3b800000
	v_lshlrev_b32_e32 v2, 20, v2
	v_and_b32_e32 v12, 0x80000000, v12
	v_lshl_add_u32 v6, v6, 23, v13
	v_or3_b32 v2, v12, v6, v2
.LBB11_1708:
	s_or_b64 exec, exec, s[6:7]
	v_lshrrev_b32_e32 v6, 8, v3
	s_movk_i32 s4, 0x7f
	v_cmp_gt_i16_sdwa s[6:7], v6, s4 src0_sel:BYTE_0 src1_sel:DWORD
	s_mov_b64 s[4:5], 0
                                        ; implicit-def: $sgpr10
	s_and_saveexec_b64 s[8:9], s[6:7]
	s_xor_b64 s[6:7], exec, s[8:9]
	s_cbranch_execnz .LBB11_3757
; %bb.1709:
	s_or_saveexec_b64 s[6:7], s[6:7]
	v_mov_b32_e32 v12, s10
	s_xor_b64 exec, exec, s[6:7]
	s_cbranch_execnz .LBB11_3760
.LBB11_1710:
	s_or_b64 exec, exec, s[6:7]
	s_and_saveexec_b64 s[6:7], s[4:5]
	s_cbranch_execz .LBB11_1712
.LBB11_1711:
	v_bfe_u32 v12, v3, 8, 3
	v_ffbh_u32_e32 v14, v12
	v_min_u32_e32 v14, 32, v14
	v_lshrrev_b16_e32 v13, 3, v6
	v_subrev_u32_e32 v15, 28, v14
	v_and_b32_e32 v13, 15, v13
	v_lshlrev_b32_e32 v6, v15, v6
	v_sub_u32_e32 v14, 29, v14
	v_and_b32_e32 v6, 7, v6
	v_cmp_eq_u16_e32 vcc, 0, v13
	v_cndmask_b32_e32 v6, v12, v6, vcc
	v_cndmask_b32_e32 v12, v13, v14, vcc
	v_lshlrev_b32_e32 v13, 16, v3
	v_mov_b32_e32 v14, 0x3b800000
	v_lshlrev_b32_e32 v6, 20, v6
	v_and_b32_e32 v13, 0x80000000, v13
	v_lshl_add_u32 v12, v12, 23, v14
	v_or3_b32 v12, v13, v12, v6
.LBB11_1712:
	s_or_b64 exec, exec, s[6:7]
	s_nop 0
	v_mfma_f32_16x16x4f32 a[0:3], v2, v12, a[0:3]
	s_movk_i32 s4, 0xff
	v_and_b32_sdwa v6, v7, s4 dst_sel:DWORD dst_unused:UNUSED_PAD src0_sel:WORD_1 src1_sel:DWORD
	s_movk_i32 s4, 0x7f
	v_cmp_lt_i16_e32 vcc, s4, v6
	s_mov_b64 s[4:5], 0
                                        ; implicit-def: $sgpr10
	s_and_saveexec_b64 s[6:7], vcc
	s_xor_b64 s[6:7], exec, s[6:7]
	s_cbranch_execnz .LBB11_3761
; %bb.1713:
	s_or_saveexec_b64 s[6:7], s[6:7]
	v_mov_b32_e32 v2, s10
	s_xor_b64 exec, exec, s[6:7]
	s_cbranch_execnz .LBB11_3764
.LBB11_1714:
	s_or_b64 exec, exec, s[6:7]
	s_and_saveexec_b64 s[6:7], s[4:5]
	s_cbranch_execz .LBB11_1716
.LBB11_1715:
	v_bfe_u32 v2, v7, 16, 3
	v_ffbh_u32_e32 v13, v2
	v_min_u32_e32 v13, 32, v13
	v_lshrrev_b32_e32 v6, 19, v7
	v_subrev_u32_e32 v14, 28, v13
	v_and_b32_e32 v6, 15, v6
	v_lshlrev_b32_sdwa v14, v14, v7 dst_sel:DWORD dst_unused:UNUSED_PAD src0_sel:DWORD src1_sel:WORD_1
	v_bfe_u32 v12, v7, 19, 4
	v_sub_u32_e32 v13, 29, v13
	v_and_b32_e32 v14, 7, v14
	v_cmp_eq_u16_e32 vcc, 0, v6
	v_cndmask_b32_e32 v2, v2, v14, vcc
	v_cndmask_b32_e32 v6, v12, v13, vcc
	v_lshlrev_b32_e32 v12, 8, v7
	v_mov_b32_e32 v13, 0x3b800000
	v_lshlrev_b32_e32 v2, 20, v2
	v_and_b32_e32 v12, 0x80000000, v12
	v_lshl_add_u32 v6, v6, 23, v13
	v_or3_b32 v2, v12, v6, v2
.LBB11_1716:
	s_or_b64 exec, exec, s[6:7]
	s_movk_i32 s4, 0xff
	v_and_b32_sdwa v6, v3, s4 dst_sel:DWORD dst_unused:UNUSED_PAD src0_sel:WORD_1 src1_sel:DWORD
	s_movk_i32 s4, 0x7f
	v_cmp_lt_i16_e32 vcc, s4, v6
	s_mov_b64 s[4:5], 0
                                        ; implicit-def: $sgpr10
	s_and_saveexec_b64 s[6:7], vcc
	s_xor_b64 s[6:7], exec, s[6:7]
	s_cbranch_execnz .LBB11_3765
; %bb.1717:
	s_or_saveexec_b64 s[6:7], s[6:7]
	v_mov_b32_e32 v12, s10
	s_xor_b64 exec, exec, s[6:7]
	s_cbranch_execnz .LBB11_3768
.LBB11_1718:
	s_or_b64 exec, exec, s[6:7]
	s_and_saveexec_b64 s[6:7], s[4:5]
	s_cbranch_execz .LBB11_1720
.LBB11_1719:
	v_bfe_u32 v6, v3, 16, 3
	v_ffbh_u32_e32 v14, v6
	v_min_u32_e32 v14, 32, v14
	v_lshrrev_b32_e32 v12, 19, v3
	v_subrev_u32_e32 v15, 28, v14
	v_and_b32_e32 v12, 15, v12
	v_lshlrev_b32_sdwa v15, v15, v3 dst_sel:DWORD dst_unused:UNUSED_PAD src0_sel:DWORD src1_sel:WORD_1
	v_bfe_u32 v13, v3, 19, 4
	v_sub_u32_e32 v14, 29, v14
	v_and_b32_e32 v15, 7, v15
	v_cmp_eq_u16_e32 vcc, 0, v12
	v_cndmask_b32_e32 v6, v6, v15, vcc
	v_cndmask_b32_e32 v12, v13, v14, vcc
	v_lshlrev_b32_e32 v13, 8, v3
	v_mov_b32_e32 v14, 0x3b800000
	v_lshlrev_b32_e32 v6, 20, v6
	v_and_b32_e32 v13, 0x80000000, v13
	v_lshl_add_u32 v12, v12, 23, v14
	v_or3_b32 v12, v13, v12, v6
.LBB11_1720:
	s_or_b64 exec, exec, s[6:7]
	s_nop 0
	v_mfma_f32_16x16x4f32 a[0:3], v2, v12, a[0:3]
	s_movk_i32 s4, 0x7f
	v_cmp_gt_i16_sdwa s[6:7], v7, s4 src0_sel:BYTE_3 src1_sel:DWORD
	s_mov_b64 s[4:5], 0
                                        ; implicit-def: $sgpr10
	s_and_saveexec_b64 s[8:9], s[6:7]
	s_xor_b64 s[6:7], exec, s[8:9]
	s_cbranch_execnz .LBB11_3769
; %bb.1721:
	s_or_saveexec_b64 s[6:7], s[6:7]
	v_mov_b32_e32 v2, s10
	s_xor_b64 exec, exec, s[6:7]
	s_cbranch_execnz .LBB11_3772
.LBB11_1722:
	s_or_b64 exec, exec, s[6:7]
	s_and_saveexec_b64 s[6:7], s[4:5]
	s_cbranch_execz .LBB11_1724
.LBB11_1723:
	v_bfe_u32 v2, v7, 24, 3
	v_ffbh_u32_e32 v14, v2
	v_min_u32_e32 v14, 32, v14
	v_lshrrev_b32_e32 v12, 27, v7
	v_subrev_u32_e32 v15, 28, v14
	v_and_b32_e32 v6, 0x80000000, v7
	v_and_b32_e32 v12, 15, v12
	v_bfe_u32 v13, v7, 27, 4
	v_lshlrev_b32_sdwa v7, v15, v7 dst_sel:DWORD dst_unused:UNUSED_PAD src0_sel:DWORD src1_sel:BYTE_3
	v_sub_u32_e32 v14, 29, v14
	v_and_b32_e32 v7, 7, v7
	v_cmp_eq_u16_e32 vcc, 0, v12
	v_cndmask_b32_e32 v2, v2, v7, vcc
	v_cndmask_b32_e32 v7, v13, v14, vcc
	v_mov_b32_e32 v12, 0x3b800000
	v_lshlrev_b32_e32 v2, 20, v2
	v_lshl_add_u32 v7, v7, 23, v12
	v_or3_b32 v2, v6, v7, v2
.LBB11_1724:
	s_or_b64 exec, exec, s[6:7]
	s_movk_i32 s4, 0x7f
	v_cmp_gt_i16_sdwa s[6:7], v3, s4 src0_sel:BYTE_3 src1_sel:DWORD
	s_mov_b64 s[4:5], 0
                                        ; implicit-def: $sgpr10
	s_and_saveexec_b64 s[8:9], s[6:7]
	s_xor_b64 s[6:7], exec, s[8:9]
	s_cbranch_execnz .LBB11_3773
; %bb.1725:
	s_or_saveexec_b64 s[6:7], s[6:7]
	v_mov_b32_e32 v6, s10
	s_xor_b64 exec, exec, s[6:7]
	s_cbranch_execnz .LBB11_3776
.LBB11_1726:
	s_or_b64 exec, exec, s[6:7]
	s_and_saveexec_b64 s[6:7], s[4:5]
	s_cbranch_execz .LBB11_1728
.LBB11_1727:
	v_bfe_u32 v6, v3, 24, 3
	v_ffbh_u32_e32 v14, v6
	v_min_u32_e32 v14, 32, v14
	v_lshrrev_b32_e32 v12, 27, v3
	v_subrev_u32_e32 v15, 28, v14
	v_and_b32_e32 v7, 0x80000000, v3
	v_and_b32_e32 v12, 15, v12
	v_bfe_u32 v13, v3, 27, 4
	v_lshlrev_b32_sdwa v3, v15, v3 dst_sel:DWORD dst_unused:UNUSED_PAD src0_sel:DWORD src1_sel:BYTE_3
	v_sub_u32_e32 v14, 29, v14
	v_and_b32_e32 v3, 7, v3
	v_cmp_eq_u16_e32 vcc, 0, v12
	v_cndmask_b32_e32 v3, v6, v3, vcc
	v_cndmask_b32_e32 v6, v13, v14, vcc
	v_mov_b32_e32 v12, 0x3b800000
	v_lshlrev_b32_e32 v3, 20, v3
	v_lshl_add_u32 v6, v6, 23, v12
	v_or3_b32 v6, v7, v6, v3
.LBB11_1728:
	s_or_b64 exec, exec, s[6:7]
	s_nop 0
	v_mfma_f32_16x16x4f32 a[0:3], v2, v6, a[0:3]
	s_movk_i32 s4, 0x7f
	v_cmp_gt_i16_sdwa s[6:7], v8, s4 src0_sel:BYTE_0 src1_sel:DWORD
	s_mov_b64 s[4:5], 0
                                        ; implicit-def: $sgpr10
	s_and_saveexec_b64 s[8:9], s[6:7]
	s_xor_b64 s[6:7], exec, s[8:9]
	s_cbranch_execnz .LBB11_3777
; %bb.1729:
	s_or_saveexec_b64 s[6:7], s[6:7]
	v_mov_b32_e32 v2, s10
	s_xor_b64 exec, exec, s[6:7]
	s_cbranch_execnz .LBB11_3780
.LBB11_1730:
	s_or_b64 exec, exec, s[6:7]
	s_and_saveexec_b64 s[6:7], s[4:5]
	s_cbranch_execz .LBB11_1732
.LBB11_1731:
	v_and_b32_e32 v2, 7, v8
	v_ffbh_u32_e32 v6, v2
	v_min_u32_e32 v6, 32, v6
	v_lshrrev_b16_e32 v3, 3, v8
	v_subrev_u32_e32 v7, 28, v6
	v_and_b32_e32 v3, 15, v3
	v_lshlrev_b32_e32 v7, v7, v8
	v_sub_u32_e32 v6, 29, v6
	v_and_b32_e32 v7, 7, v7
	v_cmp_eq_u16_e32 vcc, 0, v3
	v_cndmask_b32_e32 v2, v2, v7, vcc
	v_cndmask_b32_e32 v3, v3, v6, vcc
	v_lshlrev_b32_e32 v6, 24, v8
	v_mov_b32_e32 v7, 0x3b800000
	v_lshlrev_b32_e32 v2, 20, v2
	v_and_b32_e32 v6, 0x80000000, v6
	v_lshl_add_u32 v3, v3, 23, v7
	v_or3_b32 v2, v6, v3, v2
.LBB11_1732:
	s_or_b64 exec, exec, s[6:7]
	s_movk_i32 s4, 0x7f
	v_cmp_gt_i16_sdwa s[6:7], v4, s4 src0_sel:BYTE_0 src1_sel:DWORD
	s_mov_b64 s[4:5], 0
                                        ; implicit-def: $sgpr10
	s_and_saveexec_b64 s[8:9], s[6:7]
	s_xor_b64 s[6:7], exec, s[8:9]
	s_cbranch_execnz .LBB11_3781
; %bb.1733:
	s_or_saveexec_b64 s[6:7], s[6:7]
	v_mov_b32_e32 v3, s10
	s_xor_b64 exec, exec, s[6:7]
	s_cbranch_execnz .LBB11_3784
.LBB11_1734:
	s_or_b64 exec, exec, s[6:7]
	s_and_saveexec_b64 s[6:7], s[4:5]
	s_cbranch_execz .LBB11_1736
.LBB11_1735:
	v_and_b32_e32 v3, 7, v4
	v_ffbh_u32_e32 v7, v3
	v_min_u32_e32 v7, 32, v7
	v_lshrrev_b16_e32 v6, 3, v4
	v_subrev_u32_e32 v12, 28, v7
	v_and_b32_e32 v6, 15, v6
	v_lshlrev_b32_e32 v12, v12, v4
	v_sub_u32_e32 v7, 29, v7
	v_and_b32_e32 v12, 7, v12
	v_cmp_eq_u16_e32 vcc, 0, v6
	v_cndmask_b32_e32 v3, v3, v12, vcc
	v_cndmask_b32_e32 v6, v6, v7, vcc
	v_lshlrev_b32_e32 v7, 24, v4
	v_mov_b32_e32 v12, 0x3b800000
	v_lshlrev_b32_e32 v3, 20, v3
	v_and_b32_e32 v7, 0x80000000, v7
	v_lshl_add_u32 v6, v6, 23, v12
	v_or3_b32 v3, v7, v6, v3
.LBB11_1736:
	s_or_b64 exec, exec, s[6:7]
	s_nop 0
	v_mfma_f32_16x16x4f32 a[0:3], v2, v3, a[0:3]
	v_lshrrev_b32_e32 v3, 8, v8
	s_movk_i32 s4, 0x7f
	v_cmp_gt_i16_sdwa s[6:7], v3, s4 src0_sel:BYTE_0 src1_sel:DWORD
	s_mov_b64 s[4:5], 0
                                        ; implicit-def: $sgpr10
	s_and_saveexec_b64 s[8:9], s[6:7]
	s_xor_b64 s[6:7], exec, s[8:9]
	s_cbranch_execnz .LBB11_3785
; %bb.1737:
	s_or_saveexec_b64 s[6:7], s[6:7]
	v_mov_b32_e32 v2, s10
	s_xor_b64 exec, exec, s[6:7]
	s_cbranch_execnz .LBB11_3788
.LBB11_1738:
	s_or_b64 exec, exec, s[6:7]
	s_and_saveexec_b64 s[6:7], s[4:5]
	s_cbranch_execz .LBB11_1740
.LBB11_1739:
	v_bfe_u32 v2, v8, 8, 3
	v_ffbh_u32_e32 v7, v2
	v_min_u32_e32 v7, 32, v7
	v_lshrrev_b16_e32 v6, 3, v3
	v_subrev_u32_e32 v12, 28, v7
	v_and_b32_e32 v6, 15, v6
	v_lshlrev_b32_e32 v3, v12, v3
	v_sub_u32_e32 v7, 29, v7
	v_and_b32_e32 v3, 7, v3
	v_cmp_eq_u16_e32 vcc, 0, v6
	v_cndmask_b32_e32 v2, v2, v3, vcc
	v_cndmask_b32_e32 v3, v6, v7, vcc
	v_lshlrev_b32_e32 v6, 16, v8
	v_mov_b32_e32 v7, 0x3b800000
	v_lshlrev_b32_e32 v2, 20, v2
	v_and_b32_e32 v6, 0x80000000, v6
	v_lshl_add_u32 v3, v3, 23, v7
	v_or3_b32 v2, v6, v3, v2
.LBB11_1740:
	s_or_b64 exec, exec, s[6:7]
	v_lshrrev_b32_e32 v3, 8, v4
	s_movk_i32 s4, 0x7f
	v_cmp_gt_i16_sdwa s[6:7], v3, s4 src0_sel:BYTE_0 src1_sel:DWORD
	s_mov_b64 s[4:5], 0
                                        ; implicit-def: $sgpr10
	s_and_saveexec_b64 s[8:9], s[6:7]
	s_xor_b64 s[6:7], exec, s[8:9]
	s_cbranch_execnz .LBB11_3789
; %bb.1741:
	s_or_saveexec_b64 s[6:7], s[6:7]
	v_mov_b32_e32 v6, s10
	s_xor_b64 exec, exec, s[6:7]
	s_cbranch_execnz .LBB11_3792
.LBB11_1742:
	s_or_b64 exec, exec, s[6:7]
	s_and_saveexec_b64 s[6:7], s[4:5]
	s_cbranch_execz .LBB11_1744
.LBB11_1743:
	v_bfe_u32 v6, v4, 8, 3
	v_ffbh_u32_e32 v12, v6
	v_min_u32_e32 v12, 32, v12
	v_lshrrev_b16_e32 v7, 3, v3
	v_subrev_u32_e32 v13, 28, v12
	v_and_b32_e32 v7, 15, v7
	v_lshlrev_b32_e32 v3, v13, v3
	v_sub_u32_e32 v12, 29, v12
	v_and_b32_e32 v3, 7, v3
	v_cmp_eq_u16_e32 vcc, 0, v7
	v_cndmask_b32_e32 v3, v6, v3, vcc
	v_cndmask_b32_e32 v6, v7, v12, vcc
	v_lshlrev_b32_e32 v7, 16, v4
	v_mov_b32_e32 v12, 0x3b800000
	v_lshlrev_b32_e32 v3, 20, v3
	v_and_b32_e32 v7, 0x80000000, v7
	v_lshl_add_u32 v6, v6, 23, v12
	v_or3_b32 v6, v7, v6, v3
.LBB11_1744:
	s_or_b64 exec, exec, s[6:7]
	s_nop 0
	v_mfma_f32_16x16x4f32 a[0:3], v2, v6, a[0:3]
	s_movk_i32 s4, 0xff
	v_and_b32_sdwa v3, v8, s4 dst_sel:DWORD dst_unused:UNUSED_PAD src0_sel:WORD_1 src1_sel:DWORD
	s_movk_i32 s4, 0x7f
	v_cmp_lt_i16_e32 vcc, s4, v3
	s_mov_b64 s[4:5], 0
                                        ; implicit-def: $sgpr10
	s_and_saveexec_b64 s[6:7], vcc
	s_xor_b64 s[6:7], exec, s[6:7]
	s_cbranch_execnz .LBB11_3793
; %bb.1745:
	s_or_saveexec_b64 s[6:7], s[6:7]
	v_mov_b32_e32 v2, s10
	s_xor_b64 exec, exec, s[6:7]
	s_cbranch_execnz .LBB11_3796
.LBB11_1746:
	s_or_b64 exec, exec, s[6:7]
	s_and_saveexec_b64 s[6:7], s[4:5]
	s_cbranch_execz .LBB11_1748
.LBB11_1747:
	v_bfe_u32 v2, v8, 16, 3
	v_ffbh_u32_e32 v7, v2
	v_min_u32_e32 v7, 32, v7
	v_lshrrev_b32_e32 v3, 19, v8
	v_subrev_u32_e32 v12, 28, v7
	v_and_b32_e32 v3, 15, v3
	v_lshlrev_b32_sdwa v12, v12, v8 dst_sel:DWORD dst_unused:UNUSED_PAD src0_sel:DWORD src1_sel:WORD_1
	v_bfe_u32 v6, v8, 19, 4
	v_sub_u32_e32 v7, 29, v7
	v_and_b32_e32 v12, 7, v12
	v_cmp_eq_u16_e32 vcc, 0, v3
	v_cndmask_b32_e32 v2, v2, v12, vcc
	v_cndmask_b32_e32 v3, v6, v7, vcc
	v_lshlrev_b32_e32 v6, 8, v8
	v_mov_b32_e32 v7, 0x3b800000
	v_lshlrev_b32_e32 v2, 20, v2
	v_and_b32_e32 v6, 0x80000000, v6
	v_lshl_add_u32 v3, v3, 23, v7
	v_or3_b32 v2, v6, v3, v2
.LBB11_1748:
	s_or_b64 exec, exec, s[6:7]
	s_movk_i32 s4, 0xff
	v_and_b32_sdwa v3, v4, s4 dst_sel:DWORD dst_unused:UNUSED_PAD src0_sel:WORD_1 src1_sel:DWORD
	s_movk_i32 s4, 0x7f
	v_cmp_lt_i16_e32 vcc, s4, v3
	s_mov_b64 s[4:5], 0
                                        ; implicit-def: $sgpr10
	s_and_saveexec_b64 s[6:7], vcc
	s_xor_b64 s[6:7], exec, s[6:7]
	s_cbranch_execnz .LBB11_3797
; %bb.1749:
	s_or_saveexec_b64 s[6:7], s[6:7]
	v_mov_b32_e32 v6, s10
	s_xor_b64 exec, exec, s[6:7]
	s_cbranch_execnz .LBB11_3800
.LBB11_1750:
	s_or_b64 exec, exec, s[6:7]
	s_and_saveexec_b64 s[6:7], s[4:5]
	s_cbranch_execz .LBB11_1752
.LBB11_1751:
	v_bfe_u32 v3, v4, 16, 3
	v_ffbh_u32_e32 v12, v3
	v_min_u32_e32 v12, 32, v12
	v_lshrrev_b32_e32 v6, 19, v4
	v_subrev_u32_e32 v13, 28, v12
	v_and_b32_e32 v6, 15, v6
	v_lshlrev_b32_sdwa v13, v13, v4 dst_sel:DWORD dst_unused:UNUSED_PAD src0_sel:DWORD src1_sel:WORD_1
	v_bfe_u32 v7, v4, 19, 4
	v_sub_u32_e32 v12, 29, v12
	v_and_b32_e32 v13, 7, v13
	v_cmp_eq_u16_e32 vcc, 0, v6
	v_cndmask_b32_e32 v3, v3, v13, vcc
	v_cndmask_b32_e32 v6, v7, v12, vcc
	v_lshlrev_b32_e32 v7, 8, v4
	v_mov_b32_e32 v12, 0x3b800000
	v_lshlrev_b32_e32 v3, 20, v3
	v_and_b32_e32 v7, 0x80000000, v7
	v_lshl_add_u32 v6, v6, 23, v12
	v_or3_b32 v6, v7, v6, v3
.LBB11_1752:
	s_or_b64 exec, exec, s[6:7]
	s_nop 0
	v_mfma_f32_16x16x4f32 a[0:3], v2, v6, a[0:3]
	s_movk_i32 s4, 0x7f
	v_cmp_gt_i16_sdwa s[6:7], v8, s4 src0_sel:BYTE_3 src1_sel:DWORD
	s_mov_b64 s[4:5], 0
                                        ; implicit-def: $sgpr10
	s_and_saveexec_b64 s[8:9], s[6:7]
	s_xor_b64 s[6:7], exec, s[8:9]
	s_cbranch_execnz .LBB11_3801
; %bb.1753:
	s_or_saveexec_b64 s[6:7], s[6:7]
	v_mov_b32_e32 v2, s10
	s_xor_b64 exec, exec, s[6:7]
	s_cbranch_execnz .LBB11_3804
.LBB11_1754:
	s_or_b64 exec, exec, s[6:7]
	s_and_saveexec_b64 s[6:7], s[4:5]
	s_cbranch_execz .LBB11_1756
.LBB11_1755:
	v_bfe_u32 v2, v8, 24, 3
	v_ffbh_u32_e32 v12, v2
	v_min_u32_e32 v12, 32, v12
	v_lshrrev_b32_e32 v6, 27, v8
	v_subrev_u32_e32 v13, 28, v12
	v_and_b32_e32 v3, 0x80000000, v8
	v_and_b32_e32 v6, 15, v6
	v_bfe_u32 v7, v8, 27, 4
	v_lshlrev_b32_sdwa v8, v13, v8 dst_sel:DWORD dst_unused:UNUSED_PAD src0_sel:DWORD src1_sel:BYTE_3
	v_sub_u32_e32 v12, 29, v12
	v_and_b32_e32 v8, 7, v8
	v_cmp_eq_u16_e32 vcc, 0, v6
	v_cndmask_b32_e32 v2, v2, v8, vcc
	v_cndmask_b32_e32 v6, v7, v12, vcc
	v_mov_b32_e32 v7, 0x3b800000
	v_lshlrev_b32_e32 v2, 20, v2
	v_lshl_add_u32 v6, v6, 23, v7
	v_or3_b32 v2, v3, v6, v2
.LBB11_1756:
	s_or_b64 exec, exec, s[6:7]
	s_movk_i32 s4, 0x7f
	v_cmp_gt_i16_sdwa s[6:7], v4, s4 src0_sel:BYTE_3 src1_sel:DWORD
	s_mov_b64 s[4:5], 0
                                        ; implicit-def: $sgpr10
	s_and_saveexec_b64 s[8:9], s[6:7]
	s_xor_b64 s[6:7], exec, s[8:9]
	s_cbranch_execnz .LBB11_3805
; %bb.1757:
	s_or_saveexec_b64 s[6:7], s[6:7]
	v_mov_b32_e32 v3, s10
	s_xor_b64 exec, exec, s[6:7]
	s_cbranch_execnz .LBB11_3808
.LBB11_1758:
	s_or_b64 exec, exec, s[6:7]
	s_and_saveexec_b64 s[6:7], s[4:5]
	s_cbranch_execz .LBB11_1760
.LBB11_1759:
	v_bfe_u32 v3, v4, 24, 3
	v_ffbh_u32_e32 v12, v3
	v_min_u32_e32 v12, 32, v12
	v_lshrrev_b32_e32 v7, 27, v4
	v_subrev_u32_e32 v13, 28, v12
	v_and_b32_e32 v6, 0x80000000, v4
	v_and_b32_e32 v7, 15, v7
	v_bfe_u32 v8, v4, 27, 4
	v_lshlrev_b32_sdwa v4, v13, v4 dst_sel:DWORD dst_unused:UNUSED_PAD src0_sel:DWORD src1_sel:BYTE_3
	v_sub_u32_e32 v12, 29, v12
	v_and_b32_e32 v4, 7, v4
	v_cmp_eq_u16_e32 vcc, 0, v7
	v_cndmask_b32_e32 v3, v3, v4, vcc
	v_cndmask_b32_e32 v4, v8, v12, vcc
	v_mov_b32_e32 v7, 0x3b800000
	v_lshlrev_b32_e32 v3, 20, v3
	v_lshl_add_u32 v4, v4, 23, v7
	v_or3_b32 v3, v6, v4, v3
.LBB11_1760:
	s_or_b64 exec, exec, s[6:7]
	s_nop 0
	v_mfma_f32_16x16x4f32 a[0:3], v2, v3, a[0:3]
	s_movk_i32 s4, 0x7f
	v_cmp_gt_i16_sdwa s[6:7], v9, s4 src0_sel:BYTE_0 src1_sel:DWORD
	s_mov_b64 s[4:5], 0
                                        ; implicit-def: $sgpr10
	s_and_saveexec_b64 s[8:9], s[6:7]
	s_xor_b64 s[6:7], exec, s[8:9]
	s_cbranch_execnz .LBB11_3809
; %bb.1761:
	s_or_saveexec_b64 s[6:7], s[6:7]
	v_mov_b32_e32 v2, s10
	s_xor_b64 exec, exec, s[6:7]
	s_cbranch_execnz .LBB11_3812
.LBB11_1762:
	s_or_b64 exec, exec, s[6:7]
	s_and_saveexec_b64 s[6:7], s[4:5]
	s_cbranch_execz .LBB11_1764
.LBB11_1763:
	v_mov_b32_e32 v2, 8
	v_and_b32_e32 v3, 7, v9
	v_lshrrev_b32_sdwa v2, v2, v9 dst_sel:BYTE_1 dst_unused:UNUSED_PAD src0_sel:DWORD src1_sel:DWORD
	v_ffbh_u32_e32 v4, v3
	v_or_b32_sdwa v2, v9, v2 dst_sel:DWORD dst_unused:UNUSED_PAD src0_sel:BYTE_0 src1_sel:DWORD
	v_min_u32_e32 v4, 32, v4
	v_lshrrev_b16_e32 v2, 3, v2
	v_subrev_u32_e32 v6, 28, v4
	v_and_b32_e32 v2, 15, v2
	v_lshlrev_b32_e32 v6, v6, v9
	v_sub_u32_e32 v4, 29, v4
	v_and_b32_e32 v6, 7, v6
	v_cmp_eq_u16_e32 vcc, 0, v2
	v_cndmask_b32_e32 v3, v3, v6, vcc
	v_cndmask_b32_e32 v2, v2, v4, vcc
	v_lshlrev_b32_e32 v4, 24, v9
	v_mov_b32_e32 v6, 0x3b800000
	v_lshlrev_b32_e32 v3, 20, v3
	v_and_b32_e32 v4, 0x80000000, v4
	v_lshl_add_u32 v2, v2, 23, v6
	v_or3_b32 v2, v4, v2, v3
.LBB11_1764:
	s_or_b64 exec, exec, s[6:7]
	s_movk_i32 s4, 0x7f
	v_cmp_gt_i16_sdwa s[6:7], v5, s4 src0_sel:BYTE_0 src1_sel:DWORD
	s_mov_b64 s[4:5], 0
                                        ; implicit-def: $sgpr10
	s_and_saveexec_b64 s[8:9], s[6:7]
	s_xor_b64 s[6:7], exec, s[8:9]
	s_cbranch_execnz .LBB11_3813
; %bb.1765:
	s_or_saveexec_b64 s[6:7], s[6:7]
	v_mov_b32_e32 v3, s10
	s_xor_b64 exec, exec, s[6:7]
	s_cbranch_execnz .LBB11_3816
.LBB11_1766:
	s_or_b64 exec, exec, s[6:7]
	s_and_saveexec_b64 s[6:7], s[4:5]
	s_cbranch_execz .LBB11_1768
.LBB11_1767:
	v_mov_b32_e32 v3, 8
	v_and_b32_e32 v4, 7, v5
	v_lshrrev_b32_sdwa v3, v3, v5 dst_sel:BYTE_1 dst_unused:UNUSED_PAD src0_sel:DWORD src1_sel:DWORD
	v_ffbh_u32_e32 v6, v4
	v_or_b32_sdwa v3, v5, v3 dst_sel:DWORD dst_unused:UNUSED_PAD src0_sel:BYTE_0 src1_sel:DWORD
	v_min_u32_e32 v6, 32, v6
	v_lshrrev_b16_e32 v3, 3, v3
	v_subrev_u32_e32 v7, 28, v6
	v_and_b32_e32 v3, 15, v3
	v_lshlrev_b32_e32 v7, v7, v5
	v_sub_u32_e32 v6, 29, v6
	v_and_b32_e32 v7, 7, v7
	v_cmp_eq_u16_e32 vcc, 0, v3
	v_cndmask_b32_e32 v4, v4, v7, vcc
	v_cndmask_b32_e32 v3, v3, v6, vcc
	v_lshlrev_b32_e32 v6, 24, v5
	v_mov_b32_e32 v7, 0x3b800000
	v_lshlrev_b32_e32 v4, 20, v4
	v_and_b32_e32 v6, 0x80000000, v6
	v_lshl_add_u32 v3, v3, 23, v7
	v_or3_b32 v3, v6, v3, v4
.LBB11_1768:
	s_or_b64 exec, exec, s[6:7]
	s_nop 0
	v_mfma_f32_16x16x4f32 a[0:3], v2, v3, a[0:3]
	v_lshrrev_b32_e32 v3, 8, v9
	s_movk_i32 s4, 0x7f
	v_cmp_gt_i16_sdwa s[6:7], v3, s4 src0_sel:BYTE_0 src1_sel:DWORD
	s_mov_b64 s[4:5], 0
                                        ; implicit-def: $sgpr10
	s_and_saveexec_b64 s[8:9], s[6:7]
	s_xor_b64 s[6:7], exec, s[8:9]
	s_cbranch_execnz .LBB11_3817
; %bb.1769:
	s_or_saveexec_b64 s[6:7], s[6:7]
	v_mov_b32_e32 v2, s10
	s_xor_b64 exec, exec, s[6:7]
	s_cbranch_execnz .LBB11_3820
.LBB11_1770:
	s_or_b64 exec, exec, s[6:7]
	s_and_saveexec_b64 s[6:7], s[4:5]
	s_cbranch_execz .LBB11_1772
.LBB11_1771:
	v_bfe_u32 v2, v9, 8, 3
	v_ffbh_u32_e32 v6, v2
	v_min_u32_e32 v6, 32, v6
	v_lshrrev_b16_e32 v4, 3, v3
	v_subrev_u32_e32 v7, 28, v6
	v_and_b32_e32 v4, 15, v4
	v_lshlrev_b32_e32 v3, v7, v3
	v_sub_u32_e32 v6, 29, v6
	v_and_b32_e32 v3, 7, v3
	v_cmp_eq_u16_e32 vcc, 0, v4
	v_cndmask_b32_e32 v2, v2, v3, vcc
	v_cndmask_b32_e32 v3, v4, v6, vcc
	v_lshlrev_b32_e32 v4, 16, v9
	v_mov_b32_e32 v6, 0x3b800000
	v_lshlrev_b32_e32 v2, 20, v2
	v_and_b32_e32 v4, 0x80000000, v4
	v_lshl_add_u32 v3, v3, 23, v6
	v_or3_b32 v2, v4, v3, v2
.LBB11_1772:
	s_or_b64 exec, exec, s[6:7]
	v_lshrrev_b32_e32 v3, 8, v5
	s_movk_i32 s4, 0x7f
	v_cmp_gt_i16_sdwa s[6:7], v3, s4 src0_sel:BYTE_0 src1_sel:DWORD
	s_mov_b64 s[4:5], 0
                                        ; implicit-def: $sgpr10
	s_and_saveexec_b64 s[8:9], s[6:7]
	s_xor_b64 s[6:7], exec, s[8:9]
	s_cbranch_execnz .LBB11_3821
; %bb.1773:
	s_or_saveexec_b64 s[6:7], s[6:7]
	v_mov_b32_e32 v4, s10
	s_xor_b64 exec, exec, s[6:7]
	s_cbranch_execnz .LBB11_3824
.LBB11_1774:
	s_or_b64 exec, exec, s[6:7]
	s_and_saveexec_b64 s[6:7], s[4:5]
	s_cbranch_execz .LBB11_1776
.LBB11_1775:
	v_bfe_u32 v4, v5, 8, 3
	v_ffbh_u32_e32 v7, v4
	v_min_u32_e32 v7, 32, v7
	v_lshrrev_b16_e32 v6, 3, v3
	v_subrev_u32_e32 v8, 28, v7
	v_and_b32_e32 v6, 15, v6
	v_lshlrev_b32_e32 v3, v8, v3
	v_sub_u32_e32 v7, 29, v7
	v_and_b32_e32 v3, 7, v3
	v_cmp_eq_u16_e32 vcc, 0, v6
	v_cndmask_b32_e32 v3, v4, v3, vcc
	v_cndmask_b32_e32 v4, v6, v7, vcc
	v_lshlrev_b32_e32 v6, 16, v5
	v_mov_b32_e32 v7, 0x3b800000
	v_lshlrev_b32_e32 v3, 20, v3
	v_and_b32_e32 v6, 0x80000000, v6
	v_lshl_add_u32 v4, v4, 23, v7
	v_or3_b32 v4, v6, v4, v3
.LBB11_1776:
	s_or_b64 exec, exec, s[6:7]
	s_nop 0
	v_mfma_f32_16x16x4f32 a[0:3], v2, v4, a[0:3]
	s_movk_i32 s4, 0xff
	v_and_b32_sdwa v3, v9, s4 dst_sel:DWORD dst_unused:UNUSED_PAD src0_sel:WORD_1 src1_sel:DWORD
	s_movk_i32 s4, 0x7f
	v_cmp_lt_i16_e32 vcc, s4, v3
	s_mov_b64 s[4:5], 0
                                        ; implicit-def: $sgpr10
	s_and_saveexec_b64 s[6:7], vcc
	s_xor_b64 s[6:7], exec, s[6:7]
	s_cbranch_execnz .LBB11_3825
; %bb.1777:
	s_or_saveexec_b64 s[6:7], s[6:7]
	v_mov_b32_e32 v2, s10
	s_xor_b64 exec, exec, s[6:7]
	s_cbranch_execnz .LBB11_3828
.LBB11_1778:
	s_or_b64 exec, exec, s[6:7]
	s_and_saveexec_b64 s[6:7], s[4:5]
	s_cbranch_execz .LBB11_1780
.LBB11_1779:
	v_bfe_u32 v2, v9, 16, 3
	v_ffbh_u32_e32 v6, v2
	v_min_u32_e32 v6, 32, v6
	v_lshrrev_b32_e32 v3, 19, v9
	v_subrev_u32_e32 v7, 28, v6
	v_and_b32_e32 v3, 15, v3
	v_lshlrev_b32_sdwa v7, v7, v9 dst_sel:DWORD dst_unused:UNUSED_PAD src0_sel:DWORD src1_sel:WORD_1
	v_bfe_u32 v4, v9, 19, 4
	v_sub_u32_e32 v6, 29, v6
	v_and_b32_e32 v7, 7, v7
	v_cmp_eq_u16_e32 vcc, 0, v3
	v_cndmask_b32_e32 v2, v2, v7, vcc
	v_cndmask_b32_e32 v3, v4, v6, vcc
	v_lshlrev_b32_e32 v4, 8, v9
	v_mov_b32_e32 v6, 0x3b800000
	v_lshlrev_b32_e32 v2, 20, v2
	v_and_b32_e32 v4, 0x80000000, v4
	v_lshl_add_u32 v3, v3, 23, v6
	v_or3_b32 v2, v4, v3, v2
.LBB11_1780:
	s_or_b64 exec, exec, s[6:7]
	s_movk_i32 s4, 0xff
	v_and_b32_sdwa v3, v5, s4 dst_sel:DWORD dst_unused:UNUSED_PAD src0_sel:WORD_1 src1_sel:DWORD
	s_movk_i32 s4, 0x7f
	v_cmp_lt_i16_e32 vcc, s4, v3
	s_mov_b64 s[4:5], 0
                                        ; implicit-def: $sgpr10
	s_and_saveexec_b64 s[6:7], vcc
	s_xor_b64 s[6:7], exec, s[6:7]
	s_cbranch_execnz .LBB11_3829
; %bb.1781:
	s_or_saveexec_b64 s[6:7], s[6:7]
	v_mov_b32_e32 v4, s10
	s_xor_b64 exec, exec, s[6:7]
	s_cbranch_execnz .LBB11_3832
.LBB11_1782:
	s_or_b64 exec, exec, s[6:7]
	s_and_saveexec_b64 s[6:7], s[4:5]
	s_cbranch_execz .LBB11_1784
.LBB11_1783:
	v_bfe_u32 v3, v5, 16, 3
	v_ffbh_u32_e32 v7, v3
	v_min_u32_e32 v7, 32, v7
	v_lshrrev_b32_e32 v4, 19, v5
	v_subrev_u32_e32 v8, 28, v7
	v_and_b32_e32 v4, 15, v4
	v_lshlrev_b32_sdwa v8, v8, v5 dst_sel:DWORD dst_unused:UNUSED_PAD src0_sel:DWORD src1_sel:WORD_1
	v_bfe_u32 v6, v5, 19, 4
	v_sub_u32_e32 v7, 29, v7
	v_and_b32_e32 v8, 7, v8
	v_cmp_eq_u16_e32 vcc, 0, v4
	v_cndmask_b32_e32 v3, v3, v8, vcc
	v_cndmask_b32_e32 v4, v6, v7, vcc
	v_lshlrev_b32_e32 v6, 8, v5
	v_mov_b32_e32 v7, 0x3b800000
	v_lshlrev_b32_e32 v3, 20, v3
	v_and_b32_e32 v6, 0x80000000, v6
	v_lshl_add_u32 v4, v4, 23, v7
	v_or3_b32 v4, v6, v4, v3
.LBB11_1784:
	s_or_b64 exec, exec, s[6:7]
	s_nop 0
	v_mfma_f32_16x16x4f32 a[0:3], v2, v4, a[0:3]
	s_movk_i32 s4, 0x7f
	v_cmp_gt_i16_sdwa s[6:7], v9, s4 src0_sel:BYTE_3 src1_sel:DWORD
	s_mov_b64 s[4:5], 0
                                        ; implicit-def: $sgpr10
	s_and_saveexec_b64 s[8:9], s[6:7]
	s_xor_b64 s[6:7], exec, s[8:9]
	s_cbranch_execnz .LBB11_3833
; %bb.1785:
	s_or_saveexec_b64 s[6:7], s[6:7]
	v_mov_b32_e32 v2, s10
	s_xor_b64 exec, exec, s[6:7]
	s_cbranch_execnz .LBB11_3836
.LBB11_1786:
	s_or_b64 exec, exec, s[6:7]
	s_and_saveexec_b64 s[6:7], s[4:5]
	s_cbranch_execz .LBB11_1788
.LBB11_1787:
	v_bfe_u32 v2, v9, 24, 3
	v_ffbh_u32_e32 v7, v2
	v_min_u32_e32 v7, 32, v7
	v_lshrrev_b32_e32 v4, 27, v9
	v_subrev_u32_e32 v8, 28, v7
	v_and_b32_e32 v4, 15, v4
	v_lshlrev_b32_sdwa v8, v8, v9 dst_sel:DWORD dst_unused:UNUSED_PAD src0_sel:DWORD src1_sel:BYTE_3
	v_bfe_u32 v6, v9, 27, 4
	v_sub_u32_e32 v7, 29, v7
	v_and_b32_e32 v8, 7, v8
	v_cmp_eq_u16_e32 vcc, 0, v4
	v_cndmask_b32_e32 v2, v2, v8, vcc
	v_cndmask_b32_e32 v4, v6, v7, vcc
	v_mov_b32_e32 v6, 0x3b800000
	v_and_b32_e32 v3, 0x80000000, v9
	v_lshlrev_b32_e32 v2, 20, v2
	v_lshl_add_u32 v4, v4, 23, v6
	v_or3_b32 v2, v3, v4, v2
.LBB11_1788:
	s_or_b64 exec, exec, s[6:7]
	s_movk_i32 s4, 0x7f
	v_cmp_gt_i16_sdwa s[6:7], v5, s4 src0_sel:BYTE_3 src1_sel:DWORD
	s_mov_b64 s[4:5], 0
                                        ; implicit-def: $sgpr10
	s_and_saveexec_b64 s[8:9], s[6:7]
	s_xor_b64 s[6:7], exec, s[8:9]
	s_cbranch_execnz .LBB11_3837
; %bb.1789:
	s_or_saveexec_b64 s[6:7], s[6:7]
	v_mov_b32_e32 v3, s10
	s_xor_b64 exec, exec, s[6:7]
	s_cbranch_execnz .LBB11_3840
.LBB11_1790:
	s_or_b64 exec, exec, s[6:7]
	s_and_saveexec_b64 s[6:7], s[4:5]
	s_cbranch_execz .LBB11_1792
.LBB11_1791:
	v_bfe_u32 v3, v5, 24, 3
	v_ffbh_u32_e32 v8, v3
	v_min_u32_e32 v8, 32, v8
	v_lshrrev_b32_e32 v6, 27, v5
	v_subrev_u32_e32 v9, 28, v8
	v_and_b32_e32 v4, 0x80000000, v5
	v_and_b32_e32 v6, 15, v6
	v_bfe_u32 v7, v5, 27, 4
	v_lshlrev_b32_sdwa v5, v9, v5 dst_sel:DWORD dst_unused:UNUSED_PAD src0_sel:DWORD src1_sel:BYTE_3
	v_sub_u32_e32 v8, 29, v8
	v_and_b32_e32 v5, 7, v5
	v_cmp_eq_u16_e32 vcc, 0, v6
	v_cndmask_b32_e32 v3, v3, v5, vcc
	v_cndmask_b32_e32 v5, v7, v8, vcc
	v_mov_b32_e32 v6, 0x3b800000
	v_lshlrev_b32_e32 v3, 20, v3
	v_lshl_add_u32 v5, v5, 23, v6
	v_or3_b32 v3, v4, v5, v3
.LBB11_1792:
	s_or_b64 exec, exec, s[6:7]
	s_nop 0
	v_mfma_f32_16x16x4f32 a[0:3], v2, v3, a[0:3]
	s_movk_i32 s4, 0x7f
                                        ; implicit-def: $sgpr10
	s_nop 7
	s_nop 1
	flat_store_dwordx4 v[10:11], a[0:3] offset:208
	flat_load_dwordx4 v[12:15], v[0:1] offset:8
	s_nop 0
	flat_load_dwordx2 v[10:11], v[0:1] offset:32
	s_waitcnt vmcnt(0) lgkmcnt(0)
	flat_load_dwordx4 v[6:9], v[12:13] offset:112
	flat_load_dwordx4 v[2:5], v[14:15] offset:80
	s_waitcnt vmcnt(0) lgkmcnt(0)
	v_cmp_gt_i16_sdwa s[6:7], v6, s4 src0_sel:BYTE_0 src1_sel:DWORD
	s_mov_b64 s[4:5], 0
	s_and_saveexec_b64 s[8:9], s[6:7]
	s_xor_b64 s[6:7], exec, s[8:9]
	s_cbranch_execnz .LBB11_3841
; %bb.1793:
	s_or_saveexec_b64 s[6:7], s[6:7]
	v_mov_b32_e32 v12, s10
	s_xor_b64 exec, exec, s[6:7]
	s_cbranch_execnz .LBB11_3844
.LBB11_1794:
	s_or_b64 exec, exec, s[6:7]
	s_and_saveexec_b64 s[6:7], s[4:5]
	s_cbranch_execz .LBB11_1796
.LBB11_1795:
	v_and_b32_e32 v12, 7, v6
	v_ffbh_u32_e32 v14, v12
	v_min_u32_e32 v14, 32, v14
	v_lshrrev_b16_e32 v13, 3, v6
	v_subrev_u32_e32 v15, 28, v14
	v_and_b32_e32 v13, 15, v13
	v_lshlrev_b32_e32 v15, v15, v6
	v_sub_u32_e32 v14, 29, v14
	v_and_b32_e32 v15, 7, v15
	v_cmp_eq_u16_e32 vcc, 0, v13
	v_cndmask_b32_e32 v12, v12, v15, vcc
	v_cndmask_b32_e32 v13, v13, v14, vcc
	v_lshlrev_b32_e32 v14, 24, v6
	v_mov_b32_e32 v15, 0x3b800000
	v_lshlrev_b32_e32 v12, 20, v12
	v_and_b32_e32 v14, 0x80000000, v14
	v_lshl_add_u32 v13, v13, 23, v15
	v_or3_b32 v12, v14, v13, v12
.LBB11_1796:
	s_or_b64 exec, exec, s[6:7]
	s_movk_i32 s4, 0x7f
	v_cmp_gt_i16_sdwa s[6:7], v2, s4 src0_sel:BYTE_0 src1_sel:DWORD
	s_mov_b64 s[4:5], 0
                                        ; implicit-def: $sgpr10
	s_and_saveexec_b64 s[8:9], s[6:7]
	s_xor_b64 s[6:7], exec, s[8:9]
	s_cbranch_execnz .LBB11_3845
; %bb.1797:
	s_or_saveexec_b64 s[6:7], s[6:7]
	v_mov_b32_e32 v13, s10
	s_xor_b64 exec, exec, s[6:7]
	s_cbranch_execnz .LBB11_3848
.LBB11_1798:
	s_or_b64 exec, exec, s[6:7]
	s_and_saveexec_b64 s[6:7], s[4:5]
	s_cbranch_execz .LBB11_1800
.LBB11_1799:
	v_and_b32_e32 v13, 7, v2
	v_ffbh_u32_e32 v15, v13
	v_min_u32_e32 v15, 32, v15
	v_lshrrev_b16_e32 v14, 3, v2
	v_subrev_u32_e32 v16, 28, v15
	v_and_b32_e32 v14, 15, v14
	v_lshlrev_b32_e32 v16, v16, v2
	v_sub_u32_e32 v15, 29, v15
	v_and_b32_e32 v16, 7, v16
	v_cmp_eq_u16_e32 vcc, 0, v14
	v_cndmask_b32_e32 v13, v13, v16, vcc
	v_cndmask_b32_e32 v14, v14, v15, vcc
	v_lshlrev_b32_e32 v15, 24, v2
	v_mov_b32_e32 v16, 0x3b800000
	v_lshlrev_b32_e32 v13, 20, v13
	v_and_b32_e32 v15, 0x80000000, v15
	v_lshl_add_u32 v14, v14, 23, v16
	v_or3_b32 v13, v15, v14, v13
.LBB11_1800:
	s_or_b64 exec, exec, s[6:7]
	flat_load_dwordx4 a[0:3], v[10:11] offset:224
	s_movk_i32 s4, 0x7f
                                        ; implicit-def: $sgpr10
	s_waitcnt vmcnt(0) lgkmcnt(0)
	v_mfma_f32_16x16x4f32 a[0:3], v12, v13, a[0:3]
	v_lshrrev_b32_e32 v13, 8, v6
	v_cmp_gt_i16_sdwa s[6:7], v13, s4 src0_sel:BYTE_0 src1_sel:DWORD
	s_mov_b64 s[4:5], 0
	s_and_saveexec_b64 s[8:9], s[6:7]
	s_xor_b64 s[6:7], exec, s[8:9]
	s_cbranch_execnz .LBB11_3849
; %bb.1801:
	s_or_saveexec_b64 s[6:7], s[6:7]
	v_mov_b32_e32 v12, s10
	s_xor_b64 exec, exec, s[6:7]
	s_cbranch_execnz .LBB11_3852
.LBB11_1802:
	s_or_b64 exec, exec, s[6:7]
	s_and_saveexec_b64 s[6:7], s[4:5]
	s_cbranch_execz .LBB11_1804
.LBB11_1803:
	v_bfe_u32 v12, v6, 8, 3
	v_ffbh_u32_e32 v15, v12
	v_min_u32_e32 v15, 32, v15
	v_lshrrev_b16_e32 v14, 3, v13
	v_subrev_u32_e32 v16, 28, v15
	v_and_b32_e32 v14, 15, v14
	v_lshlrev_b32_e32 v13, v16, v13
	v_sub_u32_e32 v15, 29, v15
	v_and_b32_e32 v13, 7, v13
	v_cmp_eq_u16_e32 vcc, 0, v14
	v_cndmask_b32_e32 v12, v12, v13, vcc
	v_cndmask_b32_e32 v13, v14, v15, vcc
	v_lshlrev_b32_e32 v14, 16, v6
	v_mov_b32_e32 v15, 0x3b800000
	v_lshlrev_b32_e32 v12, 20, v12
	v_and_b32_e32 v14, 0x80000000, v14
	v_lshl_add_u32 v13, v13, 23, v15
	v_or3_b32 v12, v14, v13, v12
.LBB11_1804:
	s_or_b64 exec, exec, s[6:7]
	v_lshrrev_b32_e32 v13, 8, v2
	s_movk_i32 s4, 0x7f
	v_cmp_gt_i16_sdwa s[6:7], v13, s4 src0_sel:BYTE_0 src1_sel:DWORD
	s_mov_b64 s[4:5], 0
                                        ; implicit-def: $sgpr10
	s_and_saveexec_b64 s[8:9], s[6:7]
	s_xor_b64 s[6:7], exec, s[8:9]
	s_cbranch_execnz .LBB11_3853
; %bb.1805:
	s_or_saveexec_b64 s[6:7], s[6:7]
	v_mov_b32_e32 v14, s10
	s_xor_b64 exec, exec, s[6:7]
	s_cbranch_execnz .LBB11_3856
.LBB11_1806:
	s_or_b64 exec, exec, s[6:7]
	s_and_saveexec_b64 s[6:7], s[4:5]
	s_cbranch_execz .LBB11_1808
.LBB11_1807:
	v_bfe_u32 v14, v2, 8, 3
	v_ffbh_u32_e32 v16, v14
	v_min_u32_e32 v16, 32, v16
	v_lshrrev_b16_e32 v15, 3, v13
	v_subrev_u32_e32 v17, 28, v16
	v_and_b32_e32 v15, 15, v15
	v_lshlrev_b32_e32 v13, v17, v13
	v_sub_u32_e32 v16, 29, v16
	v_and_b32_e32 v13, 7, v13
	v_cmp_eq_u16_e32 vcc, 0, v15
	v_cndmask_b32_e32 v13, v14, v13, vcc
	v_cndmask_b32_e32 v14, v15, v16, vcc
	v_lshlrev_b32_e32 v15, 16, v2
	v_mov_b32_e32 v16, 0x3b800000
	v_lshlrev_b32_e32 v13, 20, v13
	v_and_b32_e32 v15, 0x80000000, v15
	v_lshl_add_u32 v14, v14, 23, v16
	v_or3_b32 v14, v15, v14, v13
.LBB11_1808:
	s_or_b64 exec, exec, s[6:7]
	s_nop 0
	v_mfma_f32_16x16x4f32 a[0:3], v12, v14, a[0:3]
	s_movk_i32 s4, 0xff
	v_and_b32_sdwa v13, v6, s4 dst_sel:DWORD dst_unused:UNUSED_PAD src0_sel:WORD_1 src1_sel:DWORD
	s_movk_i32 s4, 0x7f
	v_cmp_lt_i16_e32 vcc, s4, v13
	s_mov_b64 s[4:5], 0
                                        ; implicit-def: $sgpr10
	s_and_saveexec_b64 s[6:7], vcc
	s_xor_b64 s[6:7], exec, s[6:7]
	s_cbranch_execnz .LBB11_3857
; %bb.1809:
	s_or_saveexec_b64 s[6:7], s[6:7]
	v_mov_b32_e32 v12, s10
	s_xor_b64 exec, exec, s[6:7]
	s_cbranch_execnz .LBB11_3860
.LBB11_1810:
	s_or_b64 exec, exec, s[6:7]
	s_and_saveexec_b64 s[6:7], s[4:5]
	s_cbranch_execz .LBB11_1812
.LBB11_1811:
	v_bfe_u32 v12, v6, 16, 3
	v_ffbh_u32_e32 v15, v12
	v_min_u32_e32 v15, 32, v15
	v_lshrrev_b32_e32 v13, 19, v6
	v_subrev_u32_e32 v16, 28, v15
	v_and_b32_e32 v13, 15, v13
	v_lshlrev_b32_sdwa v16, v16, v6 dst_sel:DWORD dst_unused:UNUSED_PAD src0_sel:DWORD src1_sel:WORD_1
	v_bfe_u32 v14, v6, 19, 4
	v_sub_u32_e32 v15, 29, v15
	v_and_b32_e32 v16, 7, v16
	v_cmp_eq_u16_e32 vcc, 0, v13
	v_cndmask_b32_e32 v12, v12, v16, vcc
	v_cndmask_b32_e32 v13, v14, v15, vcc
	v_lshlrev_b32_e32 v14, 8, v6
	v_mov_b32_e32 v15, 0x3b800000
	v_lshlrev_b32_e32 v12, 20, v12
	v_and_b32_e32 v14, 0x80000000, v14
	v_lshl_add_u32 v13, v13, 23, v15
	v_or3_b32 v12, v14, v13, v12
.LBB11_1812:
	s_or_b64 exec, exec, s[6:7]
	s_movk_i32 s4, 0xff
	v_and_b32_sdwa v13, v2, s4 dst_sel:DWORD dst_unused:UNUSED_PAD src0_sel:WORD_1 src1_sel:DWORD
	s_movk_i32 s4, 0x7f
	v_cmp_lt_i16_e32 vcc, s4, v13
	s_mov_b64 s[4:5], 0
                                        ; implicit-def: $sgpr10
	s_and_saveexec_b64 s[6:7], vcc
	s_xor_b64 s[6:7], exec, s[6:7]
	s_cbranch_execnz .LBB11_3861
; %bb.1813:
	s_or_saveexec_b64 s[6:7], s[6:7]
	v_mov_b32_e32 v14, s10
	s_xor_b64 exec, exec, s[6:7]
	s_cbranch_execnz .LBB11_3864
.LBB11_1814:
	s_or_b64 exec, exec, s[6:7]
	s_and_saveexec_b64 s[6:7], s[4:5]
	s_cbranch_execz .LBB11_1816
.LBB11_1815:
	v_bfe_u32 v13, v2, 16, 3
	v_ffbh_u32_e32 v16, v13
	v_min_u32_e32 v16, 32, v16
	v_lshrrev_b32_e32 v14, 19, v2
	v_subrev_u32_e32 v17, 28, v16
	v_and_b32_e32 v14, 15, v14
	v_lshlrev_b32_sdwa v17, v17, v2 dst_sel:DWORD dst_unused:UNUSED_PAD src0_sel:DWORD src1_sel:WORD_1
	v_bfe_u32 v15, v2, 19, 4
	v_sub_u32_e32 v16, 29, v16
	v_and_b32_e32 v17, 7, v17
	v_cmp_eq_u16_e32 vcc, 0, v14
	v_cndmask_b32_e32 v13, v13, v17, vcc
	v_cndmask_b32_e32 v14, v15, v16, vcc
	v_lshlrev_b32_e32 v15, 8, v2
	v_mov_b32_e32 v16, 0x3b800000
	v_lshlrev_b32_e32 v13, 20, v13
	v_and_b32_e32 v15, 0x80000000, v15
	v_lshl_add_u32 v14, v14, 23, v16
	v_or3_b32 v14, v15, v14, v13
.LBB11_1816:
	s_or_b64 exec, exec, s[6:7]
	s_nop 0
	v_mfma_f32_16x16x4f32 a[0:3], v12, v14, a[0:3]
	s_movk_i32 s4, 0x7f
	v_cmp_gt_i16_sdwa s[6:7], v6, s4 src0_sel:BYTE_3 src1_sel:DWORD
	s_mov_b64 s[4:5], 0
                                        ; implicit-def: $sgpr10
	s_and_saveexec_b64 s[8:9], s[6:7]
	s_xor_b64 s[6:7], exec, s[8:9]
	s_cbranch_execnz .LBB11_3865
; %bb.1817:
	s_or_saveexec_b64 s[6:7], s[6:7]
	v_mov_b32_e32 v12, s10
	s_xor_b64 exec, exec, s[6:7]
	s_cbranch_execnz .LBB11_3868
.LBB11_1818:
	s_or_b64 exec, exec, s[6:7]
	s_and_saveexec_b64 s[6:7], s[4:5]
	s_cbranch_execz .LBB11_1820
.LBB11_1819:
	v_bfe_u32 v12, v6, 24, 3
	v_ffbh_u32_e32 v16, v12
	v_min_u32_e32 v16, 32, v16
	v_lshrrev_b32_e32 v14, 27, v6
	v_subrev_u32_e32 v17, 28, v16
	v_and_b32_e32 v13, 0x80000000, v6
	v_and_b32_e32 v14, 15, v14
	v_bfe_u32 v15, v6, 27, 4
	v_lshlrev_b32_sdwa v6, v17, v6 dst_sel:DWORD dst_unused:UNUSED_PAD src0_sel:DWORD src1_sel:BYTE_3
	v_sub_u32_e32 v16, 29, v16
	v_and_b32_e32 v6, 7, v6
	v_cmp_eq_u16_e32 vcc, 0, v14
	v_cndmask_b32_e32 v6, v12, v6, vcc
	v_cndmask_b32_e32 v12, v15, v16, vcc
	v_mov_b32_e32 v14, 0x3b800000
	v_lshlrev_b32_e32 v6, 20, v6
	v_lshl_add_u32 v12, v12, 23, v14
	v_or3_b32 v12, v13, v12, v6
.LBB11_1820:
	s_or_b64 exec, exec, s[6:7]
	s_movk_i32 s4, 0x7f
	v_cmp_gt_i16_sdwa s[6:7], v2, s4 src0_sel:BYTE_3 src1_sel:DWORD
	s_mov_b64 s[4:5], 0
                                        ; implicit-def: $sgpr10
	s_and_saveexec_b64 s[8:9], s[6:7]
	s_xor_b64 s[6:7], exec, s[8:9]
	s_cbranch_execnz .LBB11_3869
; %bb.1821:
	s_or_saveexec_b64 s[6:7], s[6:7]
	v_mov_b32_e32 v6, s10
	s_xor_b64 exec, exec, s[6:7]
	s_cbranch_execnz .LBB11_3872
.LBB11_1822:
	s_or_b64 exec, exec, s[6:7]
	s_and_saveexec_b64 s[6:7], s[4:5]
	s_cbranch_execz .LBB11_1824
.LBB11_1823:
	v_bfe_u32 v6, v2, 24, 3
	v_ffbh_u32_e32 v16, v6
	v_min_u32_e32 v16, 32, v16
	v_lshrrev_b32_e32 v14, 27, v2
	v_subrev_u32_e32 v17, 28, v16
	v_and_b32_e32 v13, 0x80000000, v2
	v_and_b32_e32 v14, 15, v14
	v_bfe_u32 v15, v2, 27, 4
	v_lshlrev_b32_sdwa v2, v17, v2 dst_sel:DWORD dst_unused:UNUSED_PAD src0_sel:DWORD src1_sel:BYTE_3
	v_sub_u32_e32 v16, 29, v16
	v_and_b32_e32 v2, 7, v2
	v_cmp_eq_u16_e32 vcc, 0, v14
	v_cndmask_b32_e32 v2, v6, v2, vcc
	v_cndmask_b32_e32 v6, v15, v16, vcc
	v_mov_b32_e32 v14, 0x3b800000
	v_lshlrev_b32_e32 v2, 20, v2
	v_lshl_add_u32 v6, v6, 23, v14
	v_or3_b32 v6, v13, v6, v2
.LBB11_1824:
	s_or_b64 exec, exec, s[6:7]
	s_nop 0
	v_mfma_f32_16x16x4f32 a[0:3], v12, v6, a[0:3]
	s_movk_i32 s4, 0x7f
	v_cmp_gt_i16_sdwa s[6:7], v7, s4 src0_sel:BYTE_0 src1_sel:DWORD
	s_mov_b64 s[4:5], 0
                                        ; implicit-def: $sgpr10
	s_and_saveexec_b64 s[8:9], s[6:7]
	s_xor_b64 s[6:7], exec, s[8:9]
	s_cbranch_execnz .LBB11_3873
; %bb.1825:
	s_or_saveexec_b64 s[6:7], s[6:7]
	v_mov_b32_e32 v2, s10
	s_xor_b64 exec, exec, s[6:7]
	s_cbranch_execnz .LBB11_3876
.LBB11_1826:
	s_or_b64 exec, exec, s[6:7]
	s_and_saveexec_b64 s[6:7], s[4:5]
	s_cbranch_execz .LBB11_1828
.LBB11_1827:
	v_and_b32_e32 v2, 7, v7
	v_ffbh_u32_e32 v12, v2
	v_min_u32_e32 v12, 32, v12
	v_lshrrev_b16_e32 v6, 3, v7
	v_subrev_u32_e32 v13, 28, v12
	v_and_b32_e32 v6, 15, v6
	v_lshlrev_b32_e32 v13, v13, v7
	v_sub_u32_e32 v12, 29, v12
	v_and_b32_e32 v13, 7, v13
	v_cmp_eq_u16_e32 vcc, 0, v6
	v_cndmask_b32_e32 v2, v2, v13, vcc
	v_cndmask_b32_e32 v6, v6, v12, vcc
	v_lshlrev_b32_e32 v12, 24, v7
	v_mov_b32_e32 v13, 0x3b800000
	v_lshlrev_b32_e32 v2, 20, v2
	v_and_b32_e32 v12, 0x80000000, v12
	v_lshl_add_u32 v6, v6, 23, v13
	v_or3_b32 v2, v12, v6, v2
.LBB11_1828:
	s_or_b64 exec, exec, s[6:7]
	s_movk_i32 s4, 0x7f
	v_cmp_gt_i16_sdwa s[6:7], v3, s4 src0_sel:BYTE_0 src1_sel:DWORD
	s_mov_b64 s[4:5], 0
                                        ; implicit-def: $sgpr10
	s_and_saveexec_b64 s[8:9], s[6:7]
	s_xor_b64 s[6:7], exec, s[8:9]
	s_cbranch_execnz .LBB11_3877
; %bb.1829:
	s_or_saveexec_b64 s[6:7], s[6:7]
	v_mov_b32_e32 v6, s10
	s_xor_b64 exec, exec, s[6:7]
	s_cbranch_execnz .LBB11_3880
.LBB11_1830:
	s_or_b64 exec, exec, s[6:7]
	s_and_saveexec_b64 s[6:7], s[4:5]
	s_cbranch_execz .LBB11_1832
.LBB11_1831:
	v_and_b32_e32 v6, 7, v3
	v_ffbh_u32_e32 v13, v6
	v_min_u32_e32 v13, 32, v13
	v_lshrrev_b16_e32 v12, 3, v3
	v_subrev_u32_e32 v14, 28, v13
	v_and_b32_e32 v12, 15, v12
	v_lshlrev_b32_e32 v14, v14, v3
	v_sub_u32_e32 v13, 29, v13
	v_and_b32_e32 v14, 7, v14
	v_cmp_eq_u16_e32 vcc, 0, v12
	v_cndmask_b32_e32 v6, v6, v14, vcc
	v_cndmask_b32_e32 v12, v12, v13, vcc
	v_lshlrev_b32_e32 v13, 24, v3
	v_mov_b32_e32 v14, 0x3b800000
	v_lshlrev_b32_e32 v6, 20, v6
	v_and_b32_e32 v13, 0x80000000, v13
	v_lshl_add_u32 v12, v12, 23, v14
	v_or3_b32 v6, v13, v12, v6
.LBB11_1832:
	s_or_b64 exec, exec, s[6:7]
	s_nop 0
	v_mfma_f32_16x16x4f32 a[0:3], v2, v6, a[0:3]
	v_lshrrev_b32_e32 v6, 8, v7
	s_movk_i32 s4, 0x7f
	v_cmp_gt_i16_sdwa s[6:7], v6, s4 src0_sel:BYTE_0 src1_sel:DWORD
	s_mov_b64 s[4:5], 0
                                        ; implicit-def: $sgpr10
	s_and_saveexec_b64 s[8:9], s[6:7]
	s_xor_b64 s[6:7], exec, s[8:9]
	s_cbranch_execnz .LBB11_3881
; %bb.1833:
	s_or_saveexec_b64 s[6:7], s[6:7]
	v_mov_b32_e32 v2, s10
	s_xor_b64 exec, exec, s[6:7]
	s_cbranch_execnz .LBB11_3884
.LBB11_1834:
	s_or_b64 exec, exec, s[6:7]
	s_and_saveexec_b64 s[6:7], s[4:5]
	s_cbranch_execz .LBB11_1836
.LBB11_1835:
	v_bfe_u32 v2, v7, 8, 3
	v_ffbh_u32_e32 v13, v2
	v_min_u32_e32 v13, 32, v13
	v_lshrrev_b16_e32 v12, 3, v6
	v_subrev_u32_e32 v14, 28, v13
	v_and_b32_e32 v12, 15, v12
	v_lshlrev_b32_e32 v6, v14, v6
	v_sub_u32_e32 v13, 29, v13
	v_and_b32_e32 v6, 7, v6
	v_cmp_eq_u16_e32 vcc, 0, v12
	v_cndmask_b32_e32 v2, v2, v6, vcc
	v_cndmask_b32_e32 v6, v12, v13, vcc
	v_lshlrev_b32_e32 v12, 16, v7
	v_mov_b32_e32 v13, 0x3b800000
	v_lshlrev_b32_e32 v2, 20, v2
	v_and_b32_e32 v12, 0x80000000, v12
	v_lshl_add_u32 v6, v6, 23, v13
	v_or3_b32 v2, v12, v6, v2
.LBB11_1836:
	s_or_b64 exec, exec, s[6:7]
	v_lshrrev_b32_e32 v6, 8, v3
	s_movk_i32 s4, 0x7f
	v_cmp_gt_i16_sdwa s[6:7], v6, s4 src0_sel:BYTE_0 src1_sel:DWORD
	s_mov_b64 s[4:5], 0
                                        ; implicit-def: $sgpr10
	s_and_saveexec_b64 s[8:9], s[6:7]
	s_xor_b64 s[6:7], exec, s[8:9]
	s_cbranch_execnz .LBB11_3885
; %bb.1837:
	s_or_saveexec_b64 s[6:7], s[6:7]
	v_mov_b32_e32 v12, s10
	s_xor_b64 exec, exec, s[6:7]
	s_cbranch_execnz .LBB11_3888
.LBB11_1838:
	s_or_b64 exec, exec, s[6:7]
	s_and_saveexec_b64 s[6:7], s[4:5]
	s_cbranch_execz .LBB11_1840
.LBB11_1839:
	v_bfe_u32 v12, v3, 8, 3
	v_ffbh_u32_e32 v14, v12
	v_min_u32_e32 v14, 32, v14
	v_lshrrev_b16_e32 v13, 3, v6
	v_subrev_u32_e32 v15, 28, v14
	v_and_b32_e32 v13, 15, v13
	v_lshlrev_b32_e32 v6, v15, v6
	v_sub_u32_e32 v14, 29, v14
	v_and_b32_e32 v6, 7, v6
	v_cmp_eq_u16_e32 vcc, 0, v13
	v_cndmask_b32_e32 v6, v12, v6, vcc
	v_cndmask_b32_e32 v12, v13, v14, vcc
	v_lshlrev_b32_e32 v13, 16, v3
	v_mov_b32_e32 v14, 0x3b800000
	v_lshlrev_b32_e32 v6, 20, v6
	v_and_b32_e32 v13, 0x80000000, v13
	v_lshl_add_u32 v12, v12, 23, v14
	v_or3_b32 v12, v13, v12, v6
.LBB11_1840:
	s_or_b64 exec, exec, s[6:7]
	s_nop 0
	v_mfma_f32_16x16x4f32 a[0:3], v2, v12, a[0:3]
	s_movk_i32 s4, 0xff
	v_and_b32_sdwa v6, v7, s4 dst_sel:DWORD dst_unused:UNUSED_PAD src0_sel:WORD_1 src1_sel:DWORD
	s_movk_i32 s4, 0x7f
	v_cmp_lt_i16_e32 vcc, s4, v6
	s_mov_b64 s[4:5], 0
                                        ; implicit-def: $sgpr10
	s_and_saveexec_b64 s[6:7], vcc
	s_xor_b64 s[6:7], exec, s[6:7]
	s_cbranch_execnz .LBB11_3889
; %bb.1841:
	s_or_saveexec_b64 s[6:7], s[6:7]
	v_mov_b32_e32 v2, s10
	s_xor_b64 exec, exec, s[6:7]
	s_cbranch_execnz .LBB11_3892
.LBB11_1842:
	s_or_b64 exec, exec, s[6:7]
	s_and_saveexec_b64 s[6:7], s[4:5]
	s_cbranch_execz .LBB11_1844
.LBB11_1843:
	v_bfe_u32 v2, v7, 16, 3
	v_ffbh_u32_e32 v13, v2
	v_min_u32_e32 v13, 32, v13
	v_lshrrev_b32_e32 v6, 19, v7
	v_subrev_u32_e32 v14, 28, v13
	v_and_b32_e32 v6, 15, v6
	v_lshlrev_b32_sdwa v14, v14, v7 dst_sel:DWORD dst_unused:UNUSED_PAD src0_sel:DWORD src1_sel:WORD_1
	v_bfe_u32 v12, v7, 19, 4
	v_sub_u32_e32 v13, 29, v13
	v_and_b32_e32 v14, 7, v14
	v_cmp_eq_u16_e32 vcc, 0, v6
	v_cndmask_b32_e32 v2, v2, v14, vcc
	v_cndmask_b32_e32 v6, v12, v13, vcc
	v_lshlrev_b32_e32 v12, 8, v7
	v_mov_b32_e32 v13, 0x3b800000
	v_lshlrev_b32_e32 v2, 20, v2
	v_and_b32_e32 v12, 0x80000000, v12
	v_lshl_add_u32 v6, v6, 23, v13
	v_or3_b32 v2, v12, v6, v2
.LBB11_1844:
	s_or_b64 exec, exec, s[6:7]
	s_movk_i32 s4, 0xff
	v_and_b32_sdwa v6, v3, s4 dst_sel:DWORD dst_unused:UNUSED_PAD src0_sel:WORD_1 src1_sel:DWORD
	s_movk_i32 s4, 0x7f
	v_cmp_lt_i16_e32 vcc, s4, v6
	s_mov_b64 s[4:5], 0
                                        ; implicit-def: $sgpr10
	s_and_saveexec_b64 s[6:7], vcc
	s_xor_b64 s[6:7], exec, s[6:7]
	s_cbranch_execnz .LBB11_3893
; %bb.1845:
	s_or_saveexec_b64 s[6:7], s[6:7]
	v_mov_b32_e32 v12, s10
	s_xor_b64 exec, exec, s[6:7]
	s_cbranch_execnz .LBB11_3896
.LBB11_1846:
	s_or_b64 exec, exec, s[6:7]
	s_and_saveexec_b64 s[6:7], s[4:5]
	s_cbranch_execz .LBB11_1848
.LBB11_1847:
	v_bfe_u32 v6, v3, 16, 3
	v_ffbh_u32_e32 v14, v6
	v_min_u32_e32 v14, 32, v14
	v_lshrrev_b32_e32 v12, 19, v3
	v_subrev_u32_e32 v15, 28, v14
	v_and_b32_e32 v12, 15, v12
	v_lshlrev_b32_sdwa v15, v15, v3 dst_sel:DWORD dst_unused:UNUSED_PAD src0_sel:DWORD src1_sel:WORD_1
	v_bfe_u32 v13, v3, 19, 4
	v_sub_u32_e32 v14, 29, v14
	v_and_b32_e32 v15, 7, v15
	v_cmp_eq_u16_e32 vcc, 0, v12
	v_cndmask_b32_e32 v6, v6, v15, vcc
	v_cndmask_b32_e32 v12, v13, v14, vcc
	v_lshlrev_b32_e32 v13, 8, v3
	v_mov_b32_e32 v14, 0x3b800000
	v_lshlrev_b32_e32 v6, 20, v6
	v_and_b32_e32 v13, 0x80000000, v13
	v_lshl_add_u32 v12, v12, 23, v14
	v_or3_b32 v12, v13, v12, v6
.LBB11_1848:
	s_or_b64 exec, exec, s[6:7]
	s_nop 0
	v_mfma_f32_16x16x4f32 a[0:3], v2, v12, a[0:3]
	s_movk_i32 s4, 0x7f
	v_cmp_gt_i16_sdwa s[6:7], v7, s4 src0_sel:BYTE_3 src1_sel:DWORD
	s_mov_b64 s[4:5], 0
                                        ; implicit-def: $sgpr10
	s_and_saveexec_b64 s[8:9], s[6:7]
	s_xor_b64 s[6:7], exec, s[8:9]
	s_cbranch_execnz .LBB11_3897
; %bb.1849:
	s_or_saveexec_b64 s[6:7], s[6:7]
	v_mov_b32_e32 v2, s10
	s_xor_b64 exec, exec, s[6:7]
	s_cbranch_execnz .LBB11_3900
.LBB11_1850:
	s_or_b64 exec, exec, s[6:7]
	s_and_saveexec_b64 s[6:7], s[4:5]
	s_cbranch_execz .LBB11_1852
.LBB11_1851:
	v_bfe_u32 v2, v7, 24, 3
	v_ffbh_u32_e32 v14, v2
	v_min_u32_e32 v14, 32, v14
	v_lshrrev_b32_e32 v12, 27, v7
	v_subrev_u32_e32 v15, 28, v14
	v_and_b32_e32 v6, 0x80000000, v7
	v_and_b32_e32 v12, 15, v12
	v_bfe_u32 v13, v7, 27, 4
	v_lshlrev_b32_sdwa v7, v15, v7 dst_sel:DWORD dst_unused:UNUSED_PAD src0_sel:DWORD src1_sel:BYTE_3
	v_sub_u32_e32 v14, 29, v14
	v_and_b32_e32 v7, 7, v7
	v_cmp_eq_u16_e32 vcc, 0, v12
	v_cndmask_b32_e32 v2, v2, v7, vcc
	v_cndmask_b32_e32 v7, v13, v14, vcc
	v_mov_b32_e32 v12, 0x3b800000
	v_lshlrev_b32_e32 v2, 20, v2
	v_lshl_add_u32 v7, v7, 23, v12
	v_or3_b32 v2, v6, v7, v2
.LBB11_1852:
	s_or_b64 exec, exec, s[6:7]
	s_movk_i32 s4, 0x7f
	v_cmp_gt_i16_sdwa s[6:7], v3, s4 src0_sel:BYTE_3 src1_sel:DWORD
	s_mov_b64 s[4:5], 0
                                        ; implicit-def: $sgpr10
	s_and_saveexec_b64 s[8:9], s[6:7]
	s_xor_b64 s[6:7], exec, s[8:9]
	s_cbranch_execnz .LBB11_3901
; %bb.1853:
	s_or_saveexec_b64 s[6:7], s[6:7]
	v_mov_b32_e32 v6, s10
	s_xor_b64 exec, exec, s[6:7]
	s_cbranch_execnz .LBB11_3904
.LBB11_1854:
	s_or_b64 exec, exec, s[6:7]
	s_and_saveexec_b64 s[6:7], s[4:5]
	s_cbranch_execz .LBB11_1856
.LBB11_1855:
	v_bfe_u32 v6, v3, 24, 3
	v_ffbh_u32_e32 v14, v6
	v_min_u32_e32 v14, 32, v14
	v_lshrrev_b32_e32 v12, 27, v3
	v_subrev_u32_e32 v15, 28, v14
	v_and_b32_e32 v7, 0x80000000, v3
	v_and_b32_e32 v12, 15, v12
	v_bfe_u32 v13, v3, 27, 4
	v_lshlrev_b32_sdwa v3, v15, v3 dst_sel:DWORD dst_unused:UNUSED_PAD src0_sel:DWORD src1_sel:BYTE_3
	v_sub_u32_e32 v14, 29, v14
	v_and_b32_e32 v3, 7, v3
	v_cmp_eq_u16_e32 vcc, 0, v12
	v_cndmask_b32_e32 v3, v6, v3, vcc
	v_cndmask_b32_e32 v6, v13, v14, vcc
	v_mov_b32_e32 v12, 0x3b800000
	v_lshlrev_b32_e32 v3, 20, v3
	v_lshl_add_u32 v6, v6, 23, v12
	v_or3_b32 v6, v7, v6, v3
.LBB11_1856:
	s_or_b64 exec, exec, s[6:7]
	s_nop 0
	v_mfma_f32_16x16x4f32 a[0:3], v2, v6, a[0:3]
	s_movk_i32 s4, 0x7f
	v_cmp_gt_i16_sdwa s[6:7], v8, s4 src0_sel:BYTE_0 src1_sel:DWORD
	s_mov_b64 s[4:5], 0
                                        ; implicit-def: $sgpr10
	s_and_saveexec_b64 s[8:9], s[6:7]
	s_xor_b64 s[6:7], exec, s[8:9]
	s_cbranch_execnz .LBB11_3905
; %bb.1857:
	s_or_saveexec_b64 s[6:7], s[6:7]
	v_mov_b32_e32 v2, s10
	s_xor_b64 exec, exec, s[6:7]
	s_cbranch_execnz .LBB11_3908
.LBB11_1858:
	s_or_b64 exec, exec, s[6:7]
	s_and_saveexec_b64 s[6:7], s[4:5]
	s_cbranch_execz .LBB11_1860
.LBB11_1859:
	v_and_b32_e32 v2, 7, v8
	v_ffbh_u32_e32 v6, v2
	v_min_u32_e32 v6, 32, v6
	v_lshrrev_b16_e32 v3, 3, v8
	v_subrev_u32_e32 v7, 28, v6
	v_and_b32_e32 v3, 15, v3
	v_lshlrev_b32_e32 v7, v7, v8
	v_sub_u32_e32 v6, 29, v6
	v_and_b32_e32 v7, 7, v7
	v_cmp_eq_u16_e32 vcc, 0, v3
	v_cndmask_b32_e32 v2, v2, v7, vcc
	v_cndmask_b32_e32 v3, v3, v6, vcc
	v_lshlrev_b32_e32 v6, 24, v8
	v_mov_b32_e32 v7, 0x3b800000
	v_lshlrev_b32_e32 v2, 20, v2
	v_and_b32_e32 v6, 0x80000000, v6
	v_lshl_add_u32 v3, v3, 23, v7
	v_or3_b32 v2, v6, v3, v2
.LBB11_1860:
	s_or_b64 exec, exec, s[6:7]
	s_movk_i32 s4, 0x7f
	v_cmp_gt_i16_sdwa s[6:7], v4, s4 src0_sel:BYTE_0 src1_sel:DWORD
	s_mov_b64 s[4:5], 0
                                        ; implicit-def: $sgpr10
	s_and_saveexec_b64 s[8:9], s[6:7]
	s_xor_b64 s[6:7], exec, s[8:9]
	s_cbranch_execnz .LBB11_3909
; %bb.1861:
	s_or_saveexec_b64 s[6:7], s[6:7]
	v_mov_b32_e32 v3, s10
	s_xor_b64 exec, exec, s[6:7]
	s_cbranch_execnz .LBB11_3912
.LBB11_1862:
	s_or_b64 exec, exec, s[6:7]
	s_and_saveexec_b64 s[6:7], s[4:5]
	s_cbranch_execz .LBB11_1864
.LBB11_1863:
	v_and_b32_e32 v3, 7, v4
	v_ffbh_u32_e32 v7, v3
	v_min_u32_e32 v7, 32, v7
	v_lshrrev_b16_e32 v6, 3, v4
	v_subrev_u32_e32 v12, 28, v7
	v_and_b32_e32 v6, 15, v6
	v_lshlrev_b32_e32 v12, v12, v4
	v_sub_u32_e32 v7, 29, v7
	v_and_b32_e32 v12, 7, v12
	v_cmp_eq_u16_e32 vcc, 0, v6
	v_cndmask_b32_e32 v3, v3, v12, vcc
	v_cndmask_b32_e32 v6, v6, v7, vcc
	v_lshlrev_b32_e32 v7, 24, v4
	v_mov_b32_e32 v12, 0x3b800000
	v_lshlrev_b32_e32 v3, 20, v3
	v_and_b32_e32 v7, 0x80000000, v7
	v_lshl_add_u32 v6, v6, 23, v12
	v_or3_b32 v3, v7, v6, v3
.LBB11_1864:
	s_or_b64 exec, exec, s[6:7]
	s_nop 0
	v_mfma_f32_16x16x4f32 a[0:3], v2, v3, a[0:3]
	v_lshrrev_b32_e32 v3, 8, v8
	s_movk_i32 s4, 0x7f
	v_cmp_gt_i16_sdwa s[6:7], v3, s4 src0_sel:BYTE_0 src1_sel:DWORD
	s_mov_b64 s[4:5], 0
                                        ; implicit-def: $sgpr10
	s_and_saveexec_b64 s[8:9], s[6:7]
	s_xor_b64 s[6:7], exec, s[8:9]
	s_cbranch_execnz .LBB11_3913
; %bb.1865:
	s_or_saveexec_b64 s[6:7], s[6:7]
	v_mov_b32_e32 v2, s10
	s_xor_b64 exec, exec, s[6:7]
	s_cbranch_execnz .LBB11_3916
.LBB11_1866:
	s_or_b64 exec, exec, s[6:7]
	s_and_saveexec_b64 s[6:7], s[4:5]
	s_cbranch_execz .LBB11_1868
.LBB11_1867:
	v_bfe_u32 v2, v8, 8, 3
	v_ffbh_u32_e32 v7, v2
	v_min_u32_e32 v7, 32, v7
	v_lshrrev_b16_e32 v6, 3, v3
	v_subrev_u32_e32 v12, 28, v7
	v_and_b32_e32 v6, 15, v6
	v_lshlrev_b32_e32 v3, v12, v3
	v_sub_u32_e32 v7, 29, v7
	v_and_b32_e32 v3, 7, v3
	v_cmp_eq_u16_e32 vcc, 0, v6
	v_cndmask_b32_e32 v2, v2, v3, vcc
	v_cndmask_b32_e32 v3, v6, v7, vcc
	v_lshlrev_b32_e32 v6, 16, v8
	v_mov_b32_e32 v7, 0x3b800000
	v_lshlrev_b32_e32 v2, 20, v2
	v_and_b32_e32 v6, 0x80000000, v6
	v_lshl_add_u32 v3, v3, 23, v7
	v_or3_b32 v2, v6, v3, v2
.LBB11_1868:
	s_or_b64 exec, exec, s[6:7]
	v_lshrrev_b32_e32 v3, 8, v4
	s_movk_i32 s4, 0x7f
	v_cmp_gt_i16_sdwa s[6:7], v3, s4 src0_sel:BYTE_0 src1_sel:DWORD
	s_mov_b64 s[4:5], 0
                                        ; implicit-def: $sgpr10
	s_and_saveexec_b64 s[8:9], s[6:7]
	s_xor_b64 s[6:7], exec, s[8:9]
	s_cbranch_execnz .LBB11_3917
; %bb.1869:
	s_or_saveexec_b64 s[6:7], s[6:7]
	v_mov_b32_e32 v6, s10
	s_xor_b64 exec, exec, s[6:7]
	s_cbranch_execnz .LBB11_3920
.LBB11_1870:
	s_or_b64 exec, exec, s[6:7]
	s_and_saveexec_b64 s[6:7], s[4:5]
	s_cbranch_execz .LBB11_1872
.LBB11_1871:
	v_bfe_u32 v6, v4, 8, 3
	v_ffbh_u32_e32 v12, v6
	v_min_u32_e32 v12, 32, v12
	v_lshrrev_b16_e32 v7, 3, v3
	v_subrev_u32_e32 v13, 28, v12
	v_and_b32_e32 v7, 15, v7
	v_lshlrev_b32_e32 v3, v13, v3
	v_sub_u32_e32 v12, 29, v12
	v_and_b32_e32 v3, 7, v3
	v_cmp_eq_u16_e32 vcc, 0, v7
	v_cndmask_b32_e32 v3, v6, v3, vcc
	v_cndmask_b32_e32 v6, v7, v12, vcc
	v_lshlrev_b32_e32 v7, 16, v4
	v_mov_b32_e32 v12, 0x3b800000
	v_lshlrev_b32_e32 v3, 20, v3
	v_and_b32_e32 v7, 0x80000000, v7
	v_lshl_add_u32 v6, v6, 23, v12
	v_or3_b32 v6, v7, v6, v3
.LBB11_1872:
	s_or_b64 exec, exec, s[6:7]
	s_nop 0
	v_mfma_f32_16x16x4f32 a[0:3], v2, v6, a[0:3]
	s_movk_i32 s4, 0xff
	v_and_b32_sdwa v3, v8, s4 dst_sel:DWORD dst_unused:UNUSED_PAD src0_sel:WORD_1 src1_sel:DWORD
	s_movk_i32 s4, 0x7f
	v_cmp_lt_i16_e32 vcc, s4, v3
	s_mov_b64 s[4:5], 0
                                        ; implicit-def: $sgpr10
	s_and_saveexec_b64 s[6:7], vcc
	s_xor_b64 s[6:7], exec, s[6:7]
	s_cbranch_execnz .LBB11_3921
; %bb.1873:
	s_or_saveexec_b64 s[6:7], s[6:7]
	v_mov_b32_e32 v2, s10
	s_xor_b64 exec, exec, s[6:7]
	s_cbranch_execnz .LBB11_3924
.LBB11_1874:
	s_or_b64 exec, exec, s[6:7]
	s_and_saveexec_b64 s[6:7], s[4:5]
	s_cbranch_execz .LBB11_1876
.LBB11_1875:
	v_bfe_u32 v2, v8, 16, 3
	v_ffbh_u32_e32 v7, v2
	v_min_u32_e32 v7, 32, v7
	v_lshrrev_b32_e32 v3, 19, v8
	v_subrev_u32_e32 v12, 28, v7
	v_and_b32_e32 v3, 15, v3
	v_lshlrev_b32_sdwa v12, v12, v8 dst_sel:DWORD dst_unused:UNUSED_PAD src0_sel:DWORD src1_sel:WORD_1
	v_bfe_u32 v6, v8, 19, 4
	v_sub_u32_e32 v7, 29, v7
	v_and_b32_e32 v12, 7, v12
	v_cmp_eq_u16_e32 vcc, 0, v3
	v_cndmask_b32_e32 v2, v2, v12, vcc
	v_cndmask_b32_e32 v3, v6, v7, vcc
	v_lshlrev_b32_e32 v6, 8, v8
	v_mov_b32_e32 v7, 0x3b800000
	v_lshlrev_b32_e32 v2, 20, v2
	v_and_b32_e32 v6, 0x80000000, v6
	v_lshl_add_u32 v3, v3, 23, v7
	v_or3_b32 v2, v6, v3, v2
.LBB11_1876:
	s_or_b64 exec, exec, s[6:7]
	s_movk_i32 s4, 0xff
	v_and_b32_sdwa v3, v4, s4 dst_sel:DWORD dst_unused:UNUSED_PAD src0_sel:WORD_1 src1_sel:DWORD
	s_movk_i32 s4, 0x7f
	v_cmp_lt_i16_e32 vcc, s4, v3
	s_mov_b64 s[4:5], 0
                                        ; implicit-def: $sgpr10
	s_and_saveexec_b64 s[6:7], vcc
	s_xor_b64 s[6:7], exec, s[6:7]
	s_cbranch_execnz .LBB11_3925
; %bb.1877:
	s_or_saveexec_b64 s[6:7], s[6:7]
	v_mov_b32_e32 v6, s10
	s_xor_b64 exec, exec, s[6:7]
	s_cbranch_execnz .LBB11_3928
.LBB11_1878:
	s_or_b64 exec, exec, s[6:7]
	s_and_saveexec_b64 s[6:7], s[4:5]
	s_cbranch_execz .LBB11_1880
.LBB11_1879:
	v_bfe_u32 v3, v4, 16, 3
	v_ffbh_u32_e32 v12, v3
	v_min_u32_e32 v12, 32, v12
	v_lshrrev_b32_e32 v6, 19, v4
	v_subrev_u32_e32 v13, 28, v12
	v_and_b32_e32 v6, 15, v6
	v_lshlrev_b32_sdwa v13, v13, v4 dst_sel:DWORD dst_unused:UNUSED_PAD src0_sel:DWORD src1_sel:WORD_1
	v_bfe_u32 v7, v4, 19, 4
	v_sub_u32_e32 v12, 29, v12
	v_and_b32_e32 v13, 7, v13
	v_cmp_eq_u16_e32 vcc, 0, v6
	v_cndmask_b32_e32 v3, v3, v13, vcc
	v_cndmask_b32_e32 v6, v7, v12, vcc
	v_lshlrev_b32_e32 v7, 8, v4
	v_mov_b32_e32 v12, 0x3b800000
	v_lshlrev_b32_e32 v3, 20, v3
	v_and_b32_e32 v7, 0x80000000, v7
	v_lshl_add_u32 v6, v6, 23, v12
	v_or3_b32 v6, v7, v6, v3
.LBB11_1880:
	s_or_b64 exec, exec, s[6:7]
	s_nop 0
	v_mfma_f32_16x16x4f32 a[0:3], v2, v6, a[0:3]
	s_movk_i32 s4, 0x7f
	v_cmp_gt_i16_sdwa s[6:7], v8, s4 src0_sel:BYTE_3 src1_sel:DWORD
	s_mov_b64 s[4:5], 0
                                        ; implicit-def: $sgpr10
	s_and_saveexec_b64 s[8:9], s[6:7]
	s_xor_b64 s[6:7], exec, s[8:9]
	s_cbranch_execnz .LBB11_3929
; %bb.1881:
	s_or_saveexec_b64 s[6:7], s[6:7]
	v_mov_b32_e32 v2, s10
	s_xor_b64 exec, exec, s[6:7]
	s_cbranch_execnz .LBB11_3932
.LBB11_1882:
	s_or_b64 exec, exec, s[6:7]
	s_and_saveexec_b64 s[6:7], s[4:5]
	s_cbranch_execz .LBB11_1884
.LBB11_1883:
	v_bfe_u32 v2, v8, 24, 3
	v_ffbh_u32_e32 v12, v2
	v_min_u32_e32 v12, 32, v12
	v_lshrrev_b32_e32 v6, 27, v8
	v_subrev_u32_e32 v13, 28, v12
	v_and_b32_e32 v3, 0x80000000, v8
	v_and_b32_e32 v6, 15, v6
	v_bfe_u32 v7, v8, 27, 4
	v_lshlrev_b32_sdwa v8, v13, v8 dst_sel:DWORD dst_unused:UNUSED_PAD src0_sel:DWORD src1_sel:BYTE_3
	v_sub_u32_e32 v12, 29, v12
	v_and_b32_e32 v8, 7, v8
	v_cmp_eq_u16_e32 vcc, 0, v6
	v_cndmask_b32_e32 v2, v2, v8, vcc
	v_cndmask_b32_e32 v6, v7, v12, vcc
	v_mov_b32_e32 v7, 0x3b800000
	v_lshlrev_b32_e32 v2, 20, v2
	v_lshl_add_u32 v6, v6, 23, v7
	v_or3_b32 v2, v3, v6, v2
.LBB11_1884:
	s_or_b64 exec, exec, s[6:7]
	s_movk_i32 s4, 0x7f
	v_cmp_gt_i16_sdwa s[6:7], v4, s4 src0_sel:BYTE_3 src1_sel:DWORD
	s_mov_b64 s[4:5], 0
                                        ; implicit-def: $sgpr10
	s_and_saveexec_b64 s[8:9], s[6:7]
	s_xor_b64 s[6:7], exec, s[8:9]
	s_cbranch_execnz .LBB11_3933
; %bb.1885:
	s_or_saveexec_b64 s[6:7], s[6:7]
	v_mov_b32_e32 v3, s10
	s_xor_b64 exec, exec, s[6:7]
	s_cbranch_execnz .LBB11_3936
.LBB11_1886:
	s_or_b64 exec, exec, s[6:7]
	s_and_saveexec_b64 s[6:7], s[4:5]
	s_cbranch_execz .LBB11_1888
.LBB11_1887:
	v_bfe_u32 v3, v4, 24, 3
	v_ffbh_u32_e32 v12, v3
	v_min_u32_e32 v12, 32, v12
	v_lshrrev_b32_e32 v7, 27, v4
	v_subrev_u32_e32 v13, 28, v12
	v_and_b32_e32 v6, 0x80000000, v4
	v_and_b32_e32 v7, 15, v7
	v_bfe_u32 v8, v4, 27, 4
	v_lshlrev_b32_sdwa v4, v13, v4 dst_sel:DWORD dst_unused:UNUSED_PAD src0_sel:DWORD src1_sel:BYTE_3
	v_sub_u32_e32 v12, 29, v12
	v_and_b32_e32 v4, 7, v4
	v_cmp_eq_u16_e32 vcc, 0, v7
	v_cndmask_b32_e32 v3, v3, v4, vcc
	v_cndmask_b32_e32 v4, v8, v12, vcc
	v_mov_b32_e32 v7, 0x3b800000
	v_lshlrev_b32_e32 v3, 20, v3
	v_lshl_add_u32 v4, v4, 23, v7
	v_or3_b32 v3, v6, v4, v3
.LBB11_1888:
	s_or_b64 exec, exec, s[6:7]
	s_nop 0
	v_mfma_f32_16x16x4f32 a[0:3], v2, v3, a[0:3]
	s_movk_i32 s4, 0x7f
	v_cmp_gt_i16_sdwa s[6:7], v9, s4 src0_sel:BYTE_0 src1_sel:DWORD
	s_mov_b64 s[4:5], 0
                                        ; implicit-def: $sgpr10
	s_and_saveexec_b64 s[8:9], s[6:7]
	s_xor_b64 s[6:7], exec, s[8:9]
	s_cbranch_execnz .LBB11_3937
; %bb.1889:
	s_or_saveexec_b64 s[6:7], s[6:7]
	v_mov_b32_e32 v2, s10
	s_xor_b64 exec, exec, s[6:7]
	s_cbranch_execnz .LBB11_3940
.LBB11_1890:
	s_or_b64 exec, exec, s[6:7]
	s_and_saveexec_b64 s[6:7], s[4:5]
	s_cbranch_execz .LBB11_1892
.LBB11_1891:
	v_mov_b32_e32 v2, 8
	v_and_b32_e32 v3, 7, v9
	v_lshrrev_b32_sdwa v2, v2, v9 dst_sel:BYTE_1 dst_unused:UNUSED_PAD src0_sel:DWORD src1_sel:DWORD
	v_ffbh_u32_e32 v4, v3
	v_or_b32_sdwa v2, v9, v2 dst_sel:DWORD dst_unused:UNUSED_PAD src0_sel:BYTE_0 src1_sel:DWORD
	v_min_u32_e32 v4, 32, v4
	v_lshrrev_b16_e32 v2, 3, v2
	v_subrev_u32_e32 v6, 28, v4
	v_and_b32_e32 v2, 15, v2
	v_lshlrev_b32_e32 v6, v6, v9
	v_sub_u32_e32 v4, 29, v4
	v_and_b32_e32 v6, 7, v6
	v_cmp_eq_u16_e32 vcc, 0, v2
	v_cndmask_b32_e32 v3, v3, v6, vcc
	v_cndmask_b32_e32 v2, v2, v4, vcc
	v_lshlrev_b32_e32 v4, 24, v9
	v_mov_b32_e32 v6, 0x3b800000
	v_lshlrev_b32_e32 v3, 20, v3
	v_and_b32_e32 v4, 0x80000000, v4
	v_lshl_add_u32 v2, v2, 23, v6
	v_or3_b32 v2, v4, v2, v3
.LBB11_1892:
	s_or_b64 exec, exec, s[6:7]
	s_movk_i32 s4, 0x7f
	v_cmp_gt_i16_sdwa s[6:7], v5, s4 src0_sel:BYTE_0 src1_sel:DWORD
	s_mov_b64 s[4:5], 0
                                        ; implicit-def: $sgpr10
	s_and_saveexec_b64 s[8:9], s[6:7]
	s_xor_b64 s[6:7], exec, s[8:9]
	s_cbranch_execnz .LBB11_3941
; %bb.1893:
	s_or_saveexec_b64 s[6:7], s[6:7]
	v_mov_b32_e32 v3, s10
	s_xor_b64 exec, exec, s[6:7]
	s_cbranch_execnz .LBB11_3944
.LBB11_1894:
	s_or_b64 exec, exec, s[6:7]
	s_and_saveexec_b64 s[6:7], s[4:5]
	s_cbranch_execz .LBB11_1896
.LBB11_1895:
	v_mov_b32_e32 v3, 8
	v_and_b32_e32 v4, 7, v5
	v_lshrrev_b32_sdwa v3, v3, v5 dst_sel:BYTE_1 dst_unused:UNUSED_PAD src0_sel:DWORD src1_sel:DWORD
	v_ffbh_u32_e32 v6, v4
	v_or_b32_sdwa v3, v5, v3 dst_sel:DWORD dst_unused:UNUSED_PAD src0_sel:BYTE_0 src1_sel:DWORD
	v_min_u32_e32 v6, 32, v6
	v_lshrrev_b16_e32 v3, 3, v3
	v_subrev_u32_e32 v7, 28, v6
	v_and_b32_e32 v3, 15, v3
	v_lshlrev_b32_e32 v7, v7, v5
	v_sub_u32_e32 v6, 29, v6
	v_and_b32_e32 v7, 7, v7
	v_cmp_eq_u16_e32 vcc, 0, v3
	v_cndmask_b32_e32 v4, v4, v7, vcc
	v_cndmask_b32_e32 v3, v3, v6, vcc
	v_lshlrev_b32_e32 v6, 24, v5
	v_mov_b32_e32 v7, 0x3b800000
	v_lshlrev_b32_e32 v4, 20, v4
	v_and_b32_e32 v6, 0x80000000, v6
	v_lshl_add_u32 v3, v3, 23, v7
	v_or3_b32 v3, v6, v3, v4
.LBB11_1896:
	s_or_b64 exec, exec, s[6:7]
	s_nop 0
	v_mfma_f32_16x16x4f32 a[0:3], v2, v3, a[0:3]
	v_lshrrev_b32_e32 v3, 8, v9
	s_movk_i32 s4, 0x7f
	v_cmp_gt_i16_sdwa s[6:7], v3, s4 src0_sel:BYTE_0 src1_sel:DWORD
	s_mov_b64 s[4:5], 0
                                        ; implicit-def: $sgpr10
	s_and_saveexec_b64 s[8:9], s[6:7]
	s_xor_b64 s[6:7], exec, s[8:9]
	s_cbranch_execnz .LBB11_3945
; %bb.1897:
	s_or_saveexec_b64 s[6:7], s[6:7]
	v_mov_b32_e32 v2, s10
	s_xor_b64 exec, exec, s[6:7]
	s_cbranch_execnz .LBB11_3948
.LBB11_1898:
	s_or_b64 exec, exec, s[6:7]
	s_and_saveexec_b64 s[6:7], s[4:5]
	s_cbranch_execz .LBB11_1900
.LBB11_1899:
	v_bfe_u32 v2, v9, 8, 3
	v_ffbh_u32_e32 v6, v2
	v_min_u32_e32 v6, 32, v6
	v_lshrrev_b16_e32 v4, 3, v3
	v_subrev_u32_e32 v7, 28, v6
	v_and_b32_e32 v4, 15, v4
	v_lshlrev_b32_e32 v3, v7, v3
	v_sub_u32_e32 v6, 29, v6
	v_and_b32_e32 v3, 7, v3
	v_cmp_eq_u16_e32 vcc, 0, v4
	v_cndmask_b32_e32 v2, v2, v3, vcc
	v_cndmask_b32_e32 v3, v4, v6, vcc
	v_lshlrev_b32_e32 v4, 16, v9
	v_mov_b32_e32 v6, 0x3b800000
	v_lshlrev_b32_e32 v2, 20, v2
	v_and_b32_e32 v4, 0x80000000, v4
	v_lshl_add_u32 v3, v3, 23, v6
	v_or3_b32 v2, v4, v3, v2
.LBB11_1900:
	s_or_b64 exec, exec, s[6:7]
	v_lshrrev_b32_e32 v3, 8, v5
	s_movk_i32 s4, 0x7f
	v_cmp_gt_i16_sdwa s[6:7], v3, s4 src0_sel:BYTE_0 src1_sel:DWORD
	s_mov_b64 s[4:5], 0
                                        ; implicit-def: $sgpr10
	s_and_saveexec_b64 s[8:9], s[6:7]
	s_xor_b64 s[6:7], exec, s[8:9]
	s_cbranch_execnz .LBB11_3949
; %bb.1901:
	s_or_saveexec_b64 s[6:7], s[6:7]
	v_mov_b32_e32 v4, s10
	s_xor_b64 exec, exec, s[6:7]
	s_cbranch_execnz .LBB11_3952
.LBB11_1902:
	s_or_b64 exec, exec, s[6:7]
	s_and_saveexec_b64 s[6:7], s[4:5]
	s_cbranch_execz .LBB11_1904
.LBB11_1903:
	v_bfe_u32 v4, v5, 8, 3
	v_ffbh_u32_e32 v7, v4
	v_min_u32_e32 v7, 32, v7
	v_lshrrev_b16_e32 v6, 3, v3
	v_subrev_u32_e32 v8, 28, v7
	v_and_b32_e32 v6, 15, v6
	v_lshlrev_b32_e32 v3, v8, v3
	v_sub_u32_e32 v7, 29, v7
	v_and_b32_e32 v3, 7, v3
	v_cmp_eq_u16_e32 vcc, 0, v6
	v_cndmask_b32_e32 v3, v4, v3, vcc
	v_cndmask_b32_e32 v4, v6, v7, vcc
	v_lshlrev_b32_e32 v6, 16, v5
	v_mov_b32_e32 v7, 0x3b800000
	v_lshlrev_b32_e32 v3, 20, v3
	v_and_b32_e32 v6, 0x80000000, v6
	v_lshl_add_u32 v4, v4, 23, v7
	v_or3_b32 v4, v6, v4, v3
.LBB11_1904:
	s_or_b64 exec, exec, s[6:7]
	s_nop 0
	v_mfma_f32_16x16x4f32 a[0:3], v2, v4, a[0:3]
	s_movk_i32 s4, 0xff
	v_and_b32_sdwa v3, v9, s4 dst_sel:DWORD dst_unused:UNUSED_PAD src0_sel:WORD_1 src1_sel:DWORD
	s_movk_i32 s4, 0x7f
	v_cmp_lt_i16_e32 vcc, s4, v3
	s_mov_b64 s[4:5], 0
                                        ; implicit-def: $sgpr10
	s_and_saveexec_b64 s[6:7], vcc
	s_xor_b64 s[6:7], exec, s[6:7]
	s_cbranch_execnz .LBB11_3953
; %bb.1905:
	s_or_saveexec_b64 s[6:7], s[6:7]
	v_mov_b32_e32 v2, s10
	s_xor_b64 exec, exec, s[6:7]
	s_cbranch_execnz .LBB11_3956
.LBB11_1906:
	s_or_b64 exec, exec, s[6:7]
	s_and_saveexec_b64 s[6:7], s[4:5]
	s_cbranch_execz .LBB11_1908
.LBB11_1907:
	v_bfe_u32 v2, v9, 16, 3
	v_ffbh_u32_e32 v6, v2
	v_min_u32_e32 v6, 32, v6
	v_lshrrev_b32_e32 v3, 19, v9
	v_subrev_u32_e32 v7, 28, v6
	v_and_b32_e32 v3, 15, v3
	v_lshlrev_b32_sdwa v7, v7, v9 dst_sel:DWORD dst_unused:UNUSED_PAD src0_sel:DWORD src1_sel:WORD_1
	v_bfe_u32 v4, v9, 19, 4
	v_sub_u32_e32 v6, 29, v6
	v_and_b32_e32 v7, 7, v7
	v_cmp_eq_u16_e32 vcc, 0, v3
	v_cndmask_b32_e32 v2, v2, v7, vcc
	v_cndmask_b32_e32 v3, v4, v6, vcc
	v_lshlrev_b32_e32 v4, 8, v9
	v_mov_b32_e32 v6, 0x3b800000
	v_lshlrev_b32_e32 v2, 20, v2
	v_and_b32_e32 v4, 0x80000000, v4
	v_lshl_add_u32 v3, v3, 23, v6
	v_or3_b32 v2, v4, v3, v2
.LBB11_1908:
	s_or_b64 exec, exec, s[6:7]
	s_movk_i32 s4, 0xff
	v_and_b32_sdwa v3, v5, s4 dst_sel:DWORD dst_unused:UNUSED_PAD src0_sel:WORD_1 src1_sel:DWORD
	s_movk_i32 s4, 0x7f
	v_cmp_lt_i16_e32 vcc, s4, v3
	s_mov_b64 s[4:5], 0
                                        ; implicit-def: $sgpr10
	s_and_saveexec_b64 s[6:7], vcc
	s_xor_b64 s[6:7], exec, s[6:7]
	s_cbranch_execnz .LBB11_3957
; %bb.1909:
	s_or_saveexec_b64 s[6:7], s[6:7]
	v_mov_b32_e32 v4, s10
	s_xor_b64 exec, exec, s[6:7]
	s_cbranch_execnz .LBB11_3960
.LBB11_1910:
	s_or_b64 exec, exec, s[6:7]
	s_and_saveexec_b64 s[6:7], s[4:5]
	s_cbranch_execz .LBB11_1912
.LBB11_1911:
	v_bfe_u32 v3, v5, 16, 3
	v_ffbh_u32_e32 v7, v3
	v_min_u32_e32 v7, 32, v7
	v_lshrrev_b32_e32 v4, 19, v5
	v_subrev_u32_e32 v8, 28, v7
	v_and_b32_e32 v4, 15, v4
	v_lshlrev_b32_sdwa v8, v8, v5 dst_sel:DWORD dst_unused:UNUSED_PAD src0_sel:DWORD src1_sel:WORD_1
	v_bfe_u32 v6, v5, 19, 4
	v_sub_u32_e32 v7, 29, v7
	v_and_b32_e32 v8, 7, v8
	v_cmp_eq_u16_e32 vcc, 0, v4
	v_cndmask_b32_e32 v3, v3, v8, vcc
	v_cndmask_b32_e32 v4, v6, v7, vcc
	v_lshlrev_b32_e32 v6, 8, v5
	v_mov_b32_e32 v7, 0x3b800000
	v_lshlrev_b32_e32 v3, 20, v3
	v_and_b32_e32 v6, 0x80000000, v6
	v_lshl_add_u32 v4, v4, 23, v7
	v_or3_b32 v4, v6, v4, v3
.LBB11_1912:
	s_or_b64 exec, exec, s[6:7]
	s_nop 0
	v_mfma_f32_16x16x4f32 a[0:3], v2, v4, a[0:3]
	s_movk_i32 s4, 0x7f
	v_cmp_gt_i16_sdwa s[6:7], v9, s4 src0_sel:BYTE_3 src1_sel:DWORD
	s_mov_b64 s[4:5], 0
                                        ; implicit-def: $sgpr10
	s_and_saveexec_b64 s[8:9], s[6:7]
	s_xor_b64 s[6:7], exec, s[8:9]
	s_cbranch_execnz .LBB11_3961
; %bb.1913:
	s_or_saveexec_b64 s[6:7], s[6:7]
	v_mov_b32_e32 v2, s10
	s_xor_b64 exec, exec, s[6:7]
	s_cbranch_execnz .LBB11_3964
.LBB11_1914:
	s_or_b64 exec, exec, s[6:7]
	s_and_saveexec_b64 s[6:7], s[4:5]
	s_cbranch_execz .LBB11_1916
.LBB11_1915:
	v_bfe_u32 v2, v9, 24, 3
	v_ffbh_u32_e32 v7, v2
	v_min_u32_e32 v7, 32, v7
	v_lshrrev_b32_e32 v4, 27, v9
	v_subrev_u32_e32 v8, 28, v7
	v_and_b32_e32 v4, 15, v4
	v_lshlrev_b32_sdwa v8, v8, v9 dst_sel:DWORD dst_unused:UNUSED_PAD src0_sel:DWORD src1_sel:BYTE_3
	v_bfe_u32 v6, v9, 27, 4
	v_sub_u32_e32 v7, 29, v7
	v_and_b32_e32 v8, 7, v8
	v_cmp_eq_u16_e32 vcc, 0, v4
	v_cndmask_b32_e32 v2, v2, v8, vcc
	v_cndmask_b32_e32 v4, v6, v7, vcc
	v_mov_b32_e32 v6, 0x3b800000
	v_and_b32_e32 v3, 0x80000000, v9
	v_lshlrev_b32_e32 v2, 20, v2
	v_lshl_add_u32 v4, v4, 23, v6
	v_or3_b32 v2, v3, v4, v2
.LBB11_1916:
	s_or_b64 exec, exec, s[6:7]
	s_movk_i32 s4, 0x7f
	v_cmp_gt_i16_sdwa s[6:7], v5, s4 src0_sel:BYTE_3 src1_sel:DWORD
	s_mov_b64 s[4:5], 0
                                        ; implicit-def: $sgpr10
	s_and_saveexec_b64 s[8:9], s[6:7]
	s_xor_b64 s[6:7], exec, s[8:9]
	s_cbranch_execnz .LBB11_3965
; %bb.1917:
	s_or_saveexec_b64 s[6:7], s[6:7]
	v_mov_b32_e32 v3, s10
	s_xor_b64 exec, exec, s[6:7]
	s_cbranch_execnz .LBB11_3968
.LBB11_1918:
	s_or_b64 exec, exec, s[6:7]
	s_and_saveexec_b64 s[6:7], s[4:5]
	s_cbranch_execz .LBB11_1920
.LBB11_1919:
	v_bfe_u32 v3, v5, 24, 3
	v_ffbh_u32_e32 v8, v3
	v_min_u32_e32 v8, 32, v8
	v_lshrrev_b32_e32 v6, 27, v5
	v_subrev_u32_e32 v9, 28, v8
	v_and_b32_e32 v4, 0x80000000, v5
	v_and_b32_e32 v6, 15, v6
	v_bfe_u32 v7, v5, 27, 4
	v_lshlrev_b32_sdwa v5, v9, v5 dst_sel:DWORD dst_unused:UNUSED_PAD src0_sel:DWORD src1_sel:BYTE_3
	v_sub_u32_e32 v8, 29, v8
	v_and_b32_e32 v5, 7, v5
	v_cmp_eq_u16_e32 vcc, 0, v6
	v_cndmask_b32_e32 v3, v3, v5, vcc
	v_cndmask_b32_e32 v5, v7, v8, vcc
	v_mov_b32_e32 v6, 0x3b800000
	v_lshlrev_b32_e32 v3, 20, v3
	v_lshl_add_u32 v5, v5, 23, v6
	v_or3_b32 v3, v4, v5, v3
.LBB11_1920:
	s_or_b64 exec, exec, s[6:7]
	s_nop 0
	v_mfma_f32_16x16x4f32 a[0:3], v2, v3, a[0:3]
	s_nop 7
	s_nop 2
	flat_store_dwordx4 v[10:11], a[0:3] offset:224
	flat_load_dwordx4 v[10:13], v[0:1] offset:8
	s_waitcnt vmcnt(0) lgkmcnt(0)
	flat_load_dwordx4 v[6:9], v[10:11] offset:112
	flat_load_dwordx4 v[2:5], v[12:13] offset:112
	; sched_barrier mask(0x00000000)
	s_waitcnt lgkmcnt(0)
	s_barrier
	; sched_barrier mask(0x00000000)
	flat_load_dwordx2 v[0:1], v[0:1] offset:32
	s_movk_i32 s4, 0x7f
	s_waitcnt vmcnt(0)
	v_cmp_gt_i16_sdwa s[6:7], v6, s4 src0_sel:BYTE_0 src1_sel:DWORD
	s_mov_b64 s[4:5], 0
                                        ; implicit-def: $sgpr10
	s_and_saveexec_b64 s[8:9], s[6:7]
	s_xor_b64 s[6:7], exec, s[8:9]
	s_cbranch_execnz .LBB11_3969
; %bb.1921:
	s_or_saveexec_b64 s[6:7], s[6:7]
	v_mov_b32_e32 v10, s10
	s_xor_b64 exec, exec, s[6:7]
	s_cbranch_execnz .LBB11_3972
.LBB11_1922:
	s_or_b64 exec, exec, s[6:7]
	s_and_saveexec_b64 s[6:7], s[4:5]
	s_cbranch_execz .LBB11_1924
.LBB11_1923:
	v_and_b32_e32 v10, 7, v6
	v_ffbh_u32_e32 v12, v10
	v_min_u32_e32 v12, 32, v12
	v_lshrrev_b16_e32 v11, 3, v6
	v_subrev_u32_e32 v13, 28, v12
	v_and_b32_e32 v11, 15, v11
	v_lshlrev_b32_e32 v13, v13, v6
	v_sub_u32_e32 v12, 29, v12
	v_and_b32_e32 v13, 7, v13
	v_cmp_eq_u16_e32 vcc, 0, v11
	v_cndmask_b32_e32 v10, v10, v13, vcc
	v_cndmask_b32_e32 v11, v11, v12, vcc
	v_lshlrev_b32_e32 v12, 24, v6
	v_mov_b32_e32 v13, 0x3b800000
	v_lshlrev_b32_e32 v10, 20, v10
	v_and_b32_e32 v12, 0x80000000, v12
	v_lshl_add_u32 v11, v11, 23, v13
	v_or3_b32 v10, v12, v11, v10
.LBB11_1924:
	s_or_b64 exec, exec, s[6:7]
	s_movk_i32 s4, 0x7f
	v_cmp_gt_i16_sdwa s[6:7], v2, s4 src0_sel:BYTE_0 src1_sel:DWORD
	s_mov_b64 s[4:5], 0
                                        ; implicit-def: $sgpr10
	s_and_saveexec_b64 s[8:9], s[6:7]
	s_xor_b64 s[6:7], exec, s[8:9]
	s_cbranch_execnz .LBB11_3973
; %bb.1925:
	s_or_saveexec_b64 s[6:7], s[6:7]
	v_mov_b32_e32 v11, s10
	s_xor_b64 exec, exec, s[6:7]
	s_cbranch_execnz .LBB11_3976
.LBB11_1926:
	s_or_b64 exec, exec, s[6:7]
	s_and_saveexec_b64 s[6:7], s[4:5]
	s_cbranch_execz .LBB11_1928
.LBB11_1927:
	v_and_b32_e32 v11, 7, v2
	v_ffbh_u32_e32 v13, v11
	v_min_u32_e32 v13, 32, v13
	v_lshrrev_b16_e32 v12, 3, v2
	v_subrev_u32_e32 v14, 28, v13
	v_and_b32_e32 v12, 15, v12
	v_lshlrev_b32_e32 v14, v14, v2
	v_sub_u32_e32 v13, 29, v13
	v_and_b32_e32 v14, 7, v14
	v_cmp_eq_u16_e32 vcc, 0, v12
	v_cndmask_b32_e32 v11, v11, v14, vcc
	v_cndmask_b32_e32 v12, v12, v13, vcc
	v_lshlrev_b32_e32 v13, 24, v2
	v_mov_b32_e32 v14, 0x3b800000
	v_lshlrev_b32_e32 v11, 20, v11
	v_and_b32_e32 v13, 0x80000000, v13
	v_lshl_add_u32 v12, v12, 23, v14
	v_or3_b32 v11, v13, v12, v11
.LBB11_1928:
	s_or_b64 exec, exec, s[6:7]
	s_waitcnt lgkmcnt(0)
	flat_load_dwordx4 a[0:3], v[0:1] offset:240
	s_movk_i32 s4, 0x7f
                                        ; implicit-def: $sgpr10
	s_waitcnt vmcnt(0) lgkmcnt(0)
	v_mfma_f32_16x16x4f32 a[0:3], v10, v11, a[0:3]
	v_lshrrev_b32_e32 v11, 8, v6
	v_cmp_gt_i16_sdwa s[6:7], v11, s4 src0_sel:BYTE_0 src1_sel:DWORD
	s_mov_b64 s[4:5], 0
	s_and_saveexec_b64 s[8:9], s[6:7]
	s_xor_b64 s[6:7], exec, s[8:9]
	s_cbranch_execnz .LBB11_3977
; %bb.1929:
	s_or_saveexec_b64 s[6:7], s[6:7]
	v_mov_b32_e32 v10, s10
	s_xor_b64 exec, exec, s[6:7]
	s_cbranch_execnz .LBB11_3980
.LBB11_1930:
	s_or_b64 exec, exec, s[6:7]
	s_and_saveexec_b64 s[6:7], s[4:5]
	s_cbranch_execz .LBB11_1932
.LBB11_1931:
	v_bfe_u32 v10, v6, 8, 3
	v_ffbh_u32_e32 v13, v10
	v_min_u32_e32 v13, 32, v13
	v_lshrrev_b16_e32 v12, 3, v11
	v_subrev_u32_e32 v14, 28, v13
	v_and_b32_e32 v12, 15, v12
	v_lshlrev_b32_e32 v11, v14, v11
	v_sub_u32_e32 v13, 29, v13
	v_and_b32_e32 v11, 7, v11
	v_cmp_eq_u16_e32 vcc, 0, v12
	v_cndmask_b32_e32 v10, v10, v11, vcc
	v_cndmask_b32_e32 v11, v12, v13, vcc
	v_lshlrev_b32_e32 v12, 16, v6
	v_mov_b32_e32 v13, 0x3b800000
	v_lshlrev_b32_e32 v10, 20, v10
	v_and_b32_e32 v12, 0x80000000, v12
	v_lshl_add_u32 v11, v11, 23, v13
	v_or3_b32 v10, v12, v11, v10
.LBB11_1932:
	s_or_b64 exec, exec, s[6:7]
	v_lshrrev_b32_e32 v11, 8, v2
	s_movk_i32 s4, 0x7f
	v_cmp_gt_i16_sdwa s[6:7], v11, s4 src0_sel:BYTE_0 src1_sel:DWORD
	s_mov_b64 s[4:5], 0
                                        ; implicit-def: $sgpr10
	s_and_saveexec_b64 s[8:9], s[6:7]
	s_xor_b64 s[6:7], exec, s[8:9]
	s_cbranch_execnz .LBB11_3981
; %bb.1933:
	s_or_saveexec_b64 s[6:7], s[6:7]
	v_mov_b32_e32 v12, s10
	s_xor_b64 exec, exec, s[6:7]
	s_cbranch_execnz .LBB11_3984
.LBB11_1934:
	s_or_b64 exec, exec, s[6:7]
	s_and_saveexec_b64 s[6:7], s[4:5]
	s_cbranch_execz .LBB11_1936
.LBB11_1935:
	v_bfe_u32 v12, v2, 8, 3
	v_ffbh_u32_e32 v14, v12
	v_min_u32_e32 v14, 32, v14
	v_lshrrev_b16_e32 v13, 3, v11
	v_subrev_u32_e32 v15, 28, v14
	v_and_b32_e32 v13, 15, v13
	v_lshlrev_b32_e32 v11, v15, v11
	v_sub_u32_e32 v14, 29, v14
	v_and_b32_e32 v11, 7, v11
	v_cmp_eq_u16_e32 vcc, 0, v13
	v_cndmask_b32_e32 v11, v12, v11, vcc
	v_cndmask_b32_e32 v12, v13, v14, vcc
	v_lshlrev_b32_e32 v13, 16, v2
	v_mov_b32_e32 v14, 0x3b800000
	v_lshlrev_b32_e32 v11, 20, v11
	v_and_b32_e32 v13, 0x80000000, v13
	v_lshl_add_u32 v12, v12, 23, v14
	v_or3_b32 v12, v13, v12, v11
.LBB11_1936:
	s_or_b64 exec, exec, s[6:7]
	s_nop 0
	v_mfma_f32_16x16x4f32 a[0:3], v10, v12, a[0:3]
	s_movk_i32 s4, 0xff
	v_and_b32_sdwa v11, v6, s4 dst_sel:DWORD dst_unused:UNUSED_PAD src0_sel:WORD_1 src1_sel:DWORD
	s_movk_i32 s4, 0x7f
	v_cmp_lt_i16_e32 vcc, s4, v11
	s_mov_b64 s[4:5], 0
                                        ; implicit-def: $sgpr10
	s_and_saveexec_b64 s[6:7], vcc
	s_xor_b64 s[6:7], exec, s[6:7]
	s_cbranch_execnz .LBB11_3985
; %bb.1937:
	s_or_saveexec_b64 s[6:7], s[6:7]
	v_mov_b32_e32 v10, s10
	s_xor_b64 exec, exec, s[6:7]
	s_cbranch_execnz .LBB11_3988
.LBB11_1938:
	s_or_b64 exec, exec, s[6:7]
	s_and_saveexec_b64 s[6:7], s[4:5]
	s_cbranch_execz .LBB11_1940
.LBB11_1939:
	v_bfe_u32 v10, v6, 16, 3
	v_ffbh_u32_e32 v13, v10
	v_min_u32_e32 v13, 32, v13
	v_lshrrev_b32_e32 v11, 19, v6
	v_subrev_u32_e32 v14, 28, v13
	v_and_b32_e32 v11, 15, v11
	v_lshlrev_b32_sdwa v14, v14, v6 dst_sel:DWORD dst_unused:UNUSED_PAD src0_sel:DWORD src1_sel:WORD_1
	v_bfe_u32 v12, v6, 19, 4
	v_sub_u32_e32 v13, 29, v13
	v_and_b32_e32 v14, 7, v14
	v_cmp_eq_u16_e32 vcc, 0, v11
	v_cndmask_b32_e32 v10, v10, v14, vcc
	v_cndmask_b32_e32 v11, v12, v13, vcc
	v_lshlrev_b32_e32 v12, 8, v6
	v_mov_b32_e32 v13, 0x3b800000
	v_lshlrev_b32_e32 v10, 20, v10
	v_and_b32_e32 v12, 0x80000000, v12
	v_lshl_add_u32 v11, v11, 23, v13
	v_or3_b32 v10, v12, v11, v10
.LBB11_1940:
	s_or_b64 exec, exec, s[6:7]
	s_movk_i32 s4, 0xff
	v_and_b32_sdwa v11, v2, s4 dst_sel:DWORD dst_unused:UNUSED_PAD src0_sel:WORD_1 src1_sel:DWORD
	s_movk_i32 s4, 0x7f
	v_cmp_lt_i16_e32 vcc, s4, v11
	s_mov_b64 s[4:5], 0
                                        ; implicit-def: $sgpr10
	s_and_saveexec_b64 s[6:7], vcc
	s_xor_b64 s[6:7], exec, s[6:7]
	s_cbranch_execnz .LBB11_3989
; %bb.1941:
	s_or_saveexec_b64 s[6:7], s[6:7]
	v_mov_b32_e32 v12, s10
	s_xor_b64 exec, exec, s[6:7]
	s_cbranch_execnz .LBB11_3992
.LBB11_1942:
	s_or_b64 exec, exec, s[6:7]
	s_and_saveexec_b64 s[6:7], s[4:5]
	s_cbranch_execz .LBB11_1944
.LBB11_1943:
	v_bfe_u32 v11, v2, 16, 3
	v_ffbh_u32_e32 v14, v11
	v_min_u32_e32 v14, 32, v14
	v_lshrrev_b32_e32 v12, 19, v2
	v_subrev_u32_e32 v15, 28, v14
	v_and_b32_e32 v12, 15, v12
	v_lshlrev_b32_sdwa v15, v15, v2 dst_sel:DWORD dst_unused:UNUSED_PAD src0_sel:DWORD src1_sel:WORD_1
	v_bfe_u32 v13, v2, 19, 4
	v_sub_u32_e32 v14, 29, v14
	v_and_b32_e32 v15, 7, v15
	v_cmp_eq_u16_e32 vcc, 0, v12
	v_cndmask_b32_e32 v11, v11, v15, vcc
	v_cndmask_b32_e32 v12, v13, v14, vcc
	v_lshlrev_b32_e32 v13, 8, v2
	v_mov_b32_e32 v14, 0x3b800000
	v_lshlrev_b32_e32 v11, 20, v11
	v_and_b32_e32 v13, 0x80000000, v13
	v_lshl_add_u32 v12, v12, 23, v14
	v_or3_b32 v12, v13, v12, v11
.LBB11_1944:
	s_or_b64 exec, exec, s[6:7]
	s_nop 0
	v_mfma_f32_16x16x4f32 a[0:3], v10, v12, a[0:3]
	s_movk_i32 s4, 0x7f
	v_cmp_gt_i16_sdwa s[6:7], v6, s4 src0_sel:BYTE_3 src1_sel:DWORD
	s_mov_b64 s[4:5], 0
                                        ; implicit-def: $sgpr10
	s_and_saveexec_b64 s[8:9], s[6:7]
	s_xor_b64 s[6:7], exec, s[8:9]
	s_cbranch_execnz .LBB11_3993
; %bb.1945:
	s_or_saveexec_b64 s[6:7], s[6:7]
	v_mov_b32_e32 v10, s10
	s_xor_b64 exec, exec, s[6:7]
	s_cbranch_execnz .LBB11_3996
.LBB11_1946:
	s_or_b64 exec, exec, s[6:7]
	s_and_saveexec_b64 s[6:7], s[4:5]
	s_cbranch_execz .LBB11_1948
.LBB11_1947:
	v_bfe_u32 v10, v6, 24, 3
	v_ffbh_u32_e32 v14, v10
	v_min_u32_e32 v14, 32, v14
	v_lshrrev_b32_e32 v12, 27, v6
	v_subrev_u32_e32 v15, 28, v14
	v_and_b32_e32 v11, 0x80000000, v6
	v_and_b32_e32 v12, 15, v12
	v_bfe_u32 v13, v6, 27, 4
	v_lshlrev_b32_sdwa v6, v15, v6 dst_sel:DWORD dst_unused:UNUSED_PAD src0_sel:DWORD src1_sel:BYTE_3
	v_sub_u32_e32 v14, 29, v14
	v_and_b32_e32 v6, 7, v6
	v_cmp_eq_u16_e32 vcc, 0, v12
	v_cndmask_b32_e32 v6, v10, v6, vcc
	v_cndmask_b32_e32 v10, v13, v14, vcc
	v_mov_b32_e32 v12, 0x3b800000
	v_lshlrev_b32_e32 v6, 20, v6
	v_lshl_add_u32 v10, v10, 23, v12
	v_or3_b32 v10, v11, v10, v6
.LBB11_1948:
	s_or_b64 exec, exec, s[6:7]
	s_movk_i32 s4, 0x7f
	v_cmp_gt_i16_sdwa s[6:7], v2, s4 src0_sel:BYTE_3 src1_sel:DWORD
	s_mov_b64 s[4:5], 0
                                        ; implicit-def: $sgpr10
	s_and_saveexec_b64 s[8:9], s[6:7]
	s_xor_b64 s[6:7], exec, s[8:9]
	s_cbranch_execnz .LBB11_3997
; %bb.1949:
	s_or_saveexec_b64 s[6:7], s[6:7]
	v_mov_b32_e32 v6, s10
	s_xor_b64 exec, exec, s[6:7]
	s_cbranch_execnz .LBB11_4000
.LBB11_1950:
	s_or_b64 exec, exec, s[6:7]
	s_and_saveexec_b64 s[6:7], s[4:5]
	s_cbranch_execz .LBB11_1952
.LBB11_1951:
	v_bfe_u32 v6, v2, 24, 3
	v_ffbh_u32_e32 v14, v6
	v_min_u32_e32 v14, 32, v14
	v_lshrrev_b32_e32 v12, 27, v2
	v_subrev_u32_e32 v15, 28, v14
	v_and_b32_e32 v11, 0x80000000, v2
	v_and_b32_e32 v12, 15, v12
	v_bfe_u32 v13, v2, 27, 4
	v_lshlrev_b32_sdwa v2, v15, v2 dst_sel:DWORD dst_unused:UNUSED_PAD src0_sel:DWORD src1_sel:BYTE_3
	v_sub_u32_e32 v14, 29, v14
	v_and_b32_e32 v2, 7, v2
	v_cmp_eq_u16_e32 vcc, 0, v12
	v_cndmask_b32_e32 v2, v6, v2, vcc
	v_cndmask_b32_e32 v6, v13, v14, vcc
	v_mov_b32_e32 v12, 0x3b800000
	v_lshlrev_b32_e32 v2, 20, v2
	v_lshl_add_u32 v6, v6, 23, v12
	v_or3_b32 v6, v11, v6, v2
.LBB11_1952:
	s_or_b64 exec, exec, s[6:7]
	s_nop 0
	v_mfma_f32_16x16x4f32 a[0:3], v10, v6, a[0:3]
	s_movk_i32 s4, 0x7f
	v_cmp_gt_i16_sdwa s[6:7], v7, s4 src0_sel:BYTE_0 src1_sel:DWORD
	s_mov_b64 s[4:5], 0
                                        ; implicit-def: $sgpr10
	s_and_saveexec_b64 s[8:9], s[6:7]
	s_xor_b64 s[6:7], exec, s[8:9]
	s_cbranch_execnz .LBB11_4001
; %bb.1953:
	s_or_saveexec_b64 s[6:7], s[6:7]
	v_mov_b32_e32 v2, s10
	s_xor_b64 exec, exec, s[6:7]
	s_cbranch_execnz .LBB11_4004
.LBB11_1954:
	s_or_b64 exec, exec, s[6:7]
	s_and_saveexec_b64 s[6:7], s[4:5]
	s_cbranch_execz .LBB11_1956
.LBB11_1955:
	v_and_b32_e32 v2, 7, v7
	v_ffbh_u32_e32 v10, v2
	v_min_u32_e32 v10, 32, v10
	v_lshrrev_b16_e32 v6, 3, v7
	v_subrev_u32_e32 v11, 28, v10
	v_and_b32_e32 v6, 15, v6
	v_lshlrev_b32_e32 v11, v11, v7
	v_sub_u32_e32 v10, 29, v10
	v_and_b32_e32 v11, 7, v11
	v_cmp_eq_u16_e32 vcc, 0, v6
	v_cndmask_b32_e32 v2, v2, v11, vcc
	v_cndmask_b32_e32 v6, v6, v10, vcc
	v_lshlrev_b32_e32 v10, 24, v7
	v_mov_b32_e32 v11, 0x3b800000
	v_lshlrev_b32_e32 v2, 20, v2
	v_and_b32_e32 v10, 0x80000000, v10
	v_lshl_add_u32 v6, v6, 23, v11
	v_or3_b32 v2, v10, v6, v2
.LBB11_1956:
	s_or_b64 exec, exec, s[6:7]
	s_movk_i32 s4, 0x7f
	v_cmp_gt_i16_sdwa s[6:7], v3, s4 src0_sel:BYTE_0 src1_sel:DWORD
	s_mov_b64 s[4:5], 0
                                        ; implicit-def: $sgpr10
	s_and_saveexec_b64 s[8:9], s[6:7]
	s_xor_b64 s[6:7], exec, s[8:9]
	s_cbranch_execnz .LBB11_4005
; %bb.1957:
	s_or_saveexec_b64 s[6:7], s[6:7]
	v_mov_b32_e32 v6, s10
	s_xor_b64 exec, exec, s[6:7]
	s_cbranch_execnz .LBB11_4008
.LBB11_1958:
	s_or_b64 exec, exec, s[6:7]
	s_and_saveexec_b64 s[6:7], s[4:5]
	s_cbranch_execz .LBB11_1960
.LBB11_1959:
	v_and_b32_e32 v6, 7, v3
	v_ffbh_u32_e32 v11, v6
	v_min_u32_e32 v11, 32, v11
	v_lshrrev_b16_e32 v10, 3, v3
	v_subrev_u32_e32 v12, 28, v11
	v_and_b32_e32 v10, 15, v10
	v_lshlrev_b32_e32 v12, v12, v3
	v_sub_u32_e32 v11, 29, v11
	v_and_b32_e32 v12, 7, v12
	v_cmp_eq_u16_e32 vcc, 0, v10
	v_cndmask_b32_e32 v6, v6, v12, vcc
	v_cndmask_b32_e32 v10, v10, v11, vcc
	v_lshlrev_b32_e32 v11, 24, v3
	v_mov_b32_e32 v12, 0x3b800000
	v_lshlrev_b32_e32 v6, 20, v6
	v_and_b32_e32 v11, 0x80000000, v11
	v_lshl_add_u32 v10, v10, 23, v12
	v_or3_b32 v6, v11, v10, v6
.LBB11_1960:
	s_or_b64 exec, exec, s[6:7]
	s_nop 0
	v_mfma_f32_16x16x4f32 a[0:3], v2, v6, a[0:3]
	v_lshrrev_b32_e32 v6, 8, v7
	s_movk_i32 s4, 0x7f
	v_cmp_gt_i16_sdwa s[6:7], v6, s4 src0_sel:BYTE_0 src1_sel:DWORD
	s_mov_b64 s[4:5], 0
                                        ; implicit-def: $sgpr10
	s_and_saveexec_b64 s[8:9], s[6:7]
	s_xor_b64 s[6:7], exec, s[8:9]
	s_cbranch_execnz .LBB11_4009
; %bb.1961:
	s_or_saveexec_b64 s[6:7], s[6:7]
	v_mov_b32_e32 v2, s10
	s_xor_b64 exec, exec, s[6:7]
	s_cbranch_execnz .LBB11_4012
.LBB11_1962:
	s_or_b64 exec, exec, s[6:7]
	s_and_saveexec_b64 s[6:7], s[4:5]
	s_cbranch_execz .LBB11_1964
.LBB11_1963:
	v_bfe_u32 v2, v7, 8, 3
	v_ffbh_u32_e32 v11, v2
	v_min_u32_e32 v11, 32, v11
	v_lshrrev_b16_e32 v10, 3, v6
	v_subrev_u32_e32 v12, 28, v11
	v_and_b32_e32 v10, 15, v10
	v_lshlrev_b32_e32 v6, v12, v6
	v_sub_u32_e32 v11, 29, v11
	v_and_b32_e32 v6, 7, v6
	v_cmp_eq_u16_e32 vcc, 0, v10
	v_cndmask_b32_e32 v2, v2, v6, vcc
	v_cndmask_b32_e32 v6, v10, v11, vcc
	v_lshlrev_b32_e32 v10, 16, v7
	v_mov_b32_e32 v11, 0x3b800000
	v_lshlrev_b32_e32 v2, 20, v2
	v_and_b32_e32 v10, 0x80000000, v10
	v_lshl_add_u32 v6, v6, 23, v11
	v_or3_b32 v2, v10, v6, v2
.LBB11_1964:
	s_or_b64 exec, exec, s[6:7]
	v_lshrrev_b32_e32 v6, 8, v3
	s_movk_i32 s4, 0x7f
	v_cmp_gt_i16_sdwa s[6:7], v6, s4 src0_sel:BYTE_0 src1_sel:DWORD
	s_mov_b64 s[4:5], 0
                                        ; implicit-def: $sgpr10
	s_and_saveexec_b64 s[8:9], s[6:7]
	s_xor_b64 s[6:7], exec, s[8:9]
	s_cbranch_execnz .LBB11_4013
; %bb.1965:
	s_or_saveexec_b64 s[6:7], s[6:7]
	v_mov_b32_e32 v10, s10
	s_xor_b64 exec, exec, s[6:7]
	s_cbranch_execnz .LBB11_4016
.LBB11_1966:
	s_or_b64 exec, exec, s[6:7]
	s_and_saveexec_b64 s[6:7], s[4:5]
	s_cbranch_execz .LBB11_1968
.LBB11_1967:
	v_bfe_u32 v10, v3, 8, 3
	v_ffbh_u32_e32 v12, v10
	v_min_u32_e32 v12, 32, v12
	v_lshrrev_b16_e32 v11, 3, v6
	v_subrev_u32_e32 v13, 28, v12
	v_and_b32_e32 v11, 15, v11
	v_lshlrev_b32_e32 v6, v13, v6
	v_sub_u32_e32 v12, 29, v12
	v_and_b32_e32 v6, 7, v6
	v_cmp_eq_u16_e32 vcc, 0, v11
	v_cndmask_b32_e32 v6, v10, v6, vcc
	v_cndmask_b32_e32 v10, v11, v12, vcc
	v_lshlrev_b32_e32 v11, 16, v3
	v_mov_b32_e32 v12, 0x3b800000
	v_lshlrev_b32_e32 v6, 20, v6
	v_and_b32_e32 v11, 0x80000000, v11
	v_lshl_add_u32 v10, v10, 23, v12
	v_or3_b32 v10, v11, v10, v6
.LBB11_1968:
	s_or_b64 exec, exec, s[6:7]
	s_nop 0
	v_mfma_f32_16x16x4f32 a[0:3], v2, v10, a[0:3]
	s_movk_i32 s4, 0xff
	v_and_b32_sdwa v6, v7, s4 dst_sel:DWORD dst_unused:UNUSED_PAD src0_sel:WORD_1 src1_sel:DWORD
	s_movk_i32 s4, 0x7f
	v_cmp_lt_i16_e32 vcc, s4, v6
	s_mov_b64 s[4:5], 0
                                        ; implicit-def: $sgpr10
	s_and_saveexec_b64 s[6:7], vcc
	s_xor_b64 s[6:7], exec, s[6:7]
	s_cbranch_execnz .LBB11_4017
; %bb.1969:
	s_or_saveexec_b64 s[6:7], s[6:7]
	v_mov_b32_e32 v2, s10
	s_xor_b64 exec, exec, s[6:7]
	s_cbranch_execnz .LBB11_4020
.LBB11_1970:
	s_or_b64 exec, exec, s[6:7]
	s_and_saveexec_b64 s[6:7], s[4:5]
	s_cbranch_execz .LBB11_1972
.LBB11_1971:
	v_bfe_u32 v2, v7, 16, 3
	v_ffbh_u32_e32 v11, v2
	v_min_u32_e32 v11, 32, v11
	v_lshrrev_b32_e32 v6, 19, v7
	v_subrev_u32_e32 v12, 28, v11
	v_and_b32_e32 v6, 15, v6
	v_lshlrev_b32_sdwa v12, v12, v7 dst_sel:DWORD dst_unused:UNUSED_PAD src0_sel:DWORD src1_sel:WORD_1
	v_bfe_u32 v10, v7, 19, 4
	v_sub_u32_e32 v11, 29, v11
	v_and_b32_e32 v12, 7, v12
	v_cmp_eq_u16_e32 vcc, 0, v6
	v_cndmask_b32_e32 v2, v2, v12, vcc
	v_cndmask_b32_e32 v6, v10, v11, vcc
	v_lshlrev_b32_e32 v10, 8, v7
	v_mov_b32_e32 v11, 0x3b800000
	v_lshlrev_b32_e32 v2, 20, v2
	v_and_b32_e32 v10, 0x80000000, v10
	v_lshl_add_u32 v6, v6, 23, v11
	v_or3_b32 v2, v10, v6, v2
.LBB11_1972:
	s_or_b64 exec, exec, s[6:7]
	s_movk_i32 s4, 0xff
	v_and_b32_sdwa v6, v3, s4 dst_sel:DWORD dst_unused:UNUSED_PAD src0_sel:WORD_1 src1_sel:DWORD
	s_movk_i32 s4, 0x7f
	v_cmp_lt_i16_e32 vcc, s4, v6
	s_mov_b64 s[4:5], 0
                                        ; implicit-def: $sgpr10
	s_and_saveexec_b64 s[6:7], vcc
	s_xor_b64 s[6:7], exec, s[6:7]
	s_cbranch_execnz .LBB11_4021
; %bb.1973:
	s_or_saveexec_b64 s[6:7], s[6:7]
	v_mov_b32_e32 v10, s10
	s_xor_b64 exec, exec, s[6:7]
	s_cbranch_execnz .LBB11_4024
.LBB11_1974:
	s_or_b64 exec, exec, s[6:7]
	s_and_saveexec_b64 s[6:7], s[4:5]
	s_cbranch_execz .LBB11_1976
.LBB11_1975:
	v_bfe_u32 v6, v3, 16, 3
	v_ffbh_u32_e32 v12, v6
	v_min_u32_e32 v12, 32, v12
	v_lshrrev_b32_e32 v10, 19, v3
	v_subrev_u32_e32 v13, 28, v12
	v_and_b32_e32 v10, 15, v10
	v_lshlrev_b32_sdwa v13, v13, v3 dst_sel:DWORD dst_unused:UNUSED_PAD src0_sel:DWORD src1_sel:WORD_1
	v_bfe_u32 v11, v3, 19, 4
	v_sub_u32_e32 v12, 29, v12
	v_and_b32_e32 v13, 7, v13
	v_cmp_eq_u16_e32 vcc, 0, v10
	v_cndmask_b32_e32 v6, v6, v13, vcc
	v_cndmask_b32_e32 v10, v11, v12, vcc
	v_lshlrev_b32_e32 v11, 8, v3
	v_mov_b32_e32 v12, 0x3b800000
	v_lshlrev_b32_e32 v6, 20, v6
	v_and_b32_e32 v11, 0x80000000, v11
	v_lshl_add_u32 v10, v10, 23, v12
	v_or3_b32 v10, v11, v10, v6
.LBB11_1976:
	s_or_b64 exec, exec, s[6:7]
	s_nop 0
	v_mfma_f32_16x16x4f32 a[0:3], v2, v10, a[0:3]
	s_movk_i32 s4, 0x7f
	v_cmp_gt_i16_sdwa s[6:7], v7, s4 src0_sel:BYTE_3 src1_sel:DWORD
	s_mov_b64 s[4:5], 0
                                        ; implicit-def: $sgpr10
	s_and_saveexec_b64 s[8:9], s[6:7]
	s_xor_b64 s[6:7], exec, s[8:9]
	s_cbranch_execnz .LBB11_4025
; %bb.1977:
	s_or_saveexec_b64 s[6:7], s[6:7]
	v_mov_b32_e32 v2, s10
	s_xor_b64 exec, exec, s[6:7]
	s_cbranch_execnz .LBB11_4028
.LBB11_1978:
	s_or_b64 exec, exec, s[6:7]
	s_and_saveexec_b64 s[6:7], s[4:5]
	s_cbranch_execz .LBB11_1980
.LBB11_1979:
	v_bfe_u32 v2, v7, 24, 3
	v_ffbh_u32_e32 v12, v2
	v_min_u32_e32 v12, 32, v12
	v_lshrrev_b32_e32 v10, 27, v7
	v_subrev_u32_e32 v13, 28, v12
	v_and_b32_e32 v6, 0x80000000, v7
	v_and_b32_e32 v10, 15, v10
	v_bfe_u32 v11, v7, 27, 4
	v_lshlrev_b32_sdwa v7, v13, v7 dst_sel:DWORD dst_unused:UNUSED_PAD src0_sel:DWORD src1_sel:BYTE_3
	v_sub_u32_e32 v12, 29, v12
	v_and_b32_e32 v7, 7, v7
	v_cmp_eq_u16_e32 vcc, 0, v10
	v_cndmask_b32_e32 v2, v2, v7, vcc
	v_cndmask_b32_e32 v7, v11, v12, vcc
	v_mov_b32_e32 v10, 0x3b800000
	v_lshlrev_b32_e32 v2, 20, v2
	v_lshl_add_u32 v7, v7, 23, v10
	v_or3_b32 v2, v6, v7, v2
.LBB11_1980:
	s_or_b64 exec, exec, s[6:7]
	s_movk_i32 s4, 0x7f
	v_cmp_gt_i16_sdwa s[6:7], v3, s4 src0_sel:BYTE_3 src1_sel:DWORD
	s_mov_b64 s[4:5], 0
                                        ; implicit-def: $sgpr10
	s_and_saveexec_b64 s[8:9], s[6:7]
	s_xor_b64 s[6:7], exec, s[8:9]
	s_cbranch_execnz .LBB11_4029
; %bb.1981:
	s_or_saveexec_b64 s[6:7], s[6:7]
	v_mov_b32_e32 v6, s10
	s_xor_b64 exec, exec, s[6:7]
	s_cbranch_execnz .LBB11_4032
.LBB11_1982:
	s_or_b64 exec, exec, s[6:7]
	s_and_saveexec_b64 s[6:7], s[4:5]
	s_cbranch_execz .LBB11_1984
.LBB11_1983:
	v_bfe_u32 v6, v3, 24, 3
	v_ffbh_u32_e32 v12, v6
	v_min_u32_e32 v12, 32, v12
	v_lshrrev_b32_e32 v10, 27, v3
	v_subrev_u32_e32 v13, 28, v12
	v_and_b32_e32 v7, 0x80000000, v3
	v_and_b32_e32 v10, 15, v10
	v_bfe_u32 v11, v3, 27, 4
	v_lshlrev_b32_sdwa v3, v13, v3 dst_sel:DWORD dst_unused:UNUSED_PAD src0_sel:DWORD src1_sel:BYTE_3
	v_sub_u32_e32 v12, 29, v12
	v_and_b32_e32 v3, 7, v3
	v_cmp_eq_u16_e32 vcc, 0, v10
	v_cndmask_b32_e32 v3, v6, v3, vcc
	v_cndmask_b32_e32 v6, v11, v12, vcc
	v_mov_b32_e32 v10, 0x3b800000
	v_lshlrev_b32_e32 v3, 20, v3
	v_lshl_add_u32 v6, v6, 23, v10
	v_or3_b32 v6, v7, v6, v3
.LBB11_1984:
	s_or_b64 exec, exec, s[6:7]
	s_nop 0
	v_mfma_f32_16x16x4f32 a[0:3], v2, v6, a[0:3]
	s_movk_i32 s4, 0x7f
	v_cmp_gt_i16_sdwa s[6:7], v8, s4 src0_sel:BYTE_0 src1_sel:DWORD
	s_mov_b64 s[4:5], 0
                                        ; implicit-def: $sgpr10
	s_and_saveexec_b64 s[8:9], s[6:7]
	s_xor_b64 s[6:7], exec, s[8:9]
	s_cbranch_execnz .LBB11_4033
; %bb.1985:
	s_or_saveexec_b64 s[6:7], s[6:7]
	v_mov_b32_e32 v2, s10
	s_xor_b64 exec, exec, s[6:7]
	s_cbranch_execnz .LBB11_4036
.LBB11_1986:
	s_or_b64 exec, exec, s[6:7]
	s_and_saveexec_b64 s[6:7], s[4:5]
	s_cbranch_execz .LBB11_1988
.LBB11_1987:
	v_and_b32_e32 v2, 7, v8
	v_ffbh_u32_e32 v6, v2
	v_min_u32_e32 v6, 32, v6
	v_lshrrev_b16_e32 v3, 3, v8
	v_subrev_u32_e32 v7, 28, v6
	v_and_b32_e32 v3, 15, v3
	v_lshlrev_b32_e32 v7, v7, v8
	v_sub_u32_e32 v6, 29, v6
	v_and_b32_e32 v7, 7, v7
	v_cmp_eq_u16_e32 vcc, 0, v3
	v_cndmask_b32_e32 v2, v2, v7, vcc
	v_cndmask_b32_e32 v3, v3, v6, vcc
	v_lshlrev_b32_e32 v6, 24, v8
	v_mov_b32_e32 v7, 0x3b800000
	v_lshlrev_b32_e32 v2, 20, v2
	v_and_b32_e32 v6, 0x80000000, v6
	v_lshl_add_u32 v3, v3, 23, v7
	v_or3_b32 v2, v6, v3, v2
.LBB11_1988:
	s_or_b64 exec, exec, s[6:7]
	s_movk_i32 s4, 0x7f
	v_cmp_gt_i16_sdwa s[6:7], v4, s4 src0_sel:BYTE_0 src1_sel:DWORD
	s_mov_b64 s[4:5], 0
                                        ; implicit-def: $sgpr10
	s_and_saveexec_b64 s[8:9], s[6:7]
	s_xor_b64 s[6:7], exec, s[8:9]
	s_cbranch_execnz .LBB11_4037
; %bb.1989:
	s_or_saveexec_b64 s[6:7], s[6:7]
	v_mov_b32_e32 v3, s10
	s_xor_b64 exec, exec, s[6:7]
	s_cbranch_execnz .LBB11_4040
.LBB11_1990:
	s_or_b64 exec, exec, s[6:7]
	s_and_saveexec_b64 s[6:7], s[4:5]
	s_cbranch_execz .LBB11_1992
.LBB11_1991:
	v_and_b32_e32 v3, 7, v4
	v_ffbh_u32_e32 v7, v3
	v_min_u32_e32 v7, 32, v7
	v_lshrrev_b16_e32 v6, 3, v4
	v_subrev_u32_e32 v10, 28, v7
	v_and_b32_e32 v6, 15, v6
	v_lshlrev_b32_e32 v10, v10, v4
	v_sub_u32_e32 v7, 29, v7
	v_and_b32_e32 v10, 7, v10
	v_cmp_eq_u16_e32 vcc, 0, v6
	v_cndmask_b32_e32 v3, v3, v10, vcc
	v_cndmask_b32_e32 v6, v6, v7, vcc
	v_lshlrev_b32_e32 v7, 24, v4
	v_mov_b32_e32 v10, 0x3b800000
	v_lshlrev_b32_e32 v3, 20, v3
	v_and_b32_e32 v7, 0x80000000, v7
	v_lshl_add_u32 v6, v6, 23, v10
	v_or3_b32 v3, v7, v6, v3
.LBB11_1992:
	s_or_b64 exec, exec, s[6:7]
	s_nop 0
	v_mfma_f32_16x16x4f32 a[0:3], v2, v3, a[0:3]
	v_lshrrev_b32_e32 v3, 8, v8
	s_movk_i32 s4, 0x7f
	v_cmp_gt_i16_sdwa s[6:7], v3, s4 src0_sel:BYTE_0 src1_sel:DWORD
	s_mov_b64 s[4:5], 0
                                        ; implicit-def: $sgpr10
	s_and_saveexec_b64 s[8:9], s[6:7]
	s_xor_b64 s[6:7], exec, s[8:9]
	s_cbranch_execnz .LBB11_4041
; %bb.1993:
	s_or_saveexec_b64 s[6:7], s[6:7]
	v_mov_b32_e32 v2, s10
	s_xor_b64 exec, exec, s[6:7]
	s_cbranch_execnz .LBB11_4044
.LBB11_1994:
	s_or_b64 exec, exec, s[6:7]
	s_and_saveexec_b64 s[6:7], s[4:5]
	s_cbranch_execz .LBB11_1996
.LBB11_1995:
	v_bfe_u32 v2, v8, 8, 3
	v_ffbh_u32_e32 v7, v2
	v_min_u32_e32 v7, 32, v7
	v_lshrrev_b16_e32 v6, 3, v3
	v_subrev_u32_e32 v10, 28, v7
	v_and_b32_e32 v6, 15, v6
	v_lshlrev_b32_e32 v3, v10, v3
	v_sub_u32_e32 v7, 29, v7
	v_and_b32_e32 v3, 7, v3
	v_cmp_eq_u16_e32 vcc, 0, v6
	v_cndmask_b32_e32 v2, v2, v3, vcc
	v_cndmask_b32_e32 v3, v6, v7, vcc
	v_lshlrev_b32_e32 v6, 16, v8
	v_mov_b32_e32 v7, 0x3b800000
	v_lshlrev_b32_e32 v2, 20, v2
	v_and_b32_e32 v6, 0x80000000, v6
	v_lshl_add_u32 v3, v3, 23, v7
	v_or3_b32 v2, v6, v3, v2
.LBB11_1996:
	s_or_b64 exec, exec, s[6:7]
	v_lshrrev_b32_e32 v3, 8, v4
	s_movk_i32 s4, 0x7f
	v_cmp_gt_i16_sdwa s[6:7], v3, s4 src0_sel:BYTE_0 src1_sel:DWORD
	s_mov_b64 s[4:5], 0
                                        ; implicit-def: $sgpr10
	s_and_saveexec_b64 s[8:9], s[6:7]
	s_xor_b64 s[6:7], exec, s[8:9]
	s_cbranch_execnz .LBB11_4045
; %bb.1997:
	s_or_saveexec_b64 s[6:7], s[6:7]
	v_mov_b32_e32 v6, s10
	s_xor_b64 exec, exec, s[6:7]
	s_cbranch_execnz .LBB11_4048
.LBB11_1998:
	s_or_b64 exec, exec, s[6:7]
	s_and_saveexec_b64 s[6:7], s[4:5]
	s_cbranch_execz .LBB11_2000
.LBB11_1999:
	v_bfe_u32 v6, v4, 8, 3
	v_ffbh_u32_e32 v10, v6
	v_min_u32_e32 v10, 32, v10
	v_lshrrev_b16_e32 v7, 3, v3
	v_subrev_u32_e32 v11, 28, v10
	v_and_b32_e32 v7, 15, v7
	v_lshlrev_b32_e32 v3, v11, v3
	v_sub_u32_e32 v10, 29, v10
	v_and_b32_e32 v3, 7, v3
	v_cmp_eq_u16_e32 vcc, 0, v7
	v_cndmask_b32_e32 v3, v6, v3, vcc
	v_cndmask_b32_e32 v6, v7, v10, vcc
	v_lshlrev_b32_e32 v7, 16, v4
	v_mov_b32_e32 v10, 0x3b800000
	v_lshlrev_b32_e32 v3, 20, v3
	v_and_b32_e32 v7, 0x80000000, v7
	v_lshl_add_u32 v6, v6, 23, v10
	v_or3_b32 v6, v7, v6, v3
.LBB11_2000:
	s_or_b64 exec, exec, s[6:7]
	s_nop 0
	v_mfma_f32_16x16x4f32 a[0:3], v2, v6, a[0:3]
	s_movk_i32 s4, 0xff
	v_and_b32_sdwa v3, v8, s4 dst_sel:DWORD dst_unused:UNUSED_PAD src0_sel:WORD_1 src1_sel:DWORD
	s_movk_i32 s4, 0x7f
	v_cmp_lt_i16_e32 vcc, s4, v3
	s_mov_b64 s[4:5], 0
                                        ; implicit-def: $sgpr10
	s_and_saveexec_b64 s[6:7], vcc
	s_xor_b64 s[6:7], exec, s[6:7]
	s_cbranch_execnz .LBB11_4049
; %bb.2001:
	s_or_saveexec_b64 s[6:7], s[6:7]
	v_mov_b32_e32 v2, s10
	s_xor_b64 exec, exec, s[6:7]
	s_cbranch_execnz .LBB11_4052
.LBB11_2002:
	s_or_b64 exec, exec, s[6:7]
	s_and_saveexec_b64 s[6:7], s[4:5]
	s_cbranch_execz .LBB11_2004
.LBB11_2003:
	v_bfe_u32 v2, v8, 16, 3
	v_ffbh_u32_e32 v7, v2
	v_min_u32_e32 v7, 32, v7
	v_lshrrev_b32_e32 v3, 19, v8
	v_subrev_u32_e32 v10, 28, v7
	v_and_b32_e32 v3, 15, v3
	v_lshlrev_b32_sdwa v10, v10, v8 dst_sel:DWORD dst_unused:UNUSED_PAD src0_sel:DWORD src1_sel:WORD_1
	v_bfe_u32 v6, v8, 19, 4
	v_sub_u32_e32 v7, 29, v7
	v_and_b32_e32 v10, 7, v10
	v_cmp_eq_u16_e32 vcc, 0, v3
	v_cndmask_b32_e32 v2, v2, v10, vcc
	v_cndmask_b32_e32 v3, v6, v7, vcc
	v_lshlrev_b32_e32 v6, 8, v8
	v_mov_b32_e32 v7, 0x3b800000
	v_lshlrev_b32_e32 v2, 20, v2
	v_and_b32_e32 v6, 0x80000000, v6
	v_lshl_add_u32 v3, v3, 23, v7
	v_or3_b32 v2, v6, v3, v2
.LBB11_2004:
	s_or_b64 exec, exec, s[6:7]
	s_movk_i32 s4, 0xff
	v_and_b32_sdwa v3, v4, s4 dst_sel:DWORD dst_unused:UNUSED_PAD src0_sel:WORD_1 src1_sel:DWORD
	s_movk_i32 s4, 0x7f
	v_cmp_lt_i16_e32 vcc, s4, v3
	s_mov_b64 s[4:5], 0
                                        ; implicit-def: $sgpr10
	s_and_saveexec_b64 s[6:7], vcc
	s_xor_b64 s[6:7], exec, s[6:7]
	s_cbranch_execnz .LBB11_4053
; %bb.2005:
	s_or_saveexec_b64 s[6:7], s[6:7]
	v_mov_b32_e32 v6, s10
	s_xor_b64 exec, exec, s[6:7]
	s_cbranch_execnz .LBB11_4056
.LBB11_2006:
	s_or_b64 exec, exec, s[6:7]
	s_and_saveexec_b64 s[6:7], s[4:5]
	s_cbranch_execz .LBB11_2008
.LBB11_2007:
	v_bfe_u32 v3, v4, 16, 3
	v_ffbh_u32_e32 v10, v3
	v_min_u32_e32 v10, 32, v10
	v_lshrrev_b32_e32 v6, 19, v4
	v_subrev_u32_e32 v11, 28, v10
	v_and_b32_e32 v6, 15, v6
	v_lshlrev_b32_sdwa v11, v11, v4 dst_sel:DWORD dst_unused:UNUSED_PAD src0_sel:DWORD src1_sel:WORD_1
	v_bfe_u32 v7, v4, 19, 4
	v_sub_u32_e32 v10, 29, v10
	v_and_b32_e32 v11, 7, v11
	v_cmp_eq_u16_e32 vcc, 0, v6
	v_cndmask_b32_e32 v3, v3, v11, vcc
	v_cndmask_b32_e32 v6, v7, v10, vcc
	v_lshlrev_b32_e32 v7, 8, v4
	v_mov_b32_e32 v10, 0x3b800000
	v_lshlrev_b32_e32 v3, 20, v3
	v_and_b32_e32 v7, 0x80000000, v7
	v_lshl_add_u32 v6, v6, 23, v10
	v_or3_b32 v6, v7, v6, v3
.LBB11_2008:
	s_or_b64 exec, exec, s[6:7]
	s_nop 0
	v_mfma_f32_16x16x4f32 a[0:3], v2, v6, a[0:3]
	s_movk_i32 s4, 0x7f
	v_cmp_gt_i16_sdwa s[6:7], v8, s4 src0_sel:BYTE_3 src1_sel:DWORD
	s_mov_b64 s[4:5], 0
                                        ; implicit-def: $sgpr10
	s_and_saveexec_b64 s[8:9], s[6:7]
	s_xor_b64 s[6:7], exec, s[8:9]
	s_cbranch_execnz .LBB11_4057
; %bb.2009:
	s_or_saveexec_b64 s[6:7], s[6:7]
	v_mov_b32_e32 v2, s10
	s_xor_b64 exec, exec, s[6:7]
	s_cbranch_execnz .LBB11_4060
.LBB11_2010:
	s_or_b64 exec, exec, s[6:7]
	s_and_saveexec_b64 s[6:7], s[4:5]
	s_cbranch_execz .LBB11_2012
.LBB11_2011:
	v_bfe_u32 v2, v8, 24, 3
	v_ffbh_u32_e32 v10, v2
	v_min_u32_e32 v10, 32, v10
	v_lshrrev_b32_e32 v6, 27, v8
	v_subrev_u32_e32 v11, 28, v10
	v_and_b32_e32 v3, 0x80000000, v8
	v_and_b32_e32 v6, 15, v6
	v_bfe_u32 v7, v8, 27, 4
	v_lshlrev_b32_sdwa v8, v11, v8 dst_sel:DWORD dst_unused:UNUSED_PAD src0_sel:DWORD src1_sel:BYTE_3
	v_sub_u32_e32 v10, 29, v10
	v_and_b32_e32 v8, 7, v8
	v_cmp_eq_u16_e32 vcc, 0, v6
	v_cndmask_b32_e32 v2, v2, v8, vcc
	v_cndmask_b32_e32 v6, v7, v10, vcc
	v_mov_b32_e32 v7, 0x3b800000
	v_lshlrev_b32_e32 v2, 20, v2
	v_lshl_add_u32 v6, v6, 23, v7
	v_or3_b32 v2, v3, v6, v2
.LBB11_2012:
	s_or_b64 exec, exec, s[6:7]
	s_movk_i32 s4, 0x7f
	v_cmp_gt_i16_sdwa s[6:7], v4, s4 src0_sel:BYTE_3 src1_sel:DWORD
	s_mov_b64 s[4:5], 0
                                        ; implicit-def: $sgpr10
	s_and_saveexec_b64 s[8:9], s[6:7]
	s_xor_b64 s[6:7], exec, s[8:9]
	s_cbranch_execnz .LBB11_4061
; %bb.2013:
	s_or_saveexec_b64 s[6:7], s[6:7]
	v_mov_b32_e32 v3, s10
	s_xor_b64 exec, exec, s[6:7]
	s_cbranch_execnz .LBB11_4064
.LBB11_2014:
	s_or_b64 exec, exec, s[6:7]
	s_and_saveexec_b64 s[6:7], s[4:5]
	s_cbranch_execz .LBB11_2016
.LBB11_2015:
	v_bfe_u32 v3, v4, 24, 3
	v_ffbh_u32_e32 v10, v3
	v_min_u32_e32 v10, 32, v10
	v_lshrrev_b32_e32 v7, 27, v4
	v_subrev_u32_e32 v11, 28, v10
	v_and_b32_e32 v6, 0x80000000, v4
	v_and_b32_e32 v7, 15, v7
	v_bfe_u32 v8, v4, 27, 4
	v_lshlrev_b32_sdwa v4, v11, v4 dst_sel:DWORD dst_unused:UNUSED_PAD src0_sel:DWORD src1_sel:BYTE_3
	v_sub_u32_e32 v10, 29, v10
	v_and_b32_e32 v4, 7, v4
	v_cmp_eq_u16_e32 vcc, 0, v7
	v_cndmask_b32_e32 v3, v3, v4, vcc
	v_cndmask_b32_e32 v4, v8, v10, vcc
	v_mov_b32_e32 v7, 0x3b800000
	v_lshlrev_b32_e32 v3, 20, v3
	v_lshl_add_u32 v4, v4, 23, v7
	v_or3_b32 v3, v6, v4, v3
.LBB11_2016:
	s_or_b64 exec, exec, s[6:7]
	s_nop 0
	v_mfma_f32_16x16x4f32 a[0:3], v2, v3, a[0:3]
	s_movk_i32 s4, 0x7f
	v_cmp_gt_i16_sdwa s[6:7], v9, s4 src0_sel:BYTE_0 src1_sel:DWORD
	s_mov_b64 s[4:5], 0
                                        ; implicit-def: $sgpr10
	s_and_saveexec_b64 s[8:9], s[6:7]
	s_xor_b64 s[6:7], exec, s[8:9]
	s_cbranch_execnz .LBB11_4065
; %bb.2017:
	s_or_saveexec_b64 s[6:7], s[6:7]
	v_mov_b32_e32 v2, s10
	s_xor_b64 exec, exec, s[6:7]
	s_cbranch_execnz .LBB11_4068
.LBB11_2018:
	s_or_b64 exec, exec, s[6:7]
	s_and_saveexec_b64 s[6:7], s[4:5]
	s_cbranch_execz .LBB11_2020
.LBB11_2019:
	v_mov_b32_e32 v2, 8
	v_and_b32_e32 v3, 7, v9
	v_lshrrev_b32_sdwa v2, v2, v9 dst_sel:BYTE_1 dst_unused:UNUSED_PAD src0_sel:DWORD src1_sel:DWORD
	v_ffbh_u32_e32 v4, v3
	v_or_b32_sdwa v2, v9, v2 dst_sel:DWORD dst_unused:UNUSED_PAD src0_sel:BYTE_0 src1_sel:DWORD
	v_min_u32_e32 v4, 32, v4
	v_lshrrev_b16_e32 v2, 3, v2
	v_subrev_u32_e32 v6, 28, v4
	v_and_b32_e32 v2, 15, v2
	v_lshlrev_b32_e32 v6, v6, v9
	v_sub_u32_e32 v4, 29, v4
	v_and_b32_e32 v6, 7, v6
	v_cmp_eq_u16_e32 vcc, 0, v2
	v_cndmask_b32_e32 v3, v3, v6, vcc
	v_cndmask_b32_e32 v2, v2, v4, vcc
	v_lshlrev_b32_e32 v4, 24, v9
	v_mov_b32_e32 v6, 0x3b800000
	v_lshlrev_b32_e32 v3, 20, v3
	v_and_b32_e32 v4, 0x80000000, v4
	v_lshl_add_u32 v2, v2, 23, v6
	v_or3_b32 v2, v4, v2, v3
.LBB11_2020:
	s_or_b64 exec, exec, s[6:7]
	s_movk_i32 s4, 0x7f
	v_cmp_gt_i16_sdwa s[6:7], v5, s4 src0_sel:BYTE_0 src1_sel:DWORD
	s_mov_b64 s[4:5], 0
                                        ; implicit-def: $sgpr10
	s_and_saveexec_b64 s[8:9], s[6:7]
	s_xor_b64 s[6:7], exec, s[8:9]
	s_cbranch_execnz .LBB11_4069
; %bb.2021:
	s_or_saveexec_b64 s[6:7], s[6:7]
	v_mov_b32_e32 v3, s10
	s_xor_b64 exec, exec, s[6:7]
	s_cbranch_execnz .LBB11_4072
.LBB11_2022:
	s_or_b64 exec, exec, s[6:7]
	s_and_saveexec_b64 s[6:7], s[4:5]
	s_cbranch_execz .LBB11_2024
.LBB11_2023:
	v_mov_b32_e32 v3, 8
	v_and_b32_e32 v4, 7, v5
	v_lshrrev_b32_sdwa v3, v3, v5 dst_sel:BYTE_1 dst_unused:UNUSED_PAD src0_sel:DWORD src1_sel:DWORD
	v_ffbh_u32_e32 v6, v4
	v_or_b32_sdwa v3, v5, v3 dst_sel:DWORD dst_unused:UNUSED_PAD src0_sel:BYTE_0 src1_sel:DWORD
	v_min_u32_e32 v6, 32, v6
	v_lshrrev_b16_e32 v3, 3, v3
	v_subrev_u32_e32 v7, 28, v6
	v_and_b32_e32 v3, 15, v3
	v_lshlrev_b32_e32 v7, v7, v5
	v_sub_u32_e32 v6, 29, v6
	v_and_b32_e32 v7, 7, v7
	v_cmp_eq_u16_e32 vcc, 0, v3
	v_cndmask_b32_e32 v4, v4, v7, vcc
	v_cndmask_b32_e32 v3, v3, v6, vcc
	v_lshlrev_b32_e32 v6, 24, v5
	v_mov_b32_e32 v7, 0x3b800000
	v_lshlrev_b32_e32 v4, 20, v4
	v_and_b32_e32 v6, 0x80000000, v6
	v_lshl_add_u32 v3, v3, 23, v7
	v_or3_b32 v3, v6, v3, v4
.LBB11_2024:
	s_or_b64 exec, exec, s[6:7]
	s_nop 0
	v_mfma_f32_16x16x4f32 a[0:3], v2, v3, a[0:3]
	v_lshrrev_b32_e32 v3, 8, v9
	s_movk_i32 s4, 0x7f
	v_cmp_gt_i16_sdwa s[6:7], v3, s4 src0_sel:BYTE_0 src1_sel:DWORD
	s_mov_b64 s[4:5], 0
                                        ; implicit-def: $sgpr10
	s_and_saveexec_b64 s[8:9], s[6:7]
	s_xor_b64 s[6:7], exec, s[8:9]
	s_cbranch_execnz .LBB11_4073
; %bb.2025:
	s_or_saveexec_b64 s[6:7], s[6:7]
	v_mov_b32_e32 v2, s10
	s_xor_b64 exec, exec, s[6:7]
	s_cbranch_execnz .LBB11_4076
.LBB11_2026:
	s_or_b64 exec, exec, s[6:7]
	s_and_saveexec_b64 s[6:7], s[4:5]
	s_cbranch_execz .LBB11_2028
.LBB11_2027:
	v_bfe_u32 v2, v9, 8, 3
	v_ffbh_u32_e32 v6, v2
	v_min_u32_e32 v6, 32, v6
	v_lshrrev_b16_e32 v4, 3, v3
	v_subrev_u32_e32 v7, 28, v6
	v_and_b32_e32 v4, 15, v4
	v_lshlrev_b32_e32 v3, v7, v3
	v_sub_u32_e32 v6, 29, v6
	v_and_b32_e32 v3, 7, v3
	v_cmp_eq_u16_e32 vcc, 0, v4
	v_cndmask_b32_e32 v2, v2, v3, vcc
	v_cndmask_b32_e32 v3, v4, v6, vcc
	v_lshlrev_b32_e32 v4, 16, v9
	v_mov_b32_e32 v6, 0x3b800000
	v_lshlrev_b32_e32 v2, 20, v2
	v_and_b32_e32 v4, 0x80000000, v4
	v_lshl_add_u32 v3, v3, 23, v6
	v_or3_b32 v2, v4, v3, v2
.LBB11_2028:
	s_or_b64 exec, exec, s[6:7]
	v_lshrrev_b32_e32 v3, 8, v5
	s_movk_i32 s4, 0x7f
	v_cmp_gt_i16_sdwa s[6:7], v3, s4 src0_sel:BYTE_0 src1_sel:DWORD
	s_mov_b64 s[4:5], 0
                                        ; implicit-def: $sgpr10
	s_and_saveexec_b64 s[8:9], s[6:7]
	s_xor_b64 s[6:7], exec, s[8:9]
	s_cbranch_execnz .LBB11_4077
; %bb.2029:
	s_or_saveexec_b64 s[6:7], s[6:7]
	v_mov_b32_e32 v4, s10
	s_xor_b64 exec, exec, s[6:7]
	s_cbranch_execnz .LBB11_4080
.LBB11_2030:
	s_or_b64 exec, exec, s[6:7]
	s_and_saveexec_b64 s[6:7], s[4:5]
	s_cbranch_execz .LBB11_2032
.LBB11_2031:
	v_bfe_u32 v4, v5, 8, 3
	v_ffbh_u32_e32 v7, v4
	v_min_u32_e32 v7, 32, v7
	v_lshrrev_b16_e32 v6, 3, v3
	v_subrev_u32_e32 v8, 28, v7
	v_and_b32_e32 v6, 15, v6
	v_lshlrev_b32_e32 v3, v8, v3
	v_sub_u32_e32 v7, 29, v7
	v_and_b32_e32 v3, 7, v3
	v_cmp_eq_u16_e32 vcc, 0, v6
	v_cndmask_b32_e32 v3, v4, v3, vcc
	v_cndmask_b32_e32 v4, v6, v7, vcc
	v_lshlrev_b32_e32 v6, 16, v5
	v_mov_b32_e32 v7, 0x3b800000
	v_lshlrev_b32_e32 v3, 20, v3
	v_and_b32_e32 v6, 0x80000000, v6
	v_lshl_add_u32 v4, v4, 23, v7
	v_or3_b32 v4, v6, v4, v3
.LBB11_2032:
	s_or_b64 exec, exec, s[6:7]
	s_nop 0
	v_mfma_f32_16x16x4f32 a[0:3], v2, v4, a[0:3]
	s_movk_i32 s4, 0xff
	v_and_b32_sdwa v3, v9, s4 dst_sel:DWORD dst_unused:UNUSED_PAD src0_sel:WORD_1 src1_sel:DWORD
	s_movk_i32 s4, 0x7f
	v_cmp_lt_i16_e32 vcc, s4, v3
	s_mov_b64 s[4:5], 0
                                        ; implicit-def: $sgpr10
	s_and_saveexec_b64 s[6:7], vcc
	s_xor_b64 s[6:7], exec, s[6:7]
	s_cbranch_execnz .LBB11_4081
; %bb.2033:
	s_or_saveexec_b64 s[6:7], s[6:7]
	v_mov_b32_e32 v2, s10
	s_xor_b64 exec, exec, s[6:7]
	s_cbranch_execnz .LBB11_4084
.LBB11_2034:
	s_or_b64 exec, exec, s[6:7]
	s_and_saveexec_b64 s[6:7], s[4:5]
	s_cbranch_execz .LBB11_2036
.LBB11_2035:
	v_bfe_u32 v2, v9, 16, 3
	v_ffbh_u32_e32 v6, v2
	v_min_u32_e32 v6, 32, v6
	v_lshrrev_b32_e32 v3, 19, v9
	v_subrev_u32_e32 v7, 28, v6
	v_and_b32_e32 v3, 15, v3
	v_lshlrev_b32_sdwa v7, v7, v9 dst_sel:DWORD dst_unused:UNUSED_PAD src0_sel:DWORD src1_sel:WORD_1
	v_bfe_u32 v4, v9, 19, 4
	v_sub_u32_e32 v6, 29, v6
	v_and_b32_e32 v7, 7, v7
	v_cmp_eq_u16_e32 vcc, 0, v3
	v_cndmask_b32_e32 v2, v2, v7, vcc
	v_cndmask_b32_e32 v3, v4, v6, vcc
	v_lshlrev_b32_e32 v4, 8, v9
	v_mov_b32_e32 v6, 0x3b800000
	v_lshlrev_b32_e32 v2, 20, v2
	v_and_b32_e32 v4, 0x80000000, v4
	v_lshl_add_u32 v3, v3, 23, v6
	v_or3_b32 v2, v4, v3, v2
.LBB11_2036:
	s_or_b64 exec, exec, s[6:7]
	s_movk_i32 s4, 0xff
	v_and_b32_sdwa v3, v5, s4 dst_sel:DWORD dst_unused:UNUSED_PAD src0_sel:WORD_1 src1_sel:DWORD
	s_movk_i32 s4, 0x7f
	v_cmp_lt_i16_e32 vcc, s4, v3
	s_mov_b64 s[4:5], 0
                                        ; implicit-def: $sgpr10
	s_and_saveexec_b64 s[6:7], vcc
	s_xor_b64 s[6:7], exec, s[6:7]
	s_cbranch_execnz .LBB11_4085
; %bb.2037:
	s_or_saveexec_b64 s[6:7], s[6:7]
	v_mov_b32_e32 v4, s10
	s_xor_b64 exec, exec, s[6:7]
	s_cbranch_execnz .LBB11_4088
.LBB11_2038:
	s_or_b64 exec, exec, s[6:7]
	s_and_saveexec_b64 s[6:7], s[4:5]
	s_cbranch_execz .LBB11_2040
.LBB11_2039:
	v_bfe_u32 v3, v5, 16, 3
	v_ffbh_u32_e32 v7, v3
	v_min_u32_e32 v7, 32, v7
	v_lshrrev_b32_e32 v4, 19, v5
	v_subrev_u32_e32 v8, 28, v7
	v_and_b32_e32 v4, 15, v4
	v_lshlrev_b32_sdwa v8, v8, v5 dst_sel:DWORD dst_unused:UNUSED_PAD src0_sel:DWORD src1_sel:WORD_1
	v_bfe_u32 v6, v5, 19, 4
	v_sub_u32_e32 v7, 29, v7
	v_and_b32_e32 v8, 7, v8
	v_cmp_eq_u16_e32 vcc, 0, v4
	v_cndmask_b32_e32 v3, v3, v8, vcc
	v_cndmask_b32_e32 v4, v6, v7, vcc
	v_lshlrev_b32_e32 v6, 8, v5
	v_mov_b32_e32 v7, 0x3b800000
	v_lshlrev_b32_e32 v3, 20, v3
	v_and_b32_e32 v6, 0x80000000, v6
	v_lshl_add_u32 v4, v4, 23, v7
	v_or3_b32 v4, v6, v4, v3
.LBB11_2040:
	s_or_b64 exec, exec, s[6:7]
	s_nop 0
	v_mfma_f32_16x16x4f32 a[0:3], v2, v4, a[0:3]
	s_movk_i32 s4, 0x7f
	v_cmp_gt_i16_sdwa s[6:7], v9, s4 src0_sel:BYTE_3 src1_sel:DWORD
	s_mov_b64 s[4:5], 0
                                        ; implicit-def: $sgpr10
	s_and_saveexec_b64 s[8:9], s[6:7]
	s_xor_b64 s[6:7], exec, s[8:9]
	s_cbranch_execnz .LBB11_4089
; %bb.2041:
	s_or_saveexec_b64 s[6:7], s[6:7]
	v_mov_b32_e32 v2, s10
	s_xor_b64 exec, exec, s[6:7]
	s_cbranch_execnz .LBB11_4092
.LBB11_2042:
	s_or_b64 exec, exec, s[6:7]
	s_and_saveexec_b64 s[6:7], s[4:5]
	s_cbranch_execz .LBB11_2044
.LBB11_2043:
	v_bfe_u32 v2, v9, 24, 3
	v_ffbh_u32_e32 v7, v2
	v_min_u32_e32 v7, 32, v7
	v_lshrrev_b32_e32 v4, 27, v9
	v_subrev_u32_e32 v8, 28, v7
	v_and_b32_e32 v4, 15, v4
	v_lshlrev_b32_sdwa v8, v8, v9 dst_sel:DWORD dst_unused:UNUSED_PAD src0_sel:DWORD src1_sel:BYTE_3
	v_bfe_u32 v6, v9, 27, 4
	v_sub_u32_e32 v7, 29, v7
	v_and_b32_e32 v8, 7, v8
	v_cmp_eq_u16_e32 vcc, 0, v4
	v_cndmask_b32_e32 v2, v2, v8, vcc
	v_cndmask_b32_e32 v4, v6, v7, vcc
	v_mov_b32_e32 v6, 0x3b800000
	v_and_b32_e32 v3, 0x80000000, v9
	v_lshlrev_b32_e32 v2, 20, v2
	v_lshl_add_u32 v4, v4, 23, v6
	v_or3_b32 v2, v3, v4, v2
.LBB11_2044:
	s_or_b64 exec, exec, s[6:7]
	s_movk_i32 s4, 0x7f
	v_cmp_gt_i16_sdwa s[6:7], v5, s4 src0_sel:BYTE_3 src1_sel:DWORD
	s_mov_b64 s[4:5], 0
                                        ; implicit-def: $sgpr10
	s_and_saveexec_b64 s[8:9], s[6:7]
	s_xor_b64 s[6:7], exec, s[8:9]
	s_cbranch_execnz .LBB11_4093
; %bb.2045:
	s_or_saveexec_b64 s[6:7], s[6:7]
	v_mov_b32_e32 v3, s10
	s_xor_b64 exec, exec, s[6:7]
	s_cbranch_execnz .LBB11_4096
.LBB11_2046:
	s_or_b64 exec, exec, s[6:7]
	s_and_saveexec_b64 s[6:7], s[4:5]
	s_cbranch_execz .LBB11_2048
.LBB11_2047:
	v_bfe_u32 v3, v5, 24, 3
	v_ffbh_u32_e32 v8, v3
	v_min_u32_e32 v8, 32, v8
	v_lshrrev_b32_e32 v6, 27, v5
	v_subrev_u32_e32 v9, 28, v8
	v_and_b32_e32 v4, 0x80000000, v5
	v_and_b32_e32 v6, 15, v6
	v_bfe_u32 v7, v5, 27, 4
	v_lshlrev_b32_sdwa v5, v9, v5 dst_sel:DWORD dst_unused:UNUSED_PAD src0_sel:DWORD src1_sel:BYTE_3
	v_sub_u32_e32 v8, 29, v8
	v_and_b32_e32 v5, 7, v5
	v_cmp_eq_u16_e32 vcc, 0, v6
	v_cndmask_b32_e32 v3, v3, v5, vcc
	v_cndmask_b32_e32 v5, v7, v8, vcc
	v_mov_b32_e32 v6, 0x3b800000
	v_lshlrev_b32_e32 v3, 20, v3
	v_lshl_add_u32 v5, v5, 23, v6
	v_or3_b32 v3, v4, v5, v3
.LBB11_2048:
	s_or_b64 exec, exec, s[6:7]
	s_nop 0
	v_mfma_f32_16x16x4f32 a[0:3], v2, v3, a[0:3]
	s_nop 7
	s_nop 2
	flat_store_dwordx4 v[0:1], a[0:3] offset:240
	s_waitcnt vmcnt(0) lgkmcnt(0)
	s_setpc_b64 s[30:31]
.LBB11_2049:
	s_movk_i32 s4, 0x80
	v_cmp_eq_u16_sdwa s[12:13], v6, s4 src0_sel:BYTE_0 src1_sel:DWORD
	s_mov_b64 s[4:5], -1
                                        ; implicit-def: $sgpr10
	s_and_saveexec_b64 s[8:9], s[12:13]
; %bb.2050:
	s_mov_b32 s10, 0x7f800001
	s_xor_b64 s[4:5], exec, -1
; %bb.2051:
	s_or_b64 exec, exec, s[8:9]
	s_and_b64 s[4:5], s[4:5], exec
	s_or_saveexec_b64 s[6:7], s[6:7]
	v_mov_b32_e32 v12, s10
	s_xor_b64 exec, exec, s[6:7]
	s_cbranch_execz .LBB11_2
.LBB11_2052:
	v_mov_b32_e32 v12, 0
	v_cmp_ne_u16_sdwa s[8:9], v6, v12 src0_sel:BYTE_0 src1_sel:DWORD
	s_andn2_b64 s[4:5], s[4:5], exec
	s_and_b64 s[8:9], s[8:9], exec
	s_or_b64 s[4:5], s[4:5], s[8:9]
	s_or_b64 exec, exec, s[6:7]
	s_and_saveexec_b64 s[6:7], s[4:5]
	s_cbranch_execnz .LBB11_3
	s_branch .LBB11_4
.LBB11_2053:
	s_movk_i32 s4, 0x80
	v_cmp_eq_u16_sdwa s[12:13], v2, s4 src0_sel:BYTE_0 src1_sel:DWORD
	s_mov_b64 s[4:5], -1
                                        ; implicit-def: $sgpr10
	s_and_saveexec_b64 s[8:9], s[12:13]
; %bb.2054:
	s_mov_b32 s10, 0x7f800001
	s_xor_b64 s[4:5], exec, -1
; %bb.2055:
	s_or_b64 exec, exec, s[8:9]
	s_and_b64 s[4:5], s[4:5], exec
	s_or_saveexec_b64 s[6:7], s[6:7]
	v_mov_b32_e32 v13, s10
	s_xor_b64 exec, exec, s[6:7]
	s_cbranch_execz .LBB11_6
.LBB11_2056:
	v_mov_b32_e32 v13, 0
	v_cmp_ne_u16_sdwa s[8:9], v2, v13 src0_sel:BYTE_0 src1_sel:DWORD
	s_andn2_b64 s[4:5], s[4:5], exec
	s_and_b64 s[8:9], s[8:9], exec
	s_or_b64 s[4:5], s[4:5], s[8:9]
	s_or_b64 exec, exec, s[6:7]
	s_and_saveexec_b64 s[6:7], s[4:5]
	s_cbranch_execnz .LBB11_7
	s_branch .LBB11_8
.LBB11_2057:
	s_movk_i32 s4, 0x80
	v_cmp_eq_u16_sdwa s[12:13], v13, s4 src0_sel:BYTE_0 src1_sel:DWORD
	s_mov_b64 s[4:5], -1
                                        ; implicit-def: $sgpr10
	s_and_saveexec_b64 s[8:9], s[12:13]
; %bb.2058:
	s_mov_b32 s10, 0x7f800001
	s_xor_b64 s[4:5], exec, -1
; %bb.2059:
	s_or_b64 exec, exec, s[8:9]
	s_and_b64 s[4:5], s[4:5], exec
	s_or_saveexec_b64 s[6:7], s[6:7]
	v_mov_b32_e32 v12, s10
	s_xor_b64 exec, exec, s[6:7]
	s_cbranch_execz .LBB11_10
.LBB11_2060:
	v_mov_b32_e32 v12, 0
	v_cmp_ne_u16_sdwa s[8:9], v13, v12 src0_sel:BYTE_0 src1_sel:DWORD
	s_andn2_b64 s[4:5], s[4:5], exec
	s_and_b64 s[8:9], s[8:9], exec
	s_or_b64 s[4:5], s[4:5], s[8:9]
	s_or_b64 exec, exec, s[6:7]
	s_and_saveexec_b64 s[6:7], s[4:5]
	s_cbranch_execnz .LBB11_11
	s_branch .LBB11_12
.LBB11_2061:
	s_movk_i32 s4, 0x80
	v_cmp_eq_u16_sdwa s[12:13], v13, s4 src0_sel:BYTE_0 src1_sel:DWORD
	s_mov_b64 s[4:5], -1
                                        ; implicit-def: $sgpr10
	s_and_saveexec_b64 s[8:9], s[12:13]
; %bb.2062:
	s_mov_b32 s10, 0x7f800001
	s_xor_b64 s[4:5], exec, -1
; %bb.2063:
	s_or_b64 exec, exec, s[8:9]
	s_and_b64 s[4:5], s[4:5], exec
	s_or_saveexec_b64 s[6:7], s[6:7]
	v_mov_b32_e32 v14, s10
	s_xor_b64 exec, exec, s[6:7]
	s_cbranch_execz .LBB11_14
.LBB11_2064:
	v_mov_b32_e32 v14, 0
	v_cmp_ne_u16_sdwa s[8:9], v13, v14 src0_sel:BYTE_0 src1_sel:DWORD
	s_andn2_b64 s[4:5], s[4:5], exec
	s_and_b64 s[8:9], s[8:9], exec
	s_or_b64 s[4:5], s[4:5], s[8:9]
	s_or_b64 exec, exec, s[6:7]
	s_and_saveexec_b64 s[6:7], s[4:5]
	s_cbranch_execnz .LBB11_15
	s_branch .LBB11_16
.LBB11_2065:
	s_movk_i32 s4, 0x80
	v_cmp_eq_u16_e32 vcc, s4, v13
	s_mov_b64 s[4:5], -1
                                        ; implicit-def: $sgpr10
	s_and_saveexec_b64 s[8:9], vcc
; %bb.2066:
	s_mov_b32 s10, 0x7f800001
	s_xor_b64 s[4:5], exec, -1
; %bb.2067:
	s_or_b64 exec, exec, s[8:9]
	s_and_b64 s[4:5], s[4:5], exec
                                        ; implicit-def: $vgpr13
	s_or_saveexec_b64 s[6:7], s[6:7]
	v_mov_b32_e32 v12, s10
	s_xor_b64 exec, exec, s[6:7]
	s_cbranch_execz .LBB11_18
.LBB11_2068:
	v_cmp_ne_u16_e32 vcc, 0, v13
	s_andn2_b64 s[4:5], s[4:5], exec
	s_and_b64 s[8:9], vcc, exec
	v_mov_b32_e32 v12, 0
	s_or_b64 s[4:5], s[4:5], s[8:9]
	s_or_b64 exec, exec, s[6:7]
	s_and_saveexec_b64 s[6:7], s[4:5]
	s_cbranch_execnz .LBB11_19
	s_branch .LBB11_20
.LBB11_2069:
	s_movk_i32 s4, 0x80
	v_cmp_eq_u16_e32 vcc, s4, v13
	s_mov_b64 s[4:5], -1
                                        ; implicit-def: $sgpr10
	s_and_saveexec_b64 s[8:9], vcc
; %bb.2070:
	s_mov_b32 s10, 0x7f800001
	s_xor_b64 s[4:5], exec, -1
; %bb.2071:
	s_or_b64 exec, exec, s[8:9]
	s_and_b64 s[4:5], s[4:5], exec
                                        ; implicit-def: $vgpr13
	s_or_saveexec_b64 s[6:7], s[6:7]
	v_mov_b32_e32 v14, s10
	s_xor_b64 exec, exec, s[6:7]
	s_cbranch_execz .LBB11_22
.LBB11_2072:
	v_cmp_ne_u16_e32 vcc, 0, v13
	s_andn2_b64 s[4:5], s[4:5], exec
	s_and_b64 s[8:9], vcc, exec
	v_mov_b32_e32 v14, 0
	s_or_b64 s[4:5], s[4:5], s[8:9]
	s_or_b64 exec, exec, s[6:7]
	s_and_saveexec_b64 s[6:7], s[4:5]
	s_cbranch_execnz .LBB11_23
	s_branch .LBB11_24
.LBB11_2073:
	s_movk_i32 s4, 0x80
	v_cmp_eq_u16_sdwa s[12:13], v6, s4 src0_sel:BYTE_3 src1_sel:DWORD
	s_mov_b64 s[4:5], -1
                                        ; implicit-def: $sgpr10
	s_and_saveexec_b64 s[8:9], s[12:13]
; %bb.2074:
	s_mov_b32 s10, 0x7f800001
	s_xor_b64 s[4:5], exec, -1
; %bb.2075:
	s_or_b64 exec, exec, s[8:9]
	s_and_b64 s[4:5], s[4:5], exec
	s_or_saveexec_b64 s[6:7], s[6:7]
	v_mov_b32_e32 v12, s10
	s_xor_b64 exec, exec, s[6:7]
	s_cbranch_execz .LBB11_26
.LBB11_2076:
	v_mov_b32_e32 v12, 0
	v_cmp_ne_u16_sdwa s[8:9], v6, v12 src0_sel:BYTE_3 src1_sel:DWORD
	s_andn2_b64 s[4:5], s[4:5], exec
	s_and_b64 s[8:9], s[8:9], exec
	s_or_b64 s[4:5], s[4:5], s[8:9]
	s_or_b64 exec, exec, s[6:7]
	s_and_saveexec_b64 s[6:7], s[4:5]
	s_cbranch_execnz .LBB11_27
	s_branch .LBB11_28
.LBB11_2077:
	s_movk_i32 s4, 0x80
	v_cmp_eq_u16_sdwa s[12:13], v2, s4 src0_sel:BYTE_3 src1_sel:DWORD
	s_mov_b64 s[4:5], -1
                                        ; implicit-def: $sgpr10
	s_and_saveexec_b64 s[8:9], s[12:13]
; %bb.2078:
	s_mov_b32 s10, 0x7f800001
	s_xor_b64 s[4:5], exec, -1
; %bb.2079:
	s_or_b64 exec, exec, s[8:9]
	s_and_b64 s[4:5], s[4:5], exec
	s_or_saveexec_b64 s[6:7], s[6:7]
	v_mov_b32_e32 v6, s10
	s_xor_b64 exec, exec, s[6:7]
	s_cbranch_execz .LBB11_30
.LBB11_2080:
	v_mov_b32_e32 v6, 0
	v_cmp_ne_u16_sdwa s[8:9], v2, v6 src0_sel:BYTE_3 src1_sel:DWORD
	s_andn2_b64 s[4:5], s[4:5], exec
	s_and_b64 s[8:9], s[8:9], exec
	s_or_b64 s[4:5], s[4:5], s[8:9]
	s_or_b64 exec, exec, s[6:7]
	s_and_saveexec_b64 s[6:7], s[4:5]
	s_cbranch_execnz .LBB11_31
	s_branch .LBB11_32
.LBB11_2081:
	s_movk_i32 s4, 0x80
	v_cmp_eq_u16_sdwa s[12:13], v7, s4 src0_sel:BYTE_0 src1_sel:DWORD
	s_mov_b64 s[4:5], -1
                                        ; implicit-def: $sgpr10
	s_and_saveexec_b64 s[8:9], s[12:13]
; %bb.2082:
	s_mov_b32 s10, 0x7f800001
	s_xor_b64 s[4:5], exec, -1
; %bb.2083:
	s_or_b64 exec, exec, s[8:9]
	s_and_b64 s[4:5], s[4:5], exec
	s_or_saveexec_b64 s[6:7], s[6:7]
	v_mov_b32_e32 v2, s10
	s_xor_b64 exec, exec, s[6:7]
	s_cbranch_execz .LBB11_34
.LBB11_2084:
	v_mov_b32_e32 v2, 0
	v_cmp_ne_u16_sdwa s[8:9], v7, v2 src0_sel:BYTE_0 src1_sel:DWORD
	s_andn2_b64 s[4:5], s[4:5], exec
	s_and_b64 s[8:9], s[8:9], exec
	s_or_b64 s[4:5], s[4:5], s[8:9]
	s_or_b64 exec, exec, s[6:7]
	s_and_saveexec_b64 s[6:7], s[4:5]
	s_cbranch_execnz .LBB11_35
	s_branch .LBB11_36
.LBB11_2085:
	s_movk_i32 s4, 0x80
	v_cmp_eq_u16_sdwa s[12:13], v3, s4 src0_sel:BYTE_0 src1_sel:DWORD
	s_mov_b64 s[4:5], -1
                                        ; implicit-def: $sgpr10
	s_and_saveexec_b64 s[8:9], s[12:13]
; %bb.2086:
	s_mov_b32 s10, 0x7f800001
	s_xor_b64 s[4:5], exec, -1
; %bb.2087:
	s_or_b64 exec, exec, s[8:9]
	s_and_b64 s[4:5], s[4:5], exec
	s_or_saveexec_b64 s[6:7], s[6:7]
	v_mov_b32_e32 v6, s10
	s_xor_b64 exec, exec, s[6:7]
	s_cbranch_execz .LBB11_38
.LBB11_2088:
	v_mov_b32_e32 v6, 0
	v_cmp_ne_u16_sdwa s[8:9], v3, v6 src0_sel:BYTE_0 src1_sel:DWORD
	s_andn2_b64 s[4:5], s[4:5], exec
	s_and_b64 s[8:9], s[8:9], exec
	s_or_b64 s[4:5], s[4:5], s[8:9]
	s_or_b64 exec, exec, s[6:7]
	s_and_saveexec_b64 s[6:7], s[4:5]
	s_cbranch_execnz .LBB11_39
	s_branch .LBB11_40
.LBB11_2089:
	s_movk_i32 s4, 0x80
	v_cmp_eq_u16_sdwa s[12:13], v6, s4 src0_sel:BYTE_0 src1_sel:DWORD
	s_mov_b64 s[4:5], -1
                                        ; implicit-def: $sgpr10
	s_and_saveexec_b64 s[8:9], s[12:13]
; %bb.2090:
	s_mov_b32 s10, 0x7f800001
	s_xor_b64 s[4:5], exec, -1
; %bb.2091:
	s_or_b64 exec, exec, s[8:9]
	s_and_b64 s[4:5], s[4:5], exec
	s_or_saveexec_b64 s[6:7], s[6:7]
	v_mov_b32_e32 v2, s10
	s_xor_b64 exec, exec, s[6:7]
	s_cbranch_execz .LBB11_42
.LBB11_2092:
	v_mov_b32_e32 v2, 0
	v_cmp_ne_u16_sdwa s[8:9], v6, v2 src0_sel:BYTE_0 src1_sel:DWORD
	s_andn2_b64 s[4:5], s[4:5], exec
	s_and_b64 s[8:9], s[8:9], exec
	s_or_b64 s[4:5], s[4:5], s[8:9]
	s_or_b64 exec, exec, s[6:7]
	s_and_saveexec_b64 s[6:7], s[4:5]
	s_cbranch_execnz .LBB11_43
	s_branch .LBB11_44
.LBB11_2093:
	s_movk_i32 s4, 0x80
	v_cmp_eq_u16_sdwa s[12:13], v6, s4 src0_sel:BYTE_0 src1_sel:DWORD
	s_mov_b64 s[4:5], -1
                                        ; implicit-def: $sgpr10
	s_and_saveexec_b64 s[8:9], s[12:13]
; %bb.2094:
	s_mov_b32 s10, 0x7f800001
	s_xor_b64 s[4:5], exec, -1
; %bb.2095:
	s_or_b64 exec, exec, s[8:9]
	s_and_b64 s[4:5], s[4:5], exec
	s_or_saveexec_b64 s[6:7], s[6:7]
	v_mov_b32_e32 v12, s10
	s_xor_b64 exec, exec, s[6:7]
	s_cbranch_execz .LBB11_46
.LBB11_2096:
	v_mov_b32_e32 v12, 0
	v_cmp_ne_u16_sdwa s[8:9], v6, v12 src0_sel:BYTE_0 src1_sel:DWORD
	s_andn2_b64 s[4:5], s[4:5], exec
	s_and_b64 s[8:9], s[8:9], exec
	s_or_b64 s[4:5], s[4:5], s[8:9]
	s_or_b64 exec, exec, s[6:7]
	s_and_saveexec_b64 s[6:7], s[4:5]
	s_cbranch_execnz .LBB11_47
	s_branch .LBB11_48
.LBB11_2097:
	s_movk_i32 s4, 0x80
	v_cmp_eq_u16_e32 vcc, s4, v6
	s_mov_b64 s[4:5], -1
                                        ; implicit-def: $sgpr10
	s_and_saveexec_b64 s[8:9], vcc
; %bb.2098:
	s_mov_b32 s10, 0x7f800001
	s_xor_b64 s[4:5], exec, -1
; %bb.2099:
	s_or_b64 exec, exec, s[8:9]
	s_and_b64 s[4:5], s[4:5], exec
                                        ; implicit-def: $vgpr6
	s_or_saveexec_b64 s[6:7], s[6:7]
	v_mov_b32_e32 v2, s10
	s_xor_b64 exec, exec, s[6:7]
	s_cbranch_execz .LBB11_50
.LBB11_2100:
	v_cmp_ne_u16_e32 vcc, 0, v6
	s_andn2_b64 s[4:5], s[4:5], exec
	s_and_b64 s[8:9], vcc, exec
	v_mov_b32_e32 v2, 0
	s_or_b64 s[4:5], s[4:5], s[8:9]
	s_or_b64 exec, exec, s[6:7]
	s_and_saveexec_b64 s[6:7], s[4:5]
	s_cbranch_execnz .LBB11_51
	s_branch .LBB11_52
.LBB11_2101:
	s_movk_i32 s4, 0x80
	v_cmp_eq_u16_e32 vcc, s4, v6
	s_mov_b64 s[4:5], -1
                                        ; implicit-def: $sgpr10
	s_and_saveexec_b64 s[8:9], vcc
; %bb.2102:
	s_mov_b32 s10, 0x7f800001
	s_xor_b64 s[4:5], exec, -1
; %bb.2103:
	s_or_b64 exec, exec, s[8:9]
	s_and_b64 s[4:5], s[4:5], exec
                                        ; implicit-def: $vgpr6
	s_or_saveexec_b64 s[6:7], s[6:7]
	v_mov_b32_e32 v12, s10
	s_xor_b64 exec, exec, s[6:7]
	s_cbranch_execz .LBB11_54
.LBB11_2104:
	v_cmp_ne_u16_e32 vcc, 0, v6
	s_andn2_b64 s[4:5], s[4:5], exec
	s_and_b64 s[8:9], vcc, exec
	v_mov_b32_e32 v12, 0
	s_or_b64 s[4:5], s[4:5], s[8:9]
	s_or_b64 exec, exec, s[6:7]
	s_and_saveexec_b64 s[6:7], s[4:5]
	s_cbranch_execnz .LBB11_55
	s_branch .LBB11_56
.LBB11_2105:
	s_movk_i32 s4, 0x80
	v_cmp_eq_u16_sdwa s[12:13], v7, s4 src0_sel:BYTE_3 src1_sel:DWORD
	s_mov_b64 s[4:5], -1
                                        ; implicit-def: $sgpr10
	s_and_saveexec_b64 s[8:9], s[12:13]
; %bb.2106:
	s_mov_b32 s10, 0x7f800001
	s_xor_b64 s[4:5], exec, -1
; %bb.2107:
	s_or_b64 exec, exec, s[8:9]
	s_and_b64 s[4:5], s[4:5], exec
	s_or_saveexec_b64 s[6:7], s[6:7]
	v_mov_b32_e32 v2, s10
	s_xor_b64 exec, exec, s[6:7]
	s_cbranch_execz .LBB11_58
.LBB11_2108:
	v_mov_b32_e32 v2, 0
	v_cmp_ne_u16_sdwa s[8:9], v7, v2 src0_sel:BYTE_3 src1_sel:DWORD
	s_andn2_b64 s[4:5], s[4:5], exec
	s_and_b64 s[8:9], s[8:9], exec
	s_or_b64 s[4:5], s[4:5], s[8:9]
	s_or_b64 exec, exec, s[6:7]
	s_and_saveexec_b64 s[6:7], s[4:5]
	s_cbranch_execnz .LBB11_59
	s_branch .LBB11_60
.LBB11_2109:
	s_movk_i32 s4, 0x80
	v_cmp_eq_u16_sdwa s[12:13], v3, s4 src0_sel:BYTE_3 src1_sel:DWORD
	s_mov_b64 s[4:5], -1
                                        ; implicit-def: $sgpr10
	s_and_saveexec_b64 s[8:9], s[12:13]
; %bb.2110:
	s_mov_b32 s10, 0x7f800001
	s_xor_b64 s[4:5], exec, -1
; %bb.2111:
	s_or_b64 exec, exec, s[8:9]
	s_and_b64 s[4:5], s[4:5], exec
	s_or_saveexec_b64 s[6:7], s[6:7]
	v_mov_b32_e32 v6, s10
	s_xor_b64 exec, exec, s[6:7]
	s_cbranch_execz .LBB11_62
.LBB11_2112:
	v_mov_b32_e32 v6, 0
	v_cmp_ne_u16_sdwa s[8:9], v3, v6 src0_sel:BYTE_3 src1_sel:DWORD
	s_andn2_b64 s[4:5], s[4:5], exec
	s_and_b64 s[8:9], s[8:9], exec
	s_or_b64 s[4:5], s[4:5], s[8:9]
	s_or_b64 exec, exec, s[6:7]
	s_and_saveexec_b64 s[6:7], s[4:5]
	s_cbranch_execnz .LBB11_63
	s_branch .LBB11_64
.LBB11_2113:
	s_movk_i32 s4, 0x80
	v_cmp_eq_u16_sdwa s[12:13], v8, s4 src0_sel:BYTE_0 src1_sel:DWORD
	s_mov_b64 s[4:5], -1
                                        ; implicit-def: $sgpr10
	s_and_saveexec_b64 s[8:9], s[12:13]
; %bb.2114:
	s_mov_b32 s10, 0x7f800001
	s_xor_b64 s[4:5], exec, -1
; %bb.2115:
	s_or_b64 exec, exec, s[8:9]
	s_and_b64 s[4:5], s[4:5], exec
	s_or_saveexec_b64 s[6:7], s[6:7]
	v_mov_b32_e32 v2, s10
	s_xor_b64 exec, exec, s[6:7]
	s_cbranch_execz .LBB11_66
.LBB11_2116:
	v_mov_b32_e32 v2, 0
	v_cmp_ne_u16_sdwa s[8:9], v8, v2 src0_sel:BYTE_0 src1_sel:DWORD
	s_andn2_b64 s[4:5], s[4:5], exec
	s_and_b64 s[8:9], s[8:9], exec
	s_or_b64 s[4:5], s[4:5], s[8:9]
	s_or_b64 exec, exec, s[6:7]
	s_and_saveexec_b64 s[6:7], s[4:5]
	s_cbranch_execnz .LBB11_67
	s_branch .LBB11_68
.LBB11_2117:
	s_movk_i32 s4, 0x80
	v_cmp_eq_u16_sdwa s[12:13], v4, s4 src0_sel:BYTE_0 src1_sel:DWORD
	s_mov_b64 s[4:5], -1
                                        ; implicit-def: $sgpr10
	s_and_saveexec_b64 s[8:9], s[12:13]
; %bb.2118:
	s_mov_b32 s10, 0x7f800001
	s_xor_b64 s[4:5], exec, -1
; %bb.2119:
	s_or_b64 exec, exec, s[8:9]
	s_and_b64 s[4:5], s[4:5], exec
	s_or_saveexec_b64 s[6:7], s[6:7]
	v_mov_b32_e32 v3, s10
	s_xor_b64 exec, exec, s[6:7]
	s_cbranch_execz .LBB11_70
.LBB11_2120:
	v_mov_b32_e32 v3, 0
	v_cmp_ne_u16_sdwa s[8:9], v4, v3 src0_sel:BYTE_0 src1_sel:DWORD
	s_andn2_b64 s[4:5], s[4:5], exec
	s_and_b64 s[8:9], s[8:9], exec
	s_or_b64 s[4:5], s[4:5], s[8:9]
	s_or_b64 exec, exec, s[6:7]
	s_and_saveexec_b64 s[6:7], s[4:5]
	s_cbranch_execnz .LBB11_71
	s_branch .LBB11_72
.LBB11_2121:
	s_movk_i32 s4, 0x80
	v_cmp_eq_u16_sdwa s[12:13], v3, s4 src0_sel:BYTE_0 src1_sel:DWORD
	s_mov_b64 s[4:5], -1
                                        ; implicit-def: $sgpr10
	s_and_saveexec_b64 s[8:9], s[12:13]
; %bb.2122:
	s_mov_b32 s10, 0x7f800001
	s_xor_b64 s[4:5], exec, -1
; %bb.2123:
	s_or_b64 exec, exec, s[8:9]
	s_and_b64 s[4:5], s[4:5], exec
	s_or_saveexec_b64 s[6:7], s[6:7]
	v_mov_b32_e32 v2, s10
	s_xor_b64 exec, exec, s[6:7]
	s_cbranch_execz .LBB11_74
.LBB11_2124:
	v_mov_b32_e32 v2, 0
	v_cmp_ne_u16_sdwa s[8:9], v3, v2 src0_sel:BYTE_0 src1_sel:DWORD
	s_andn2_b64 s[4:5], s[4:5], exec
	s_and_b64 s[8:9], s[8:9], exec
	s_or_b64 s[4:5], s[4:5], s[8:9]
	s_or_b64 exec, exec, s[6:7]
	s_and_saveexec_b64 s[6:7], s[4:5]
	s_cbranch_execnz .LBB11_75
	s_branch .LBB11_76
.LBB11_2125:
	s_movk_i32 s4, 0x80
	v_cmp_eq_u16_sdwa s[12:13], v3, s4 src0_sel:BYTE_0 src1_sel:DWORD
	s_mov_b64 s[4:5], -1
                                        ; implicit-def: $sgpr10
	s_and_saveexec_b64 s[8:9], s[12:13]
; %bb.2126:
	s_mov_b32 s10, 0x7f800001
	s_xor_b64 s[4:5], exec, -1
; %bb.2127:
	s_or_b64 exec, exec, s[8:9]
	s_and_b64 s[4:5], s[4:5], exec
	s_or_saveexec_b64 s[6:7], s[6:7]
	v_mov_b32_e32 v6, s10
	s_xor_b64 exec, exec, s[6:7]
	s_cbranch_execz .LBB11_78
.LBB11_2128:
	v_mov_b32_e32 v6, 0
	v_cmp_ne_u16_sdwa s[8:9], v3, v6 src0_sel:BYTE_0 src1_sel:DWORD
	s_andn2_b64 s[4:5], s[4:5], exec
	s_and_b64 s[8:9], s[8:9], exec
	s_or_b64 s[4:5], s[4:5], s[8:9]
	s_or_b64 exec, exec, s[6:7]
	s_and_saveexec_b64 s[6:7], s[4:5]
	s_cbranch_execnz .LBB11_79
	s_branch .LBB11_80
.LBB11_2129:
	s_movk_i32 s4, 0x80
	v_cmp_eq_u16_e32 vcc, s4, v3
	s_mov_b64 s[4:5], -1
                                        ; implicit-def: $sgpr10
	s_and_saveexec_b64 s[8:9], vcc
; %bb.2130:
	s_mov_b32 s10, 0x7f800001
	s_xor_b64 s[4:5], exec, -1
; %bb.2131:
	s_or_b64 exec, exec, s[8:9]
	s_and_b64 s[4:5], s[4:5], exec
                                        ; implicit-def: $vgpr3
	s_or_saveexec_b64 s[6:7], s[6:7]
	v_mov_b32_e32 v2, s10
	s_xor_b64 exec, exec, s[6:7]
	s_cbranch_execz .LBB11_82
.LBB11_2132:
	v_cmp_ne_u16_e32 vcc, 0, v3
	s_andn2_b64 s[4:5], s[4:5], exec
	s_and_b64 s[8:9], vcc, exec
	v_mov_b32_e32 v2, 0
	s_or_b64 s[4:5], s[4:5], s[8:9]
	s_or_b64 exec, exec, s[6:7]
	s_and_saveexec_b64 s[6:7], s[4:5]
	s_cbranch_execnz .LBB11_83
	s_branch .LBB11_84
.LBB11_2133:
	s_movk_i32 s4, 0x80
	v_cmp_eq_u16_e32 vcc, s4, v3
	s_mov_b64 s[4:5], -1
                                        ; implicit-def: $sgpr10
	s_and_saveexec_b64 s[8:9], vcc
; %bb.2134:
	s_mov_b32 s10, 0x7f800001
	s_xor_b64 s[4:5], exec, -1
; %bb.2135:
	s_or_b64 exec, exec, s[8:9]
	s_and_b64 s[4:5], s[4:5], exec
                                        ; implicit-def: $vgpr3
	s_or_saveexec_b64 s[6:7], s[6:7]
	v_mov_b32_e32 v6, s10
	s_xor_b64 exec, exec, s[6:7]
	s_cbranch_execz .LBB11_86
.LBB11_2136:
	v_cmp_ne_u16_e32 vcc, 0, v3
	s_andn2_b64 s[4:5], s[4:5], exec
	s_and_b64 s[8:9], vcc, exec
	v_mov_b32_e32 v6, 0
	s_or_b64 s[4:5], s[4:5], s[8:9]
	s_or_b64 exec, exec, s[6:7]
	s_and_saveexec_b64 s[6:7], s[4:5]
	s_cbranch_execnz .LBB11_87
	s_branch .LBB11_88
.LBB11_2137:
	s_movk_i32 s4, 0x80
	v_cmp_eq_u16_sdwa s[12:13], v8, s4 src0_sel:BYTE_3 src1_sel:DWORD
	s_mov_b64 s[4:5], -1
                                        ; implicit-def: $sgpr10
	s_and_saveexec_b64 s[8:9], s[12:13]
; %bb.2138:
	s_mov_b32 s10, 0x7f800001
	s_xor_b64 s[4:5], exec, -1
; %bb.2139:
	s_or_b64 exec, exec, s[8:9]
	s_and_b64 s[4:5], s[4:5], exec
	s_or_saveexec_b64 s[6:7], s[6:7]
	v_mov_b32_e32 v2, s10
	s_xor_b64 exec, exec, s[6:7]
	s_cbranch_execz .LBB11_90
.LBB11_2140:
	v_mov_b32_e32 v2, 0
	v_cmp_ne_u16_sdwa s[8:9], v8, v2 src0_sel:BYTE_3 src1_sel:DWORD
	s_andn2_b64 s[4:5], s[4:5], exec
	s_and_b64 s[8:9], s[8:9], exec
	s_or_b64 s[4:5], s[4:5], s[8:9]
	s_or_b64 exec, exec, s[6:7]
	s_and_saveexec_b64 s[6:7], s[4:5]
	s_cbranch_execnz .LBB11_91
	s_branch .LBB11_92
.LBB11_2141:
	s_movk_i32 s4, 0x80
	v_cmp_eq_u16_sdwa s[12:13], v4, s4 src0_sel:BYTE_3 src1_sel:DWORD
	s_mov_b64 s[4:5], -1
                                        ; implicit-def: $sgpr10
	s_and_saveexec_b64 s[8:9], s[12:13]
; %bb.2142:
	s_mov_b32 s10, 0x7f800001
	s_xor_b64 s[4:5], exec, -1
; %bb.2143:
	s_or_b64 exec, exec, s[8:9]
	s_and_b64 s[4:5], s[4:5], exec
	s_or_saveexec_b64 s[6:7], s[6:7]
	v_mov_b32_e32 v3, s10
	s_xor_b64 exec, exec, s[6:7]
	s_cbranch_execz .LBB11_94
.LBB11_2144:
	v_mov_b32_e32 v3, 0
	v_cmp_ne_u16_sdwa s[8:9], v4, v3 src0_sel:BYTE_3 src1_sel:DWORD
	s_andn2_b64 s[4:5], s[4:5], exec
	s_and_b64 s[8:9], s[8:9], exec
	s_or_b64 s[4:5], s[4:5], s[8:9]
	s_or_b64 exec, exec, s[6:7]
	s_and_saveexec_b64 s[6:7], s[4:5]
	s_cbranch_execnz .LBB11_95
	s_branch .LBB11_96
.LBB11_2145:
	s_movk_i32 s4, 0x80
	v_cmp_eq_u16_sdwa s[12:13], v9, s4 src0_sel:BYTE_0 src1_sel:DWORD
	s_mov_b64 s[4:5], -1
                                        ; implicit-def: $sgpr10
	s_and_saveexec_b64 s[8:9], s[12:13]
; %bb.2146:
	s_mov_b32 s10, 0x7f800001
	s_xor_b64 s[4:5], exec, -1
; %bb.2147:
	s_or_b64 exec, exec, s[8:9]
	s_and_b64 s[4:5], s[4:5], exec
	s_or_saveexec_b64 s[6:7], s[6:7]
	v_mov_b32_e32 v2, s10
	s_xor_b64 exec, exec, s[6:7]
	s_cbranch_execz .LBB11_98
.LBB11_2148:
	v_mov_b32_e32 v2, 0
	v_cmp_ne_u16_sdwa s[8:9], v9, v2 src0_sel:BYTE_0 src1_sel:DWORD
	s_andn2_b64 s[4:5], s[4:5], exec
	s_and_b64 s[8:9], s[8:9], exec
	s_or_b64 s[4:5], s[4:5], s[8:9]
	s_or_b64 exec, exec, s[6:7]
	s_and_saveexec_b64 s[6:7], s[4:5]
	s_cbranch_execnz .LBB11_99
	s_branch .LBB11_100
.LBB11_2149:
	s_movk_i32 s4, 0x80
	v_cmp_eq_u16_sdwa s[12:13], v5, s4 src0_sel:BYTE_0 src1_sel:DWORD
	s_mov_b64 s[4:5], -1
                                        ; implicit-def: $sgpr10
	s_and_saveexec_b64 s[8:9], s[12:13]
; %bb.2150:
	s_mov_b32 s10, 0x7f800001
	s_xor_b64 s[4:5], exec, -1
; %bb.2151:
	s_or_b64 exec, exec, s[8:9]
	s_and_b64 s[4:5], s[4:5], exec
	s_or_saveexec_b64 s[6:7], s[6:7]
	v_mov_b32_e32 v3, s10
	s_xor_b64 exec, exec, s[6:7]
	s_cbranch_execz .LBB11_102
.LBB11_2152:
	v_mov_b32_e32 v3, 0
	v_cmp_ne_u16_sdwa s[8:9], v5, v3 src0_sel:BYTE_0 src1_sel:DWORD
	s_andn2_b64 s[4:5], s[4:5], exec
	s_and_b64 s[8:9], s[8:9], exec
	s_or_b64 s[4:5], s[4:5], s[8:9]
	s_or_b64 exec, exec, s[6:7]
	s_and_saveexec_b64 s[6:7], s[4:5]
	s_cbranch_execnz .LBB11_103
	s_branch .LBB11_104
.LBB11_2153:
	s_movk_i32 s4, 0x80
	v_cmp_eq_u16_sdwa s[12:13], v3, s4 src0_sel:BYTE_0 src1_sel:DWORD
	s_mov_b64 s[4:5], -1
                                        ; implicit-def: $sgpr10
	s_and_saveexec_b64 s[8:9], s[12:13]
; %bb.2154:
	s_mov_b32 s10, 0x7f800001
	s_xor_b64 s[4:5], exec, -1
; %bb.2155:
	s_or_b64 exec, exec, s[8:9]
	s_and_b64 s[4:5], s[4:5], exec
	s_or_saveexec_b64 s[6:7], s[6:7]
	v_mov_b32_e32 v2, s10
	s_xor_b64 exec, exec, s[6:7]
	s_cbranch_execz .LBB11_106
.LBB11_2156:
	v_mov_b32_e32 v2, 0
	v_cmp_ne_u16_sdwa s[8:9], v3, v2 src0_sel:BYTE_0 src1_sel:DWORD
	s_andn2_b64 s[4:5], s[4:5], exec
	s_and_b64 s[8:9], s[8:9], exec
	s_or_b64 s[4:5], s[4:5], s[8:9]
	s_or_b64 exec, exec, s[6:7]
	s_and_saveexec_b64 s[6:7], s[4:5]
	s_cbranch_execnz .LBB11_107
	s_branch .LBB11_108
.LBB11_2157:
	s_movk_i32 s4, 0x80
	v_cmp_eq_u16_sdwa s[12:13], v3, s4 src0_sel:BYTE_0 src1_sel:DWORD
	s_mov_b64 s[4:5], -1
                                        ; implicit-def: $sgpr10
	s_and_saveexec_b64 s[8:9], s[12:13]
; %bb.2158:
	s_mov_b32 s10, 0x7f800001
	s_xor_b64 s[4:5], exec, -1
; %bb.2159:
	s_or_b64 exec, exec, s[8:9]
	s_and_b64 s[4:5], s[4:5], exec
	s_or_saveexec_b64 s[6:7], s[6:7]
	v_mov_b32_e32 v4, s10
	s_xor_b64 exec, exec, s[6:7]
	s_cbranch_execz .LBB11_110
.LBB11_2160:
	v_mov_b32_e32 v4, 0
	v_cmp_ne_u16_sdwa s[8:9], v3, v4 src0_sel:BYTE_0 src1_sel:DWORD
	s_andn2_b64 s[4:5], s[4:5], exec
	s_and_b64 s[8:9], s[8:9], exec
	s_or_b64 s[4:5], s[4:5], s[8:9]
	s_or_b64 exec, exec, s[6:7]
	s_and_saveexec_b64 s[6:7], s[4:5]
	s_cbranch_execnz .LBB11_111
	s_branch .LBB11_112
.LBB11_2161:
	s_movk_i32 s4, 0x80
	v_cmp_eq_u16_e32 vcc, s4, v3
	s_mov_b64 s[4:5], -1
                                        ; implicit-def: $sgpr10
	s_and_saveexec_b64 s[8:9], vcc
; %bb.2162:
	s_mov_b32 s10, 0x7f800001
	s_xor_b64 s[4:5], exec, -1
; %bb.2163:
	s_or_b64 exec, exec, s[8:9]
	s_and_b64 s[4:5], s[4:5], exec
                                        ; implicit-def: $vgpr3
	s_or_saveexec_b64 s[6:7], s[6:7]
	v_mov_b32_e32 v2, s10
	s_xor_b64 exec, exec, s[6:7]
	s_cbranch_execz .LBB11_114
.LBB11_2164:
	v_cmp_ne_u16_e32 vcc, 0, v3
	s_andn2_b64 s[4:5], s[4:5], exec
	s_and_b64 s[8:9], vcc, exec
	v_mov_b32_e32 v2, 0
	s_or_b64 s[4:5], s[4:5], s[8:9]
	s_or_b64 exec, exec, s[6:7]
	s_and_saveexec_b64 s[6:7], s[4:5]
	s_cbranch_execnz .LBB11_115
	s_branch .LBB11_116
.LBB11_2165:
	s_movk_i32 s4, 0x80
	v_cmp_eq_u16_e32 vcc, s4, v3
	s_mov_b64 s[4:5], -1
                                        ; implicit-def: $sgpr10
	s_and_saveexec_b64 s[8:9], vcc
; %bb.2166:
	s_mov_b32 s10, 0x7f800001
	s_xor_b64 s[4:5], exec, -1
; %bb.2167:
	s_or_b64 exec, exec, s[8:9]
	s_and_b64 s[4:5], s[4:5], exec
                                        ; implicit-def: $vgpr3
	s_or_saveexec_b64 s[6:7], s[6:7]
	v_mov_b32_e32 v4, s10
	s_xor_b64 exec, exec, s[6:7]
	s_cbranch_execz .LBB11_118
.LBB11_2168:
	v_cmp_ne_u16_e32 vcc, 0, v3
	s_andn2_b64 s[4:5], s[4:5], exec
	s_and_b64 s[8:9], vcc, exec
	v_mov_b32_e32 v4, 0
	s_or_b64 s[4:5], s[4:5], s[8:9]
	s_or_b64 exec, exec, s[6:7]
	s_and_saveexec_b64 s[6:7], s[4:5]
	s_cbranch_execnz .LBB11_119
	s_branch .LBB11_120
.LBB11_2169:
	s_movk_i32 s4, 0x80
	v_cmp_eq_u16_sdwa s[12:13], v9, s4 src0_sel:BYTE_3 src1_sel:DWORD
	s_mov_b64 s[4:5], -1
                                        ; implicit-def: $sgpr10
	s_and_saveexec_b64 s[8:9], s[12:13]
; %bb.2170:
	s_mov_b32 s10, 0x7f800001
	s_xor_b64 s[4:5], exec, -1
; %bb.2171:
	s_or_b64 exec, exec, s[8:9]
	s_and_b64 s[4:5], s[4:5], exec
	s_or_saveexec_b64 s[6:7], s[6:7]
	v_mov_b32_e32 v2, s10
	s_xor_b64 exec, exec, s[6:7]
	s_cbranch_execz .LBB11_122
.LBB11_2172:
	v_mov_b32_e32 v2, 0
	v_cmp_ne_u16_sdwa s[8:9], v9, v2 src0_sel:BYTE_3 src1_sel:DWORD
	s_andn2_b64 s[4:5], s[4:5], exec
	s_and_b64 s[8:9], s[8:9], exec
	s_or_b64 s[4:5], s[4:5], s[8:9]
	s_or_b64 exec, exec, s[6:7]
	s_and_saveexec_b64 s[6:7], s[4:5]
	s_cbranch_execnz .LBB11_123
	s_branch .LBB11_124
.LBB11_2173:
	s_movk_i32 s4, 0x80
	v_cmp_eq_u16_sdwa s[12:13], v5, s4 src0_sel:BYTE_3 src1_sel:DWORD
	s_mov_b64 s[4:5], -1
                                        ; implicit-def: $sgpr10
	s_and_saveexec_b64 s[8:9], s[12:13]
; %bb.2174:
	s_mov_b32 s10, 0x7f800001
	s_xor_b64 s[4:5], exec, -1
; %bb.2175:
	s_or_b64 exec, exec, s[8:9]
	s_and_b64 s[4:5], s[4:5], exec
	s_or_saveexec_b64 s[6:7], s[6:7]
	v_mov_b32_e32 v3, s10
	s_xor_b64 exec, exec, s[6:7]
	s_cbranch_execz .LBB11_126
.LBB11_2176:
	v_mov_b32_e32 v3, 0
	v_cmp_ne_u16_sdwa s[8:9], v5, v3 src0_sel:BYTE_3 src1_sel:DWORD
	s_andn2_b64 s[4:5], s[4:5], exec
	s_and_b64 s[8:9], s[8:9], exec
	s_or_b64 s[4:5], s[4:5], s[8:9]
	s_or_b64 exec, exec, s[6:7]
	s_and_saveexec_b64 s[6:7], s[4:5]
	s_cbranch_execnz .LBB11_127
	s_branch .LBB11_128
.LBB11_2177:
	s_movk_i32 s4, 0x80
	v_cmp_eq_u16_sdwa s[12:13], v6, s4 src0_sel:BYTE_0 src1_sel:DWORD
	s_mov_b64 s[4:5], -1
                                        ; implicit-def: $sgpr10
	s_and_saveexec_b64 s[8:9], s[12:13]
; %bb.2178:
	s_mov_b32 s10, 0x7f800001
	s_xor_b64 s[4:5], exec, -1
; %bb.2179:
	s_or_b64 exec, exec, s[8:9]
	s_and_b64 s[4:5], s[4:5], exec
	s_or_saveexec_b64 s[6:7], s[6:7]
	v_mov_b32_e32 v12, s10
	s_xor_b64 exec, exec, s[6:7]
	s_cbranch_execz .LBB11_130
.LBB11_2180:
	v_mov_b32_e32 v12, 0
	v_cmp_ne_u16_sdwa s[8:9], v6, v12 src0_sel:BYTE_0 src1_sel:DWORD
	s_andn2_b64 s[4:5], s[4:5], exec
	s_and_b64 s[8:9], s[8:9], exec
	s_or_b64 s[4:5], s[4:5], s[8:9]
	s_or_b64 exec, exec, s[6:7]
	s_and_saveexec_b64 s[6:7], s[4:5]
	s_cbranch_execnz .LBB11_131
	s_branch .LBB11_132
.LBB11_2181:
	s_movk_i32 s4, 0x80
	v_cmp_eq_u16_sdwa s[12:13], v2, s4 src0_sel:BYTE_0 src1_sel:DWORD
	s_mov_b64 s[4:5], -1
                                        ; implicit-def: $sgpr10
	s_and_saveexec_b64 s[8:9], s[12:13]
; %bb.2182:
	s_mov_b32 s10, 0x7f800001
	s_xor_b64 s[4:5], exec, -1
; %bb.2183:
	s_or_b64 exec, exec, s[8:9]
	s_and_b64 s[4:5], s[4:5], exec
	s_or_saveexec_b64 s[6:7], s[6:7]
	v_mov_b32_e32 v13, s10
	s_xor_b64 exec, exec, s[6:7]
	s_cbranch_execz .LBB11_134
.LBB11_2184:
	v_mov_b32_e32 v13, 0
	v_cmp_ne_u16_sdwa s[8:9], v2, v13 src0_sel:BYTE_0 src1_sel:DWORD
	s_andn2_b64 s[4:5], s[4:5], exec
	s_and_b64 s[8:9], s[8:9], exec
	s_or_b64 s[4:5], s[4:5], s[8:9]
	s_or_b64 exec, exec, s[6:7]
	s_and_saveexec_b64 s[6:7], s[4:5]
	s_cbranch_execnz .LBB11_135
	s_branch .LBB11_136
.LBB11_2185:
	s_movk_i32 s4, 0x80
	v_cmp_eq_u16_sdwa s[12:13], v13, s4 src0_sel:BYTE_0 src1_sel:DWORD
	s_mov_b64 s[4:5], -1
                                        ; implicit-def: $sgpr10
	s_and_saveexec_b64 s[8:9], s[12:13]
; %bb.2186:
	s_mov_b32 s10, 0x7f800001
	s_xor_b64 s[4:5], exec, -1
; %bb.2187:
	s_or_b64 exec, exec, s[8:9]
	s_and_b64 s[4:5], s[4:5], exec
	s_or_saveexec_b64 s[6:7], s[6:7]
	v_mov_b32_e32 v12, s10
	s_xor_b64 exec, exec, s[6:7]
	s_cbranch_execz .LBB11_138
.LBB11_2188:
	v_mov_b32_e32 v12, 0
	v_cmp_ne_u16_sdwa s[8:9], v13, v12 src0_sel:BYTE_0 src1_sel:DWORD
	s_andn2_b64 s[4:5], s[4:5], exec
	s_and_b64 s[8:9], s[8:9], exec
	s_or_b64 s[4:5], s[4:5], s[8:9]
	s_or_b64 exec, exec, s[6:7]
	s_and_saveexec_b64 s[6:7], s[4:5]
	s_cbranch_execnz .LBB11_139
	s_branch .LBB11_140
.LBB11_2189:
	s_movk_i32 s4, 0x80
	v_cmp_eq_u16_sdwa s[12:13], v13, s4 src0_sel:BYTE_0 src1_sel:DWORD
	s_mov_b64 s[4:5], -1
                                        ; implicit-def: $sgpr10
	s_and_saveexec_b64 s[8:9], s[12:13]
; %bb.2190:
	s_mov_b32 s10, 0x7f800001
	s_xor_b64 s[4:5], exec, -1
; %bb.2191:
	s_or_b64 exec, exec, s[8:9]
	s_and_b64 s[4:5], s[4:5], exec
	s_or_saveexec_b64 s[6:7], s[6:7]
	v_mov_b32_e32 v14, s10
	s_xor_b64 exec, exec, s[6:7]
	s_cbranch_execz .LBB11_142
.LBB11_2192:
	v_mov_b32_e32 v14, 0
	v_cmp_ne_u16_sdwa s[8:9], v13, v14 src0_sel:BYTE_0 src1_sel:DWORD
	s_andn2_b64 s[4:5], s[4:5], exec
	s_and_b64 s[8:9], s[8:9], exec
	s_or_b64 s[4:5], s[4:5], s[8:9]
	s_or_b64 exec, exec, s[6:7]
	s_and_saveexec_b64 s[6:7], s[4:5]
	s_cbranch_execnz .LBB11_143
	s_branch .LBB11_144
.LBB11_2193:
	s_movk_i32 s4, 0x80
	v_cmp_eq_u16_e32 vcc, s4, v13
	s_mov_b64 s[4:5], -1
                                        ; implicit-def: $sgpr10
	s_and_saveexec_b64 s[8:9], vcc
; %bb.2194:
	s_mov_b32 s10, 0x7f800001
	s_xor_b64 s[4:5], exec, -1
; %bb.2195:
	s_or_b64 exec, exec, s[8:9]
	s_and_b64 s[4:5], s[4:5], exec
                                        ; implicit-def: $vgpr13
	s_or_saveexec_b64 s[6:7], s[6:7]
	v_mov_b32_e32 v12, s10
	s_xor_b64 exec, exec, s[6:7]
	s_cbranch_execz .LBB11_146
.LBB11_2196:
	v_cmp_ne_u16_e32 vcc, 0, v13
	s_andn2_b64 s[4:5], s[4:5], exec
	s_and_b64 s[8:9], vcc, exec
	v_mov_b32_e32 v12, 0
	s_or_b64 s[4:5], s[4:5], s[8:9]
	s_or_b64 exec, exec, s[6:7]
	s_and_saveexec_b64 s[6:7], s[4:5]
	s_cbranch_execnz .LBB11_147
	s_branch .LBB11_148
.LBB11_2197:
	s_movk_i32 s4, 0x80
	v_cmp_eq_u16_e32 vcc, s4, v13
	s_mov_b64 s[4:5], -1
                                        ; implicit-def: $sgpr10
	s_and_saveexec_b64 s[8:9], vcc
; %bb.2198:
	s_mov_b32 s10, 0x7f800001
	s_xor_b64 s[4:5], exec, -1
; %bb.2199:
	s_or_b64 exec, exec, s[8:9]
	s_and_b64 s[4:5], s[4:5], exec
                                        ; implicit-def: $vgpr13
	s_or_saveexec_b64 s[6:7], s[6:7]
	v_mov_b32_e32 v14, s10
	s_xor_b64 exec, exec, s[6:7]
	s_cbranch_execz .LBB11_150
.LBB11_2200:
	v_cmp_ne_u16_e32 vcc, 0, v13
	s_andn2_b64 s[4:5], s[4:5], exec
	s_and_b64 s[8:9], vcc, exec
	v_mov_b32_e32 v14, 0
	s_or_b64 s[4:5], s[4:5], s[8:9]
	s_or_b64 exec, exec, s[6:7]
	s_and_saveexec_b64 s[6:7], s[4:5]
	s_cbranch_execnz .LBB11_151
	s_branch .LBB11_152
.LBB11_2201:
	s_movk_i32 s4, 0x80
	v_cmp_eq_u16_sdwa s[12:13], v6, s4 src0_sel:BYTE_3 src1_sel:DWORD
	s_mov_b64 s[4:5], -1
                                        ; implicit-def: $sgpr10
	s_and_saveexec_b64 s[8:9], s[12:13]
; %bb.2202:
	s_mov_b32 s10, 0x7f800001
	s_xor_b64 s[4:5], exec, -1
; %bb.2203:
	s_or_b64 exec, exec, s[8:9]
	s_and_b64 s[4:5], s[4:5], exec
	s_or_saveexec_b64 s[6:7], s[6:7]
	v_mov_b32_e32 v12, s10
	s_xor_b64 exec, exec, s[6:7]
	s_cbranch_execz .LBB11_154
.LBB11_2204:
	v_mov_b32_e32 v12, 0
	v_cmp_ne_u16_sdwa s[8:9], v6, v12 src0_sel:BYTE_3 src1_sel:DWORD
	s_andn2_b64 s[4:5], s[4:5], exec
	s_and_b64 s[8:9], s[8:9], exec
	s_or_b64 s[4:5], s[4:5], s[8:9]
	s_or_b64 exec, exec, s[6:7]
	s_and_saveexec_b64 s[6:7], s[4:5]
	s_cbranch_execnz .LBB11_155
	s_branch .LBB11_156
.LBB11_2205:
	s_movk_i32 s4, 0x80
	v_cmp_eq_u16_sdwa s[12:13], v2, s4 src0_sel:BYTE_3 src1_sel:DWORD
	s_mov_b64 s[4:5], -1
                                        ; implicit-def: $sgpr10
	s_and_saveexec_b64 s[8:9], s[12:13]
; %bb.2206:
	s_mov_b32 s10, 0x7f800001
	s_xor_b64 s[4:5], exec, -1
; %bb.2207:
	s_or_b64 exec, exec, s[8:9]
	s_and_b64 s[4:5], s[4:5], exec
	s_or_saveexec_b64 s[6:7], s[6:7]
	v_mov_b32_e32 v6, s10
	s_xor_b64 exec, exec, s[6:7]
	s_cbranch_execz .LBB11_158
.LBB11_2208:
	v_mov_b32_e32 v6, 0
	v_cmp_ne_u16_sdwa s[8:9], v2, v6 src0_sel:BYTE_3 src1_sel:DWORD
	s_andn2_b64 s[4:5], s[4:5], exec
	s_and_b64 s[8:9], s[8:9], exec
	s_or_b64 s[4:5], s[4:5], s[8:9]
	s_or_b64 exec, exec, s[6:7]
	s_and_saveexec_b64 s[6:7], s[4:5]
	s_cbranch_execnz .LBB11_159
	s_branch .LBB11_160
.LBB11_2209:
	s_movk_i32 s4, 0x80
	v_cmp_eq_u16_sdwa s[12:13], v7, s4 src0_sel:BYTE_0 src1_sel:DWORD
	s_mov_b64 s[4:5], -1
                                        ; implicit-def: $sgpr10
	s_and_saveexec_b64 s[8:9], s[12:13]
; %bb.2210:
	s_mov_b32 s10, 0x7f800001
	s_xor_b64 s[4:5], exec, -1
; %bb.2211:
	s_or_b64 exec, exec, s[8:9]
	s_and_b64 s[4:5], s[4:5], exec
	s_or_saveexec_b64 s[6:7], s[6:7]
	v_mov_b32_e32 v2, s10
	s_xor_b64 exec, exec, s[6:7]
	s_cbranch_execz .LBB11_162
.LBB11_2212:
	v_mov_b32_e32 v2, 0
	v_cmp_ne_u16_sdwa s[8:9], v7, v2 src0_sel:BYTE_0 src1_sel:DWORD
	s_andn2_b64 s[4:5], s[4:5], exec
	s_and_b64 s[8:9], s[8:9], exec
	s_or_b64 s[4:5], s[4:5], s[8:9]
	s_or_b64 exec, exec, s[6:7]
	s_and_saveexec_b64 s[6:7], s[4:5]
	s_cbranch_execnz .LBB11_163
	s_branch .LBB11_164
.LBB11_2213:
	s_movk_i32 s4, 0x80
	v_cmp_eq_u16_sdwa s[12:13], v3, s4 src0_sel:BYTE_0 src1_sel:DWORD
	s_mov_b64 s[4:5], -1
                                        ; implicit-def: $sgpr10
	s_and_saveexec_b64 s[8:9], s[12:13]
; %bb.2214:
	s_mov_b32 s10, 0x7f800001
	s_xor_b64 s[4:5], exec, -1
; %bb.2215:
	s_or_b64 exec, exec, s[8:9]
	s_and_b64 s[4:5], s[4:5], exec
	s_or_saveexec_b64 s[6:7], s[6:7]
	v_mov_b32_e32 v6, s10
	s_xor_b64 exec, exec, s[6:7]
	s_cbranch_execz .LBB11_166
.LBB11_2216:
	v_mov_b32_e32 v6, 0
	v_cmp_ne_u16_sdwa s[8:9], v3, v6 src0_sel:BYTE_0 src1_sel:DWORD
	s_andn2_b64 s[4:5], s[4:5], exec
	s_and_b64 s[8:9], s[8:9], exec
	s_or_b64 s[4:5], s[4:5], s[8:9]
	s_or_b64 exec, exec, s[6:7]
	s_and_saveexec_b64 s[6:7], s[4:5]
	s_cbranch_execnz .LBB11_167
	s_branch .LBB11_168
.LBB11_2217:
	s_movk_i32 s4, 0x80
	v_cmp_eq_u16_sdwa s[12:13], v6, s4 src0_sel:BYTE_0 src1_sel:DWORD
	s_mov_b64 s[4:5], -1
                                        ; implicit-def: $sgpr10
	s_and_saveexec_b64 s[8:9], s[12:13]
; %bb.2218:
	s_mov_b32 s10, 0x7f800001
	s_xor_b64 s[4:5], exec, -1
; %bb.2219:
	s_or_b64 exec, exec, s[8:9]
	s_and_b64 s[4:5], s[4:5], exec
	s_or_saveexec_b64 s[6:7], s[6:7]
	v_mov_b32_e32 v2, s10
	s_xor_b64 exec, exec, s[6:7]
	s_cbranch_execz .LBB11_170
.LBB11_2220:
	v_mov_b32_e32 v2, 0
	v_cmp_ne_u16_sdwa s[8:9], v6, v2 src0_sel:BYTE_0 src1_sel:DWORD
	s_andn2_b64 s[4:5], s[4:5], exec
	s_and_b64 s[8:9], s[8:9], exec
	s_or_b64 s[4:5], s[4:5], s[8:9]
	s_or_b64 exec, exec, s[6:7]
	s_and_saveexec_b64 s[6:7], s[4:5]
	s_cbranch_execnz .LBB11_171
	s_branch .LBB11_172
.LBB11_2221:
	s_movk_i32 s4, 0x80
	v_cmp_eq_u16_sdwa s[12:13], v6, s4 src0_sel:BYTE_0 src1_sel:DWORD
	s_mov_b64 s[4:5], -1
                                        ; implicit-def: $sgpr10
	s_and_saveexec_b64 s[8:9], s[12:13]
; %bb.2222:
	s_mov_b32 s10, 0x7f800001
	s_xor_b64 s[4:5], exec, -1
; %bb.2223:
	s_or_b64 exec, exec, s[8:9]
	s_and_b64 s[4:5], s[4:5], exec
	s_or_saveexec_b64 s[6:7], s[6:7]
	v_mov_b32_e32 v12, s10
	s_xor_b64 exec, exec, s[6:7]
	s_cbranch_execz .LBB11_174
.LBB11_2224:
	v_mov_b32_e32 v12, 0
	v_cmp_ne_u16_sdwa s[8:9], v6, v12 src0_sel:BYTE_0 src1_sel:DWORD
	s_andn2_b64 s[4:5], s[4:5], exec
	s_and_b64 s[8:9], s[8:9], exec
	s_or_b64 s[4:5], s[4:5], s[8:9]
	s_or_b64 exec, exec, s[6:7]
	s_and_saveexec_b64 s[6:7], s[4:5]
	s_cbranch_execnz .LBB11_175
	s_branch .LBB11_176
.LBB11_2225:
	s_movk_i32 s4, 0x80
	v_cmp_eq_u16_e32 vcc, s4, v6
	s_mov_b64 s[4:5], -1
                                        ; implicit-def: $sgpr10
	s_and_saveexec_b64 s[8:9], vcc
; %bb.2226:
	s_mov_b32 s10, 0x7f800001
	s_xor_b64 s[4:5], exec, -1
; %bb.2227:
	s_or_b64 exec, exec, s[8:9]
	s_and_b64 s[4:5], s[4:5], exec
                                        ; implicit-def: $vgpr6
	s_or_saveexec_b64 s[6:7], s[6:7]
	v_mov_b32_e32 v2, s10
	s_xor_b64 exec, exec, s[6:7]
	s_cbranch_execz .LBB11_178
.LBB11_2228:
	v_cmp_ne_u16_e32 vcc, 0, v6
	s_andn2_b64 s[4:5], s[4:5], exec
	s_and_b64 s[8:9], vcc, exec
	v_mov_b32_e32 v2, 0
	s_or_b64 s[4:5], s[4:5], s[8:9]
	s_or_b64 exec, exec, s[6:7]
	s_and_saveexec_b64 s[6:7], s[4:5]
	s_cbranch_execnz .LBB11_179
	s_branch .LBB11_180
.LBB11_2229:
	s_movk_i32 s4, 0x80
	v_cmp_eq_u16_e32 vcc, s4, v6
	s_mov_b64 s[4:5], -1
                                        ; implicit-def: $sgpr10
	s_and_saveexec_b64 s[8:9], vcc
; %bb.2230:
	s_mov_b32 s10, 0x7f800001
	s_xor_b64 s[4:5], exec, -1
; %bb.2231:
	s_or_b64 exec, exec, s[8:9]
	s_and_b64 s[4:5], s[4:5], exec
                                        ; implicit-def: $vgpr6
	s_or_saveexec_b64 s[6:7], s[6:7]
	v_mov_b32_e32 v12, s10
	s_xor_b64 exec, exec, s[6:7]
	s_cbranch_execz .LBB11_182
.LBB11_2232:
	v_cmp_ne_u16_e32 vcc, 0, v6
	s_andn2_b64 s[4:5], s[4:5], exec
	s_and_b64 s[8:9], vcc, exec
	v_mov_b32_e32 v12, 0
	s_or_b64 s[4:5], s[4:5], s[8:9]
	s_or_b64 exec, exec, s[6:7]
	s_and_saveexec_b64 s[6:7], s[4:5]
	s_cbranch_execnz .LBB11_183
	s_branch .LBB11_184
.LBB11_2233:
	s_movk_i32 s4, 0x80
	v_cmp_eq_u16_sdwa s[12:13], v7, s4 src0_sel:BYTE_3 src1_sel:DWORD
	s_mov_b64 s[4:5], -1
                                        ; implicit-def: $sgpr10
	s_and_saveexec_b64 s[8:9], s[12:13]
; %bb.2234:
	s_mov_b32 s10, 0x7f800001
	s_xor_b64 s[4:5], exec, -1
; %bb.2235:
	s_or_b64 exec, exec, s[8:9]
	s_and_b64 s[4:5], s[4:5], exec
	s_or_saveexec_b64 s[6:7], s[6:7]
	v_mov_b32_e32 v2, s10
	s_xor_b64 exec, exec, s[6:7]
	s_cbranch_execz .LBB11_186
.LBB11_2236:
	v_mov_b32_e32 v2, 0
	v_cmp_ne_u16_sdwa s[8:9], v7, v2 src0_sel:BYTE_3 src1_sel:DWORD
	s_andn2_b64 s[4:5], s[4:5], exec
	s_and_b64 s[8:9], s[8:9], exec
	s_or_b64 s[4:5], s[4:5], s[8:9]
	s_or_b64 exec, exec, s[6:7]
	s_and_saveexec_b64 s[6:7], s[4:5]
	s_cbranch_execnz .LBB11_187
	s_branch .LBB11_188
.LBB11_2237:
	s_movk_i32 s4, 0x80
	v_cmp_eq_u16_sdwa s[12:13], v3, s4 src0_sel:BYTE_3 src1_sel:DWORD
	s_mov_b64 s[4:5], -1
                                        ; implicit-def: $sgpr10
	s_and_saveexec_b64 s[8:9], s[12:13]
; %bb.2238:
	s_mov_b32 s10, 0x7f800001
	s_xor_b64 s[4:5], exec, -1
; %bb.2239:
	s_or_b64 exec, exec, s[8:9]
	s_and_b64 s[4:5], s[4:5], exec
	s_or_saveexec_b64 s[6:7], s[6:7]
	v_mov_b32_e32 v6, s10
	s_xor_b64 exec, exec, s[6:7]
	s_cbranch_execz .LBB11_190
.LBB11_2240:
	v_mov_b32_e32 v6, 0
	v_cmp_ne_u16_sdwa s[8:9], v3, v6 src0_sel:BYTE_3 src1_sel:DWORD
	s_andn2_b64 s[4:5], s[4:5], exec
	s_and_b64 s[8:9], s[8:9], exec
	s_or_b64 s[4:5], s[4:5], s[8:9]
	s_or_b64 exec, exec, s[6:7]
	s_and_saveexec_b64 s[6:7], s[4:5]
	s_cbranch_execnz .LBB11_191
	s_branch .LBB11_192
.LBB11_2241:
	s_movk_i32 s4, 0x80
	v_cmp_eq_u16_sdwa s[12:13], v8, s4 src0_sel:BYTE_0 src1_sel:DWORD
	s_mov_b64 s[4:5], -1
                                        ; implicit-def: $sgpr10
	s_and_saveexec_b64 s[8:9], s[12:13]
; %bb.2242:
	s_mov_b32 s10, 0x7f800001
	s_xor_b64 s[4:5], exec, -1
; %bb.2243:
	s_or_b64 exec, exec, s[8:9]
	s_and_b64 s[4:5], s[4:5], exec
	s_or_saveexec_b64 s[6:7], s[6:7]
	v_mov_b32_e32 v2, s10
	s_xor_b64 exec, exec, s[6:7]
	s_cbranch_execz .LBB11_194
.LBB11_2244:
	v_mov_b32_e32 v2, 0
	v_cmp_ne_u16_sdwa s[8:9], v8, v2 src0_sel:BYTE_0 src1_sel:DWORD
	s_andn2_b64 s[4:5], s[4:5], exec
	s_and_b64 s[8:9], s[8:9], exec
	s_or_b64 s[4:5], s[4:5], s[8:9]
	s_or_b64 exec, exec, s[6:7]
	s_and_saveexec_b64 s[6:7], s[4:5]
	s_cbranch_execnz .LBB11_195
	s_branch .LBB11_196
.LBB11_2245:
	s_movk_i32 s4, 0x80
	v_cmp_eq_u16_sdwa s[12:13], v4, s4 src0_sel:BYTE_0 src1_sel:DWORD
	s_mov_b64 s[4:5], -1
                                        ; implicit-def: $sgpr10
	s_and_saveexec_b64 s[8:9], s[12:13]
; %bb.2246:
	s_mov_b32 s10, 0x7f800001
	s_xor_b64 s[4:5], exec, -1
; %bb.2247:
	s_or_b64 exec, exec, s[8:9]
	s_and_b64 s[4:5], s[4:5], exec
	s_or_saveexec_b64 s[6:7], s[6:7]
	v_mov_b32_e32 v3, s10
	s_xor_b64 exec, exec, s[6:7]
	s_cbranch_execz .LBB11_198
.LBB11_2248:
	v_mov_b32_e32 v3, 0
	v_cmp_ne_u16_sdwa s[8:9], v4, v3 src0_sel:BYTE_0 src1_sel:DWORD
	s_andn2_b64 s[4:5], s[4:5], exec
	s_and_b64 s[8:9], s[8:9], exec
	s_or_b64 s[4:5], s[4:5], s[8:9]
	s_or_b64 exec, exec, s[6:7]
	s_and_saveexec_b64 s[6:7], s[4:5]
	s_cbranch_execnz .LBB11_199
	s_branch .LBB11_200
.LBB11_2249:
	s_movk_i32 s4, 0x80
	v_cmp_eq_u16_sdwa s[12:13], v3, s4 src0_sel:BYTE_0 src1_sel:DWORD
	s_mov_b64 s[4:5], -1
                                        ; implicit-def: $sgpr10
	s_and_saveexec_b64 s[8:9], s[12:13]
; %bb.2250:
	s_mov_b32 s10, 0x7f800001
	s_xor_b64 s[4:5], exec, -1
; %bb.2251:
	s_or_b64 exec, exec, s[8:9]
	s_and_b64 s[4:5], s[4:5], exec
	s_or_saveexec_b64 s[6:7], s[6:7]
	v_mov_b32_e32 v2, s10
	s_xor_b64 exec, exec, s[6:7]
	s_cbranch_execz .LBB11_202
.LBB11_2252:
	v_mov_b32_e32 v2, 0
	v_cmp_ne_u16_sdwa s[8:9], v3, v2 src0_sel:BYTE_0 src1_sel:DWORD
	s_andn2_b64 s[4:5], s[4:5], exec
	s_and_b64 s[8:9], s[8:9], exec
	s_or_b64 s[4:5], s[4:5], s[8:9]
	s_or_b64 exec, exec, s[6:7]
	s_and_saveexec_b64 s[6:7], s[4:5]
	s_cbranch_execnz .LBB11_203
	s_branch .LBB11_204
.LBB11_2253:
	s_movk_i32 s4, 0x80
	v_cmp_eq_u16_sdwa s[12:13], v3, s4 src0_sel:BYTE_0 src1_sel:DWORD
	s_mov_b64 s[4:5], -1
                                        ; implicit-def: $sgpr10
	s_and_saveexec_b64 s[8:9], s[12:13]
; %bb.2254:
	s_mov_b32 s10, 0x7f800001
	s_xor_b64 s[4:5], exec, -1
; %bb.2255:
	s_or_b64 exec, exec, s[8:9]
	s_and_b64 s[4:5], s[4:5], exec
	s_or_saveexec_b64 s[6:7], s[6:7]
	v_mov_b32_e32 v6, s10
	s_xor_b64 exec, exec, s[6:7]
	s_cbranch_execz .LBB11_206
.LBB11_2256:
	v_mov_b32_e32 v6, 0
	v_cmp_ne_u16_sdwa s[8:9], v3, v6 src0_sel:BYTE_0 src1_sel:DWORD
	s_andn2_b64 s[4:5], s[4:5], exec
	s_and_b64 s[8:9], s[8:9], exec
	s_or_b64 s[4:5], s[4:5], s[8:9]
	s_or_b64 exec, exec, s[6:7]
	s_and_saveexec_b64 s[6:7], s[4:5]
	s_cbranch_execnz .LBB11_207
	s_branch .LBB11_208
.LBB11_2257:
	s_movk_i32 s4, 0x80
	v_cmp_eq_u16_e32 vcc, s4, v3
	s_mov_b64 s[4:5], -1
                                        ; implicit-def: $sgpr10
	s_and_saveexec_b64 s[8:9], vcc
; %bb.2258:
	s_mov_b32 s10, 0x7f800001
	s_xor_b64 s[4:5], exec, -1
; %bb.2259:
	s_or_b64 exec, exec, s[8:9]
	s_and_b64 s[4:5], s[4:5], exec
                                        ; implicit-def: $vgpr3
	s_or_saveexec_b64 s[6:7], s[6:7]
	v_mov_b32_e32 v2, s10
	s_xor_b64 exec, exec, s[6:7]
	s_cbranch_execz .LBB11_210
.LBB11_2260:
	v_cmp_ne_u16_e32 vcc, 0, v3
	s_andn2_b64 s[4:5], s[4:5], exec
	s_and_b64 s[8:9], vcc, exec
	v_mov_b32_e32 v2, 0
	s_or_b64 s[4:5], s[4:5], s[8:9]
	s_or_b64 exec, exec, s[6:7]
	s_and_saveexec_b64 s[6:7], s[4:5]
	s_cbranch_execnz .LBB11_211
	s_branch .LBB11_212
.LBB11_2261:
	s_movk_i32 s4, 0x80
	v_cmp_eq_u16_e32 vcc, s4, v3
	s_mov_b64 s[4:5], -1
                                        ; implicit-def: $sgpr10
	s_and_saveexec_b64 s[8:9], vcc
; %bb.2262:
	s_mov_b32 s10, 0x7f800001
	s_xor_b64 s[4:5], exec, -1
; %bb.2263:
	s_or_b64 exec, exec, s[8:9]
	s_and_b64 s[4:5], s[4:5], exec
                                        ; implicit-def: $vgpr3
	s_or_saveexec_b64 s[6:7], s[6:7]
	v_mov_b32_e32 v6, s10
	s_xor_b64 exec, exec, s[6:7]
	s_cbranch_execz .LBB11_214
.LBB11_2264:
	v_cmp_ne_u16_e32 vcc, 0, v3
	s_andn2_b64 s[4:5], s[4:5], exec
	s_and_b64 s[8:9], vcc, exec
	v_mov_b32_e32 v6, 0
	s_or_b64 s[4:5], s[4:5], s[8:9]
	s_or_b64 exec, exec, s[6:7]
	s_and_saveexec_b64 s[6:7], s[4:5]
	s_cbranch_execnz .LBB11_215
	s_branch .LBB11_216
.LBB11_2265:
	s_movk_i32 s4, 0x80
	v_cmp_eq_u16_sdwa s[12:13], v8, s4 src0_sel:BYTE_3 src1_sel:DWORD
	s_mov_b64 s[4:5], -1
                                        ; implicit-def: $sgpr10
	s_and_saveexec_b64 s[8:9], s[12:13]
; %bb.2266:
	s_mov_b32 s10, 0x7f800001
	s_xor_b64 s[4:5], exec, -1
; %bb.2267:
	s_or_b64 exec, exec, s[8:9]
	s_and_b64 s[4:5], s[4:5], exec
	s_or_saveexec_b64 s[6:7], s[6:7]
	v_mov_b32_e32 v2, s10
	s_xor_b64 exec, exec, s[6:7]
	s_cbranch_execz .LBB11_218
.LBB11_2268:
	v_mov_b32_e32 v2, 0
	v_cmp_ne_u16_sdwa s[8:9], v8, v2 src0_sel:BYTE_3 src1_sel:DWORD
	s_andn2_b64 s[4:5], s[4:5], exec
	s_and_b64 s[8:9], s[8:9], exec
	s_or_b64 s[4:5], s[4:5], s[8:9]
	s_or_b64 exec, exec, s[6:7]
	s_and_saveexec_b64 s[6:7], s[4:5]
	s_cbranch_execnz .LBB11_219
	s_branch .LBB11_220
.LBB11_2269:
	s_movk_i32 s4, 0x80
	v_cmp_eq_u16_sdwa s[12:13], v4, s4 src0_sel:BYTE_3 src1_sel:DWORD
	s_mov_b64 s[4:5], -1
                                        ; implicit-def: $sgpr10
	s_and_saveexec_b64 s[8:9], s[12:13]
; %bb.2270:
	s_mov_b32 s10, 0x7f800001
	s_xor_b64 s[4:5], exec, -1
; %bb.2271:
	s_or_b64 exec, exec, s[8:9]
	s_and_b64 s[4:5], s[4:5], exec
	s_or_saveexec_b64 s[6:7], s[6:7]
	v_mov_b32_e32 v3, s10
	s_xor_b64 exec, exec, s[6:7]
	s_cbranch_execz .LBB11_222
.LBB11_2272:
	v_mov_b32_e32 v3, 0
	v_cmp_ne_u16_sdwa s[8:9], v4, v3 src0_sel:BYTE_3 src1_sel:DWORD
	s_andn2_b64 s[4:5], s[4:5], exec
	s_and_b64 s[8:9], s[8:9], exec
	s_or_b64 s[4:5], s[4:5], s[8:9]
	s_or_b64 exec, exec, s[6:7]
	s_and_saveexec_b64 s[6:7], s[4:5]
	s_cbranch_execnz .LBB11_223
	s_branch .LBB11_224
.LBB11_2273:
	s_movk_i32 s4, 0x80
	v_cmp_eq_u16_sdwa s[12:13], v9, s4 src0_sel:BYTE_0 src1_sel:DWORD
	s_mov_b64 s[4:5], -1
                                        ; implicit-def: $sgpr10
	s_and_saveexec_b64 s[8:9], s[12:13]
; %bb.2274:
	s_mov_b32 s10, 0x7f800001
	s_xor_b64 s[4:5], exec, -1
; %bb.2275:
	s_or_b64 exec, exec, s[8:9]
	s_and_b64 s[4:5], s[4:5], exec
	s_or_saveexec_b64 s[6:7], s[6:7]
	v_mov_b32_e32 v2, s10
	s_xor_b64 exec, exec, s[6:7]
	s_cbranch_execz .LBB11_226
.LBB11_2276:
	v_mov_b32_e32 v2, 0
	v_cmp_ne_u16_sdwa s[8:9], v9, v2 src0_sel:BYTE_0 src1_sel:DWORD
	s_andn2_b64 s[4:5], s[4:5], exec
	s_and_b64 s[8:9], s[8:9], exec
	s_or_b64 s[4:5], s[4:5], s[8:9]
	s_or_b64 exec, exec, s[6:7]
	s_and_saveexec_b64 s[6:7], s[4:5]
	s_cbranch_execnz .LBB11_227
	s_branch .LBB11_228
.LBB11_2277:
	s_movk_i32 s4, 0x80
	v_cmp_eq_u16_sdwa s[12:13], v5, s4 src0_sel:BYTE_0 src1_sel:DWORD
	s_mov_b64 s[4:5], -1
                                        ; implicit-def: $sgpr10
	s_and_saveexec_b64 s[8:9], s[12:13]
; %bb.2278:
	s_mov_b32 s10, 0x7f800001
	s_xor_b64 s[4:5], exec, -1
; %bb.2279:
	s_or_b64 exec, exec, s[8:9]
	s_and_b64 s[4:5], s[4:5], exec
	s_or_saveexec_b64 s[6:7], s[6:7]
	v_mov_b32_e32 v3, s10
	s_xor_b64 exec, exec, s[6:7]
	s_cbranch_execz .LBB11_230
.LBB11_2280:
	v_mov_b32_e32 v3, 0
	v_cmp_ne_u16_sdwa s[8:9], v5, v3 src0_sel:BYTE_0 src1_sel:DWORD
	s_andn2_b64 s[4:5], s[4:5], exec
	s_and_b64 s[8:9], s[8:9], exec
	s_or_b64 s[4:5], s[4:5], s[8:9]
	s_or_b64 exec, exec, s[6:7]
	s_and_saveexec_b64 s[6:7], s[4:5]
	s_cbranch_execnz .LBB11_231
	s_branch .LBB11_232
.LBB11_2281:
	s_movk_i32 s4, 0x80
	v_cmp_eq_u16_sdwa s[12:13], v3, s4 src0_sel:BYTE_0 src1_sel:DWORD
	s_mov_b64 s[4:5], -1
                                        ; implicit-def: $sgpr10
	s_and_saveexec_b64 s[8:9], s[12:13]
; %bb.2282:
	s_mov_b32 s10, 0x7f800001
	s_xor_b64 s[4:5], exec, -1
; %bb.2283:
	s_or_b64 exec, exec, s[8:9]
	s_and_b64 s[4:5], s[4:5], exec
	s_or_saveexec_b64 s[6:7], s[6:7]
	v_mov_b32_e32 v2, s10
	s_xor_b64 exec, exec, s[6:7]
	s_cbranch_execz .LBB11_234
.LBB11_2284:
	v_mov_b32_e32 v2, 0
	v_cmp_ne_u16_sdwa s[8:9], v3, v2 src0_sel:BYTE_0 src1_sel:DWORD
	s_andn2_b64 s[4:5], s[4:5], exec
	s_and_b64 s[8:9], s[8:9], exec
	s_or_b64 s[4:5], s[4:5], s[8:9]
	s_or_b64 exec, exec, s[6:7]
	s_and_saveexec_b64 s[6:7], s[4:5]
	s_cbranch_execnz .LBB11_235
	s_branch .LBB11_236
.LBB11_2285:
	s_movk_i32 s4, 0x80
	v_cmp_eq_u16_sdwa s[12:13], v3, s4 src0_sel:BYTE_0 src1_sel:DWORD
	s_mov_b64 s[4:5], -1
                                        ; implicit-def: $sgpr10
	s_and_saveexec_b64 s[8:9], s[12:13]
; %bb.2286:
	s_mov_b32 s10, 0x7f800001
	s_xor_b64 s[4:5], exec, -1
; %bb.2287:
	s_or_b64 exec, exec, s[8:9]
	s_and_b64 s[4:5], s[4:5], exec
	s_or_saveexec_b64 s[6:7], s[6:7]
	v_mov_b32_e32 v4, s10
	s_xor_b64 exec, exec, s[6:7]
	s_cbranch_execz .LBB11_238
.LBB11_2288:
	v_mov_b32_e32 v4, 0
	v_cmp_ne_u16_sdwa s[8:9], v3, v4 src0_sel:BYTE_0 src1_sel:DWORD
	s_andn2_b64 s[4:5], s[4:5], exec
	s_and_b64 s[8:9], s[8:9], exec
	s_or_b64 s[4:5], s[4:5], s[8:9]
	s_or_b64 exec, exec, s[6:7]
	s_and_saveexec_b64 s[6:7], s[4:5]
	s_cbranch_execnz .LBB11_239
	s_branch .LBB11_240
.LBB11_2289:
	s_movk_i32 s4, 0x80
	v_cmp_eq_u16_e32 vcc, s4, v3
	s_mov_b64 s[4:5], -1
                                        ; implicit-def: $sgpr10
	s_and_saveexec_b64 s[8:9], vcc
; %bb.2290:
	s_mov_b32 s10, 0x7f800001
	s_xor_b64 s[4:5], exec, -1
; %bb.2291:
	s_or_b64 exec, exec, s[8:9]
	s_and_b64 s[4:5], s[4:5], exec
                                        ; implicit-def: $vgpr3
	s_or_saveexec_b64 s[6:7], s[6:7]
	v_mov_b32_e32 v2, s10
	s_xor_b64 exec, exec, s[6:7]
	s_cbranch_execz .LBB11_242
.LBB11_2292:
	v_cmp_ne_u16_e32 vcc, 0, v3
	s_andn2_b64 s[4:5], s[4:5], exec
	s_and_b64 s[8:9], vcc, exec
	v_mov_b32_e32 v2, 0
	s_or_b64 s[4:5], s[4:5], s[8:9]
	s_or_b64 exec, exec, s[6:7]
	s_and_saveexec_b64 s[6:7], s[4:5]
	s_cbranch_execnz .LBB11_243
	s_branch .LBB11_244
.LBB11_2293:
	s_movk_i32 s4, 0x80
	v_cmp_eq_u16_e32 vcc, s4, v3
	s_mov_b64 s[4:5], -1
                                        ; implicit-def: $sgpr10
	s_and_saveexec_b64 s[8:9], vcc
; %bb.2294:
	s_mov_b32 s10, 0x7f800001
	s_xor_b64 s[4:5], exec, -1
; %bb.2295:
	s_or_b64 exec, exec, s[8:9]
	s_and_b64 s[4:5], s[4:5], exec
                                        ; implicit-def: $vgpr3
	s_or_saveexec_b64 s[6:7], s[6:7]
	v_mov_b32_e32 v4, s10
	s_xor_b64 exec, exec, s[6:7]
	s_cbranch_execz .LBB11_246
.LBB11_2296:
	v_cmp_ne_u16_e32 vcc, 0, v3
	s_andn2_b64 s[4:5], s[4:5], exec
	s_and_b64 s[8:9], vcc, exec
	v_mov_b32_e32 v4, 0
	s_or_b64 s[4:5], s[4:5], s[8:9]
	s_or_b64 exec, exec, s[6:7]
	s_and_saveexec_b64 s[6:7], s[4:5]
	s_cbranch_execnz .LBB11_247
	s_branch .LBB11_248
.LBB11_2297:
	s_movk_i32 s4, 0x80
	v_cmp_eq_u16_sdwa s[12:13], v9, s4 src0_sel:BYTE_3 src1_sel:DWORD
	s_mov_b64 s[4:5], -1
                                        ; implicit-def: $sgpr10
	s_and_saveexec_b64 s[8:9], s[12:13]
; %bb.2298:
	s_mov_b32 s10, 0x7f800001
	s_xor_b64 s[4:5], exec, -1
; %bb.2299:
	s_or_b64 exec, exec, s[8:9]
	s_and_b64 s[4:5], s[4:5], exec
	s_or_saveexec_b64 s[6:7], s[6:7]
	v_mov_b32_e32 v2, s10
	s_xor_b64 exec, exec, s[6:7]
	s_cbranch_execz .LBB11_250
.LBB11_2300:
	v_mov_b32_e32 v2, 0
	v_cmp_ne_u16_sdwa s[8:9], v9, v2 src0_sel:BYTE_3 src1_sel:DWORD
	s_andn2_b64 s[4:5], s[4:5], exec
	s_and_b64 s[8:9], s[8:9], exec
	s_or_b64 s[4:5], s[4:5], s[8:9]
	s_or_b64 exec, exec, s[6:7]
	s_and_saveexec_b64 s[6:7], s[4:5]
	s_cbranch_execnz .LBB11_251
	s_branch .LBB11_252
.LBB11_2301:
	s_movk_i32 s4, 0x80
	v_cmp_eq_u16_sdwa s[12:13], v5, s4 src0_sel:BYTE_3 src1_sel:DWORD
	s_mov_b64 s[4:5], -1
                                        ; implicit-def: $sgpr10
	s_and_saveexec_b64 s[8:9], s[12:13]
; %bb.2302:
	s_mov_b32 s10, 0x7f800001
	s_xor_b64 s[4:5], exec, -1
; %bb.2303:
	s_or_b64 exec, exec, s[8:9]
	s_and_b64 s[4:5], s[4:5], exec
	s_or_saveexec_b64 s[6:7], s[6:7]
	v_mov_b32_e32 v3, s10
	s_xor_b64 exec, exec, s[6:7]
	s_cbranch_execz .LBB11_254
.LBB11_2304:
	v_mov_b32_e32 v3, 0
	v_cmp_ne_u16_sdwa s[8:9], v5, v3 src0_sel:BYTE_3 src1_sel:DWORD
	s_andn2_b64 s[4:5], s[4:5], exec
	s_and_b64 s[8:9], s[8:9], exec
	s_or_b64 s[4:5], s[4:5], s[8:9]
	s_or_b64 exec, exec, s[6:7]
	s_and_saveexec_b64 s[6:7], s[4:5]
	s_cbranch_execnz .LBB11_255
	s_branch .LBB11_256
.LBB11_2305:
	s_movk_i32 s4, 0x80
	v_cmp_eq_u16_sdwa s[12:13], v6, s4 src0_sel:BYTE_0 src1_sel:DWORD
	s_mov_b64 s[4:5], -1
                                        ; implicit-def: $sgpr10
	s_and_saveexec_b64 s[8:9], s[12:13]
; %bb.2306:
	s_mov_b32 s10, 0x7f800001
	s_xor_b64 s[4:5], exec, -1
; %bb.2307:
	s_or_b64 exec, exec, s[8:9]
	s_and_b64 s[4:5], s[4:5], exec
	s_or_saveexec_b64 s[6:7], s[6:7]
	v_mov_b32_e32 v12, s10
	s_xor_b64 exec, exec, s[6:7]
	s_cbranch_execz .LBB11_258
.LBB11_2308:
	v_mov_b32_e32 v12, 0
	v_cmp_ne_u16_sdwa s[8:9], v6, v12 src0_sel:BYTE_0 src1_sel:DWORD
	s_andn2_b64 s[4:5], s[4:5], exec
	s_and_b64 s[8:9], s[8:9], exec
	s_or_b64 s[4:5], s[4:5], s[8:9]
	s_or_b64 exec, exec, s[6:7]
	s_and_saveexec_b64 s[6:7], s[4:5]
	s_cbranch_execnz .LBB11_259
	s_branch .LBB11_260
.LBB11_2309:
	s_movk_i32 s4, 0x80
	v_cmp_eq_u16_sdwa s[12:13], v2, s4 src0_sel:BYTE_0 src1_sel:DWORD
	s_mov_b64 s[4:5], -1
                                        ; implicit-def: $sgpr10
	s_and_saveexec_b64 s[8:9], s[12:13]
; %bb.2310:
	s_mov_b32 s10, 0x7f800001
	s_xor_b64 s[4:5], exec, -1
; %bb.2311:
	s_or_b64 exec, exec, s[8:9]
	s_and_b64 s[4:5], s[4:5], exec
	s_or_saveexec_b64 s[6:7], s[6:7]
	v_mov_b32_e32 v13, s10
	s_xor_b64 exec, exec, s[6:7]
	s_cbranch_execz .LBB11_262
.LBB11_2312:
	v_mov_b32_e32 v13, 0
	v_cmp_ne_u16_sdwa s[8:9], v2, v13 src0_sel:BYTE_0 src1_sel:DWORD
	s_andn2_b64 s[4:5], s[4:5], exec
	s_and_b64 s[8:9], s[8:9], exec
	s_or_b64 s[4:5], s[4:5], s[8:9]
	s_or_b64 exec, exec, s[6:7]
	s_and_saveexec_b64 s[6:7], s[4:5]
	s_cbranch_execnz .LBB11_263
	s_branch .LBB11_264
.LBB11_2313:
	s_movk_i32 s4, 0x80
	v_cmp_eq_u16_sdwa s[12:13], v13, s4 src0_sel:BYTE_0 src1_sel:DWORD
	s_mov_b64 s[4:5], -1
                                        ; implicit-def: $sgpr10
	s_and_saveexec_b64 s[8:9], s[12:13]
; %bb.2314:
	s_mov_b32 s10, 0x7f800001
	s_xor_b64 s[4:5], exec, -1
; %bb.2315:
	s_or_b64 exec, exec, s[8:9]
	s_and_b64 s[4:5], s[4:5], exec
	s_or_saveexec_b64 s[6:7], s[6:7]
	v_mov_b32_e32 v12, s10
	s_xor_b64 exec, exec, s[6:7]
	s_cbranch_execz .LBB11_266
.LBB11_2316:
	v_mov_b32_e32 v12, 0
	v_cmp_ne_u16_sdwa s[8:9], v13, v12 src0_sel:BYTE_0 src1_sel:DWORD
	s_andn2_b64 s[4:5], s[4:5], exec
	s_and_b64 s[8:9], s[8:9], exec
	s_or_b64 s[4:5], s[4:5], s[8:9]
	s_or_b64 exec, exec, s[6:7]
	s_and_saveexec_b64 s[6:7], s[4:5]
	s_cbranch_execnz .LBB11_267
	s_branch .LBB11_268
.LBB11_2317:
	s_movk_i32 s4, 0x80
	v_cmp_eq_u16_sdwa s[12:13], v13, s4 src0_sel:BYTE_0 src1_sel:DWORD
	s_mov_b64 s[4:5], -1
                                        ; implicit-def: $sgpr10
	s_and_saveexec_b64 s[8:9], s[12:13]
; %bb.2318:
	s_mov_b32 s10, 0x7f800001
	s_xor_b64 s[4:5], exec, -1
; %bb.2319:
	s_or_b64 exec, exec, s[8:9]
	s_and_b64 s[4:5], s[4:5], exec
	s_or_saveexec_b64 s[6:7], s[6:7]
	v_mov_b32_e32 v14, s10
	s_xor_b64 exec, exec, s[6:7]
	s_cbranch_execz .LBB11_270
.LBB11_2320:
	v_mov_b32_e32 v14, 0
	v_cmp_ne_u16_sdwa s[8:9], v13, v14 src0_sel:BYTE_0 src1_sel:DWORD
	s_andn2_b64 s[4:5], s[4:5], exec
	s_and_b64 s[8:9], s[8:9], exec
	s_or_b64 s[4:5], s[4:5], s[8:9]
	s_or_b64 exec, exec, s[6:7]
	s_and_saveexec_b64 s[6:7], s[4:5]
	s_cbranch_execnz .LBB11_271
	s_branch .LBB11_272
.LBB11_2321:
	s_movk_i32 s4, 0x80
	v_cmp_eq_u16_e32 vcc, s4, v13
	s_mov_b64 s[4:5], -1
                                        ; implicit-def: $sgpr10
	s_and_saveexec_b64 s[8:9], vcc
; %bb.2322:
	s_mov_b32 s10, 0x7f800001
	s_xor_b64 s[4:5], exec, -1
; %bb.2323:
	s_or_b64 exec, exec, s[8:9]
	s_and_b64 s[4:5], s[4:5], exec
                                        ; implicit-def: $vgpr13
	s_or_saveexec_b64 s[6:7], s[6:7]
	v_mov_b32_e32 v12, s10
	s_xor_b64 exec, exec, s[6:7]
	s_cbranch_execz .LBB11_274
.LBB11_2324:
	v_cmp_ne_u16_e32 vcc, 0, v13
	s_andn2_b64 s[4:5], s[4:5], exec
	s_and_b64 s[8:9], vcc, exec
	v_mov_b32_e32 v12, 0
	s_or_b64 s[4:5], s[4:5], s[8:9]
	s_or_b64 exec, exec, s[6:7]
	s_and_saveexec_b64 s[6:7], s[4:5]
	s_cbranch_execnz .LBB11_275
	s_branch .LBB11_276
.LBB11_2325:
	s_movk_i32 s4, 0x80
	v_cmp_eq_u16_e32 vcc, s4, v13
	s_mov_b64 s[4:5], -1
                                        ; implicit-def: $sgpr10
	s_and_saveexec_b64 s[8:9], vcc
; %bb.2326:
	s_mov_b32 s10, 0x7f800001
	s_xor_b64 s[4:5], exec, -1
; %bb.2327:
	s_or_b64 exec, exec, s[8:9]
	s_and_b64 s[4:5], s[4:5], exec
                                        ; implicit-def: $vgpr13
	s_or_saveexec_b64 s[6:7], s[6:7]
	v_mov_b32_e32 v14, s10
	s_xor_b64 exec, exec, s[6:7]
	s_cbranch_execz .LBB11_278
.LBB11_2328:
	v_cmp_ne_u16_e32 vcc, 0, v13
	s_andn2_b64 s[4:5], s[4:5], exec
	s_and_b64 s[8:9], vcc, exec
	v_mov_b32_e32 v14, 0
	s_or_b64 s[4:5], s[4:5], s[8:9]
	s_or_b64 exec, exec, s[6:7]
	s_and_saveexec_b64 s[6:7], s[4:5]
	s_cbranch_execnz .LBB11_279
	s_branch .LBB11_280
.LBB11_2329:
	s_movk_i32 s4, 0x80
	v_cmp_eq_u16_sdwa s[12:13], v6, s4 src0_sel:BYTE_3 src1_sel:DWORD
	s_mov_b64 s[4:5], -1
                                        ; implicit-def: $sgpr10
	s_and_saveexec_b64 s[8:9], s[12:13]
; %bb.2330:
	s_mov_b32 s10, 0x7f800001
	s_xor_b64 s[4:5], exec, -1
; %bb.2331:
	s_or_b64 exec, exec, s[8:9]
	s_and_b64 s[4:5], s[4:5], exec
	s_or_saveexec_b64 s[6:7], s[6:7]
	v_mov_b32_e32 v12, s10
	s_xor_b64 exec, exec, s[6:7]
	s_cbranch_execz .LBB11_282
.LBB11_2332:
	v_mov_b32_e32 v12, 0
	v_cmp_ne_u16_sdwa s[8:9], v6, v12 src0_sel:BYTE_3 src1_sel:DWORD
	s_andn2_b64 s[4:5], s[4:5], exec
	s_and_b64 s[8:9], s[8:9], exec
	s_or_b64 s[4:5], s[4:5], s[8:9]
	s_or_b64 exec, exec, s[6:7]
	s_and_saveexec_b64 s[6:7], s[4:5]
	s_cbranch_execnz .LBB11_283
	s_branch .LBB11_284
.LBB11_2333:
	s_movk_i32 s4, 0x80
	v_cmp_eq_u16_sdwa s[12:13], v2, s4 src0_sel:BYTE_3 src1_sel:DWORD
	s_mov_b64 s[4:5], -1
                                        ; implicit-def: $sgpr10
	s_and_saveexec_b64 s[8:9], s[12:13]
; %bb.2334:
	s_mov_b32 s10, 0x7f800001
	s_xor_b64 s[4:5], exec, -1
; %bb.2335:
	s_or_b64 exec, exec, s[8:9]
	s_and_b64 s[4:5], s[4:5], exec
	s_or_saveexec_b64 s[6:7], s[6:7]
	v_mov_b32_e32 v6, s10
	s_xor_b64 exec, exec, s[6:7]
	s_cbranch_execz .LBB11_286
.LBB11_2336:
	v_mov_b32_e32 v6, 0
	v_cmp_ne_u16_sdwa s[8:9], v2, v6 src0_sel:BYTE_3 src1_sel:DWORD
	s_andn2_b64 s[4:5], s[4:5], exec
	s_and_b64 s[8:9], s[8:9], exec
	s_or_b64 s[4:5], s[4:5], s[8:9]
	s_or_b64 exec, exec, s[6:7]
	s_and_saveexec_b64 s[6:7], s[4:5]
	s_cbranch_execnz .LBB11_287
	s_branch .LBB11_288
.LBB11_2337:
	s_movk_i32 s4, 0x80
	v_cmp_eq_u16_sdwa s[12:13], v7, s4 src0_sel:BYTE_0 src1_sel:DWORD
	s_mov_b64 s[4:5], -1
                                        ; implicit-def: $sgpr10
	s_and_saveexec_b64 s[8:9], s[12:13]
; %bb.2338:
	s_mov_b32 s10, 0x7f800001
	s_xor_b64 s[4:5], exec, -1
; %bb.2339:
	s_or_b64 exec, exec, s[8:9]
	s_and_b64 s[4:5], s[4:5], exec
	s_or_saveexec_b64 s[6:7], s[6:7]
	v_mov_b32_e32 v2, s10
	s_xor_b64 exec, exec, s[6:7]
	s_cbranch_execz .LBB11_290
.LBB11_2340:
	v_mov_b32_e32 v2, 0
	v_cmp_ne_u16_sdwa s[8:9], v7, v2 src0_sel:BYTE_0 src1_sel:DWORD
	s_andn2_b64 s[4:5], s[4:5], exec
	s_and_b64 s[8:9], s[8:9], exec
	s_or_b64 s[4:5], s[4:5], s[8:9]
	s_or_b64 exec, exec, s[6:7]
	s_and_saveexec_b64 s[6:7], s[4:5]
	s_cbranch_execnz .LBB11_291
	s_branch .LBB11_292
.LBB11_2341:
	s_movk_i32 s4, 0x80
	v_cmp_eq_u16_sdwa s[12:13], v3, s4 src0_sel:BYTE_0 src1_sel:DWORD
	s_mov_b64 s[4:5], -1
                                        ; implicit-def: $sgpr10
	s_and_saveexec_b64 s[8:9], s[12:13]
; %bb.2342:
	s_mov_b32 s10, 0x7f800001
	s_xor_b64 s[4:5], exec, -1
; %bb.2343:
	s_or_b64 exec, exec, s[8:9]
	s_and_b64 s[4:5], s[4:5], exec
	s_or_saveexec_b64 s[6:7], s[6:7]
	v_mov_b32_e32 v6, s10
	s_xor_b64 exec, exec, s[6:7]
	s_cbranch_execz .LBB11_294
.LBB11_2344:
	v_mov_b32_e32 v6, 0
	v_cmp_ne_u16_sdwa s[8:9], v3, v6 src0_sel:BYTE_0 src1_sel:DWORD
	s_andn2_b64 s[4:5], s[4:5], exec
	s_and_b64 s[8:9], s[8:9], exec
	s_or_b64 s[4:5], s[4:5], s[8:9]
	s_or_b64 exec, exec, s[6:7]
	s_and_saveexec_b64 s[6:7], s[4:5]
	s_cbranch_execnz .LBB11_295
	s_branch .LBB11_296
.LBB11_2345:
	s_movk_i32 s4, 0x80
	v_cmp_eq_u16_sdwa s[12:13], v6, s4 src0_sel:BYTE_0 src1_sel:DWORD
	s_mov_b64 s[4:5], -1
                                        ; implicit-def: $sgpr10
	s_and_saveexec_b64 s[8:9], s[12:13]
; %bb.2346:
	s_mov_b32 s10, 0x7f800001
	s_xor_b64 s[4:5], exec, -1
; %bb.2347:
	s_or_b64 exec, exec, s[8:9]
	s_and_b64 s[4:5], s[4:5], exec
	s_or_saveexec_b64 s[6:7], s[6:7]
	v_mov_b32_e32 v2, s10
	s_xor_b64 exec, exec, s[6:7]
	s_cbranch_execz .LBB11_298
.LBB11_2348:
	v_mov_b32_e32 v2, 0
	v_cmp_ne_u16_sdwa s[8:9], v6, v2 src0_sel:BYTE_0 src1_sel:DWORD
	s_andn2_b64 s[4:5], s[4:5], exec
	s_and_b64 s[8:9], s[8:9], exec
	s_or_b64 s[4:5], s[4:5], s[8:9]
	s_or_b64 exec, exec, s[6:7]
	s_and_saveexec_b64 s[6:7], s[4:5]
	s_cbranch_execnz .LBB11_299
	s_branch .LBB11_300
.LBB11_2349:
	s_movk_i32 s4, 0x80
	v_cmp_eq_u16_sdwa s[12:13], v6, s4 src0_sel:BYTE_0 src1_sel:DWORD
	s_mov_b64 s[4:5], -1
                                        ; implicit-def: $sgpr10
	s_and_saveexec_b64 s[8:9], s[12:13]
; %bb.2350:
	s_mov_b32 s10, 0x7f800001
	s_xor_b64 s[4:5], exec, -1
; %bb.2351:
	s_or_b64 exec, exec, s[8:9]
	s_and_b64 s[4:5], s[4:5], exec
	s_or_saveexec_b64 s[6:7], s[6:7]
	v_mov_b32_e32 v12, s10
	s_xor_b64 exec, exec, s[6:7]
	s_cbranch_execz .LBB11_302
.LBB11_2352:
	v_mov_b32_e32 v12, 0
	v_cmp_ne_u16_sdwa s[8:9], v6, v12 src0_sel:BYTE_0 src1_sel:DWORD
	s_andn2_b64 s[4:5], s[4:5], exec
	s_and_b64 s[8:9], s[8:9], exec
	s_or_b64 s[4:5], s[4:5], s[8:9]
	s_or_b64 exec, exec, s[6:7]
	s_and_saveexec_b64 s[6:7], s[4:5]
	s_cbranch_execnz .LBB11_303
	s_branch .LBB11_304
.LBB11_2353:
	s_movk_i32 s4, 0x80
	v_cmp_eq_u16_e32 vcc, s4, v6
	s_mov_b64 s[4:5], -1
                                        ; implicit-def: $sgpr10
	s_and_saveexec_b64 s[8:9], vcc
; %bb.2354:
	s_mov_b32 s10, 0x7f800001
	s_xor_b64 s[4:5], exec, -1
; %bb.2355:
	s_or_b64 exec, exec, s[8:9]
	s_and_b64 s[4:5], s[4:5], exec
                                        ; implicit-def: $vgpr6
	s_or_saveexec_b64 s[6:7], s[6:7]
	v_mov_b32_e32 v2, s10
	s_xor_b64 exec, exec, s[6:7]
	s_cbranch_execz .LBB11_306
.LBB11_2356:
	v_cmp_ne_u16_e32 vcc, 0, v6
	s_andn2_b64 s[4:5], s[4:5], exec
	s_and_b64 s[8:9], vcc, exec
	v_mov_b32_e32 v2, 0
	s_or_b64 s[4:5], s[4:5], s[8:9]
	s_or_b64 exec, exec, s[6:7]
	s_and_saveexec_b64 s[6:7], s[4:5]
	s_cbranch_execnz .LBB11_307
	s_branch .LBB11_308
.LBB11_2357:
	s_movk_i32 s4, 0x80
	v_cmp_eq_u16_e32 vcc, s4, v6
	s_mov_b64 s[4:5], -1
                                        ; implicit-def: $sgpr10
	s_and_saveexec_b64 s[8:9], vcc
; %bb.2358:
	s_mov_b32 s10, 0x7f800001
	s_xor_b64 s[4:5], exec, -1
; %bb.2359:
	s_or_b64 exec, exec, s[8:9]
	s_and_b64 s[4:5], s[4:5], exec
                                        ; implicit-def: $vgpr6
	s_or_saveexec_b64 s[6:7], s[6:7]
	v_mov_b32_e32 v12, s10
	s_xor_b64 exec, exec, s[6:7]
	s_cbranch_execz .LBB11_310
.LBB11_2360:
	v_cmp_ne_u16_e32 vcc, 0, v6
	s_andn2_b64 s[4:5], s[4:5], exec
	s_and_b64 s[8:9], vcc, exec
	v_mov_b32_e32 v12, 0
	s_or_b64 s[4:5], s[4:5], s[8:9]
	s_or_b64 exec, exec, s[6:7]
	s_and_saveexec_b64 s[6:7], s[4:5]
	s_cbranch_execnz .LBB11_311
	s_branch .LBB11_312
.LBB11_2361:
	s_movk_i32 s4, 0x80
	v_cmp_eq_u16_sdwa s[12:13], v7, s4 src0_sel:BYTE_3 src1_sel:DWORD
	s_mov_b64 s[4:5], -1
                                        ; implicit-def: $sgpr10
	s_and_saveexec_b64 s[8:9], s[12:13]
; %bb.2362:
	s_mov_b32 s10, 0x7f800001
	s_xor_b64 s[4:5], exec, -1
; %bb.2363:
	s_or_b64 exec, exec, s[8:9]
	s_and_b64 s[4:5], s[4:5], exec
	s_or_saveexec_b64 s[6:7], s[6:7]
	v_mov_b32_e32 v2, s10
	s_xor_b64 exec, exec, s[6:7]
	s_cbranch_execz .LBB11_314
.LBB11_2364:
	v_mov_b32_e32 v2, 0
	v_cmp_ne_u16_sdwa s[8:9], v7, v2 src0_sel:BYTE_3 src1_sel:DWORD
	s_andn2_b64 s[4:5], s[4:5], exec
	s_and_b64 s[8:9], s[8:9], exec
	s_or_b64 s[4:5], s[4:5], s[8:9]
	s_or_b64 exec, exec, s[6:7]
	s_and_saveexec_b64 s[6:7], s[4:5]
	s_cbranch_execnz .LBB11_315
	s_branch .LBB11_316
.LBB11_2365:
	s_movk_i32 s4, 0x80
	v_cmp_eq_u16_sdwa s[12:13], v3, s4 src0_sel:BYTE_3 src1_sel:DWORD
	s_mov_b64 s[4:5], -1
                                        ; implicit-def: $sgpr10
	s_and_saveexec_b64 s[8:9], s[12:13]
; %bb.2366:
	s_mov_b32 s10, 0x7f800001
	s_xor_b64 s[4:5], exec, -1
; %bb.2367:
	s_or_b64 exec, exec, s[8:9]
	s_and_b64 s[4:5], s[4:5], exec
	s_or_saveexec_b64 s[6:7], s[6:7]
	v_mov_b32_e32 v6, s10
	s_xor_b64 exec, exec, s[6:7]
	s_cbranch_execz .LBB11_318
.LBB11_2368:
	v_mov_b32_e32 v6, 0
	v_cmp_ne_u16_sdwa s[8:9], v3, v6 src0_sel:BYTE_3 src1_sel:DWORD
	s_andn2_b64 s[4:5], s[4:5], exec
	s_and_b64 s[8:9], s[8:9], exec
	s_or_b64 s[4:5], s[4:5], s[8:9]
	s_or_b64 exec, exec, s[6:7]
	s_and_saveexec_b64 s[6:7], s[4:5]
	s_cbranch_execnz .LBB11_319
	s_branch .LBB11_320
.LBB11_2369:
	s_movk_i32 s4, 0x80
	v_cmp_eq_u16_sdwa s[12:13], v8, s4 src0_sel:BYTE_0 src1_sel:DWORD
	s_mov_b64 s[4:5], -1
                                        ; implicit-def: $sgpr10
	s_and_saveexec_b64 s[8:9], s[12:13]
; %bb.2370:
	s_mov_b32 s10, 0x7f800001
	s_xor_b64 s[4:5], exec, -1
; %bb.2371:
	s_or_b64 exec, exec, s[8:9]
	s_and_b64 s[4:5], s[4:5], exec
	s_or_saveexec_b64 s[6:7], s[6:7]
	v_mov_b32_e32 v2, s10
	s_xor_b64 exec, exec, s[6:7]
	s_cbranch_execz .LBB11_322
.LBB11_2372:
	v_mov_b32_e32 v2, 0
	v_cmp_ne_u16_sdwa s[8:9], v8, v2 src0_sel:BYTE_0 src1_sel:DWORD
	s_andn2_b64 s[4:5], s[4:5], exec
	s_and_b64 s[8:9], s[8:9], exec
	s_or_b64 s[4:5], s[4:5], s[8:9]
	s_or_b64 exec, exec, s[6:7]
	s_and_saveexec_b64 s[6:7], s[4:5]
	s_cbranch_execnz .LBB11_323
	s_branch .LBB11_324
.LBB11_2373:
	s_movk_i32 s4, 0x80
	v_cmp_eq_u16_sdwa s[12:13], v4, s4 src0_sel:BYTE_0 src1_sel:DWORD
	s_mov_b64 s[4:5], -1
                                        ; implicit-def: $sgpr10
	s_and_saveexec_b64 s[8:9], s[12:13]
; %bb.2374:
	s_mov_b32 s10, 0x7f800001
	s_xor_b64 s[4:5], exec, -1
; %bb.2375:
	s_or_b64 exec, exec, s[8:9]
	s_and_b64 s[4:5], s[4:5], exec
	s_or_saveexec_b64 s[6:7], s[6:7]
	v_mov_b32_e32 v3, s10
	s_xor_b64 exec, exec, s[6:7]
	s_cbranch_execz .LBB11_326
.LBB11_2376:
	v_mov_b32_e32 v3, 0
	v_cmp_ne_u16_sdwa s[8:9], v4, v3 src0_sel:BYTE_0 src1_sel:DWORD
	s_andn2_b64 s[4:5], s[4:5], exec
	s_and_b64 s[8:9], s[8:9], exec
	s_or_b64 s[4:5], s[4:5], s[8:9]
	s_or_b64 exec, exec, s[6:7]
	s_and_saveexec_b64 s[6:7], s[4:5]
	s_cbranch_execnz .LBB11_327
	s_branch .LBB11_328
.LBB11_2377:
	s_movk_i32 s4, 0x80
	v_cmp_eq_u16_sdwa s[12:13], v3, s4 src0_sel:BYTE_0 src1_sel:DWORD
	s_mov_b64 s[4:5], -1
                                        ; implicit-def: $sgpr10
	s_and_saveexec_b64 s[8:9], s[12:13]
; %bb.2378:
	s_mov_b32 s10, 0x7f800001
	s_xor_b64 s[4:5], exec, -1
; %bb.2379:
	s_or_b64 exec, exec, s[8:9]
	s_and_b64 s[4:5], s[4:5], exec
	s_or_saveexec_b64 s[6:7], s[6:7]
	v_mov_b32_e32 v2, s10
	s_xor_b64 exec, exec, s[6:7]
	s_cbranch_execz .LBB11_330
.LBB11_2380:
	v_mov_b32_e32 v2, 0
	v_cmp_ne_u16_sdwa s[8:9], v3, v2 src0_sel:BYTE_0 src1_sel:DWORD
	s_andn2_b64 s[4:5], s[4:5], exec
	s_and_b64 s[8:9], s[8:9], exec
	s_or_b64 s[4:5], s[4:5], s[8:9]
	s_or_b64 exec, exec, s[6:7]
	s_and_saveexec_b64 s[6:7], s[4:5]
	s_cbranch_execnz .LBB11_331
	s_branch .LBB11_332
.LBB11_2381:
	s_movk_i32 s4, 0x80
	v_cmp_eq_u16_sdwa s[12:13], v3, s4 src0_sel:BYTE_0 src1_sel:DWORD
	s_mov_b64 s[4:5], -1
                                        ; implicit-def: $sgpr10
	s_and_saveexec_b64 s[8:9], s[12:13]
; %bb.2382:
	s_mov_b32 s10, 0x7f800001
	s_xor_b64 s[4:5], exec, -1
; %bb.2383:
	s_or_b64 exec, exec, s[8:9]
	s_and_b64 s[4:5], s[4:5], exec
	s_or_saveexec_b64 s[6:7], s[6:7]
	v_mov_b32_e32 v6, s10
	s_xor_b64 exec, exec, s[6:7]
	s_cbranch_execz .LBB11_334
.LBB11_2384:
	v_mov_b32_e32 v6, 0
	v_cmp_ne_u16_sdwa s[8:9], v3, v6 src0_sel:BYTE_0 src1_sel:DWORD
	s_andn2_b64 s[4:5], s[4:5], exec
	s_and_b64 s[8:9], s[8:9], exec
	s_or_b64 s[4:5], s[4:5], s[8:9]
	s_or_b64 exec, exec, s[6:7]
	s_and_saveexec_b64 s[6:7], s[4:5]
	s_cbranch_execnz .LBB11_335
	s_branch .LBB11_336
.LBB11_2385:
	s_movk_i32 s4, 0x80
	v_cmp_eq_u16_e32 vcc, s4, v3
	s_mov_b64 s[4:5], -1
                                        ; implicit-def: $sgpr10
	s_and_saveexec_b64 s[8:9], vcc
; %bb.2386:
	s_mov_b32 s10, 0x7f800001
	s_xor_b64 s[4:5], exec, -1
; %bb.2387:
	s_or_b64 exec, exec, s[8:9]
	s_and_b64 s[4:5], s[4:5], exec
                                        ; implicit-def: $vgpr3
	s_or_saveexec_b64 s[6:7], s[6:7]
	v_mov_b32_e32 v2, s10
	s_xor_b64 exec, exec, s[6:7]
	s_cbranch_execz .LBB11_338
.LBB11_2388:
	v_cmp_ne_u16_e32 vcc, 0, v3
	s_andn2_b64 s[4:5], s[4:5], exec
	s_and_b64 s[8:9], vcc, exec
	v_mov_b32_e32 v2, 0
	s_or_b64 s[4:5], s[4:5], s[8:9]
	s_or_b64 exec, exec, s[6:7]
	s_and_saveexec_b64 s[6:7], s[4:5]
	s_cbranch_execnz .LBB11_339
	s_branch .LBB11_340
.LBB11_2389:
	s_movk_i32 s4, 0x80
	v_cmp_eq_u16_e32 vcc, s4, v3
	s_mov_b64 s[4:5], -1
                                        ; implicit-def: $sgpr10
	s_and_saveexec_b64 s[8:9], vcc
; %bb.2390:
	s_mov_b32 s10, 0x7f800001
	s_xor_b64 s[4:5], exec, -1
; %bb.2391:
	s_or_b64 exec, exec, s[8:9]
	s_and_b64 s[4:5], s[4:5], exec
                                        ; implicit-def: $vgpr3
	s_or_saveexec_b64 s[6:7], s[6:7]
	v_mov_b32_e32 v6, s10
	s_xor_b64 exec, exec, s[6:7]
	s_cbranch_execz .LBB11_342
.LBB11_2392:
	v_cmp_ne_u16_e32 vcc, 0, v3
	s_andn2_b64 s[4:5], s[4:5], exec
	s_and_b64 s[8:9], vcc, exec
	v_mov_b32_e32 v6, 0
	s_or_b64 s[4:5], s[4:5], s[8:9]
	s_or_b64 exec, exec, s[6:7]
	s_and_saveexec_b64 s[6:7], s[4:5]
	s_cbranch_execnz .LBB11_343
	s_branch .LBB11_344
.LBB11_2393:
	s_movk_i32 s4, 0x80
	v_cmp_eq_u16_sdwa s[12:13], v8, s4 src0_sel:BYTE_3 src1_sel:DWORD
	s_mov_b64 s[4:5], -1
                                        ; implicit-def: $sgpr10
	s_and_saveexec_b64 s[8:9], s[12:13]
; %bb.2394:
	s_mov_b32 s10, 0x7f800001
	s_xor_b64 s[4:5], exec, -1
; %bb.2395:
	s_or_b64 exec, exec, s[8:9]
	s_and_b64 s[4:5], s[4:5], exec
	s_or_saveexec_b64 s[6:7], s[6:7]
	v_mov_b32_e32 v2, s10
	s_xor_b64 exec, exec, s[6:7]
	s_cbranch_execz .LBB11_346
.LBB11_2396:
	v_mov_b32_e32 v2, 0
	v_cmp_ne_u16_sdwa s[8:9], v8, v2 src0_sel:BYTE_3 src1_sel:DWORD
	s_andn2_b64 s[4:5], s[4:5], exec
	s_and_b64 s[8:9], s[8:9], exec
	s_or_b64 s[4:5], s[4:5], s[8:9]
	s_or_b64 exec, exec, s[6:7]
	s_and_saveexec_b64 s[6:7], s[4:5]
	s_cbranch_execnz .LBB11_347
	s_branch .LBB11_348
.LBB11_2397:
	s_movk_i32 s4, 0x80
	v_cmp_eq_u16_sdwa s[12:13], v4, s4 src0_sel:BYTE_3 src1_sel:DWORD
	s_mov_b64 s[4:5], -1
                                        ; implicit-def: $sgpr10
	s_and_saveexec_b64 s[8:9], s[12:13]
; %bb.2398:
	s_mov_b32 s10, 0x7f800001
	s_xor_b64 s[4:5], exec, -1
; %bb.2399:
	s_or_b64 exec, exec, s[8:9]
	s_and_b64 s[4:5], s[4:5], exec
	s_or_saveexec_b64 s[6:7], s[6:7]
	v_mov_b32_e32 v3, s10
	s_xor_b64 exec, exec, s[6:7]
	s_cbranch_execz .LBB11_350
.LBB11_2400:
	v_mov_b32_e32 v3, 0
	v_cmp_ne_u16_sdwa s[8:9], v4, v3 src0_sel:BYTE_3 src1_sel:DWORD
	s_andn2_b64 s[4:5], s[4:5], exec
	s_and_b64 s[8:9], s[8:9], exec
	s_or_b64 s[4:5], s[4:5], s[8:9]
	s_or_b64 exec, exec, s[6:7]
	s_and_saveexec_b64 s[6:7], s[4:5]
	s_cbranch_execnz .LBB11_351
	s_branch .LBB11_352
.LBB11_2401:
	s_movk_i32 s4, 0x80
	v_cmp_eq_u16_sdwa s[12:13], v9, s4 src0_sel:BYTE_0 src1_sel:DWORD
	s_mov_b64 s[4:5], -1
                                        ; implicit-def: $sgpr10
	s_and_saveexec_b64 s[8:9], s[12:13]
; %bb.2402:
	s_mov_b32 s10, 0x7f800001
	s_xor_b64 s[4:5], exec, -1
; %bb.2403:
	s_or_b64 exec, exec, s[8:9]
	s_and_b64 s[4:5], s[4:5], exec
	s_or_saveexec_b64 s[6:7], s[6:7]
	v_mov_b32_e32 v2, s10
	s_xor_b64 exec, exec, s[6:7]
	s_cbranch_execz .LBB11_354
.LBB11_2404:
	v_mov_b32_e32 v2, 0
	v_cmp_ne_u16_sdwa s[8:9], v9, v2 src0_sel:BYTE_0 src1_sel:DWORD
	s_andn2_b64 s[4:5], s[4:5], exec
	s_and_b64 s[8:9], s[8:9], exec
	s_or_b64 s[4:5], s[4:5], s[8:9]
	s_or_b64 exec, exec, s[6:7]
	s_and_saveexec_b64 s[6:7], s[4:5]
	s_cbranch_execnz .LBB11_355
	s_branch .LBB11_356
.LBB11_2405:
	s_movk_i32 s4, 0x80
	v_cmp_eq_u16_sdwa s[12:13], v5, s4 src0_sel:BYTE_0 src1_sel:DWORD
	s_mov_b64 s[4:5], -1
                                        ; implicit-def: $sgpr10
	s_and_saveexec_b64 s[8:9], s[12:13]
; %bb.2406:
	s_mov_b32 s10, 0x7f800001
	s_xor_b64 s[4:5], exec, -1
; %bb.2407:
	s_or_b64 exec, exec, s[8:9]
	s_and_b64 s[4:5], s[4:5], exec
	s_or_saveexec_b64 s[6:7], s[6:7]
	v_mov_b32_e32 v3, s10
	s_xor_b64 exec, exec, s[6:7]
	s_cbranch_execz .LBB11_358
.LBB11_2408:
	v_mov_b32_e32 v3, 0
	v_cmp_ne_u16_sdwa s[8:9], v5, v3 src0_sel:BYTE_0 src1_sel:DWORD
	s_andn2_b64 s[4:5], s[4:5], exec
	s_and_b64 s[8:9], s[8:9], exec
	s_or_b64 s[4:5], s[4:5], s[8:9]
	s_or_b64 exec, exec, s[6:7]
	s_and_saveexec_b64 s[6:7], s[4:5]
	s_cbranch_execnz .LBB11_359
	s_branch .LBB11_360
.LBB11_2409:
	s_movk_i32 s4, 0x80
	v_cmp_eq_u16_sdwa s[12:13], v3, s4 src0_sel:BYTE_0 src1_sel:DWORD
	s_mov_b64 s[4:5], -1
                                        ; implicit-def: $sgpr10
	s_and_saveexec_b64 s[8:9], s[12:13]
; %bb.2410:
	s_mov_b32 s10, 0x7f800001
	s_xor_b64 s[4:5], exec, -1
; %bb.2411:
	s_or_b64 exec, exec, s[8:9]
	s_and_b64 s[4:5], s[4:5], exec
	s_or_saveexec_b64 s[6:7], s[6:7]
	v_mov_b32_e32 v2, s10
	s_xor_b64 exec, exec, s[6:7]
	s_cbranch_execz .LBB11_362
.LBB11_2412:
	v_mov_b32_e32 v2, 0
	v_cmp_ne_u16_sdwa s[8:9], v3, v2 src0_sel:BYTE_0 src1_sel:DWORD
	s_andn2_b64 s[4:5], s[4:5], exec
	s_and_b64 s[8:9], s[8:9], exec
	s_or_b64 s[4:5], s[4:5], s[8:9]
	s_or_b64 exec, exec, s[6:7]
	s_and_saveexec_b64 s[6:7], s[4:5]
	s_cbranch_execnz .LBB11_363
	s_branch .LBB11_364
.LBB11_2413:
	s_movk_i32 s4, 0x80
	v_cmp_eq_u16_sdwa s[12:13], v3, s4 src0_sel:BYTE_0 src1_sel:DWORD
	s_mov_b64 s[4:5], -1
                                        ; implicit-def: $sgpr10
	s_and_saveexec_b64 s[8:9], s[12:13]
; %bb.2414:
	s_mov_b32 s10, 0x7f800001
	s_xor_b64 s[4:5], exec, -1
; %bb.2415:
	s_or_b64 exec, exec, s[8:9]
	s_and_b64 s[4:5], s[4:5], exec
	s_or_saveexec_b64 s[6:7], s[6:7]
	v_mov_b32_e32 v4, s10
	s_xor_b64 exec, exec, s[6:7]
	s_cbranch_execz .LBB11_366
.LBB11_2416:
	v_mov_b32_e32 v4, 0
	v_cmp_ne_u16_sdwa s[8:9], v3, v4 src0_sel:BYTE_0 src1_sel:DWORD
	s_andn2_b64 s[4:5], s[4:5], exec
	s_and_b64 s[8:9], s[8:9], exec
	s_or_b64 s[4:5], s[4:5], s[8:9]
	s_or_b64 exec, exec, s[6:7]
	s_and_saveexec_b64 s[6:7], s[4:5]
	s_cbranch_execnz .LBB11_367
	s_branch .LBB11_368
.LBB11_2417:
	s_movk_i32 s4, 0x80
	v_cmp_eq_u16_e32 vcc, s4, v3
	s_mov_b64 s[4:5], -1
                                        ; implicit-def: $sgpr10
	s_and_saveexec_b64 s[8:9], vcc
; %bb.2418:
	s_mov_b32 s10, 0x7f800001
	s_xor_b64 s[4:5], exec, -1
; %bb.2419:
	s_or_b64 exec, exec, s[8:9]
	s_and_b64 s[4:5], s[4:5], exec
                                        ; implicit-def: $vgpr3
	s_or_saveexec_b64 s[6:7], s[6:7]
	v_mov_b32_e32 v2, s10
	s_xor_b64 exec, exec, s[6:7]
	s_cbranch_execz .LBB11_370
.LBB11_2420:
	v_cmp_ne_u16_e32 vcc, 0, v3
	s_andn2_b64 s[4:5], s[4:5], exec
	s_and_b64 s[8:9], vcc, exec
	v_mov_b32_e32 v2, 0
	s_or_b64 s[4:5], s[4:5], s[8:9]
	s_or_b64 exec, exec, s[6:7]
	s_and_saveexec_b64 s[6:7], s[4:5]
	s_cbranch_execnz .LBB11_371
	s_branch .LBB11_372
.LBB11_2421:
	s_movk_i32 s4, 0x80
	v_cmp_eq_u16_e32 vcc, s4, v3
	s_mov_b64 s[4:5], -1
                                        ; implicit-def: $sgpr10
	s_and_saveexec_b64 s[8:9], vcc
; %bb.2422:
	s_mov_b32 s10, 0x7f800001
	s_xor_b64 s[4:5], exec, -1
; %bb.2423:
	s_or_b64 exec, exec, s[8:9]
	s_and_b64 s[4:5], s[4:5], exec
                                        ; implicit-def: $vgpr3
	s_or_saveexec_b64 s[6:7], s[6:7]
	v_mov_b32_e32 v4, s10
	s_xor_b64 exec, exec, s[6:7]
	s_cbranch_execz .LBB11_374
.LBB11_2424:
	v_cmp_ne_u16_e32 vcc, 0, v3
	s_andn2_b64 s[4:5], s[4:5], exec
	s_and_b64 s[8:9], vcc, exec
	v_mov_b32_e32 v4, 0
	s_or_b64 s[4:5], s[4:5], s[8:9]
	s_or_b64 exec, exec, s[6:7]
	s_and_saveexec_b64 s[6:7], s[4:5]
	s_cbranch_execnz .LBB11_375
	s_branch .LBB11_376
.LBB11_2425:
	s_movk_i32 s4, 0x80
	v_cmp_eq_u16_sdwa s[12:13], v9, s4 src0_sel:BYTE_3 src1_sel:DWORD
	s_mov_b64 s[4:5], -1
                                        ; implicit-def: $sgpr10
	s_and_saveexec_b64 s[8:9], s[12:13]
; %bb.2426:
	s_mov_b32 s10, 0x7f800001
	s_xor_b64 s[4:5], exec, -1
; %bb.2427:
	s_or_b64 exec, exec, s[8:9]
	s_and_b64 s[4:5], s[4:5], exec
	s_or_saveexec_b64 s[6:7], s[6:7]
	v_mov_b32_e32 v2, s10
	s_xor_b64 exec, exec, s[6:7]
	s_cbranch_execz .LBB11_378
.LBB11_2428:
	v_mov_b32_e32 v2, 0
	v_cmp_ne_u16_sdwa s[8:9], v9, v2 src0_sel:BYTE_3 src1_sel:DWORD
	s_andn2_b64 s[4:5], s[4:5], exec
	s_and_b64 s[8:9], s[8:9], exec
	s_or_b64 s[4:5], s[4:5], s[8:9]
	s_or_b64 exec, exec, s[6:7]
	s_and_saveexec_b64 s[6:7], s[4:5]
	s_cbranch_execnz .LBB11_379
	s_branch .LBB11_380
.LBB11_2429:
	s_movk_i32 s4, 0x80
	v_cmp_eq_u16_sdwa s[12:13], v5, s4 src0_sel:BYTE_3 src1_sel:DWORD
	s_mov_b64 s[4:5], -1
                                        ; implicit-def: $sgpr10
	s_and_saveexec_b64 s[8:9], s[12:13]
; %bb.2430:
	s_mov_b32 s10, 0x7f800001
	s_xor_b64 s[4:5], exec, -1
; %bb.2431:
	s_or_b64 exec, exec, s[8:9]
	s_and_b64 s[4:5], s[4:5], exec
	s_or_saveexec_b64 s[6:7], s[6:7]
	v_mov_b32_e32 v3, s10
	s_xor_b64 exec, exec, s[6:7]
	s_cbranch_execz .LBB11_382
.LBB11_2432:
	v_mov_b32_e32 v3, 0
	v_cmp_ne_u16_sdwa s[8:9], v5, v3 src0_sel:BYTE_3 src1_sel:DWORD
	s_andn2_b64 s[4:5], s[4:5], exec
	s_and_b64 s[8:9], s[8:9], exec
	s_or_b64 s[4:5], s[4:5], s[8:9]
	s_or_b64 exec, exec, s[6:7]
	s_and_saveexec_b64 s[6:7], s[4:5]
	s_cbranch_execnz .LBB11_383
	s_branch .LBB11_384
.LBB11_2433:
	s_movk_i32 s4, 0x80
	v_cmp_eq_u16_sdwa s[12:13], v6, s4 src0_sel:BYTE_0 src1_sel:DWORD
	s_mov_b64 s[4:5], -1
                                        ; implicit-def: $sgpr10
	s_and_saveexec_b64 s[8:9], s[12:13]
; %bb.2434:
	s_mov_b32 s10, 0x7f800001
	s_xor_b64 s[4:5], exec, -1
; %bb.2435:
	s_or_b64 exec, exec, s[8:9]
	s_and_b64 s[4:5], s[4:5], exec
	s_or_saveexec_b64 s[6:7], s[6:7]
	v_mov_b32_e32 v12, s10
	s_xor_b64 exec, exec, s[6:7]
	s_cbranch_execz .LBB11_386
.LBB11_2436:
	v_mov_b32_e32 v12, 0
	v_cmp_ne_u16_sdwa s[8:9], v6, v12 src0_sel:BYTE_0 src1_sel:DWORD
	s_andn2_b64 s[4:5], s[4:5], exec
	s_and_b64 s[8:9], s[8:9], exec
	s_or_b64 s[4:5], s[4:5], s[8:9]
	s_or_b64 exec, exec, s[6:7]
	s_and_saveexec_b64 s[6:7], s[4:5]
	s_cbranch_execnz .LBB11_387
	s_branch .LBB11_388
.LBB11_2437:
	s_movk_i32 s4, 0x80
	v_cmp_eq_u16_sdwa s[12:13], v2, s4 src0_sel:BYTE_0 src1_sel:DWORD
	s_mov_b64 s[4:5], -1
                                        ; implicit-def: $sgpr10
	s_and_saveexec_b64 s[8:9], s[12:13]
; %bb.2438:
	s_mov_b32 s10, 0x7f800001
	s_xor_b64 s[4:5], exec, -1
; %bb.2439:
	s_or_b64 exec, exec, s[8:9]
	s_and_b64 s[4:5], s[4:5], exec
	s_or_saveexec_b64 s[6:7], s[6:7]
	v_mov_b32_e32 v13, s10
	s_xor_b64 exec, exec, s[6:7]
	s_cbranch_execz .LBB11_390
.LBB11_2440:
	v_mov_b32_e32 v13, 0
	v_cmp_ne_u16_sdwa s[8:9], v2, v13 src0_sel:BYTE_0 src1_sel:DWORD
	s_andn2_b64 s[4:5], s[4:5], exec
	s_and_b64 s[8:9], s[8:9], exec
	s_or_b64 s[4:5], s[4:5], s[8:9]
	s_or_b64 exec, exec, s[6:7]
	s_and_saveexec_b64 s[6:7], s[4:5]
	s_cbranch_execnz .LBB11_391
	s_branch .LBB11_392
.LBB11_2441:
	s_movk_i32 s4, 0x80
	v_cmp_eq_u16_sdwa s[12:13], v13, s4 src0_sel:BYTE_0 src1_sel:DWORD
	s_mov_b64 s[4:5], -1
                                        ; implicit-def: $sgpr10
	s_and_saveexec_b64 s[8:9], s[12:13]
; %bb.2442:
	s_mov_b32 s10, 0x7f800001
	s_xor_b64 s[4:5], exec, -1
; %bb.2443:
	s_or_b64 exec, exec, s[8:9]
	s_and_b64 s[4:5], s[4:5], exec
	s_or_saveexec_b64 s[6:7], s[6:7]
	v_mov_b32_e32 v12, s10
	s_xor_b64 exec, exec, s[6:7]
	s_cbranch_execz .LBB11_394
.LBB11_2444:
	v_mov_b32_e32 v12, 0
	v_cmp_ne_u16_sdwa s[8:9], v13, v12 src0_sel:BYTE_0 src1_sel:DWORD
	s_andn2_b64 s[4:5], s[4:5], exec
	s_and_b64 s[8:9], s[8:9], exec
	s_or_b64 s[4:5], s[4:5], s[8:9]
	s_or_b64 exec, exec, s[6:7]
	s_and_saveexec_b64 s[6:7], s[4:5]
	s_cbranch_execnz .LBB11_395
	s_branch .LBB11_396
.LBB11_2445:
	s_movk_i32 s4, 0x80
	v_cmp_eq_u16_sdwa s[12:13], v13, s4 src0_sel:BYTE_0 src1_sel:DWORD
	s_mov_b64 s[4:5], -1
                                        ; implicit-def: $sgpr10
	s_and_saveexec_b64 s[8:9], s[12:13]
; %bb.2446:
	s_mov_b32 s10, 0x7f800001
	s_xor_b64 s[4:5], exec, -1
; %bb.2447:
	s_or_b64 exec, exec, s[8:9]
	s_and_b64 s[4:5], s[4:5], exec
	s_or_saveexec_b64 s[6:7], s[6:7]
	v_mov_b32_e32 v14, s10
	s_xor_b64 exec, exec, s[6:7]
	s_cbranch_execz .LBB11_398
.LBB11_2448:
	v_mov_b32_e32 v14, 0
	v_cmp_ne_u16_sdwa s[8:9], v13, v14 src0_sel:BYTE_0 src1_sel:DWORD
	s_andn2_b64 s[4:5], s[4:5], exec
	s_and_b64 s[8:9], s[8:9], exec
	s_or_b64 s[4:5], s[4:5], s[8:9]
	s_or_b64 exec, exec, s[6:7]
	s_and_saveexec_b64 s[6:7], s[4:5]
	s_cbranch_execnz .LBB11_399
	s_branch .LBB11_400
.LBB11_2449:
	s_movk_i32 s4, 0x80
	v_cmp_eq_u16_e32 vcc, s4, v13
	s_mov_b64 s[4:5], -1
                                        ; implicit-def: $sgpr10
	s_and_saveexec_b64 s[8:9], vcc
; %bb.2450:
	s_mov_b32 s10, 0x7f800001
	s_xor_b64 s[4:5], exec, -1
; %bb.2451:
	s_or_b64 exec, exec, s[8:9]
	s_and_b64 s[4:5], s[4:5], exec
                                        ; implicit-def: $vgpr13
	s_or_saveexec_b64 s[6:7], s[6:7]
	v_mov_b32_e32 v12, s10
	s_xor_b64 exec, exec, s[6:7]
	s_cbranch_execz .LBB11_402
.LBB11_2452:
	v_cmp_ne_u16_e32 vcc, 0, v13
	s_andn2_b64 s[4:5], s[4:5], exec
	s_and_b64 s[8:9], vcc, exec
	v_mov_b32_e32 v12, 0
	s_or_b64 s[4:5], s[4:5], s[8:9]
	s_or_b64 exec, exec, s[6:7]
	s_and_saveexec_b64 s[6:7], s[4:5]
	s_cbranch_execnz .LBB11_403
	s_branch .LBB11_404
.LBB11_2453:
	s_movk_i32 s4, 0x80
	v_cmp_eq_u16_e32 vcc, s4, v13
	s_mov_b64 s[4:5], -1
                                        ; implicit-def: $sgpr10
	s_and_saveexec_b64 s[8:9], vcc
; %bb.2454:
	s_mov_b32 s10, 0x7f800001
	s_xor_b64 s[4:5], exec, -1
; %bb.2455:
	s_or_b64 exec, exec, s[8:9]
	s_and_b64 s[4:5], s[4:5], exec
                                        ; implicit-def: $vgpr13
	s_or_saveexec_b64 s[6:7], s[6:7]
	v_mov_b32_e32 v14, s10
	s_xor_b64 exec, exec, s[6:7]
	s_cbranch_execz .LBB11_406
.LBB11_2456:
	v_cmp_ne_u16_e32 vcc, 0, v13
	s_andn2_b64 s[4:5], s[4:5], exec
	s_and_b64 s[8:9], vcc, exec
	v_mov_b32_e32 v14, 0
	s_or_b64 s[4:5], s[4:5], s[8:9]
	s_or_b64 exec, exec, s[6:7]
	s_and_saveexec_b64 s[6:7], s[4:5]
	s_cbranch_execnz .LBB11_407
	s_branch .LBB11_408
.LBB11_2457:
	s_movk_i32 s4, 0x80
	v_cmp_eq_u16_sdwa s[12:13], v6, s4 src0_sel:BYTE_3 src1_sel:DWORD
	s_mov_b64 s[4:5], -1
                                        ; implicit-def: $sgpr10
	s_and_saveexec_b64 s[8:9], s[12:13]
; %bb.2458:
	s_mov_b32 s10, 0x7f800001
	s_xor_b64 s[4:5], exec, -1
; %bb.2459:
	s_or_b64 exec, exec, s[8:9]
	s_and_b64 s[4:5], s[4:5], exec
	s_or_saveexec_b64 s[6:7], s[6:7]
	v_mov_b32_e32 v12, s10
	s_xor_b64 exec, exec, s[6:7]
	s_cbranch_execz .LBB11_410
.LBB11_2460:
	v_mov_b32_e32 v12, 0
	v_cmp_ne_u16_sdwa s[8:9], v6, v12 src0_sel:BYTE_3 src1_sel:DWORD
	s_andn2_b64 s[4:5], s[4:5], exec
	s_and_b64 s[8:9], s[8:9], exec
	s_or_b64 s[4:5], s[4:5], s[8:9]
	s_or_b64 exec, exec, s[6:7]
	s_and_saveexec_b64 s[6:7], s[4:5]
	s_cbranch_execnz .LBB11_411
	s_branch .LBB11_412
.LBB11_2461:
	s_movk_i32 s4, 0x80
	v_cmp_eq_u16_sdwa s[12:13], v2, s4 src0_sel:BYTE_3 src1_sel:DWORD
	s_mov_b64 s[4:5], -1
                                        ; implicit-def: $sgpr10
	s_and_saveexec_b64 s[8:9], s[12:13]
; %bb.2462:
	s_mov_b32 s10, 0x7f800001
	s_xor_b64 s[4:5], exec, -1
; %bb.2463:
	s_or_b64 exec, exec, s[8:9]
	s_and_b64 s[4:5], s[4:5], exec
	s_or_saveexec_b64 s[6:7], s[6:7]
	v_mov_b32_e32 v6, s10
	s_xor_b64 exec, exec, s[6:7]
	s_cbranch_execz .LBB11_414
.LBB11_2464:
	v_mov_b32_e32 v6, 0
	v_cmp_ne_u16_sdwa s[8:9], v2, v6 src0_sel:BYTE_3 src1_sel:DWORD
	s_andn2_b64 s[4:5], s[4:5], exec
	s_and_b64 s[8:9], s[8:9], exec
	s_or_b64 s[4:5], s[4:5], s[8:9]
	s_or_b64 exec, exec, s[6:7]
	s_and_saveexec_b64 s[6:7], s[4:5]
	s_cbranch_execnz .LBB11_415
	s_branch .LBB11_416
.LBB11_2465:
	s_movk_i32 s4, 0x80
	v_cmp_eq_u16_sdwa s[12:13], v7, s4 src0_sel:BYTE_0 src1_sel:DWORD
	s_mov_b64 s[4:5], -1
                                        ; implicit-def: $sgpr10
	s_and_saveexec_b64 s[8:9], s[12:13]
; %bb.2466:
	s_mov_b32 s10, 0x7f800001
	s_xor_b64 s[4:5], exec, -1
; %bb.2467:
	s_or_b64 exec, exec, s[8:9]
	s_and_b64 s[4:5], s[4:5], exec
	s_or_saveexec_b64 s[6:7], s[6:7]
	v_mov_b32_e32 v2, s10
	s_xor_b64 exec, exec, s[6:7]
	s_cbranch_execz .LBB11_418
.LBB11_2468:
	v_mov_b32_e32 v2, 0
	v_cmp_ne_u16_sdwa s[8:9], v7, v2 src0_sel:BYTE_0 src1_sel:DWORD
	s_andn2_b64 s[4:5], s[4:5], exec
	s_and_b64 s[8:9], s[8:9], exec
	s_or_b64 s[4:5], s[4:5], s[8:9]
	s_or_b64 exec, exec, s[6:7]
	s_and_saveexec_b64 s[6:7], s[4:5]
	s_cbranch_execnz .LBB11_419
	s_branch .LBB11_420
.LBB11_2469:
	s_movk_i32 s4, 0x80
	v_cmp_eq_u16_sdwa s[12:13], v3, s4 src0_sel:BYTE_0 src1_sel:DWORD
	s_mov_b64 s[4:5], -1
                                        ; implicit-def: $sgpr10
	s_and_saveexec_b64 s[8:9], s[12:13]
; %bb.2470:
	s_mov_b32 s10, 0x7f800001
	s_xor_b64 s[4:5], exec, -1
; %bb.2471:
	s_or_b64 exec, exec, s[8:9]
	s_and_b64 s[4:5], s[4:5], exec
	s_or_saveexec_b64 s[6:7], s[6:7]
	v_mov_b32_e32 v6, s10
	s_xor_b64 exec, exec, s[6:7]
	s_cbranch_execz .LBB11_422
.LBB11_2472:
	v_mov_b32_e32 v6, 0
	v_cmp_ne_u16_sdwa s[8:9], v3, v6 src0_sel:BYTE_0 src1_sel:DWORD
	s_andn2_b64 s[4:5], s[4:5], exec
	s_and_b64 s[8:9], s[8:9], exec
	s_or_b64 s[4:5], s[4:5], s[8:9]
	s_or_b64 exec, exec, s[6:7]
	s_and_saveexec_b64 s[6:7], s[4:5]
	s_cbranch_execnz .LBB11_423
	s_branch .LBB11_424
.LBB11_2473:
	s_movk_i32 s4, 0x80
	v_cmp_eq_u16_sdwa s[12:13], v6, s4 src0_sel:BYTE_0 src1_sel:DWORD
	s_mov_b64 s[4:5], -1
                                        ; implicit-def: $sgpr10
	s_and_saveexec_b64 s[8:9], s[12:13]
; %bb.2474:
	s_mov_b32 s10, 0x7f800001
	s_xor_b64 s[4:5], exec, -1
; %bb.2475:
	s_or_b64 exec, exec, s[8:9]
	s_and_b64 s[4:5], s[4:5], exec
	s_or_saveexec_b64 s[6:7], s[6:7]
	v_mov_b32_e32 v2, s10
	s_xor_b64 exec, exec, s[6:7]
	s_cbranch_execz .LBB11_426
.LBB11_2476:
	v_mov_b32_e32 v2, 0
	v_cmp_ne_u16_sdwa s[8:9], v6, v2 src0_sel:BYTE_0 src1_sel:DWORD
	s_andn2_b64 s[4:5], s[4:5], exec
	s_and_b64 s[8:9], s[8:9], exec
	s_or_b64 s[4:5], s[4:5], s[8:9]
	s_or_b64 exec, exec, s[6:7]
	s_and_saveexec_b64 s[6:7], s[4:5]
	s_cbranch_execnz .LBB11_427
	s_branch .LBB11_428
.LBB11_2477:
	s_movk_i32 s4, 0x80
	v_cmp_eq_u16_sdwa s[12:13], v6, s4 src0_sel:BYTE_0 src1_sel:DWORD
	s_mov_b64 s[4:5], -1
                                        ; implicit-def: $sgpr10
	s_and_saveexec_b64 s[8:9], s[12:13]
; %bb.2478:
	s_mov_b32 s10, 0x7f800001
	s_xor_b64 s[4:5], exec, -1
; %bb.2479:
	s_or_b64 exec, exec, s[8:9]
	s_and_b64 s[4:5], s[4:5], exec
	s_or_saveexec_b64 s[6:7], s[6:7]
	v_mov_b32_e32 v12, s10
	s_xor_b64 exec, exec, s[6:7]
	s_cbranch_execz .LBB11_430
.LBB11_2480:
	v_mov_b32_e32 v12, 0
	v_cmp_ne_u16_sdwa s[8:9], v6, v12 src0_sel:BYTE_0 src1_sel:DWORD
	s_andn2_b64 s[4:5], s[4:5], exec
	s_and_b64 s[8:9], s[8:9], exec
	s_or_b64 s[4:5], s[4:5], s[8:9]
	s_or_b64 exec, exec, s[6:7]
	s_and_saveexec_b64 s[6:7], s[4:5]
	s_cbranch_execnz .LBB11_431
	s_branch .LBB11_432
.LBB11_2481:
	s_movk_i32 s4, 0x80
	v_cmp_eq_u16_e32 vcc, s4, v6
	s_mov_b64 s[4:5], -1
                                        ; implicit-def: $sgpr10
	s_and_saveexec_b64 s[8:9], vcc
; %bb.2482:
	s_mov_b32 s10, 0x7f800001
	s_xor_b64 s[4:5], exec, -1
; %bb.2483:
	s_or_b64 exec, exec, s[8:9]
	s_and_b64 s[4:5], s[4:5], exec
                                        ; implicit-def: $vgpr6
	s_or_saveexec_b64 s[6:7], s[6:7]
	v_mov_b32_e32 v2, s10
	s_xor_b64 exec, exec, s[6:7]
	s_cbranch_execz .LBB11_434
.LBB11_2484:
	v_cmp_ne_u16_e32 vcc, 0, v6
	s_andn2_b64 s[4:5], s[4:5], exec
	s_and_b64 s[8:9], vcc, exec
	v_mov_b32_e32 v2, 0
	s_or_b64 s[4:5], s[4:5], s[8:9]
	s_or_b64 exec, exec, s[6:7]
	s_and_saveexec_b64 s[6:7], s[4:5]
	s_cbranch_execnz .LBB11_435
	s_branch .LBB11_436
.LBB11_2485:
	s_movk_i32 s4, 0x80
	v_cmp_eq_u16_e32 vcc, s4, v6
	s_mov_b64 s[4:5], -1
                                        ; implicit-def: $sgpr10
	s_and_saveexec_b64 s[8:9], vcc
; %bb.2486:
	s_mov_b32 s10, 0x7f800001
	s_xor_b64 s[4:5], exec, -1
; %bb.2487:
	s_or_b64 exec, exec, s[8:9]
	s_and_b64 s[4:5], s[4:5], exec
                                        ; implicit-def: $vgpr6
	s_or_saveexec_b64 s[6:7], s[6:7]
	v_mov_b32_e32 v12, s10
	s_xor_b64 exec, exec, s[6:7]
	s_cbranch_execz .LBB11_438
.LBB11_2488:
	v_cmp_ne_u16_e32 vcc, 0, v6
	s_andn2_b64 s[4:5], s[4:5], exec
	s_and_b64 s[8:9], vcc, exec
	v_mov_b32_e32 v12, 0
	s_or_b64 s[4:5], s[4:5], s[8:9]
	s_or_b64 exec, exec, s[6:7]
	s_and_saveexec_b64 s[6:7], s[4:5]
	s_cbranch_execnz .LBB11_439
	s_branch .LBB11_440
.LBB11_2489:
	s_movk_i32 s4, 0x80
	v_cmp_eq_u16_sdwa s[12:13], v7, s4 src0_sel:BYTE_3 src1_sel:DWORD
	s_mov_b64 s[4:5], -1
                                        ; implicit-def: $sgpr10
	s_and_saveexec_b64 s[8:9], s[12:13]
; %bb.2490:
	s_mov_b32 s10, 0x7f800001
	s_xor_b64 s[4:5], exec, -1
; %bb.2491:
	s_or_b64 exec, exec, s[8:9]
	s_and_b64 s[4:5], s[4:5], exec
	s_or_saveexec_b64 s[6:7], s[6:7]
	v_mov_b32_e32 v2, s10
	s_xor_b64 exec, exec, s[6:7]
	s_cbranch_execz .LBB11_442
.LBB11_2492:
	v_mov_b32_e32 v2, 0
	v_cmp_ne_u16_sdwa s[8:9], v7, v2 src0_sel:BYTE_3 src1_sel:DWORD
	s_andn2_b64 s[4:5], s[4:5], exec
	s_and_b64 s[8:9], s[8:9], exec
	s_or_b64 s[4:5], s[4:5], s[8:9]
	s_or_b64 exec, exec, s[6:7]
	s_and_saveexec_b64 s[6:7], s[4:5]
	s_cbranch_execnz .LBB11_443
	s_branch .LBB11_444
.LBB11_2493:
	s_movk_i32 s4, 0x80
	v_cmp_eq_u16_sdwa s[12:13], v3, s4 src0_sel:BYTE_3 src1_sel:DWORD
	s_mov_b64 s[4:5], -1
                                        ; implicit-def: $sgpr10
	s_and_saveexec_b64 s[8:9], s[12:13]
; %bb.2494:
	s_mov_b32 s10, 0x7f800001
	s_xor_b64 s[4:5], exec, -1
; %bb.2495:
	s_or_b64 exec, exec, s[8:9]
	s_and_b64 s[4:5], s[4:5], exec
	s_or_saveexec_b64 s[6:7], s[6:7]
	v_mov_b32_e32 v6, s10
	s_xor_b64 exec, exec, s[6:7]
	s_cbranch_execz .LBB11_446
.LBB11_2496:
	v_mov_b32_e32 v6, 0
	v_cmp_ne_u16_sdwa s[8:9], v3, v6 src0_sel:BYTE_3 src1_sel:DWORD
	s_andn2_b64 s[4:5], s[4:5], exec
	s_and_b64 s[8:9], s[8:9], exec
	s_or_b64 s[4:5], s[4:5], s[8:9]
	s_or_b64 exec, exec, s[6:7]
	s_and_saveexec_b64 s[6:7], s[4:5]
	s_cbranch_execnz .LBB11_447
	s_branch .LBB11_448
.LBB11_2497:
	s_movk_i32 s4, 0x80
	v_cmp_eq_u16_sdwa s[12:13], v8, s4 src0_sel:BYTE_0 src1_sel:DWORD
	s_mov_b64 s[4:5], -1
                                        ; implicit-def: $sgpr10
	s_and_saveexec_b64 s[8:9], s[12:13]
; %bb.2498:
	s_mov_b32 s10, 0x7f800001
	s_xor_b64 s[4:5], exec, -1
; %bb.2499:
	s_or_b64 exec, exec, s[8:9]
	s_and_b64 s[4:5], s[4:5], exec
	s_or_saveexec_b64 s[6:7], s[6:7]
	v_mov_b32_e32 v2, s10
	s_xor_b64 exec, exec, s[6:7]
	s_cbranch_execz .LBB11_450
.LBB11_2500:
	v_mov_b32_e32 v2, 0
	v_cmp_ne_u16_sdwa s[8:9], v8, v2 src0_sel:BYTE_0 src1_sel:DWORD
	s_andn2_b64 s[4:5], s[4:5], exec
	s_and_b64 s[8:9], s[8:9], exec
	s_or_b64 s[4:5], s[4:5], s[8:9]
	s_or_b64 exec, exec, s[6:7]
	s_and_saveexec_b64 s[6:7], s[4:5]
	s_cbranch_execnz .LBB11_451
	s_branch .LBB11_452
.LBB11_2501:
	s_movk_i32 s4, 0x80
	v_cmp_eq_u16_sdwa s[12:13], v4, s4 src0_sel:BYTE_0 src1_sel:DWORD
	s_mov_b64 s[4:5], -1
                                        ; implicit-def: $sgpr10
	s_and_saveexec_b64 s[8:9], s[12:13]
; %bb.2502:
	s_mov_b32 s10, 0x7f800001
	s_xor_b64 s[4:5], exec, -1
; %bb.2503:
	s_or_b64 exec, exec, s[8:9]
	s_and_b64 s[4:5], s[4:5], exec
	s_or_saveexec_b64 s[6:7], s[6:7]
	v_mov_b32_e32 v3, s10
	s_xor_b64 exec, exec, s[6:7]
	s_cbranch_execz .LBB11_454
.LBB11_2504:
	v_mov_b32_e32 v3, 0
	v_cmp_ne_u16_sdwa s[8:9], v4, v3 src0_sel:BYTE_0 src1_sel:DWORD
	s_andn2_b64 s[4:5], s[4:5], exec
	s_and_b64 s[8:9], s[8:9], exec
	s_or_b64 s[4:5], s[4:5], s[8:9]
	s_or_b64 exec, exec, s[6:7]
	s_and_saveexec_b64 s[6:7], s[4:5]
	s_cbranch_execnz .LBB11_455
	s_branch .LBB11_456
.LBB11_2505:
	s_movk_i32 s4, 0x80
	v_cmp_eq_u16_sdwa s[12:13], v3, s4 src0_sel:BYTE_0 src1_sel:DWORD
	s_mov_b64 s[4:5], -1
                                        ; implicit-def: $sgpr10
	s_and_saveexec_b64 s[8:9], s[12:13]
; %bb.2506:
	s_mov_b32 s10, 0x7f800001
	s_xor_b64 s[4:5], exec, -1
; %bb.2507:
	s_or_b64 exec, exec, s[8:9]
	s_and_b64 s[4:5], s[4:5], exec
	s_or_saveexec_b64 s[6:7], s[6:7]
	v_mov_b32_e32 v2, s10
	s_xor_b64 exec, exec, s[6:7]
	s_cbranch_execz .LBB11_458
.LBB11_2508:
	v_mov_b32_e32 v2, 0
	v_cmp_ne_u16_sdwa s[8:9], v3, v2 src0_sel:BYTE_0 src1_sel:DWORD
	s_andn2_b64 s[4:5], s[4:5], exec
	s_and_b64 s[8:9], s[8:9], exec
	s_or_b64 s[4:5], s[4:5], s[8:9]
	s_or_b64 exec, exec, s[6:7]
	s_and_saveexec_b64 s[6:7], s[4:5]
	s_cbranch_execnz .LBB11_459
	s_branch .LBB11_460
.LBB11_2509:
	s_movk_i32 s4, 0x80
	v_cmp_eq_u16_sdwa s[12:13], v3, s4 src0_sel:BYTE_0 src1_sel:DWORD
	s_mov_b64 s[4:5], -1
                                        ; implicit-def: $sgpr10
	s_and_saveexec_b64 s[8:9], s[12:13]
; %bb.2510:
	s_mov_b32 s10, 0x7f800001
	s_xor_b64 s[4:5], exec, -1
; %bb.2511:
	s_or_b64 exec, exec, s[8:9]
	s_and_b64 s[4:5], s[4:5], exec
	s_or_saveexec_b64 s[6:7], s[6:7]
	v_mov_b32_e32 v6, s10
	s_xor_b64 exec, exec, s[6:7]
	s_cbranch_execz .LBB11_462
.LBB11_2512:
	v_mov_b32_e32 v6, 0
	v_cmp_ne_u16_sdwa s[8:9], v3, v6 src0_sel:BYTE_0 src1_sel:DWORD
	s_andn2_b64 s[4:5], s[4:5], exec
	s_and_b64 s[8:9], s[8:9], exec
	s_or_b64 s[4:5], s[4:5], s[8:9]
	s_or_b64 exec, exec, s[6:7]
	s_and_saveexec_b64 s[6:7], s[4:5]
	s_cbranch_execnz .LBB11_463
	s_branch .LBB11_464
.LBB11_2513:
	s_movk_i32 s4, 0x80
	v_cmp_eq_u16_e32 vcc, s4, v3
	s_mov_b64 s[4:5], -1
                                        ; implicit-def: $sgpr10
	s_and_saveexec_b64 s[8:9], vcc
; %bb.2514:
	s_mov_b32 s10, 0x7f800001
	s_xor_b64 s[4:5], exec, -1
; %bb.2515:
	s_or_b64 exec, exec, s[8:9]
	s_and_b64 s[4:5], s[4:5], exec
                                        ; implicit-def: $vgpr3
	s_or_saveexec_b64 s[6:7], s[6:7]
	v_mov_b32_e32 v2, s10
	s_xor_b64 exec, exec, s[6:7]
	s_cbranch_execz .LBB11_466
.LBB11_2516:
	v_cmp_ne_u16_e32 vcc, 0, v3
	s_andn2_b64 s[4:5], s[4:5], exec
	s_and_b64 s[8:9], vcc, exec
	v_mov_b32_e32 v2, 0
	s_or_b64 s[4:5], s[4:5], s[8:9]
	s_or_b64 exec, exec, s[6:7]
	s_and_saveexec_b64 s[6:7], s[4:5]
	s_cbranch_execnz .LBB11_467
	s_branch .LBB11_468
.LBB11_2517:
	s_movk_i32 s4, 0x80
	v_cmp_eq_u16_e32 vcc, s4, v3
	s_mov_b64 s[4:5], -1
                                        ; implicit-def: $sgpr10
	s_and_saveexec_b64 s[8:9], vcc
; %bb.2518:
	s_mov_b32 s10, 0x7f800001
	s_xor_b64 s[4:5], exec, -1
; %bb.2519:
	s_or_b64 exec, exec, s[8:9]
	s_and_b64 s[4:5], s[4:5], exec
                                        ; implicit-def: $vgpr3
	s_or_saveexec_b64 s[6:7], s[6:7]
	v_mov_b32_e32 v6, s10
	s_xor_b64 exec, exec, s[6:7]
	s_cbranch_execz .LBB11_470
.LBB11_2520:
	v_cmp_ne_u16_e32 vcc, 0, v3
	s_andn2_b64 s[4:5], s[4:5], exec
	s_and_b64 s[8:9], vcc, exec
	v_mov_b32_e32 v6, 0
	s_or_b64 s[4:5], s[4:5], s[8:9]
	s_or_b64 exec, exec, s[6:7]
	s_and_saveexec_b64 s[6:7], s[4:5]
	s_cbranch_execnz .LBB11_471
	s_branch .LBB11_472
.LBB11_2521:
	s_movk_i32 s4, 0x80
	v_cmp_eq_u16_sdwa s[12:13], v8, s4 src0_sel:BYTE_3 src1_sel:DWORD
	s_mov_b64 s[4:5], -1
                                        ; implicit-def: $sgpr10
	s_and_saveexec_b64 s[8:9], s[12:13]
; %bb.2522:
	s_mov_b32 s10, 0x7f800001
	s_xor_b64 s[4:5], exec, -1
; %bb.2523:
	s_or_b64 exec, exec, s[8:9]
	s_and_b64 s[4:5], s[4:5], exec
	s_or_saveexec_b64 s[6:7], s[6:7]
	v_mov_b32_e32 v2, s10
	s_xor_b64 exec, exec, s[6:7]
	s_cbranch_execz .LBB11_474
.LBB11_2524:
	v_mov_b32_e32 v2, 0
	v_cmp_ne_u16_sdwa s[8:9], v8, v2 src0_sel:BYTE_3 src1_sel:DWORD
	s_andn2_b64 s[4:5], s[4:5], exec
	s_and_b64 s[8:9], s[8:9], exec
	s_or_b64 s[4:5], s[4:5], s[8:9]
	s_or_b64 exec, exec, s[6:7]
	s_and_saveexec_b64 s[6:7], s[4:5]
	s_cbranch_execnz .LBB11_475
	s_branch .LBB11_476
.LBB11_2525:
	s_movk_i32 s4, 0x80
	v_cmp_eq_u16_sdwa s[12:13], v4, s4 src0_sel:BYTE_3 src1_sel:DWORD
	s_mov_b64 s[4:5], -1
                                        ; implicit-def: $sgpr10
	s_and_saveexec_b64 s[8:9], s[12:13]
; %bb.2526:
	s_mov_b32 s10, 0x7f800001
	s_xor_b64 s[4:5], exec, -1
; %bb.2527:
	s_or_b64 exec, exec, s[8:9]
	s_and_b64 s[4:5], s[4:5], exec
	s_or_saveexec_b64 s[6:7], s[6:7]
	v_mov_b32_e32 v3, s10
	s_xor_b64 exec, exec, s[6:7]
	s_cbranch_execz .LBB11_478
.LBB11_2528:
	v_mov_b32_e32 v3, 0
	v_cmp_ne_u16_sdwa s[8:9], v4, v3 src0_sel:BYTE_3 src1_sel:DWORD
	s_andn2_b64 s[4:5], s[4:5], exec
	s_and_b64 s[8:9], s[8:9], exec
	s_or_b64 s[4:5], s[4:5], s[8:9]
	s_or_b64 exec, exec, s[6:7]
	s_and_saveexec_b64 s[6:7], s[4:5]
	s_cbranch_execnz .LBB11_479
	s_branch .LBB11_480
.LBB11_2529:
	s_movk_i32 s4, 0x80
	v_cmp_eq_u16_sdwa s[12:13], v9, s4 src0_sel:BYTE_0 src1_sel:DWORD
	s_mov_b64 s[4:5], -1
                                        ; implicit-def: $sgpr10
	s_and_saveexec_b64 s[8:9], s[12:13]
; %bb.2530:
	s_mov_b32 s10, 0x7f800001
	s_xor_b64 s[4:5], exec, -1
; %bb.2531:
	s_or_b64 exec, exec, s[8:9]
	s_and_b64 s[4:5], s[4:5], exec
	s_or_saveexec_b64 s[6:7], s[6:7]
	v_mov_b32_e32 v2, s10
	s_xor_b64 exec, exec, s[6:7]
	s_cbranch_execz .LBB11_482
.LBB11_2532:
	v_mov_b32_e32 v2, 0
	v_cmp_ne_u16_sdwa s[8:9], v9, v2 src0_sel:BYTE_0 src1_sel:DWORD
	s_andn2_b64 s[4:5], s[4:5], exec
	s_and_b64 s[8:9], s[8:9], exec
	s_or_b64 s[4:5], s[4:5], s[8:9]
	s_or_b64 exec, exec, s[6:7]
	s_and_saveexec_b64 s[6:7], s[4:5]
	s_cbranch_execnz .LBB11_483
	s_branch .LBB11_484
.LBB11_2533:
	s_movk_i32 s4, 0x80
	v_cmp_eq_u16_sdwa s[12:13], v5, s4 src0_sel:BYTE_0 src1_sel:DWORD
	s_mov_b64 s[4:5], -1
                                        ; implicit-def: $sgpr10
	s_and_saveexec_b64 s[8:9], s[12:13]
; %bb.2534:
	s_mov_b32 s10, 0x7f800001
	s_xor_b64 s[4:5], exec, -1
; %bb.2535:
	s_or_b64 exec, exec, s[8:9]
	s_and_b64 s[4:5], s[4:5], exec
	s_or_saveexec_b64 s[6:7], s[6:7]
	v_mov_b32_e32 v3, s10
	s_xor_b64 exec, exec, s[6:7]
	s_cbranch_execz .LBB11_486
.LBB11_2536:
	v_mov_b32_e32 v3, 0
	v_cmp_ne_u16_sdwa s[8:9], v5, v3 src0_sel:BYTE_0 src1_sel:DWORD
	s_andn2_b64 s[4:5], s[4:5], exec
	s_and_b64 s[8:9], s[8:9], exec
	s_or_b64 s[4:5], s[4:5], s[8:9]
	s_or_b64 exec, exec, s[6:7]
	s_and_saveexec_b64 s[6:7], s[4:5]
	s_cbranch_execnz .LBB11_487
	s_branch .LBB11_488
.LBB11_2537:
	s_movk_i32 s4, 0x80
	v_cmp_eq_u16_sdwa s[12:13], v3, s4 src0_sel:BYTE_0 src1_sel:DWORD
	s_mov_b64 s[4:5], -1
                                        ; implicit-def: $sgpr10
	s_and_saveexec_b64 s[8:9], s[12:13]
; %bb.2538:
	s_mov_b32 s10, 0x7f800001
	s_xor_b64 s[4:5], exec, -1
; %bb.2539:
	s_or_b64 exec, exec, s[8:9]
	s_and_b64 s[4:5], s[4:5], exec
	s_or_saveexec_b64 s[6:7], s[6:7]
	v_mov_b32_e32 v2, s10
	s_xor_b64 exec, exec, s[6:7]
	s_cbranch_execz .LBB11_490
.LBB11_2540:
	v_mov_b32_e32 v2, 0
	v_cmp_ne_u16_sdwa s[8:9], v3, v2 src0_sel:BYTE_0 src1_sel:DWORD
	s_andn2_b64 s[4:5], s[4:5], exec
	s_and_b64 s[8:9], s[8:9], exec
	s_or_b64 s[4:5], s[4:5], s[8:9]
	s_or_b64 exec, exec, s[6:7]
	s_and_saveexec_b64 s[6:7], s[4:5]
	s_cbranch_execnz .LBB11_491
	s_branch .LBB11_492
.LBB11_2541:
	s_movk_i32 s4, 0x80
	v_cmp_eq_u16_sdwa s[12:13], v3, s4 src0_sel:BYTE_0 src1_sel:DWORD
	s_mov_b64 s[4:5], -1
                                        ; implicit-def: $sgpr10
	s_and_saveexec_b64 s[8:9], s[12:13]
; %bb.2542:
	s_mov_b32 s10, 0x7f800001
	s_xor_b64 s[4:5], exec, -1
; %bb.2543:
	s_or_b64 exec, exec, s[8:9]
	s_and_b64 s[4:5], s[4:5], exec
	s_or_saveexec_b64 s[6:7], s[6:7]
	v_mov_b32_e32 v4, s10
	s_xor_b64 exec, exec, s[6:7]
	s_cbranch_execz .LBB11_494
.LBB11_2544:
	v_mov_b32_e32 v4, 0
	v_cmp_ne_u16_sdwa s[8:9], v3, v4 src0_sel:BYTE_0 src1_sel:DWORD
	s_andn2_b64 s[4:5], s[4:5], exec
	s_and_b64 s[8:9], s[8:9], exec
	s_or_b64 s[4:5], s[4:5], s[8:9]
	s_or_b64 exec, exec, s[6:7]
	s_and_saveexec_b64 s[6:7], s[4:5]
	s_cbranch_execnz .LBB11_495
	s_branch .LBB11_496
.LBB11_2545:
	s_movk_i32 s4, 0x80
	v_cmp_eq_u16_e32 vcc, s4, v3
	s_mov_b64 s[4:5], -1
                                        ; implicit-def: $sgpr10
	s_and_saveexec_b64 s[8:9], vcc
; %bb.2546:
	s_mov_b32 s10, 0x7f800001
	s_xor_b64 s[4:5], exec, -1
; %bb.2547:
	s_or_b64 exec, exec, s[8:9]
	s_and_b64 s[4:5], s[4:5], exec
                                        ; implicit-def: $vgpr3
	s_or_saveexec_b64 s[6:7], s[6:7]
	v_mov_b32_e32 v2, s10
	s_xor_b64 exec, exec, s[6:7]
	s_cbranch_execz .LBB11_498
.LBB11_2548:
	v_cmp_ne_u16_e32 vcc, 0, v3
	s_andn2_b64 s[4:5], s[4:5], exec
	s_and_b64 s[8:9], vcc, exec
	v_mov_b32_e32 v2, 0
	s_or_b64 s[4:5], s[4:5], s[8:9]
	s_or_b64 exec, exec, s[6:7]
	s_and_saveexec_b64 s[6:7], s[4:5]
	s_cbranch_execnz .LBB11_499
	s_branch .LBB11_500
.LBB11_2549:
	s_movk_i32 s4, 0x80
	v_cmp_eq_u16_e32 vcc, s4, v3
	s_mov_b64 s[4:5], -1
                                        ; implicit-def: $sgpr10
	s_and_saveexec_b64 s[8:9], vcc
; %bb.2550:
	s_mov_b32 s10, 0x7f800001
	s_xor_b64 s[4:5], exec, -1
; %bb.2551:
	s_or_b64 exec, exec, s[8:9]
	s_and_b64 s[4:5], s[4:5], exec
                                        ; implicit-def: $vgpr3
	s_or_saveexec_b64 s[6:7], s[6:7]
	v_mov_b32_e32 v4, s10
	s_xor_b64 exec, exec, s[6:7]
	s_cbranch_execz .LBB11_502
.LBB11_2552:
	v_cmp_ne_u16_e32 vcc, 0, v3
	s_andn2_b64 s[4:5], s[4:5], exec
	s_and_b64 s[8:9], vcc, exec
	v_mov_b32_e32 v4, 0
	s_or_b64 s[4:5], s[4:5], s[8:9]
	s_or_b64 exec, exec, s[6:7]
	s_and_saveexec_b64 s[6:7], s[4:5]
	s_cbranch_execnz .LBB11_503
	s_branch .LBB11_504
.LBB11_2553:
	s_movk_i32 s4, 0x80
	v_cmp_eq_u16_sdwa s[12:13], v9, s4 src0_sel:BYTE_3 src1_sel:DWORD
	s_mov_b64 s[4:5], -1
                                        ; implicit-def: $sgpr10
	s_and_saveexec_b64 s[8:9], s[12:13]
; %bb.2554:
	s_mov_b32 s10, 0x7f800001
	s_xor_b64 s[4:5], exec, -1
; %bb.2555:
	s_or_b64 exec, exec, s[8:9]
	s_and_b64 s[4:5], s[4:5], exec
	s_or_saveexec_b64 s[6:7], s[6:7]
	v_mov_b32_e32 v2, s10
	s_xor_b64 exec, exec, s[6:7]
	s_cbranch_execz .LBB11_506
.LBB11_2556:
	v_mov_b32_e32 v2, 0
	v_cmp_ne_u16_sdwa s[8:9], v9, v2 src0_sel:BYTE_3 src1_sel:DWORD
	s_andn2_b64 s[4:5], s[4:5], exec
	s_and_b64 s[8:9], s[8:9], exec
	s_or_b64 s[4:5], s[4:5], s[8:9]
	s_or_b64 exec, exec, s[6:7]
	s_and_saveexec_b64 s[6:7], s[4:5]
	s_cbranch_execnz .LBB11_507
	s_branch .LBB11_508
.LBB11_2557:
	s_movk_i32 s4, 0x80
	v_cmp_eq_u16_sdwa s[12:13], v5, s4 src0_sel:BYTE_3 src1_sel:DWORD
	s_mov_b64 s[4:5], -1
                                        ; implicit-def: $sgpr10
	s_and_saveexec_b64 s[8:9], s[12:13]
; %bb.2558:
	s_mov_b32 s10, 0x7f800001
	s_xor_b64 s[4:5], exec, -1
; %bb.2559:
	s_or_b64 exec, exec, s[8:9]
	s_and_b64 s[4:5], s[4:5], exec
	s_or_saveexec_b64 s[6:7], s[6:7]
	v_mov_b32_e32 v3, s10
	s_xor_b64 exec, exec, s[6:7]
	s_cbranch_execz .LBB11_510
.LBB11_2560:
	v_mov_b32_e32 v3, 0
	v_cmp_ne_u16_sdwa s[8:9], v5, v3 src0_sel:BYTE_3 src1_sel:DWORD
	s_andn2_b64 s[4:5], s[4:5], exec
	s_and_b64 s[8:9], s[8:9], exec
	s_or_b64 s[4:5], s[4:5], s[8:9]
	s_or_b64 exec, exec, s[6:7]
	s_and_saveexec_b64 s[6:7], s[4:5]
	s_cbranch_execnz .LBB11_511
	s_branch .LBB11_512
.LBB11_2561:
	s_movk_i32 s4, 0x80
	v_cmp_eq_u16_sdwa s[12:13], v6, s4 src0_sel:BYTE_0 src1_sel:DWORD
	s_mov_b64 s[4:5], -1
                                        ; implicit-def: $sgpr10
	s_and_saveexec_b64 s[8:9], s[12:13]
; %bb.2562:
	s_mov_b32 s10, 0x7f800001
	s_xor_b64 s[4:5], exec, -1
; %bb.2563:
	s_or_b64 exec, exec, s[8:9]
	s_and_b64 s[4:5], s[4:5], exec
	s_or_saveexec_b64 s[6:7], s[6:7]
	v_mov_b32_e32 v12, s10
	s_xor_b64 exec, exec, s[6:7]
	s_cbranch_execz .LBB11_514
.LBB11_2564:
	v_mov_b32_e32 v12, 0
	v_cmp_ne_u16_sdwa s[8:9], v6, v12 src0_sel:BYTE_0 src1_sel:DWORD
	s_andn2_b64 s[4:5], s[4:5], exec
	s_and_b64 s[8:9], s[8:9], exec
	s_or_b64 s[4:5], s[4:5], s[8:9]
	s_or_b64 exec, exec, s[6:7]
	s_and_saveexec_b64 s[6:7], s[4:5]
	s_cbranch_execnz .LBB11_515
	s_branch .LBB11_516
.LBB11_2565:
	s_movk_i32 s4, 0x80
	v_cmp_eq_u16_sdwa s[12:13], v2, s4 src0_sel:BYTE_0 src1_sel:DWORD
	s_mov_b64 s[4:5], -1
                                        ; implicit-def: $sgpr10
	s_and_saveexec_b64 s[8:9], s[12:13]
; %bb.2566:
	s_mov_b32 s10, 0x7f800001
	s_xor_b64 s[4:5], exec, -1
; %bb.2567:
	s_or_b64 exec, exec, s[8:9]
	s_and_b64 s[4:5], s[4:5], exec
	s_or_saveexec_b64 s[6:7], s[6:7]
	v_mov_b32_e32 v13, s10
	s_xor_b64 exec, exec, s[6:7]
	s_cbranch_execz .LBB11_518
.LBB11_2568:
	v_mov_b32_e32 v13, 0
	v_cmp_ne_u16_sdwa s[8:9], v2, v13 src0_sel:BYTE_0 src1_sel:DWORD
	s_andn2_b64 s[4:5], s[4:5], exec
	s_and_b64 s[8:9], s[8:9], exec
	s_or_b64 s[4:5], s[4:5], s[8:9]
	s_or_b64 exec, exec, s[6:7]
	s_and_saveexec_b64 s[6:7], s[4:5]
	s_cbranch_execnz .LBB11_519
	s_branch .LBB11_520
.LBB11_2569:
	s_movk_i32 s4, 0x80
	v_cmp_eq_u16_sdwa s[12:13], v13, s4 src0_sel:BYTE_0 src1_sel:DWORD
	s_mov_b64 s[4:5], -1
                                        ; implicit-def: $sgpr10
	s_and_saveexec_b64 s[8:9], s[12:13]
; %bb.2570:
	s_mov_b32 s10, 0x7f800001
	s_xor_b64 s[4:5], exec, -1
; %bb.2571:
	s_or_b64 exec, exec, s[8:9]
	s_and_b64 s[4:5], s[4:5], exec
	s_or_saveexec_b64 s[6:7], s[6:7]
	v_mov_b32_e32 v12, s10
	s_xor_b64 exec, exec, s[6:7]
	s_cbranch_execz .LBB11_522
.LBB11_2572:
	v_mov_b32_e32 v12, 0
	v_cmp_ne_u16_sdwa s[8:9], v13, v12 src0_sel:BYTE_0 src1_sel:DWORD
	s_andn2_b64 s[4:5], s[4:5], exec
	s_and_b64 s[8:9], s[8:9], exec
	s_or_b64 s[4:5], s[4:5], s[8:9]
	s_or_b64 exec, exec, s[6:7]
	s_and_saveexec_b64 s[6:7], s[4:5]
	s_cbranch_execnz .LBB11_523
	s_branch .LBB11_524
.LBB11_2573:
	s_movk_i32 s4, 0x80
	v_cmp_eq_u16_sdwa s[12:13], v13, s4 src0_sel:BYTE_0 src1_sel:DWORD
	s_mov_b64 s[4:5], -1
                                        ; implicit-def: $sgpr10
	s_and_saveexec_b64 s[8:9], s[12:13]
; %bb.2574:
	s_mov_b32 s10, 0x7f800001
	s_xor_b64 s[4:5], exec, -1
; %bb.2575:
	s_or_b64 exec, exec, s[8:9]
	s_and_b64 s[4:5], s[4:5], exec
	s_or_saveexec_b64 s[6:7], s[6:7]
	v_mov_b32_e32 v14, s10
	s_xor_b64 exec, exec, s[6:7]
	s_cbranch_execz .LBB11_526
.LBB11_2576:
	v_mov_b32_e32 v14, 0
	v_cmp_ne_u16_sdwa s[8:9], v13, v14 src0_sel:BYTE_0 src1_sel:DWORD
	s_andn2_b64 s[4:5], s[4:5], exec
	s_and_b64 s[8:9], s[8:9], exec
	s_or_b64 s[4:5], s[4:5], s[8:9]
	s_or_b64 exec, exec, s[6:7]
	s_and_saveexec_b64 s[6:7], s[4:5]
	s_cbranch_execnz .LBB11_527
	s_branch .LBB11_528
.LBB11_2577:
	s_movk_i32 s4, 0x80
	v_cmp_eq_u16_e32 vcc, s4, v13
	s_mov_b64 s[4:5], -1
                                        ; implicit-def: $sgpr10
	s_and_saveexec_b64 s[8:9], vcc
; %bb.2578:
	s_mov_b32 s10, 0x7f800001
	s_xor_b64 s[4:5], exec, -1
; %bb.2579:
	s_or_b64 exec, exec, s[8:9]
	s_and_b64 s[4:5], s[4:5], exec
                                        ; implicit-def: $vgpr13
	s_or_saveexec_b64 s[6:7], s[6:7]
	v_mov_b32_e32 v12, s10
	s_xor_b64 exec, exec, s[6:7]
	s_cbranch_execz .LBB11_530
.LBB11_2580:
	v_cmp_ne_u16_e32 vcc, 0, v13
	s_andn2_b64 s[4:5], s[4:5], exec
	s_and_b64 s[8:9], vcc, exec
	v_mov_b32_e32 v12, 0
	s_or_b64 s[4:5], s[4:5], s[8:9]
	s_or_b64 exec, exec, s[6:7]
	s_and_saveexec_b64 s[6:7], s[4:5]
	s_cbranch_execnz .LBB11_531
	s_branch .LBB11_532
.LBB11_2581:
	s_movk_i32 s4, 0x80
	v_cmp_eq_u16_e32 vcc, s4, v13
	s_mov_b64 s[4:5], -1
                                        ; implicit-def: $sgpr10
	s_and_saveexec_b64 s[8:9], vcc
; %bb.2582:
	s_mov_b32 s10, 0x7f800001
	s_xor_b64 s[4:5], exec, -1
; %bb.2583:
	s_or_b64 exec, exec, s[8:9]
	s_and_b64 s[4:5], s[4:5], exec
                                        ; implicit-def: $vgpr13
	s_or_saveexec_b64 s[6:7], s[6:7]
	v_mov_b32_e32 v14, s10
	s_xor_b64 exec, exec, s[6:7]
	s_cbranch_execz .LBB11_534
.LBB11_2584:
	v_cmp_ne_u16_e32 vcc, 0, v13
	s_andn2_b64 s[4:5], s[4:5], exec
	s_and_b64 s[8:9], vcc, exec
	v_mov_b32_e32 v14, 0
	s_or_b64 s[4:5], s[4:5], s[8:9]
	s_or_b64 exec, exec, s[6:7]
	s_and_saveexec_b64 s[6:7], s[4:5]
	s_cbranch_execnz .LBB11_535
	s_branch .LBB11_536
.LBB11_2585:
	s_movk_i32 s4, 0x80
	v_cmp_eq_u16_sdwa s[12:13], v6, s4 src0_sel:BYTE_3 src1_sel:DWORD
	s_mov_b64 s[4:5], -1
                                        ; implicit-def: $sgpr10
	s_and_saveexec_b64 s[8:9], s[12:13]
; %bb.2586:
	s_mov_b32 s10, 0x7f800001
	s_xor_b64 s[4:5], exec, -1
; %bb.2587:
	s_or_b64 exec, exec, s[8:9]
	s_and_b64 s[4:5], s[4:5], exec
	s_or_saveexec_b64 s[6:7], s[6:7]
	v_mov_b32_e32 v12, s10
	s_xor_b64 exec, exec, s[6:7]
	s_cbranch_execz .LBB11_538
.LBB11_2588:
	v_mov_b32_e32 v12, 0
	v_cmp_ne_u16_sdwa s[8:9], v6, v12 src0_sel:BYTE_3 src1_sel:DWORD
	s_andn2_b64 s[4:5], s[4:5], exec
	s_and_b64 s[8:9], s[8:9], exec
	s_or_b64 s[4:5], s[4:5], s[8:9]
	s_or_b64 exec, exec, s[6:7]
	s_and_saveexec_b64 s[6:7], s[4:5]
	s_cbranch_execnz .LBB11_539
	s_branch .LBB11_540
.LBB11_2589:
	s_movk_i32 s4, 0x80
	v_cmp_eq_u16_sdwa s[12:13], v2, s4 src0_sel:BYTE_3 src1_sel:DWORD
	s_mov_b64 s[4:5], -1
                                        ; implicit-def: $sgpr10
	s_and_saveexec_b64 s[8:9], s[12:13]
; %bb.2590:
	s_mov_b32 s10, 0x7f800001
	s_xor_b64 s[4:5], exec, -1
; %bb.2591:
	s_or_b64 exec, exec, s[8:9]
	s_and_b64 s[4:5], s[4:5], exec
	s_or_saveexec_b64 s[6:7], s[6:7]
	v_mov_b32_e32 v6, s10
	s_xor_b64 exec, exec, s[6:7]
	s_cbranch_execz .LBB11_542
.LBB11_2592:
	v_mov_b32_e32 v6, 0
	v_cmp_ne_u16_sdwa s[8:9], v2, v6 src0_sel:BYTE_3 src1_sel:DWORD
	s_andn2_b64 s[4:5], s[4:5], exec
	s_and_b64 s[8:9], s[8:9], exec
	s_or_b64 s[4:5], s[4:5], s[8:9]
	s_or_b64 exec, exec, s[6:7]
	s_and_saveexec_b64 s[6:7], s[4:5]
	s_cbranch_execnz .LBB11_543
	s_branch .LBB11_544
.LBB11_2593:
	s_movk_i32 s4, 0x80
	v_cmp_eq_u16_sdwa s[12:13], v7, s4 src0_sel:BYTE_0 src1_sel:DWORD
	s_mov_b64 s[4:5], -1
                                        ; implicit-def: $sgpr10
	s_and_saveexec_b64 s[8:9], s[12:13]
; %bb.2594:
	s_mov_b32 s10, 0x7f800001
	s_xor_b64 s[4:5], exec, -1
; %bb.2595:
	s_or_b64 exec, exec, s[8:9]
	s_and_b64 s[4:5], s[4:5], exec
	s_or_saveexec_b64 s[6:7], s[6:7]
	v_mov_b32_e32 v2, s10
	s_xor_b64 exec, exec, s[6:7]
	s_cbranch_execz .LBB11_546
.LBB11_2596:
	v_mov_b32_e32 v2, 0
	v_cmp_ne_u16_sdwa s[8:9], v7, v2 src0_sel:BYTE_0 src1_sel:DWORD
	s_andn2_b64 s[4:5], s[4:5], exec
	s_and_b64 s[8:9], s[8:9], exec
	s_or_b64 s[4:5], s[4:5], s[8:9]
	s_or_b64 exec, exec, s[6:7]
	s_and_saveexec_b64 s[6:7], s[4:5]
	s_cbranch_execnz .LBB11_547
	s_branch .LBB11_548
.LBB11_2597:
	s_movk_i32 s4, 0x80
	v_cmp_eq_u16_sdwa s[12:13], v3, s4 src0_sel:BYTE_0 src1_sel:DWORD
	s_mov_b64 s[4:5], -1
                                        ; implicit-def: $sgpr10
	s_and_saveexec_b64 s[8:9], s[12:13]
; %bb.2598:
	s_mov_b32 s10, 0x7f800001
	s_xor_b64 s[4:5], exec, -1
; %bb.2599:
	s_or_b64 exec, exec, s[8:9]
	s_and_b64 s[4:5], s[4:5], exec
	s_or_saveexec_b64 s[6:7], s[6:7]
	v_mov_b32_e32 v6, s10
	s_xor_b64 exec, exec, s[6:7]
	s_cbranch_execz .LBB11_550
.LBB11_2600:
	v_mov_b32_e32 v6, 0
	v_cmp_ne_u16_sdwa s[8:9], v3, v6 src0_sel:BYTE_0 src1_sel:DWORD
	s_andn2_b64 s[4:5], s[4:5], exec
	s_and_b64 s[8:9], s[8:9], exec
	s_or_b64 s[4:5], s[4:5], s[8:9]
	s_or_b64 exec, exec, s[6:7]
	s_and_saveexec_b64 s[6:7], s[4:5]
	s_cbranch_execnz .LBB11_551
	s_branch .LBB11_552
.LBB11_2601:
	s_movk_i32 s4, 0x80
	v_cmp_eq_u16_sdwa s[12:13], v6, s4 src0_sel:BYTE_0 src1_sel:DWORD
	s_mov_b64 s[4:5], -1
                                        ; implicit-def: $sgpr10
	s_and_saveexec_b64 s[8:9], s[12:13]
; %bb.2602:
	s_mov_b32 s10, 0x7f800001
	s_xor_b64 s[4:5], exec, -1
; %bb.2603:
	s_or_b64 exec, exec, s[8:9]
	s_and_b64 s[4:5], s[4:5], exec
	s_or_saveexec_b64 s[6:7], s[6:7]
	v_mov_b32_e32 v2, s10
	s_xor_b64 exec, exec, s[6:7]
	s_cbranch_execz .LBB11_554
.LBB11_2604:
	v_mov_b32_e32 v2, 0
	v_cmp_ne_u16_sdwa s[8:9], v6, v2 src0_sel:BYTE_0 src1_sel:DWORD
	s_andn2_b64 s[4:5], s[4:5], exec
	s_and_b64 s[8:9], s[8:9], exec
	s_or_b64 s[4:5], s[4:5], s[8:9]
	s_or_b64 exec, exec, s[6:7]
	s_and_saveexec_b64 s[6:7], s[4:5]
	s_cbranch_execnz .LBB11_555
	s_branch .LBB11_556
.LBB11_2605:
	s_movk_i32 s4, 0x80
	v_cmp_eq_u16_sdwa s[12:13], v6, s4 src0_sel:BYTE_0 src1_sel:DWORD
	s_mov_b64 s[4:5], -1
                                        ; implicit-def: $sgpr10
	s_and_saveexec_b64 s[8:9], s[12:13]
; %bb.2606:
	s_mov_b32 s10, 0x7f800001
	s_xor_b64 s[4:5], exec, -1
; %bb.2607:
	s_or_b64 exec, exec, s[8:9]
	s_and_b64 s[4:5], s[4:5], exec
	s_or_saveexec_b64 s[6:7], s[6:7]
	v_mov_b32_e32 v12, s10
	s_xor_b64 exec, exec, s[6:7]
	s_cbranch_execz .LBB11_558
.LBB11_2608:
	v_mov_b32_e32 v12, 0
	v_cmp_ne_u16_sdwa s[8:9], v6, v12 src0_sel:BYTE_0 src1_sel:DWORD
	s_andn2_b64 s[4:5], s[4:5], exec
	s_and_b64 s[8:9], s[8:9], exec
	s_or_b64 s[4:5], s[4:5], s[8:9]
	s_or_b64 exec, exec, s[6:7]
	s_and_saveexec_b64 s[6:7], s[4:5]
	s_cbranch_execnz .LBB11_559
	s_branch .LBB11_560
.LBB11_2609:
	s_movk_i32 s4, 0x80
	v_cmp_eq_u16_e32 vcc, s4, v6
	s_mov_b64 s[4:5], -1
                                        ; implicit-def: $sgpr10
	s_and_saveexec_b64 s[8:9], vcc
; %bb.2610:
	s_mov_b32 s10, 0x7f800001
	s_xor_b64 s[4:5], exec, -1
; %bb.2611:
	s_or_b64 exec, exec, s[8:9]
	s_and_b64 s[4:5], s[4:5], exec
                                        ; implicit-def: $vgpr6
	s_or_saveexec_b64 s[6:7], s[6:7]
	v_mov_b32_e32 v2, s10
	s_xor_b64 exec, exec, s[6:7]
	s_cbranch_execz .LBB11_562
.LBB11_2612:
	v_cmp_ne_u16_e32 vcc, 0, v6
	s_andn2_b64 s[4:5], s[4:5], exec
	s_and_b64 s[8:9], vcc, exec
	v_mov_b32_e32 v2, 0
	s_or_b64 s[4:5], s[4:5], s[8:9]
	s_or_b64 exec, exec, s[6:7]
	s_and_saveexec_b64 s[6:7], s[4:5]
	s_cbranch_execnz .LBB11_563
	s_branch .LBB11_564
.LBB11_2613:
	s_movk_i32 s4, 0x80
	v_cmp_eq_u16_e32 vcc, s4, v6
	s_mov_b64 s[4:5], -1
                                        ; implicit-def: $sgpr10
	s_and_saveexec_b64 s[8:9], vcc
; %bb.2614:
	s_mov_b32 s10, 0x7f800001
	s_xor_b64 s[4:5], exec, -1
; %bb.2615:
	s_or_b64 exec, exec, s[8:9]
	s_and_b64 s[4:5], s[4:5], exec
                                        ; implicit-def: $vgpr6
	s_or_saveexec_b64 s[6:7], s[6:7]
	v_mov_b32_e32 v12, s10
	s_xor_b64 exec, exec, s[6:7]
	s_cbranch_execz .LBB11_566
.LBB11_2616:
	v_cmp_ne_u16_e32 vcc, 0, v6
	s_andn2_b64 s[4:5], s[4:5], exec
	s_and_b64 s[8:9], vcc, exec
	v_mov_b32_e32 v12, 0
	s_or_b64 s[4:5], s[4:5], s[8:9]
	s_or_b64 exec, exec, s[6:7]
	s_and_saveexec_b64 s[6:7], s[4:5]
	s_cbranch_execnz .LBB11_567
	s_branch .LBB11_568
.LBB11_2617:
	s_movk_i32 s4, 0x80
	v_cmp_eq_u16_sdwa s[12:13], v7, s4 src0_sel:BYTE_3 src1_sel:DWORD
	s_mov_b64 s[4:5], -1
                                        ; implicit-def: $sgpr10
	s_and_saveexec_b64 s[8:9], s[12:13]
; %bb.2618:
	s_mov_b32 s10, 0x7f800001
	s_xor_b64 s[4:5], exec, -1
; %bb.2619:
	s_or_b64 exec, exec, s[8:9]
	s_and_b64 s[4:5], s[4:5], exec
	s_or_saveexec_b64 s[6:7], s[6:7]
	v_mov_b32_e32 v2, s10
	s_xor_b64 exec, exec, s[6:7]
	s_cbranch_execz .LBB11_570
.LBB11_2620:
	v_mov_b32_e32 v2, 0
	v_cmp_ne_u16_sdwa s[8:9], v7, v2 src0_sel:BYTE_3 src1_sel:DWORD
	s_andn2_b64 s[4:5], s[4:5], exec
	s_and_b64 s[8:9], s[8:9], exec
	s_or_b64 s[4:5], s[4:5], s[8:9]
	s_or_b64 exec, exec, s[6:7]
	s_and_saveexec_b64 s[6:7], s[4:5]
	s_cbranch_execnz .LBB11_571
	s_branch .LBB11_572
.LBB11_2621:
	s_movk_i32 s4, 0x80
	v_cmp_eq_u16_sdwa s[12:13], v3, s4 src0_sel:BYTE_3 src1_sel:DWORD
	s_mov_b64 s[4:5], -1
                                        ; implicit-def: $sgpr10
	s_and_saveexec_b64 s[8:9], s[12:13]
; %bb.2622:
	s_mov_b32 s10, 0x7f800001
	s_xor_b64 s[4:5], exec, -1
; %bb.2623:
	s_or_b64 exec, exec, s[8:9]
	s_and_b64 s[4:5], s[4:5], exec
	s_or_saveexec_b64 s[6:7], s[6:7]
	v_mov_b32_e32 v6, s10
	s_xor_b64 exec, exec, s[6:7]
	s_cbranch_execz .LBB11_574
.LBB11_2624:
	v_mov_b32_e32 v6, 0
	v_cmp_ne_u16_sdwa s[8:9], v3, v6 src0_sel:BYTE_3 src1_sel:DWORD
	s_andn2_b64 s[4:5], s[4:5], exec
	s_and_b64 s[8:9], s[8:9], exec
	s_or_b64 s[4:5], s[4:5], s[8:9]
	s_or_b64 exec, exec, s[6:7]
	s_and_saveexec_b64 s[6:7], s[4:5]
	s_cbranch_execnz .LBB11_575
	s_branch .LBB11_576
.LBB11_2625:
	s_movk_i32 s4, 0x80
	v_cmp_eq_u16_sdwa s[12:13], v8, s4 src0_sel:BYTE_0 src1_sel:DWORD
	s_mov_b64 s[4:5], -1
                                        ; implicit-def: $sgpr10
	s_and_saveexec_b64 s[8:9], s[12:13]
; %bb.2626:
	s_mov_b32 s10, 0x7f800001
	s_xor_b64 s[4:5], exec, -1
; %bb.2627:
	s_or_b64 exec, exec, s[8:9]
	s_and_b64 s[4:5], s[4:5], exec
	s_or_saveexec_b64 s[6:7], s[6:7]
	v_mov_b32_e32 v2, s10
	s_xor_b64 exec, exec, s[6:7]
	s_cbranch_execz .LBB11_578
.LBB11_2628:
	v_mov_b32_e32 v2, 0
	v_cmp_ne_u16_sdwa s[8:9], v8, v2 src0_sel:BYTE_0 src1_sel:DWORD
	s_andn2_b64 s[4:5], s[4:5], exec
	s_and_b64 s[8:9], s[8:9], exec
	s_or_b64 s[4:5], s[4:5], s[8:9]
	s_or_b64 exec, exec, s[6:7]
	s_and_saveexec_b64 s[6:7], s[4:5]
	s_cbranch_execnz .LBB11_579
	s_branch .LBB11_580
.LBB11_2629:
	s_movk_i32 s4, 0x80
	v_cmp_eq_u16_sdwa s[12:13], v4, s4 src0_sel:BYTE_0 src1_sel:DWORD
	s_mov_b64 s[4:5], -1
                                        ; implicit-def: $sgpr10
	s_and_saveexec_b64 s[8:9], s[12:13]
; %bb.2630:
	s_mov_b32 s10, 0x7f800001
	s_xor_b64 s[4:5], exec, -1
; %bb.2631:
	s_or_b64 exec, exec, s[8:9]
	s_and_b64 s[4:5], s[4:5], exec
	s_or_saveexec_b64 s[6:7], s[6:7]
	v_mov_b32_e32 v3, s10
	s_xor_b64 exec, exec, s[6:7]
	s_cbranch_execz .LBB11_582
.LBB11_2632:
	v_mov_b32_e32 v3, 0
	v_cmp_ne_u16_sdwa s[8:9], v4, v3 src0_sel:BYTE_0 src1_sel:DWORD
	s_andn2_b64 s[4:5], s[4:5], exec
	s_and_b64 s[8:9], s[8:9], exec
	s_or_b64 s[4:5], s[4:5], s[8:9]
	s_or_b64 exec, exec, s[6:7]
	s_and_saveexec_b64 s[6:7], s[4:5]
	s_cbranch_execnz .LBB11_583
	s_branch .LBB11_584
.LBB11_2633:
	s_movk_i32 s4, 0x80
	v_cmp_eq_u16_sdwa s[12:13], v3, s4 src0_sel:BYTE_0 src1_sel:DWORD
	s_mov_b64 s[4:5], -1
                                        ; implicit-def: $sgpr10
	s_and_saveexec_b64 s[8:9], s[12:13]
; %bb.2634:
	s_mov_b32 s10, 0x7f800001
	s_xor_b64 s[4:5], exec, -1
; %bb.2635:
	s_or_b64 exec, exec, s[8:9]
	s_and_b64 s[4:5], s[4:5], exec
	s_or_saveexec_b64 s[6:7], s[6:7]
	v_mov_b32_e32 v2, s10
	s_xor_b64 exec, exec, s[6:7]
	s_cbranch_execz .LBB11_586
.LBB11_2636:
	v_mov_b32_e32 v2, 0
	v_cmp_ne_u16_sdwa s[8:9], v3, v2 src0_sel:BYTE_0 src1_sel:DWORD
	s_andn2_b64 s[4:5], s[4:5], exec
	s_and_b64 s[8:9], s[8:9], exec
	s_or_b64 s[4:5], s[4:5], s[8:9]
	s_or_b64 exec, exec, s[6:7]
	s_and_saveexec_b64 s[6:7], s[4:5]
	s_cbranch_execnz .LBB11_587
	s_branch .LBB11_588
.LBB11_2637:
	s_movk_i32 s4, 0x80
	v_cmp_eq_u16_sdwa s[12:13], v3, s4 src0_sel:BYTE_0 src1_sel:DWORD
	s_mov_b64 s[4:5], -1
                                        ; implicit-def: $sgpr10
	s_and_saveexec_b64 s[8:9], s[12:13]
; %bb.2638:
	s_mov_b32 s10, 0x7f800001
	s_xor_b64 s[4:5], exec, -1
; %bb.2639:
	s_or_b64 exec, exec, s[8:9]
	s_and_b64 s[4:5], s[4:5], exec
	s_or_saveexec_b64 s[6:7], s[6:7]
	v_mov_b32_e32 v6, s10
	s_xor_b64 exec, exec, s[6:7]
	s_cbranch_execz .LBB11_590
.LBB11_2640:
	v_mov_b32_e32 v6, 0
	v_cmp_ne_u16_sdwa s[8:9], v3, v6 src0_sel:BYTE_0 src1_sel:DWORD
	s_andn2_b64 s[4:5], s[4:5], exec
	s_and_b64 s[8:9], s[8:9], exec
	s_or_b64 s[4:5], s[4:5], s[8:9]
	s_or_b64 exec, exec, s[6:7]
	s_and_saveexec_b64 s[6:7], s[4:5]
	s_cbranch_execnz .LBB11_591
	s_branch .LBB11_592
.LBB11_2641:
	s_movk_i32 s4, 0x80
	v_cmp_eq_u16_e32 vcc, s4, v3
	s_mov_b64 s[4:5], -1
                                        ; implicit-def: $sgpr10
	s_and_saveexec_b64 s[8:9], vcc
; %bb.2642:
	s_mov_b32 s10, 0x7f800001
	s_xor_b64 s[4:5], exec, -1
; %bb.2643:
	s_or_b64 exec, exec, s[8:9]
	s_and_b64 s[4:5], s[4:5], exec
                                        ; implicit-def: $vgpr3
	s_or_saveexec_b64 s[6:7], s[6:7]
	v_mov_b32_e32 v2, s10
	s_xor_b64 exec, exec, s[6:7]
	s_cbranch_execz .LBB11_594
.LBB11_2644:
	v_cmp_ne_u16_e32 vcc, 0, v3
	s_andn2_b64 s[4:5], s[4:5], exec
	s_and_b64 s[8:9], vcc, exec
	v_mov_b32_e32 v2, 0
	s_or_b64 s[4:5], s[4:5], s[8:9]
	s_or_b64 exec, exec, s[6:7]
	s_and_saveexec_b64 s[6:7], s[4:5]
	s_cbranch_execnz .LBB11_595
	s_branch .LBB11_596
.LBB11_2645:
	s_movk_i32 s4, 0x80
	v_cmp_eq_u16_e32 vcc, s4, v3
	s_mov_b64 s[4:5], -1
                                        ; implicit-def: $sgpr10
	s_and_saveexec_b64 s[8:9], vcc
; %bb.2646:
	s_mov_b32 s10, 0x7f800001
	s_xor_b64 s[4:5], exec, -1
; %bb.2647:
	s_or_b64 exec, exec, s[8:9]
	s_and_b64 s[4:5], s[4:5], exec
                                        ; implicit-def: $vgpr3
	s_or_saveexec_b64 s[6:7], s[6:7]
	v_mov_b32_e32 v6, s10
	s_xor_b64 exec, exec, s[6:7]
	s_cbranch_execz .LBB11_598
.LBB11_2648:
	v_cmp_ne_u16_e32 vcc, 0, v3
	s_andn2_b64 s[4:5], s[4:5], exec
	s_and_b64 s[8:9], vcc, exec
	v_mov_b32_e32 v6, 0
	s_or_b64 s[4:5], s[4:5], s[8:9]
	s_or_b64 exec, exec, s[6:7]
	s_and_saveexec_b64 s[6:7], s[4:5]
	s_cbranch_execnz .LBB11_599
	s_branch .LBB11_600
.LBB11_2649:
	s_movk_i32 s4, 0x80
	v_cmp_eq_u16_sdwa s[12:13], v8, s4 src0_sel:BYTE_3 src1_sel:DWORD
	s_mov_b64 s[4:5], -1
                                        ; implicit-def: $sgpr10
	s_and_saveexec_b64 s[8:9], s[12:13]
; %bb.2650:
	s_mov_b32 s10, 0x7f800001
	s_xor_b64 s[4:5], exec, -1
; %bb.2651:
	s_or_b64 exec, exec, s[8:9]
	s_and_b64 s[4:5], s[4:5], exec
	s_or_saveexec_b64 s[6:7], s[6:7]
	v_mov_b32_e32 v2, s10
	s_xor_b64 exec, exec, s[6:7]
	s_cbranch_execz .LBB11_602
.LBB11_2652:
	v_mov_b32_e32 v2, 0
	v_cmp_ne_u16_sdwa s[8:9], v8, v2 src0_sel:BYTE_3 src1_sel:DWORD
	s_andn2_b64 s[4:5], s[4:5], exec
	s_and_b64 s[8:9], s[8:9], exec
	s_or_b64 s[4:5], s[4:5], s[8:9]
	s_or_b64 exec, exec, s[6:7]
	s_and_saveexec_b64 s[6:7], s[4:5]
	s_cbranch_execnz .LBB11_603
	s_branch .LBB11_604
.LBB11_2653:
	s_movk_i32 s4, 0x80
	v_cmp_eq_u16_sdwa s[12:13], v4, s4 src0_sel:BYTE_3 src1_sel:DWORD
	s_mov_b64 s[4:5], -1
                                        ; implicit-def: $sgpr10
	s_and_saveexec_b64 s[8:9], s[12:13]
; %bb.2654:
	s_mov_b32 s10, 0x7f800001
	s_xor_b64 s[4:5], exec, -1
; %bb.2655:
	s_or_b64 exec, exec, s[8:9]
	s_and_b64 s[4:5], s[4:5], exec
	s_or_saveexec_b64 s[6:7], s[6:7]
	v_mov_b32_e32 v3, s10
	s_xor_b64 exec, exec, s[6:7]
	s_cbranch_execz .LBB11_606
.LBB11_2656:
	v_mov_b32_e32 v3, 0
	v_cmp_ne_u16_sdwa s[8:9], v4, v3 src0_sel:BYTE_3 src1_sel:DWORD
	s_andn2_b64 s[4:5], s[4:5], exec
	s_and_b64 s[8:9], s[8:9], exec
	s_or_b64 s[4:5], s[4:5], s[8:9]
	s_or_b64 exec, exec, s[6:7]
	s_and_saveexec_b64 s[6:7], s[4:5]
	s_cbranch_execnz .LBB11_607
	s_branch .LBB11_608
.LBB11_2657:
	s_movk_i32 s4, 0x80
	v_cmp_eq_u16_sdwa s[12:13], v9, s4 src0_sel:BYTE_0 src1_sel:DWORD
	s_mov_b64 s[4:5], -1
                                        ; implicit-def: $sgpr10
	s_and_saveexec_b64 s[8:9], s[12:13]
; %bb.2658:
	s_mov_b32 s10, 0x7f800001
	s_xor_b64 s[4:5], exec, -1
; %bb.2659:
	s_or_b64 exec, exec, s[8:9]
	s_and_b64 s[4:5], s[4:5], exec
	s_or_saveexec_b64 s[6:7], s[6:7]
	v_mov_b32_e32 v2, s10
	s_xor_b64 exec, exec, s[6:7]
	s_cbranch_execz .LBB11_610
.LBB11_2660:
	v_mov_b32_e32 v2, 0
	v_cmp_ne_u16_sdwa s[8:9], v9, v2 src0_sel:BYTE_0 src1_sel:DWORD
	s_andn2_b64 s[4:5], s[4:5], exec
	s_and_b64 s[8:9], s[8:9], exec
	s_or_b64 s[4:5], s[4:5], s[8:9]
	s_or_b64 exec, exec, s[6:7]
	s_and_saveexec_b64 s[6:7], s[4:5]
	s_cbranch_execnz .LBB11_611
	s_branch .LBB11_612
.LBB11_2661:
	s_movk_i32 s4, 0x80
	v_cmp_eq_u16_sdwa s[12:13], v5, s4 src0_sel:BYTE_0 src1_sel:DWORD
	s_mov_b64 s[4:5], -1
                                        ; implicit-def: $sgpr10
	s_and_saveexec_b64 s[8:9], s[12:13]
; %bb.2662:
	s_mov_b32 s10, 0x7f800001
	s_xor_b64 s[4:5], exec, -1
; %bb.2663:
	s_or_b64 exec, exec, s[8:9]
	s_and_b64 s[4:5], s[4:5], exec
	s_or_saveexec_b64 s[6:7], s[6:7]
	v_mov_b32_e32 v3, s10
	s_xor_b64 exec, exec, s[6:7]
	s_cbranch_execz .LBB11_614
.LBB11_2664:
	v_mov_b32_e32 v3, 0
	v_cmp_ne_u16_sdwa s[8:9], v5, v3 src0_sel:BYTE_0 src1_sel:DWORD
	s_andn2_b64 s[4:5], s[4:5], exec
	s_and_b64 s[8:9], s[8:9], exec
	s_or_b64 s[4:5], s[4:5], s[8:9]
	s_or_b64 exec, exec, s[6:7]
	s_and_saveexec_b64 s[6:7], s[4:5]
	s_cbranch_execnz .LBB11_615
	s_branch .LBB11_616
.LBB11_2665:
	s_movk_i32 s4, 0x80
	v_cmp_eq_u16_sdwa s[12:13], v3, s4 src0_sel:BYTE_0 src1_sel:DWORD
	s_mov_b64 s[4:5], -1
                                        ; implicit-def: $sgpr10
	s_and_saveexec_b64 s[8:9], s[12:13]
; %bb.2666:
	s_mov_b32 s10, 0x7f800001
	s_xor_b64 s[4:5], exec, -1
; %bb.2667:
	s_or_b64 exec, exec, s[8:9]
	s_and_b64 s[4:5], s[4:5], exec
	s_or_saveexec_b64 s[6:7], s[6:7]
	v_mov_b32_e32 v2, s10
	s_xor_b64 exec, exec, s[6:7]
	s_cbranch_execz .LBB11_618
.LBB11_2668:
	v_mov_b32_e32 v2, 0
	v_cmp_ne_u16_sdwa s[8:9], v3, v2 src0_sel:BYTE_0 src1_sel:DWORD
	s_andn2_b64 s[4:5], s[4:5], exec
	s_and_b64 s[8:9], s[8:9], exec
	s_or_b64 s[4:5], s[4:5], s[8:9]
	s_or_b64 exec, exec, s[6:7]
	s_and_saveexec_b64 s[6:7], s[4:5]
	s_cbranch_execnz .LBB11_619
	s_branch .LBB11_620
.LBB11_2669:
	s_movk_i32 s4, 0x80
	v_cmp_eq_u16_sdwa s[12:13], v3, s4 src0_sel:BYTE_0 src1_sel:DWORD
	s_mov_b64 s[4:5], -1
                                        ; implicit-def: $sgpr10
	s_and_saveexec_b64 s[8:9], s[12:13]
; %bb.2670:
	s_mov_b32 s10, 0x7f800001
	s_xor_b64 s[4:5], exec, -1
; %bb.2671:
	s_or_b64 exec, exec, s[8:9]
	s_and_b64 s[4:5], s[4:5], exec
	s_or_saveexec_b64 s[6:7], s[6:7]
	v_mov_b32_e32 v4, s10
	s_xor_b64 exec, exec, s[6:7]
	s_cbranch_execz .LBB11_622
.LBB11_2672:
	v_mov_b32_e32 v4, 0
	v_cmp_ne_u16_sdwa s[8:9], v3, v4 src0_sel:BYTE_0 src1_sel:DWORD
	s_andn2_b64 s[4:5], s[4:5], exec
	s_and_b64 s[8:9], s[8:9], exec
	s_or_b64 s[4:5], s[4:5], s[8:9]
	s_or_b64 exec, exec, s[6:7]
	s_and_saveexec_b64 s[6:7], s[4:5]
	s_cbranch_execnz .LBB11_623
	s_branch .LBB11_624
.LBB11_2673:
	s_movk_i32 s4, 0x80
	v_cmp_eq_u16_e32 vcc, s4, v3
	s_mov_b64 s[4:5], -1
                                        ; implicit-def: $sgpr10
	s_and_saveexec_b64 s[8:9], vcc
; %bb.2674:
	s_mov_b32 s10, 0x7f800001
	s_xor_b64 s[4:5], exec, -1
; %bb.2675:
	s_or_b64 exec, exec, s[8:9]
	s_and_b64 s[4:5], s[4:5], exec
                                        ; implicit-def: $vgpr3
	s_or_saveexec_b64 s[6:7], s[6:7]
	v_mov_b32_e32 v2, s10
	s_xor_b64 exec, exec, s[6:7]
	s_cbranch_execz .LBB11_626
.LBB11_2676:
	v_cmp_ne_u16_e32 vcc, 0, v3
	s_andn2_b64 s[4:5], s[4:5], exec
	s_and_b64 s[8:9], vcc, exec
	v_mov_b32_e32 v2, 0
	s_or_b64 s[4:5], s[4:5], s[8:9]
	s_or_b64 exec, exec, s[6:7]
	s_and_saveexec_b64 s[6:7], s[4:5]
	s_cbranch_execnz .LBB11_627
	s_branch .LBB11_628
.LBB11_2677:
	s_movk_i32 s4, 0x80
	v_cmp_eq_u16_e32 vcc, s4, v3
	s_mov_b64 s[4:5], -1
                                        ; implicit-def: $sgpr10
	s_and_saveexec_b64 s[8:9], vcc
; %bb.2678:
	s_mov_b32 s10, 0x7f800001
	s_xor_b64 s[4:5], exec, -1
; %bb.2679:
	s_or_b64 exec, exec, s[8:9]
	s_and_b64 s[4:5], s[4:5], exec
                                        ; implicit-def: $vgpr3
	s_or_saveexec_b64 s[6:7], s[6:7]
	v_mov_b32_e32 v4, s10
	s_xor_b64 exec, exec, s[6:7]
	s_cbranch_execz .LBB11_630
.LBB11_2680:
	v_cmp_ne_u16_e32 vcc, 0, v3
	s_andn2_b64 s[4:5], s[4:5], exec
	s_and_b64 s[8:9], vcc, exec
	v_mov_b32_e32 v4, 0
	s_or_b64 s[4:5], s[4:5], s[8:9]
	s_or_b64 exec, exec, s[6:7]
	s_and_saveexec_b64 s[6:7], s[4:5]
	s_cbranch_execnz .LBB11_631
	s_branch .LBB11_632
.LBB11_2681:
	s_movk_i32 s4, 0x80
	v_cmp_eq_u16_sdwa s[12:13], v9, s4 src0_sel:BYTE_3 src1_sel:DWORD
	s_mov_b64 s[4:5], -1
                                        ; implicit-def: $sgpr10
	s_and_saveexec_b64 s[8:9], s[12:13]
; %bb.2682:
	s_mov_b32 s10, 0x7f800001
	s_xor_b64 s[4:5], exec, -1
; %bb.2683:
	s_or_b64 exec, exec, s[8:9]
	s_and_b64 s[4:5], s[4:5], exec
	s_or_saveexec_b64 s[6:7], s[6:7]
	v_mov_b32_e32 v2, s10
	s_xor_b64 exec, exec, s[6:7]
	s_cbranch_execz .LBB11_634
.LBB11_2684:
	v_mov_b32_e32 v2, 0
	v_cmp_ne_u16_sdwa s[8:9], v9, v2 src0_sel:BYTE_3 src1_sel:DWORD
	s_andn2_b64 s[4:5], s[4:5], exec
	s_and_b64 s[8:9], s[8:9], exec
	s_or_b64 s[4:5], s[4:5], s[8:9]
	s_or_b64 exec, exec, s[6:7]
	s_and_saveexec_b64 s[6:7], s[4:5]
	s_cbranch_execnz .LBB11_635
	s_branch .LBB11_636
.LBB11_2685:
	s_movk_i32 s4, 0x80
	v_cmp_eq_u16_sdwa s[12:13], v5, s4 src0_sel:BYTE_3 src1_sel:DWORD
	s_mov_b64 s[4:5], -1
                                        ; implicit-def: $sgpr10
	s_and_saveexec_b64 s[8:9], s[12:13]
; %bb.2686:
	s_mov_b32 s10, 0x7f800001
	s_xor_b64 s[4:5], exec, -1
; %bb.2687:
	s_or_b64 exec, exec, s[8:9]
	s_and_b64 s[4:5], s[4:5], exec
	s_or_saveexec_b64 s[6:7], s[6:7]
	v_mov_b32_e32 v3, s10
	s_xor_b64 exec, exec, s[6:7]
	s_cbranch_execz .LBB11_638
.LBB11_2688:
	v_mov_b32_e32 v3, 0
	v_cmp_ne_u16_sdwa s[8:9], v5, v3 src0_sel:BYTE_3 src1_sel:DWORD
	s_andn2_b64 s[4:5], s[4:5], exec
	s_and_b64 s[8:9], s[8:9], exec
	s_or_b64 s[4:5], s[4:5], s[8:9]
	s_or_b64 exec, exec, s[6:7]
	s_and_saveexec_b64 s[6:7], s[4:5]
	s_cbranch_execnz .LBB11_639
	s_branch .LBB11_640
.LBB11_2689:
	s_movk_i32 s4, 0x80
	v_cmp_eq_u16_sdwa s[12:13], v6, s4 src0_sel:BYTE_0 src1_sel:DWORD
	s_mov_b64 s[4:5], -1
                                        ; implicit-def: $sgpr10
	s_and_saveexec_b64 s[8:9], s[12:13]
; %bb.2690:
	s_mov_b32 s10, 0x7f800001
	s_xor_b64 s[4:5], exec, -1
; %bb.2691:
	s_or_b64 exec, exec, s[8:9]
	s_and_b64 s[4:5], s[4:5], exec
	s_or_saveexec_b64 s[6:7], s[6:7]
	v_mov_b32_e32 v12, s10
	s_xor_b64 exec, exec, s[6:7]
	s_cbranch_execz .LBB11_642
.LBB11_2692:
	v_mov_b32_e32 v12, 0
	v_cmp_ne_u16_sdwa s[8:9], v6, v12 src0_sel:BYTE_0 src1_sel:DWORD
	s_andn2_b64 s[4:5], s[4:5], exec
	s_and_b64 s[8:9], s[8:9], exec
	s_or_b64 s[4:5], s[4:5], s[8:9]
	s_or_b64 exec, exec, s[6:7]
	s_and_saveexec_b64 s[6:7], s[4:5]
	s_cbranch_execnz .LBB11_643
	s_branch .LBB11_644
.LBB11_2693:
	s_movk_i32 s4, 0x80
	v_cmp_eq_u16_sdwa s[12:13], v2, s4 src0_sel:BYTE_0 src1_sel:DWORD
	s_mov_b64 s[4:5], -1
                                        ; implicit-def: $sgpr10
	s_and_saveexec_b64 s[8:9], s[12:13]
; %bb.2694:
	s_mov_b32 s10, 0x7f800001
	s_xor_b64 s[4:5], exec, -1
; %bb.2695:
	s_or_b64 exec, exec, s[8:9]
	s_and_b64 s[4:5], s[4:5], exec
	s_or_saveexec_b64 s[6:7], s[6:7]
	v_mov_b32_e32 v13, s10
	s_xor_b64 exec, exec, s[6:7]
	s_cbranch_execz .LBB11_646
.LBB11_2696:
	v_mov_b32_e32 v13, 0
	v_cmp_ne_u16_sdwa s[8:9], v2, v13 src0_sel:BYTE_0 src1_sel:DWORD
	s_andn2_b64 s[4:5], s[4:5], exec
	s_and_b64 s[8:9], s[8:9], exec
	s_or_b64 s[4:5], s[4:5], s[8:9]
	s_or_b64 exec, exec, s[6:7]
	s_and_saveexec_b64 s[6:7], s[4:5]
	s_cbranch_execnz .LBB11_647
	s_branch .LBB11_648
.LBB11_2697:
	s_movk_i32 s4, 0x80
	v_cmp_eq_u16_sdwa s[12:13], v13, s4 src0_sel:BYTE_0 src1_sel:DWORD
	s_mov_b64 s[4:5], -1
                                        ; implicit-def: $sgpr10
	s_and_saveexec_b64 s[8:9], s[12:13]
; %bb.2698:
	s_mov_b32 s10, 0x7f800001
	s_xor_b64 s[4:5], exec, -1
; %bb.2699:
	s_or_b64 exec, exec, s[8:9]
	s_and_b64 s[4:5], s[4:5], exec
	s_or_saveexec_b64 s[6:7], s[6:7]
	v_mov_b32_e32 v12, s10
	s_xor_b64 exec, exec, s[6:7]
	s_cbranch_execz .LBB11_650
.LBB11_2700:
	v_mov_b32_e32 v12, 0
	v_cmp_ne_u16_sdwa s[8:9], v13, v12 src0_sel:BYTE_0 src1_sel:DWORD
	s_andn2_b64 s[4:5], s[4:5], exec
	s_and_b64 s[8:9], s[8:9], exec
	s_or_b64 s[4:5], s[4:5], s[8:9]
	s_or_b64 exec, exec, s[6:7]
	s_and_saveexec_b64 s[6:7], s[4:5]
	s_cbranch_execnz .LBB11_651
	s_branch .LBB11_652
.LBB11_2701:
	s_movk_i32 s4, 0x80
	v_cmp_eq_u16_sdwa s[12:13], v13, s4 src0_sel:BYTE_0 src1_sel:DWORD
	s_mov_b64 s[4:5], -1
                                        ; implicit-def: $sgpr10
	s_and_saveexec_b64 s[8:9], s[12:13]
; %bb.2702:
	s_mov_b32 s10, 0x7f800001
	s_xor_b64 s[4:5], exec, -1
; %bb.2703:
	s_or_b64 exec, exec, s[8:9]
	s_and_b64 s[4:5], s[4:5], exec
	s_or_saveexec_b64 s[6:7], s[6:7]
	v_mov_b32_e32 v14, s10
	s_xor_b64 exec, exec, s[6:7]
	s_cbranch_execz .LBB11_654
.LBB11_2704:
	v_mov_b32_e32 v14, 0
	v_cmp_ne_u16_sdwa s[8:9], v13, v14 src0_sel:BYTE_0 src1_sel:DWORD
	s_andn2_b64 s[4:5], s[4:5], exec
	s_and_b64 s[8:9], s[8:9], exec
	s_or_b64 s[4:5], s[4:5], s[8:9]
	s_or_b64 exec, exec, s[6:7]
	s_and_saveexec_b64 s[6:7], s[4:5]
	s_cbranch_execnz .LBB11_655
	s_branch .LBB11_656
.LBB11_2705:
	s_movk_i32 s4, 0x80
	v_cmp_eq_u16_e32 vcc, s4, v13
	s_mov_b64 s[4:5], -1
                                        ; implicit-def: $sgpr10
	s_and_saveexec_b64 s[8:9], vcc
; %bb.2706:
	s_mov_b32 s10, 0x7f800001
	s_xor_b64 s[4:5], exec, -1
; %bb.2707:
	s_or_b64 exec, exec, s[8:9]
	s_and_b64 s[4:5], s[4:5], exec
                                        ; implicit-def: $vgpr13
	s_or_saveexec_b64 s[6:7], s[6:7]
	v_mov_b32_e32 v12, s10
	s_xor_b64 exec, exec, s[6:7]
	s_cbranch_execz .LBB11_658
.LBB11_2708:
	v_cmp_ne_u16_e32 vcc, 0, v13
	s_andn2_b64 s[4:5], s[4:5], exec
	s_and_b64 s[8:9], vcc, exec
	v_mov_b32_e32 v12, 0
	s_or_b64 s[4:5], s[4:5], s[8:9]
	s_or_b64 exec, exec, s[6:7]
	s_and_saveexec_b64 s[6:7], s[4:5]
	s_cbranch_execnz .LBB11_659
	s_branch .LBB11_660
.LBB11_2709:
	s_movk_i32 s4, 0x80
	v_cmp_eq_u16_e32 vcc, s4, v13
	s_mov_b64 s[4:5], -1
                                        ; implicit-def: $sgpr10
	s_and_saveexec_b64 s[8:9], vcc
; %bb.2710:
	s_mov_b32 s10, 0x7f800001
	s_xor_b64 s[4:5], exec, -1
; %bb.2711:
	s_or_b64 exec, exec, s[8:9]
	s_and_b64 s[4:5], s[4:5], exec
                                        ; implicit-def: $vgpr13
	s_or_saveexec_b64 s[6:7], s[6:7]
	v_mov_b32_e32 v14, s10
	s_xor_b64 exec, exec, s[6:7]
	s_cbranch_execz .LBB11_662
.LBB11_2712:
	v_cmp_ne_u16_e32 vcc, 0, v13
	s_andn2_b64 s[4:5], s[4:5], exec
	s_and_b64 s[8:9], vcc, exec
	v_mov_b32_e32 v14, 0
	s_or_b64 s[4:5], s[4:5], s[8:9]
	s_or_b64 exec, exec, s[6:7]
	s_and_saveexec_b64 s[6:7], s[4:5]
	s_cbranch_execnz .LBB11_663
	s_branch .LBB11_664
.LBB11_2713:
	s_movk_i32 s4, 0x80
	v_cmp_eq_u16_sdwa s[12:13], v6, s4 src0_sel:BYTE_3 src1_sel:DWORD
	s_mov_b64 s[4:5], -1
                                        ; implicit-def: $sgpr10
	s_and_saveexec_b64 s[8:9], s[12:13]
; %bb.2714:
	s_mov_b32 s10, 0x7f800001
	s_xor_b64 s[4:5], exec, -1
; %bb.2715:
	s_or_b64 exec, exec, s[8:9]
	s_and_b64 s[4:5], s[4:5], exec
	s_or_saveexec_b64 s[6:7], s[6:7]
	v_mov_b32_e32 v12, s10
	s_xor_b64 exec, exec, s[6:7]
	s_cbranch_execz .LBB11_666
.LBB11_2716:
	v_mov_b32_e32 v12, 0
	v_cmp_ne_u16_sdwa s[8:9], v6, v12 src0_sel:BYTE_3 src1_sel:DWORD
	s_andn2_b64 s[4:5], s[4:5], exec
	s_and_b64 s[8:9], s[8:9], exec
	s_or_b64 s[4:5], s[4:5], s[8:9]
	s_or_b64 exec, exec, s[6:7]
	s_and_saveexec_b64 s[6:7], s[4:5]
	s_cbranch_execnz .LBB11_667
	s_branch .LBB11_668
.LBB11_2717:
	s_movk_i32 s4, 0x80
	v_cmp_eq_u16_sdwa s[12:13], v2, s4 src0_sel:BYTE_3 src1_sel:DWORD
	s_mov_b64 s[4:5], -1
                                        ; implicit-def: $sgpr10
	s_and_saveexec_b64 s[8:9], s[12:13]
; %bb.2718:
	s_mov_b32 s10, 0x7f800001
	s_xor_b64 s[4:5], exec, -1
; %bb.2719:
	s_or_b64 exec, exec, s[8:9]
	s_and_b64 s[4:5], s[4:5], exec
	s_or_saveexec_b64 s[6:7], s[6:7]
	v_mov_b32_e32 v6, s10
	s_xor_b64 exec, exec, s[6:7]
	s_cbranch_execz .LBB11_670
.LBB11_2720:
	v_mov_b32_e32 v6, 0
	v_cmp_ne_u16_sdwa s[8:9], v2, v6 src0_sel:BYTE_3 src1_sel:DWORD
	s_andn2_b64 s[4:5], s[4:5], exec
	s_and_b64 s[8:9], s[8:9], exec
	s_or_b64 s[4:5], s[4:5], s[8:9]
	s_or_b64 exec, exec, s[6:7]
	s_and_saveexec_b64 s[6:7], s[4:5]
	s_cbranch_execnz .LBB11_671
	s_branch .LBB11_672
.LBB11_2721:
	s_movk_i32 s4, 0x80
	v_cmp_eq_u16_sdwa s[12:13], v7, s4 src0_sel:BYTE_0 src1_sel:DWORD
	s_mov_b64 s[4:5], -1
                                        ; implicit-def: $sgpr10
	s_and_saveexec_b64 s[8:9], s[12:13]
; %bb.2722:
	s_mov_b32 s10, 0x7f800001
	s_xor_b64 s[4:5], exec, -1
; %bb.2723:
	s_or_b64 exec, exec, s[8:9]
	s_and_b64 s[4:5], s[4:5], exec
	s_or_saveexec_b64 s[6:7], s[6:7]
	v_mov_b32_e32 v2, s10
	s_xor_b64 exec, exec, s[6:7]
	s_cbranch_execz .LBB11_674
.LBB11_2724:
	v_mov_b32_e32 v2, 0
	v_cmp_ne_u16_sdwa s[8:9], v7, v2 src0_sel:BYTE_0 src1_sel:DWORD
	s_andn2_b64 s[4:5], s[4:5], exec
	s_and_b64 s[8:9], s[8:9], exec
	s_or_b64 s[4:5], s[4:5], s[8:9]
	s_or_b64 exec, exec, s[6:7]
	s_and_saveexec_b64 s[6:7], s[4:5]
	s_cbranch_execnz .LBB11_675
	s_branch .LBB11_676
.LBB11_2725:
	s_movk_i32 s4, 0x80
	v_cmp_eq_u16_sdwa s[12:13], v3, s4 src0_sel:BYTE_0 src1_sel:DWORD
	s_mov_b64 s[4:5], -1
                                        ; implicit-def: $sgpr10
	s_and_saveexec_b64 s[8:9], s[12:13]
; %bb.2726:
	s_mov_b32 s10, 0x7f800001
	s_xor_b64 s[4:5], exec, -1
; %bb.2727:
	s_or_b64 exec, exec, s[8:9]
	s_and_b64 s[4:5], s[4:5], exec
	s_or_saveexec_b64 s[6:7], s[6:7]
	v_mov_b32_e32 v6, s10
	s_xor_b64 exec, exec, s[6:7]
	s_cbranch_execz .LBB11_678
.LBB11_2728:
	v_mov_b32_e32 v6, 0
	v_cmp_ne_u16_sdwa s[8:9], v3, v6 src0_sel:BYTE_0 src1_sel:DWORD
	s_andn2_b64 s[4:5], s[4:5], exec
	s_and_b64 s[8:9], s[8:9], exec
	s_or_b64 s[4:5], s[4:5], s[8:9]
	s_or_b64 exec, exec, s[6:7]
	s_and_saveexec_b64 s[6:7], s[4:5]
	s_cbranch_execnz .LBB11_679
	s_branch .LBB11_680
.LBB11_2729:
	s_movk_i32 s4, 0x80
	v_cmp_eq_u16_sdwa s[12:13], v6, s4 src0_sel:BYTE_0 src1_sel:DWORD
	s_mov_b64 s[4:5], -1
                                        ; implicit-def: $sgpr10
	s_and_saveexec_b64 s[8:9], s[12:13]
; %bb.2730:
	s_mov_b32 s10, 0x7f800001
	s_xor_b64 s[4:5], exec, -1
; %bb.2731:
	s_or_b64 exec, exec, s[8:9]
	s_and_b64 s[4:5], s[4:5], exec
	s_or_saveexec_b64 s[6:7], s[6:7]
	v_mov_b32_e32 v2, s10
	s_xor_b64 exec, exec, s[6:7]
	s_cbranch_execz .LBB11_682
.LBB11_2732:
	v_mov_b32_e32 v2, 0
	v_cmp_ne_u16_sdwa s[8:9], v6, v2 src0_sel:BYTE_0 src1_sel:DWORD
	s_andn2_b64 s[4:5], s[4:5], exec
	s_and_b64 s[8:9], s[8:9], exec
	s_or_b64 s[4:5], s[4:5], s[8:9]
	s_or_b64 exec, exec, s[6:7]
	s_and_saveexec_b64 s[6:7], s[4:5]
	s_cbranch_execnz .LBB11_683
	s_branch .LBB11_684
.LBB11_2733:
	s_movk_i32 s4, 0x80
	v_cmp_eq_u16_sdwa s[12:13], v6, s4 src0_sel:BYTE_0 src1_sel:DWORD
	s_mov_b64 s[4:5], -1
                                        ; implicit-def: $sgpr10
	s_and_saveexec_b64 s[8:9], s[12:13]
; %bb.2734:
	s_mov_b32 s10, 0x7f800001
	s_xor_b64 s[4:5], exec, -1
; %bb.2735:
	s_or_b64 exec, exec, s[8:9]
	s_and_b64 s[4:5], s[4:5], exec
	s_or_saveexec_b64 s[6:7], s[6:7]
	v_mov_b32_e32 v12, s10
	s_xor_b64 exec, exec, s[6:7]
	s_cbranch_execz .LBB11_686
.LBB11_2736:
	v_mov_b32_e32 v12, 0
	v_cmp_ne_u16_sdwa s[8:9], v6, v12 src0_sel:BYTE_0 src1_sel:DWORD
	s_andn2_b64 s[4:5], s[4:5], exec
	s_and_b64 s[8:9], s[8:9], exec
	s_or_b64 s[4:5], s[4:5], s[8:9]
	s_or_b64 exec, exec, s[6:7]
	s_and_saveexec_b64 s[6:7], s[4:5]
	s_cbranch_execnz .LBB11_687
	s_branch .LBB11_688
.LBB11_2737:
	s_movk_i32 s4, 0x80
	v_cmp_eq_u16_e32 vcc, s4, v6
	s_mov_b64 s[4:5], -1
                                        ; implicit-def: $sgpr10
	s_and_saveexec_b64 s[8:9], vcc
; %bb.2738:
	s_mov_b32 s10, 0x7f800001
	s_xor_b64 s[4:5], exec, -1
; %bb.2739:
	s_or_b64 exec, exec, s[8:9]
	s_and_b64 s[4:5], s[4:5], exec
                                        ; implicit-def: $vgpr6
	s_or_saveexec_b64 s[6:7], s[6:7]
	v_mov_b32_e32 v2, s10
	s_xor_b64 exec, exec, s[6:7]
	s_cbranch_execz .LBB11_690
.LBB11_2740:
	v_cmp_ne_u16_e32 vcc, 0, v6
	s_andn2_b64 s[4:5], s[4:5], exec
	s_and_b64 s[8:9], vcc, exec
	v_mov_b32_e32 v2, 0
	s_or_b64 s[4:5], s[4:5], s[8:9]
	s_or_b64 exec, exec, s[6:7]
	s_and_saveexec_b64 s[6:7], s[4:5]
	s_cbranch_execnz .LBB11_691
	s_branch .LBB11_692
.LBB11_2741:
	s_movk_i32 s4, 0x80
	v_cmp_eq_u16_e32 vcc, s4, v6
	s_mov_b64 s[4:5], -1
                                        ; implicit-def: $sgpr10
	s_and_saveexec_b64 s[8:9], vcc
; %bb.2742:
	s_mov_b32 s10, 0x7f800001
	s_xor_b64 s[4:5], exec, -1
; %bb.2743:
	s_or_b64 exec, exec, s[8:9]
	s_and_b64 s[4:5], s[4:5], exec
                                        ; implicit-def: $vgpr6
	s_or_saveexec_b64 s[6:7], s[6:7]
	v_mov_b32_e32 v12, s10
	s_xor_b64 exec, exec, s[6:7]
	s_cbranch_execz .LBB11_694
.LBB11_2744:
	v_cmp_ne_u16_e32 vcc, 0, v6
	s_andn2_b64 s[4:5], s[4:5], exec
	s_and_b64 s[8:9], vcc, exec
	v_mov_b32_e32 v12, 0
	s_or_b64 s[4:5], s[4:5], s[8:9]
	s_or_b64 exec, exec, s[6:7]
	s_and_saveexec_b64 s[6:7], s[4:5]
	s_cbranch_execnz .LBB11_695
	s_branch .LBB11_696
.LBB11_2745:
	s_movk_i32 s4, 0x80
	v_cmp_eq_u16_sdwa s[12:13], v7, s4 src0_sel:BYTE_3 src1_sel:DWORD
	s_mov_b64 s[4:5], -1
                                        ; implicit-def: $sgpr10
	s_and_saveexec_b64 s[8:9], s[12:13]
; %bb.2746:
	s_mov_b32 s10, 0x7f800001
	s_xor_b64 s[4:5], exec, -1
; %bb.2747:
	s_or_b64 exec, exec, s[8:9]
	s_and_b64 s[4:5], s[4:5], exec
	s_or_saveexec_b64 s[6:7], s[6:7]
	v_mov_b32_e32 v2, s10
	s_xor_b64 exec, exec, s[6:7]
	s_cbranch_execz .LBB11_698
.LBB11_2748:
	v_mov_b32_e32 v2, 0
	v_cmp_ne_u16_sdwa s[8:9], v7, v2 src0_sel:BYTE_3 src1_sel:DWORD
	s_andn2_b64 s[4:5], s[4:5], exec
	s_and_b64 s[8:9], s[8:9], exec
	s_or_b64 s[4:5], s[4:5], s[8:9]
	s_or_b64 exec, exec, s[6:7]
	s_and_saveexec_b64 s[6:7], s[4:5]
	s_cbranch_execnz .LBB11_699
	s_branch .LBB11_700
.LBB11_2749:
	s_movk_i32 s4, 0x80
	v_cmp_eq_u16_sdwa s[12:13], v3, s4 src0_sel:BYTE_3 src1_sel:DWORD
	s_mov_b64 s[4:5], -1
                                        ; implicit-def: $sgpr10
	s_and_saveexec_b64 s[8:9], s[12:13]
; %bb.2750:
	s_mov_b32 s10, 0x7f800001
	s_xor_b64 s[4:5], exec, -1
; %bb.2751:
	s_or_b64 exec, exec, s[8:9]
	s_and_b64 s[4:5], s[4:5], exec
	s_or_saveexec_b64 s[6:7], s[6:7]
	v_mov_b32_e32 v6, s10
	s_xor_b64 exec, exec, s[6:7]
	s_cbranch_execz .LBB11_702
.LBB11_2752:
	v_mov_b32_e32 v6, 0
	v_cmp_ne_u16_sdwa s[8:9], v3, v6 src0_sel:BYTE_3 src1_sel:DWORD
	s_andn2_b64 s[4:5], s[4:5], exec
	s_and_b64 s[8:9], s[8:9], exec
	s_or_b64 s[4:5], s[4:5], s[8:9]
	s_or_b64 exec, exec, s[6:7]
	s_and_saveexec_b64 s[6:7], s[4:5]
	s_cbranch_execnz .LBB11_703
	s_branch .LBB11_704
.LBB11_2753:
	s_movk_i32 s4, 0x80
	v_cmp_eq_u16_sdwa s[12:13], v8, s4 src0_sel:BYTE_0 src1_sel:DWORD
	s_mov_b64 s[4:5], -1
                                        ; implicit-def: $sgpr10
	s_and_saveexec_b64 s[8:9], s[12:13]
; %bb.2754:
	s_mov_b32 s10, 0x7f800001
	s_xor_b64 s[4:5], exec, -1
; %bb.2755:
	s_or_b64 exec, exec, s[8:9]
	s_and_b64 s[4:5], s[4:5], exec
	s_or_saveexec_b64 s[6:7], s[6:7]
	v_mov_b32_e32 v2, s10
	s_xor_b64 exec, exec, s[6:7]
	s_cbranch_execz .LBB11_706
.LBB11_2756:
	v_mov_b32_e32 v2, 0
	v_cmp_ne_u16_sdwa s[8:9], v8, v2 src0_sel:BYTE_0 src1_sel:DWORD
	s_andn2_b64 s[4:5], s[4:5], exec
	s_and_b64 s[8:9], s[8:9], exec
	s_or_b64 s[4:5], s[4:5], s[8:9]
	s_or_b64 exec, exec, s[6:7]
	s_and_saveexec_b64 s[6:7], s[4:5]
	s_cbranch_execnz .LBB11_707
	s_branch .LBB11_708
.LBB11_2757:
	s_movk_i32 s4, 0x80
	v_cmp_eq_u16_sdwa s[12:13], v4, s4 src0_sel:BYTE_0 src1_sel:DWORD
	s_mov_b64 s[4:5], -1
                                        ; implicit-def: $sgpr10
	s_and_saveexec_b64 s[8:9], s[12:13]
; %bb.2758:
	s_mov_b32 s10, 0x7f800001
	s_xor_b64 s[4:5], exec, -1
; %bb.2759:
	s_or_b64 exec, exec, s[8:9]
	s_and_b64 s[4:5], s[4:5], exec
	s_or_saveexec_b64 s[6:7], s[6:7]
	v_mov_b32_e32 v3, s10
	s_xor_b64 exec, exec, s[6:7]
	s_cbranch_execz .LBB11_710
.LBB11_2760:
	v_mov_b32_e32 v3, 0
	v_cmp_ne_u16_sdwa s[8:9], v4, v3 src0_sel:BYTE_0 src1_sel:DWORD
	s_andn2_b64 s[4:5], s[4:5], exec
	s_and_b64 s[8:9], s[8:9], exec
	s_or_b64 s[4:5], s[4:5], s[8:9]
	s_or_b64 exec, exec, s[6:7]
	s_and_saveexec_b64 s[6:7], s[4:5]
	s_cbranch_execnz .LBB11_711
	s_branch .LBB11_712
.LBB11_2761:
	s_movk_i32 s4, 0x80
	v_cmp_eq_u16_sdwa s[12:13], v3, s4 src0_sel:BYTE_0 src1_sel:DWORD
	s_mov_b64 s[4:5], -1
                                        ; implicit-def: $sgpr10
	s_and_saveexec_b64 s[8:9], s[12:13]
; %bb.2762:
	s_mov_b32 s10, 0x7f800001
	s_xor_b64 s[4:5], exec, -1
; %bb.2763:
	s_or_b64 exec, exec, s[8:9]
	s_and_b64 s[4:5], s[4:5], exec
	s_or_saveexec_b64 s[6:7], s[6:7]
	v_mov_b32_e32 v2, s10
	s_xor_b64 exec, exec, s[6:7]
	s_cbranch_execz .LBB11_714
.LBB11_2764:
	v_mov_b32_e32 v2, 0
	v_cmp_ne_u16_sdwa s[8:9], v3, v2 src0_sel:BYTE_0 src1_sel:DWORD
	s_andn2_b64 s[4:5], s[4:5], exec
	s_and_b64 s[8:9], s[8:9], exec
	s_or_b64 s[4:5], s[4:5], s[8:9]
	s_or_b64 exec, exec, s[6:7]
	s_and_saveexec_b64 s[6:7], s[4:5]
	s_cbranch_execnz .LBB11_715
	s_branch .LBB11_716
.LBB11_2765:
	s_movk_i32 s4, 0x80
	v_cmp_eq_u16_sdwa s[12:13], v3, s4 src0_sel:BYTE_0 src1_sel:DWORD
	s_mov_b64 s[4:5], -1
                                        ; implicit-def: $sgpr10
	s_and_saveexec_b64 s[8:9], s[12:13]
; %bb.2766:
	s_mov_b32 s10, 0x7f800001
	s_xor_b64 s[4:5], exec, -1
; %bb.2767:
	s_or_b64 exec, exec, s[8:9]
	s_and_b64 s[4:5], s[4:5], exec
	s_or_saveexec_b64 s[6:7], s[6:7]
	v_mov_b32_e32 v6, s10
	s_xor_b64 exec, exec, s[6:7]
	s_cbranch_execz .LBB11_718
.LBB11_2768:
	v_mov_b32_e32 v6, 0
	v_cmp_ne_u16_sdwa s[8:9], v3, v6 src0_sel:BYTE_0 src1_sel:DWORD
	s_andn2_b64 s[4:5], s[4:5], exec
	s_and_b64 s[8:9], s[8:9], exec
	s_or_b64 s[4:5], s[4:5], s[8:9]
	s_or_b64 exec, exec, s[6:7]
	s_and_saveexec_b64 s[6:7], s[4:5]
	s_cbranch_execnz .LBB11_719
	s_branch .LBB11_720
.LBB11_2769:
	s_movk_i32 s4, 0x80
	v_cmp_eq_u16_e32 vcc, s4, v3
	s_mov_b64 s[4:5], -1
                                        ; implicit-def: $sgpr10
	s_and_saveexec_b64 s[8:9], vcc
; %bb.2770:
	s_mov_b32 s10, 0x7f800001
	s_xor_b64 s[4:5], exec, -1
; %bb.2771:
	s_or_b64 exec, exec, s[8:9]
	s_and_b64 s[4:5], s[4:5], exec
                                        ; implicit-def: $vgpr3
	s_or_saveexec_b64 s[6:7], s[6:7]
	v_mov_b32_e32 v2, s10
	s_xor_b64 exec, exec, s[6:7]
	s_cbranch_execz .LBB11_722
.LBB11_2772:
	v_cmp_ne_u16_e32 vcc, 0, v3
	s_andn2_b64 s[4:5], s[4:5], exec
	s_and_b64 s[8:9], vcc, exec
	v_mov_b32_e32 v2, 0
	s_or_b64 s[4:5], s[4:5], s[8:9]
	s_or_b64 exec, exec, s[6:7]
	s_and_saveexec_b64 s[6:7], s[4:5]
	s_cbranch_execnz .LBB11_723
	s_branch .LBB11_724
.LBB11_2773:
	s_movk_i32 s4, 0x80
	v_cmp_eq_u16_e32 vcc, s4, v3
	s_mov_b64 s[4:5], -1
                                        ; implicit-def: $sgpr10
	s_and_saveexec_b64 s[8:9], vcc
; %bb.2774:
	s_mov_b32 s10, 0x7f800001
	s_xor_b64 s[4:5], exec, -1
; %bb.2775:
	s_or_b64 exec, exec, s[8:9]
	s_and_b64 s[4:5], s[4:5], exec
                                        ; implicit-def: $vgpr3
	s_or_saveexec_b64 s[6:7], s[6:7]
	v_mov_b32_e32 v6, s10
	s_xor_b64 exec, exec, s[6:7]
	s_cbranch_execz .LBB11_726
.LBB11_2776:
	v_cmp_ne_u16_e32 vcc, 0, v3
	s_andn2_b64 s[4:5], s[4:5], exec
	s_and_b64 s[8:9], vcc, exec
	v_mov_b32_e32 v6, 0
	s_or_b64 s[4:5], s[4:5], s[8:9]
	s_or_b64 exec, exec, s[6:7]
	s_and_saveexec_b64 s[6:7], s[4:5]
	s_cbranch_execnz .LBB11_727
	s_branch .LBB11_728
.LBB11_2777:
	s_movk_i32 s4, 0x80
	v_cmp_eq_u16_sdwa s[12:13], v8, s4 src0_sel:BYTE_3 src1_sel:DWORD
	s_mov_b64 s[4:5], -1
                                        ; implicit-def: $sgpr10
	s_and_saveexec_b64 s[8:9], s[12:13]
; %bb.2778:
	s_mov_b32 s10, 0x7f800001
	s_xor_b64 s[4:5], exec, -1
; %bb.2779:
	s_or_b64 exec, exec, s[8:9]
	s_and_b64 s[4:5], s[4:5], exec
	s_or_saveexec_b64 s[6:7], s[6:7]
	v_mov_b32_e32 v2, s10
	s_xor_b64 exec, exec, s[6:7]
	s_cbranch_execz .LBB11_730
.LBB11_2780:
	v_mov_b32_e32 v2, 0
	v_cmp_ne_u16_sdwa s[8:9], v8, v2 src0_sel:BYTE_3 src1_sel:DWORD
	s_andn2_b64 s[4:5], s[4:5], exec
	s_and_b64 s[8:9], s[8:9], exec
	s_or_b64 s[4:5], s[4:5], s[8:9]
	s_or_b64 exec, exec, s[6:7]
	s_and_saveexec_b64 s[6:7], s[4:5]
	s_cbranch_execnz .LBB11_731
	s_branch .LBB11_732
.LBB11_2781:
	s_movk_i32 s4, 0x80
	v_cmp_eq_u16_sdwa s[12:13], v4, s4 src0_sel:BYTE_3 src1_sel:DWORD
	s_mov_b64 s[4:5], -1
                                        ; implicit-def: $sgpr10
	s_and_saveexec_b64 s[8:9], s[12:13]
; %bb.2782:
	s_mov_b32 s10, 0x7f800001
	s_xor_b64 s[4:5], exec, -1
; %bb.2783:
	s_or_b64 exec, exec, s[8:9]
	s_and_b64 s[4:5], s[4:5], exec
	s_or_saveexec_b64 s[6:7], s[6:7]
	v_mov_b32_e32 v3, s10
	s_xor_b64 exec, exec, s[6:7]
	s_cbranch_execz .LBB11_734
.LBB11_2784:
	v_mov_b32_e32 v3, 0
	v_cmp_ne_u16_sdwa s[8:9], v4, v3 src0_sel:BYTE_3 src1_sel:DWORD
	s_andn2_b64 s[4:5], s[4:5], exec
	s_and_b64 s[8:9], s[8:9], exec
	s_or_b64 s[4:5], s[4:5], s[8:9]
	s_or_b64 exec, exec, s[6:7]
	s_and_saveexec_b64 s[6:7], s[4:5]
	s_cbranch_execnz .LBB11_735
	s_branch .LBB11_736
.LBB11_2785:
	s_movk_i32 s4, 0x80
	v_cmp_eq_u16_sdwa s[12:13], v9, s4 src0_sel:BYTE_0 src1_sel:DWORD
	s_mov_b64 s[4:5], -1
                                        ; implicit-def: $sgpr10
	s_and_saveexec_b64 s[8:9], s[12:13]
; %bb.2786:
	s_mov_b32 s10, 0x7f800001
	s_xor_b64 s[4:5], exec, -1
; %bb.2787:
	s_or_b64 exec, exec, s[8:9]
	s_and_b64 s[4:5], s[4:5], exec
	s_or_saveexec_b64 s[6:7], s[6:7]
	v_mov_b32_e32 v2, s10
	s_xor_b64 exec, exec, s[6:7]
	s_cbranch_execz .LBB11_738
.LBB11_2788:
	v_mov_b32_e32 v2, 0
	v_cmp_ne_u16_sdwa s[8:9], v9, v2 src0_sel:BYTE_0 src1_sel:DWORD
	s_andn2_b64 s[4:5], s[4:5], exec
	s_and_b64 s[8:9], s[8:9], exec
	s_or_b64 s[4:5], s[4:5], s[8:9]
	s_or_b64 exec, exec, s[6:7]
	s_and_saveexec_b64 s[6:7], s[4:5]
	s_cbranch_execnz .LBB11_739
	s_branch .LBB11_740
.LBB11_2789:
	s_movk_i32 s4, 0x80
	v_cmp_eq_u16_sdwa s[12:13], v5, s4 src0_sel:BYTE_0 src1_sel:DWORD
	s_mov_b64 s[4:5], -1
                                        ; implicit-def: $sgpr10
	s_and_saveexec_b64 s[8:9], s[12:13]
; %bb.2790:
	s_mov_b32 s10, 0x7f800001
	s_xor_b64 s[4:5], exec, -1
; %bb.2791:
	s_or_b64 exec, exec, s[8:9]
	s_and_b64 s[4:5], s[4:5], exec
	s_or_saveexec_b64 s[6:7], s[6:7]
	v_mov_b32_e32 v3, s10
	s_xor_b64 exec, exec, s[6:7]
	s_cbranch_execz .LBB11_742
.LBB11_2792:
	v_mov_b32_e32 v3, 0
	v_cmp_ne_u16_sdwa s[8:9], v5, v3 src0_sel:BYTE_0 src1_sel:DWORD
	s_andn2_b64 s[4:5], s[4:5], exec
	s_and_b64 s[8:9], s[8:9], exec
	s_or_b64 s[4:5], s[4:5], s[8:9]
	s_or_b64 exec, exec, s[6:7]
	s_and_saveexec_b64 s[6:7], s[4:5]
	s_cbranch_execnz .LBB11_743
	s_branch .LBB11_744
.LBB11_2793:
	s_movk_i32 s4, 0x80
	v_cmp_eq_u16_sdwa s[12:13], v3, s4 src0_sel:BYTE_0 src1_sel:DWORD
	s_mov_b64 s[4:5], -1
                                        ; implicit-def: $sgpr10
	s_and_saveexec_b64 s[8:9], s[12:13]
; %bb.2794:
	s_mov_b32 s10, 0x7f800001
	s_xor_b64 s[4:5], exec, -1
; %bb.2795:
	s_or_b64 exec, exec, s[8:9]
	s_and_b64 s[4:5], s[4:5], exec
	s_or_saveexec_b64 s[6:7], s[6:7]
	v_mov_b32_e32 v2, s10
	s_xor_b64 exec, exec, s[6:7]
	s_cbranch_execz .LBB11_746
.LBB11_2796:
	v_mov_b32_e32 v2, 0
	v_cmp_ne_u16_sdwa s[8:9], v3, v2 src0_sel:BYTE_0 src1_sel:DWORD
	s_andn2_b64 s[4:5], s[4:5], exec
	s_and_b64 s[8:9], s[8:9], exec
	s_or_b64 s[4:5], s[4:5], s[8:9]
	s_or_b64 exec, exec, s[6:7]
	s_and_saveexec_b64 s[6:7], s[4:5]
	s_cbranch_execnz .LBB11_747
	s_branch .LBB11_748
.LBB11_2797:
	s_movk_i32 s4, 0x80
	v_cmp_eq_u16_sdwa s[12:13], v3, s4 src0_sel:BYTE_0 src1_sel:DWORD
	s_mov_b64 s[4:5], -1
                                        ; implicit-def: $sgpr10
	s_and_saveexec_b64 s[8:9], s[12:13]
; %bb.2798:
	s_mov_b32 s10, 0x7f800001
	s_xor_b64 s[4:5], exec, -1
; %bb.2799:
	s_or_b64 exec, exec, s[8:9]
	s_and_b64 s[4:5], s[4:5], exec
	s_or_saveexec_b64 s[6:7], s[6:7]
	v_mov_b32_e32 v4, s10
	s_xor_b64 exec, exec, s[6:7]
	s_cbranch_execz .LBB11_750
.LBB11_2800:
	v_mov_b32_e32 v4, 0
	v_cmp_ne_u16_sdwa s[8:9], v3, v4 src0_sel:BYTE_0 src1_sel:DWORD
	s_andn2_b64 s[4:5], s[4:5], exec
	s_and_b64 s[8:9], s[8:9], exec
	s_or_b64 s[4:5], s[4:5], s[8:9]
	s_or_b64 exec, exec, s[6:7]
	s_and_saveexec_b64 s[6:7], s[4:5]
	s_cbranch_execnz .LBB11_751
	s_branch .LBB11_752
.LBB11_2801:
	s_movk_i32 s4, 0x80
	v_cmp_eq_u16_e32 vcc, s4, v3
	s_mov_b64 s[4:5], -1
                                        ; implicit-def: $sgpr10
	s_and_saveexec_b64 s[8:9], vcc
; %bb.2802:
	s_mov_b32 s10, 0x7f800001
	s_xor_b64 s[4:5], exec, -1
; %bb.2803:
	s_or_b64 exec, exec, s[8:9]
	s_and_b64 s[4:5], s[4:5], exec
                                        ; implicit-def: $vgpr3
	s_or_saveexec_b64 s[6:7], s[6:7]
	v_mov_b32_e32 v2, s10
	s_xor_b64 exec, exec, s[6:7]
	s_cbranch_execz .LBB11_754
.LBB11_2804:
	v_cmp_ne_u16_e32 vcc, 0, v3
	s_andn2_b64 s[4:5], s[4:5], exec
	s_and_b64 s[8:9], vcc, exec
	v_mov_b32_e32 v2, 0
	s_or_b64 s[4:5], s[4:5], s[8:9]
	s_or_b64 exec, exec, s[6:7]
	s_and_saveexec_b64 s[6:7], s[4:5]
	s_cbranch_execnz .LBB11_755
	s_branch .LBB11_756
.LBB11_2805:
	s_movk_i32 s4, 0x80
	v_cmp_eq_u16_e32 vcc, s4, v3
	s_mov_b64 s[4:5], -1
                                        ; implicit-def: $sgpr10
	s_and_saveexec_b64 s[8:9], vcc
; %bb.2806:
	s_mov_b32 s10, 0x7f800001
	s_xor_b64 s[4:5], exec, -1
; %bb.2807:
	s_or_b64 exec, exec, s[8:9]
	s_and_b64 s[4:5], s[4:5], exec
                                        ; implicit-def: $vgpr3
	s_or_saveexec_b64 s[6:7], s[6:7]
	v_mov_b32_e32 v4, s10
	s_xor_b64 exec, exec, s[6:7]
	s_cbranch_execz .LBB11_758
.LBB11_2808:
	v_cmp_ne_u16_e32 vcc, 0, v3
	s_andn2_b64 s[4:5], s[4:5], exec
	s_and_b64 s[8:9], vcc, exec
	v_mov_b32_e32 v4, 0
	s_or_b64 s[4:5], s[4:5], s[8:9]
	s_or_b64 exec, exec, s[6:7]
	s_and_saveexec_b64 s[6:7], s[4:5]
	s_cbranch_execnz .LBB11_759
	s_branch .LBB11_760
.LBB11_2809:
	s_movk_i32 s4, 0x80
	v_cmp_eq_u16_sdwa s[12:13], v9, s4 src0_sel:BYTE_3 src1_sel:DWORD
	s_mov_b64 s[4:5], -1
                                        ; implicit-def: $sgpr10
	s_and_saveexec_b64 s[8:9], s[12:13]
; %bb.2810:
	s_mov_b32 s10, 0x7f800001
	s_xor_b64 s[4:5], exec, -1
; %bb.2811:
	s_or_b64 exec, exec, s[8:9]
	s_and_b64 s[4:5], s[4:5], exec
	s_or_saveexec_b64 s[6:7], s[6:7]
	v_mov_b32_e32 v2, s10
	s_xor_b64 exec, exec, s[6:7]
	s_cbranch_execz .LBB11_762
.LBB11_2812:
	v_mov_b32_e32 v2, 0
	v_cmp_ne_u16_sdwa s[8:9], v9, v2 src0_sel:BYTE_3 src1_sel:DWORD
	s_andn2_b64 s[4:5], s[4:5], exec
	s_and_b64 s[8:9], s[8:9], exec
	s_or_b64 s[4:5], s[4:5], s[8:9]
	s_or_b64 exec, exec, s[6:7]
	s_and_saveexec_b64 s[6:7], s[4:5]
	s_cbranch_execnz .LBB11_763
	s_branch .LBB11_764
.LBB11_2813:
	s_movk_i32 s4, 0x80
	v_cmp_eq_u16_sdwa s[12:13], v5, s4 src0_sel:BYTE_3 src1_sel:DWORD
	s_mov_b64 s[4:5], -1
                                        ; implicit-def: $sgpr10
	s_and_saveexec_b64 s[8:9], s[12:13]
; %bb.2814:
	s_mov_b32 s10, 0x7f800001
	s_xor_b64 s[4:5], exec, -1
; %bb.2815:
	s_or_b64 exec, exec, s[8:9]
	s_and_b64 s[4:5], s[4:5], exec
	s_or_saveexec_b64 s[6:7], s[6:7]
	v_mov_b32_e32 v3, s10
	s_xor_b64 exec, exec, s[6:7]
	s_cbranch_execz .LBB11_766
.LBB11_2816:
	v_mov_b32_e32 v3, 0
	v_cmp_ne_u16_sdwa s[8:9], v5, v3 src0_sel:BYTE_3 src1_sel:DWORD
	s_andn2_b64 s[4:5], s[4:5], exec
	s_and_b64 s[8:9], s[8:9], exec
	s_or_b64 s[4:5], s[4:5], s[8:9]
	s_or_b64 exec, exec, s[6:7]
	s_and_saveexec_b64 s[6:7], s[4:5]
	s_cbranch_execnz .LBB11_767
	s_branch .LBB11_768
.LBB11_2817:
	s_movk_i32 s4, 0x80
	v_cmp_eq_u16_sdwa s[12:13], v6, s4 src0_sel:BYTE_0 src1_sel:DWORD
	s_mov_b64 s[4:5], -1
                                        ; implicit-def: $sgpr10
	s_and_saveexec_b64 s[8:9], s[12:13]
; %bb.2818:
	s_mov_b32 s10, 0x7f800001
	s_xor_b64 s[4:5], exec, -1
; %bb.2819:
	s_or_b64 exec, exec, s[8:9]
	s_and_b64 s[4:5], s[4:5], exec
	s_or_saveexec_b64 s[6:7], s[6:7]
	v_mov_b32_e32 v12, s10
	s_xor_b64 exec, exec, s[6:7]
	s_cbranch_execz .LBB11_770
.LBB11_2820:
	v_mov_b32_e32 v12, 0
	v_cmp_ne_u16_sdwa s[8:9], v6, v12 src0_sel:BYTE_0 src1_sel:DWORD
	s_andn2_b64 s[4:5], s[4:5], exec
	s_and_b64 s[8:9], s[8:9], exec
	s_or_b64 s[4:5], s[4:5], s[8:9]
	s_or_b64 exec, exec, s[6:7]
	s_and_saveexec_b64 s[6:7], s[4:5]
	s_cbranch_execnz .LBB11_771
	s_branch .LBB11_772
.LBB11_2821:
	s_movk_i32 s4, 0x80
	v_cmp_eq_u16_sdwa s[12:13], v2, s4 src0_sel:BYTE_0 src1_sel:DWORD
	s_mov_b64 s[4:5], -1
                                        ; implicit-def: $sgpr10
	s_and_saveexec_b64 s[8:9], s[12:13]
; %bb.2822:
	s_mov_b32 s10, 0x7f800001
	s_xor_b64 s[4:5], exec, -1
; %bb.2823:
	s_or_b64 exec, exec, s[8:9]
	s_and_b64 s[4:5], s[4:5], exec
	s_or_saveexec_b64 s[6:7], s[6:7]
	v_mov_b32_e32 v13, s10
	s_xor_b64 exec, exec, s[6:7]
	s_cbranch_execz .LBB11_774
.LBB11_2824:
	v_mov_b32_e32 v13, 0
	v_cmp_ne_u16_sdwa s[8:9], v2, v13 src0_sel:BYTE_0 src1_sel:DWORD
	s_andn2_b64 s[4:5], s[4:5], exec
	s_and_b64 s[8:9], s[8:9], exec
	s_or_b64 s[4:5], s[4:5], s[8:9]
	s_or_b64 exec, exec, s[6:7]
	s_and_saveexec_b64 s[6:7], s[4:5]
	s_cbranch_execnz .LBB11_775
	s_branch .LBB11_776
.LBB11_2825:
	s_movk_i32 s4, 0x80
	v_cmp_eq_u16_sdwa s[12:13], v13, s4 src0_sel:BYTE_0 src1_sel:DWORD
	s_mov_b64 s[4:5], -1
                                        ; implicit-def: $sgpr10
	s_and_saveexec_b64 s[8:9], s[12:13]
; %bb.2826:
	s_mov_b32 s10, 0x7f800001
	s_xor_b64 s[4:5], exec, -1
; %bb.2827:
	s_or_b64 exec, exec, s[8:9]
	s_and_b64 s[4:5], s[4:5], exec
	s_or_saveexec_b64 s[6:7], s[6:7]
	v_mov_b32_e32 v12, s10
	s_xor_b64 exec, exec, s[6:7]
	s_cbranch_execz .LBB11_778
.LBB11_2828:
	v_mov_b32_e32 v12, 0
	v_cmp_ne_u16_sdwa s[8:9], v13, v12 src0_sel:BYTE_0 src1_sel:DWORD
	s_andn2_b64 s[4:5], s[4:5], exec
	s_and_b64 s[8:9], s[8:9], exec
	s_or_b64 s[4:5], s[4:5], s[8:9]
	s_or_b64 exec, exec, s[6:7]
	s_and_saveexec_b64 s[6:7], s[4:5]
	s_cbranch_execnz .LBB11_779
	s_branch .LBB11_780
.LBB11_2829:
	s_movk_i32 s4, 0x80
	v_cmp_eq_u16_sdwa s[12:13], v13, s4 src0_sel:BYTE_0 src1_sel:DWORD
	s_mov_b64 s[4:5], -1
                                        ; implicit-def: $sgpr10
	s_and_saveexec_b64 s[8:9], s[12:13]
; %bb.2830:
	s_mov_b32 s10, 0x7f800001
	s_xor_b64 s[4:5], exec, -1
; %bb.2831:
	s_or_b64 exec, exec, s[8:9]
	s_and_b64 s[4:5], s[4:5], exec
	s_or_saveexec_b64 s[6:7], s[6:7]
	v_mov_b32_e32 v14, s10
	s_xor_b64 exec, exec, s[6:7]
	s_cbranch_execz .LBB11_782
.LBB11_2832:
	v_mov_b32_e32 v14, 0
	v_cmp_ne_u16_sdwa s[8:9], v13, v14 src0_sel:BYTE_0 src1_sel:DWORD
	s_andn2_b64 s[4:5], s[4:5], exec
	s_and_b64 s[8:9], s[8:9], exec
	s_or_b64 s[4:5], s[4:5], s[8:9]
	s_or_b64 exec, exec, s[6:7]
	s_and_saveexec_b64 s[6:7], s[4:5]
	s_cbranch_execnz .LBB11_783
	s_branch .LBB11_784
.LBB11_2833:
	s_movk_i32 s4, 0x80
	v_cmp_eq_u16_e32 vcc, s4, v13
	s_mov_b64 s[4:5], -1
                                        ; implicit-def: $sgpr10
	s_and_saveexec_b64 s[8:9], vcc
; %bb.2834:
	s_mov_b32 s10, 0x7f800001
	s_xor_b64 s[4:5], exec, -1
; %bb.2835:
	s_or_b64 exec, exec, s[8:9]
	s_and_b64 s[4:5], s[4:5], exec
                                        ; implicit-def: $vgpr13
	s_or_saveexec_b64 s[6:7], s[6:7]
	v_mov_b32_e32 v12, s10
	s_xor_b64 exec, exec, s[6:7]
	s_cbranch_execz .LBB11_786
.LBB11_2836:
	v_cmp_ne_u16_e32 vcc, 0, v13
	s_andn2_b64 s[4:5], s[4:5], exec
	s_and_b64 s[8:9], vcc, exec
	v_mov_b32_e32 v12, 0
	s_or_b64 s[4:5], s[4:5], s[8:9]
	s_or_b64 exec, exec, s[6:7]
	s_and_saveexec_b64 s[6:7], s[4:5]
	s_cbranch_execnz .LBB11_787
	s_branch .LBB11_788
.LBB11_2837:
	s_movk_i32 s4, 0x80
	v_cmp_eq_u16_e32 vcc, s4, v13
	s_mov_b64 s[4:5], -1
                                        ; implicit-def: $sgpr10
	s_and_saveexec_b64 s[8:9], vcc
; %bb.2838:
	s_mov_b32 s10, 0x7f800001
	s_xor_b64 s[4:5], exec, -1
; %bb.2839:
	s_or_b64 exec, exec, s[8:9]
	s_and_b64 s[4:5], s[4:5], exec
                                        ; implicit-def: $vgpr13
	s_or_saveexec_b64 s[6:7], s[6:7]
	v_mov_b32_e32 v14, s10
	s_xor_b64 exec, exec, s[6:7]
	s_cbranch_execz .LBB11_790
.LBB11_2840:
	v_cmp_ne_u16_e32 vcc, 0, v13
	s_andn2_b64 s[4:5], s[4:5], exec
	s_and_b64 s[8:9], vcc, exec
	v_mov_b32_e32 v14, 0
	s_or_b64 s[4:5], s[4:5], s[8:9]
	s_or_b64 exec, exec, s[6:7]
	s_and_saveexec_b64 s[6:7], s[4:5]
	s_cbranch_execnz .LBB11_791
	s_branch .LBB11_792
.LBB11_2841:
	s_movk_i32 s4, 0x80
	v_cmp_eq_u16_sdwa s[12:13], v6, s4 src0_sel:BYTE_3 src1_sel:DWORD
	s_mov_b64 s[4:5], -1
                                        ; implicit-def: $sgpr10
	s_and_saveexec_b64 s[8:9], s[12:13]
; %bb.2842:
	s_mov_b32 s10, 0x7f800001
	s_xor_b64 s[4:5], exec, -1
; %bb.2843:
	s_or_b64 exec, exec, s[8:9]
	s_and_b64 s[4:5], s[4:5], exec
	s_or_saveexec_b64 s[6:7], s[6:7]
	v_mov_b32_e32 v12, s10
	s_xor_b64 exec, exec, s[6:7]
	s_cbranch_execz .LBB11_794
.LBB11_2844:
	v_mov_b32_e32 v12, 0
	v_cmp_ne_u16_sdwa s[8:9], v6, v12 src0_sel:BYTE_3 src1_sel:DWORD
	s_andn2_b64 s[4:5], s[4:5], exec
	s_and_b64 s[8:9], s[8:9], exec
	s_or_b64 s[4:5], s[4:5], s[8:9]
	s_or_b64 exec, exec, s[6:7]
	s_and_saveexec_b64 s[6:7], s[4:5]
	s_cbranch_execnz .LBB11_795
	s_branch .LBB11_796
.LBB11_2845:
	s_movk_i32 s4, 0x80
	v_cmp_eq_u16_sdwa s[12:13], v2, s4 src0_sel:BYTE_3 src1_sel:DWORD
	s_mov_b64 s[4:5], -1
                                        ; implicit-def: $sgpr10
	s_and_saveexec_b64 s[8:9], s[12:13]
; %bb.2846:
	s_mov_b32 s10, 0x7f800001
	s_xor_b64 s[4:5], exec, -1
; %bb.2847:
	s_or_b64 exec, exec, s[8:9]
	s_and_b64 s[4:5], s[4:5], exec
	s_or_saveexec_b64 s[6:7], s[6:7]
	v_mov_b32_e32 v6, s10
	s_xor_b64 exec, exec, s[6:7]
	s_cbranch_execz .LBB11_798
.LBB11_2848:
	v_mov_b32_e32 v6, 0
	v_cmp_ne_u16_sdwa s[8:9], v2, v6 src0_sel:BYTE_3 src1_sel:DWORD
	s_andn2_b64 s[4:5], s[4:5], exec
	s_and_b64 s[8:9], s[8:9], exec
	s_or_b64 s[4:5], s[4:5], s[8:9]
	s_or_b64 exec, exec, s[6:7]
	s_and_saveexec_b64 s[6:7], s[4:5]
	s_cbranch_execnz .LBB11_799
	s_branch .LBB11_800
.LBB11_2849:
	s_movk_i32 s4, 0x80
	v_cmp_eq_u16_sdwa s[12:13], v7, s4 src0_sel:BYTE_0 src1_sel:DWORD
	s_mov_b64 s[4:5], -1
                                        ; implicit-def: $sgpr10
	s_and_saveexec_b64 s[8:9], s[12:13]
; %bb.2850:
	s_mov_b32 s10, 0x7f800001
	s_xor_b64 s[4:5], exec, -1
; %bb.2851:
	s_or_b64 exec, exec, s[8:9]
	s_and_b64 s[4:5], s[4:5], exec
	s_or_saveexec_b64 s[6:7], s[6:7]
	v_mov_b32_e32 v2, s10
	s_xor_b64 exec, exec, s[6:7]
	s_cbranch_execz .LBB11_802
.LBB11_2852:
	v_mov_b32_e32 v2, 0
	v_cmp_ne_u16_sdwa s[8:9], v7, v2 src0_sel:BYTE_0 src1_sel:DWORD
	s_andn2_b64 s[4:5], s[4:5], exec
	s_and_b64 s[8:9], s[8:9], exec
	s_or_b64 s[4:5], s[4:5], s[8:9]
	s_or_b64 exec, exec, s[6:7]
	s_and_saveexec_b64 s[6:7], s[4:5]
	s_cbranch_execnz .LBB11_803
	s_branch .LBB11_804
.LBB11_2853:
	s_movk_i32 s4, 0x80
	v_cmp_eq_u16_sdwa s[12:13], v3, s4 src0_sel:BYTE_0 src1_sel:DWORD
	s_mov_b64 s[4:5], -1
                                        ; implicit-def: $sgpr10
	s_and_saveexec_b64 s[8:9], s[12:13]
; %bb.2854:
	s_mov_b32 s10, 0x7f800001
	s_xor_b64 s[4:5], exec, -1
; %bb.2855:
	s_or_b64 exec, exec, s[8:9]
	s_and_b64 s[4:5], s[4:5], exec
	s_or_saveexec_b64 s[6:7], s[6:7]
	v_mov_b32_e32 v6, s10
	s_xor_b64 exec, exec, s[6:7]
	s_cbranch_execz .LBB11_806
.LBB11_2856:
	v_mov_b32_e32 v6, 0
	v_cmp_ne_u16_sdwa s[8:9], v3, v6 src0_sel:BYTE_0 src1_sel:DWORD
	s_andn2_b64 s[4:5], s[4:5], exec
	s_and_b64 s[8:9], s[8:9], exec
	s_or_b64 s[4:5], s[4:5], s[8:9]
	s_or_b64 exec, exec, s[6:7]
	s_and_saveexec_b64 s[6:7], s[4:5]
	s_cbranch_execnz .LBB11_807
	s_branch .LBB11_808
.LBB11_2857:
	s_movk_i32 s4, 0x80
	v_cmp_eq_u16_sdwa s[12:13], v6, s4 src0_sel:BYTE_0 src1_sel:DWORD
	s_mov_b64 s[4:5], -1
                                        ; implicit-def: $sgpr10
	s_and_saveexec_b64 s[8:9], s[12:13]
; %bb.2858:
	s_mov_b32 s10, 0x7f800001
	s_xor_b64 s[4:5], exec, -1
; %bb.2859:
	s_or_b64 exec, exec, s[8:9]
	s_and_b64 s[4:5], s[4:5], exec
	s_or_saveexec_b64 s[6:7], s[6:7]
	v_mov_b32_e32 v2, s10
	s_xor_b64 exec, exec, s[6:7]
	s_cbranch_execz .LBB11_810
.LBB11_2860:
	v_mov_b32_e32 v2, 0
	v_cmp_ne_u16_sdwa s[8:9], v6, v2 src0_sel:BYTE_0 src1_sel:DWORD
	s_andn2_b64 s[4:5], s[4:5], exec
	s_and_b64 s[8:9], s[8:9], exec
	s_or_b64 s[4:5], s[4:5], s[8:9]
	s_or_b64 exec, exec, s[6:7]
	s_and_saveexec_b64 s[6:7], s[4:5]
	s_cbranch_execnz .LBB11_811
	s_branch .LBB11_812
.LBB11_2861:
	s_movk_i32 s4, 0x80
	v_cmp_eq_u16_sdwa s[12:13], v6, s4 src0_sel:BYTE_0 src1_sel:DWORD
	s_mov_b64 s[4:5], -1
                                        ; implicit-def: $sgpr10
	s_and_saveexec_b64 s[8:9], s[12:13]
; %bb.2862:
	s_mov_b32 s10, 0x7f800001
	s_xor_b64 s[4:5], exec, -1
; %bb.2863:
	s_or_b64 exec, exec, s[8:9]
	s_and_b64 s[4:5], s[4:5], exec
	s_or_saveexec_b64 s[6:7], s[6:7]
	v_mov_b32_e32 v12, s10
	s_xor_b64 exec, exec, s[6:7]
	s_cbranch_execz .LBB11_814
.LBB11_2864:
	v_mov_b32_e32 v12, 0
	v_cmp_ne_u16_sdwa s[8:9], v6, v12 src0_sel:BYTE_0 src1_sel:DWORD
	s_andn2_b64 s[4:5], s[4:5], exec
	s_and_b64 s[8:9], s[8:9], exec
	s_or_b64 s[4:5], s[4:5], s[8:9]
	s_or_b64 exec, exec, s[6:7]
	s_and_saveexec_b64 s[6:7], s[4:5]
	s_cbranch_execnz .LBB11_815
	s_branch .LBB11_816
.LBB11_2865:
	s_movk_i32 s4, 0x80
	v_cmp_eq_u16_e32 vcc, s4, v6
	s_mov_b64 s[4:5], -1
                                        ; implicit-def: $sgpr10
	s_and_saveexec_b64 s[8:9], vcc
; %bb.2866:
	s_mov_b32 s10, 0x7f800001
	s_xor_b64 s[4:5], exec, -1
; %bb.2867:
	s_or_b64 exec, exec, s[8:9]
	s_and_b64 s[4:5], s[4:5], exec
                                        ; implicit-def: $vgpr6
	s_or_saveexec_b64 s[6:7], s[6:7]
	v_mov_b32_e32 v2, s10
	s_xor_b64 exec, exec, s[6:7]
	s_cbranch_execz .LBB11_818
.LBB11_2868:
	v_cmp_ne_u16_e32 vcc, 0, v6
	s_andn2_b64 s[4:5], s[4:5], exec
	s_and_b64 s[8:9], vcc, exec
	v_mov_b32_e32 v2, 0
	s_or_b64 s[4:5], s[4:5], s[8:9]
	s_or_b64 exec, exec, s[6:7]
	s_and_saveexec_b64 s[6:7], s[4:5]
	s_cbranch_execnz .LBB11_819
	s_branch .LBB11_820
.LBB11_2869:
	s_movk_i32 s4, 0x80
	v_cmp_eq_u16_e32 vcc, s4, v6
	s_mov_b64 s[4:5], -1
                                        ; implicit-def: $sgpr10
	s_and_saveexec_b64 s[8:9], vcc
; %bb.2870:
	s_mov_b32 s10, 0x7f800001
	s_xor_b64 s[4:5], exec, -1
; %bb.2871:
	s_or_b64 exec, exec, s[8:9]
	s_and_b64 s[4:5], s[4:5], exec
                                        ; implicit-def: $vgpr6
	s_or_saveexec_b64 s[6:7], s[6:7]
	v_mov_b32_e32 v12, s10
	s_xor_b64 exec, exec, s[6:7]
	s_cbranch_execz .LBB11_822
.LBB11_2872:
	v_cmp_ne_u16_e32 vcc, 0, v6
	s_andn2_b64 s[4:5], s[4:5], exec
	s_and_b64 s[8:9], vcc, exec
	v_mov_b32_e32 v12, 0
	s_or_b64 s[4:5], s[4:5], s[8:9]
	s_or_b64 exec, exec, s[6:7]
	s_and_saveexec_b64 s[6:7], s[4:5]
	s_cbranch_execnz .LBB11_823
	s_branch .LBB11_824
.LBB11_2873:
	s_movk_i32 s4, 0x80
	v_cmp_eq_u16_sdwa s[12:13], v7, s4 src0_sel:BYTE_3 src1_sel:DWORD
	s_mov_b64 s[4:5], -1
                                        ; implicit-def: $sgpr10
	s_and_saveexec_b64 s[8:9], s[12:13]
; %bb.2874:
	s_mov_b32 s10, 0x7f800001
	s_xor_b64 s[4:5], exec, -1
; %bb.2875:
	s_or_b64 exec, exec, s[8:9]
	s_and_b64 s[4:5], s[4:5], exec
	s_or_saveexec_b64 s[6:7], s[6:7]
	v_mov_b32_e32 v2, s10
	s_xor_b64 exec, exec, s[6:7]
	s_cbranch_execz .LBB11_826
.LBB11_2876:
	v_mov_b32_e32 v2, 0
	v_cmp_ne_u16_sdwa s[8:9], v7, v2 src0_sel:BYTE_3 src1_sel:DWORD
	s_andn2_b64 s[4:5], s[4:5], exec
	s_and_b64 s[8:9], s[8:9], exec
	s_or_b64 s[4:5], s[4:5], s[8:9]
	s_or_b64 exec, exec, s[6:7]
	s_and_saveexec_b64 s[6:7], s[4:5]
	s_cbranch_execnz .LBB11_827
	s_branch .LBB11_828
.LBB11_2877:
	s_movk_i32 s4, 0x80
	v_cmp_eq_u16_sdwa s[12:13], v3, s4 src0_sel:BYTE_3 src1_sel:DWORD
	s_mov_b64 s[4:5], -1
                                        ; implicit-def: $sgpr10
	s_and_saveexec_b64 s[8:9], s[12:13]
; %bb.2878:
	s_mov_b32 s10, 0x7f800001
	s_xor_b64 s[4:5], exec, -1
; %bb.2879:
	s_or_b64 exec, exec, s[8:9]
	s_and_b64 s[4:5], s[4:5], exec
	s_or_saveexec_b64 s[6:7], s[6:7]
	v_mov_b32_e32 v6, s10
	s_xor_b64 exec, exec, s[6:7]
	s_cbranch_execz .LBB11_830
.LBB11_2880:
	v_mov_b32_e32 v6, 0
	v_cmp_ne_u16_sdwa s[8:9], v3, v6 src0_sel:BYTE_3 src1_sel:DWORD
	s_andn2_b64 s[4:5], s[4:5], exec
	s_and_b64 s[8:9], s[8:9], exec
	s_or_b64 s[4:5], s[4:5], s[8:9]
	s_or_b64 exec, exec, s[6:7]
	s_and_saveexec_b64 s[6:7], s[4:5]
	s_cbranch_execnz .LBB11_831
	s_branch .LBB11_832
.LBB11_2881:
	s_movk_i32 s4, 0x80
	v_cmp_eq_u16_sdwa s[12:13], v8, s4 src0_sel:BYTE_0 src1_sel:DWORD
	s_mov_b64 s[4:5], -1
                                        ; implicit-def: $sgpr10
	s_and_saveexec_b64 s[8:9], s[12:13]
; %bb.2882:
	s_mov_b32 s10, 0x7f800001
	s_xor_b64 s[4:5], exec, -1
; %bb.2883:
	s_or_b64 exec, exec, s[8:9]
	s_and_b64 s[4:5], s[4:5], exec
	s_or_saveexec_b64 s[6:7], s[6:7]
	v_mov_b32_e32 v2, s10
	s_xor_b64 exec, exec, s[6:7]
	s_cbranch_execz .LBB11_834
.LBB11_2884:
	v_mov_b32_e32 v2, 0
	v_cmp_ne_u16_sdwa s[8:9], v8, v2 src0_sel:BYTE_0 src1_sel:DWORD
	s_andn2_b64 s[4:5], s[4:5], exec
	s_and_b64 s[8:9], s[8:9], exec
	s_or_b64 s[4:5], s[4:5], s[8:9]
	s_or_b64 exec, exec, s[6:7]
	s_and_saveexec_b64 s[6:7], s[4:5]
	s_cbranch_execnz .LBB11_835
	s_branch .LBB11_836
.LBB11_2885:
	s_movk_i32 s4, 0x80
	v_cmp_eq_u16_sdwa s[12:13], v4, s4 src0_sel:BYTE_0 src1_sel:DWORD
	s_mov_b64 s[4:5], -1
                                        ; implicit-def: $sgpr10
	s_and_saveexec_b64 s[8:9], s[12:13]
; %bb.2886:
	s_mov_b32 s10, 0x7f800001
	s_xor_b64 s[4:5], exec, -1
; %bb.2887:
	s_or_b64 exec, exec, s[8:9]
	s_and_b64 s[4:5], s[4:5], exec
	s_or_saveexec_b64 s[6:7], s[6:7]
	v_mov_b32_e32 v3, s10
	s_xor_b64 exec, exec, s[6:7]
	s_cbranch_execz .LBB11_838
.LBB11_2888:
	v_mov_b32_e32 v3, 0
	v_cmp_ne_u16_sdwa s[8:9], v4, v3 src0_sel:BYTE_0 src1_sel:DWORD
	s_andn2_b64 s[4:5], s[4:5], exec
	s_and_b64 s[8:9], s[8:9], exec
	s_or_b64 s[4:5], s[4:5], s[8:9]
	s_or_b64 exec, exec, s[6:7]
	s_and_saveexec_b64 s[6:7], s[4:5]
	s_cbranch_execnz .LBB11_839
	s_branch .LBB11_840
.LBB11_2889:
	s_movk_i32 s4, 0x80
	v_cmp_eq_u16_sdwa s[12:13], v3, s4 src0_sel:BYTE_0 src1_sel:DWORD
	s_mov_b64 s[4:5], -1
                                        ; implicit-def: $sgpr10
	s_and_saveexec_b64 s[8:9], s[12:13]
; %bb.2890:
	s_mov_b32 s10, 0x7f800001
	s_xor_b64 s[4:5], exec, -1
; %bb.2891:
	s_or_b64 exec, exec, s[8:9]
	s_and_b64 s[4:5], s[4:5], exec
	s_or_saveexec_b64 s[6:7], s[6:7]
	v_mov_b32_e32 v2, s10
	s_xor_b64 exec, exec, s[6:7]
	s_cbranch_execz .LBB11_842
.LBB11_2892:
	v_mov_b32_e32 v2, 0
	v_cmp_ne_u16_sdwa s[8:9], v3, v2 src0_sel:BYTE_0 src1_sel:DWORD
	s_andn2_b64 s[4:5], s[4:5], exec
	s_and_b64 s[8:9], s[8:9], exec
	s_or_b64 s[4:5], s[4:5], s[8:9]
	s_or_b64 exec, exec, s[6:7]
	s_and_saveexec_b64 s[6:7], s[4:5]
	s_cbranch_execnz .LBB11_843
	s_branch .LBB11_844
.LBB11_2893:
	s_movk_i32 s4, 0x80
	v_cmp_eq_u16_sdwa s[12:13], v3, s4 src0_sel:BYTE_0 src1_sel:DWORD
	s_mov_b64 s[4:5], -1
                                        ; implicit-def: $sgpr10
	s_and_saveexec_b64 s[8:9], s[12:13]
; %bb.2894:
	s_mov_b32 s10, 0x7f800001
	s_xor_b64 s[4:5], exec, -1
; %bb.2895:
	s_or_b64 exec, exec, s[8:9]
	s_and_b64 s[4:5], s[4:5], exec
	s_or_saveexec_b64 s[6:7], s[6:7]
	v_mov_b32_e32 v6, s10
	s_xor_b64 exec, exec, s[6:7]
	s_cbranch_execz .LBB11_846
.LBB11_2896:
	v_mov_b32_e32 v6, 0
	v_cmp_ne_u16_sdwa s[8:9], v3, v6 src0_sel:BYTE_0 src1_sel:DWORD
	s_andn2_b64 s[4:5], s[4:5], exec
	s_and_b64 s[8:9], s[8:9], exec
	s_or_b64 s[4:5], s[4:5], s[8:9]
	s_or_b64 exec, exec, s[6:7]
	s_and_saveexec_b64 s[6:7], s[4:5]
	s_cbranch_execnz .LBB11_847
	s_branch .LBB11_848
.LBB11_2897:
	s_movk_i32 s4, 0x80
	v_cmp_eq_u16_e32 vcc, s4, v3
	s_mov_b64 s[4:5], -1
                                        ; implicit-def: $sgpr10
	s_and_saveexec_b64 s[8:9], vcc
; %bb.2898:
	s_mov_b32 s10, 0x7f800001
	s_xor_b64 s[4:5], exec, -1
; %bb.2899:
	s_or_b64 exec, exec, s[8:9]
	s_and_b64 s[4:5], s[4:5], exec
                                        ; implicit-def: $vgpr3
	s_or_saveexec_b64 s[6:7], s[6:7]
	v_mov_b32_e32 v2, s10
	s_xor_b64 exec, exec, s[6:7]
	s_cbranch_execz .LBB11_850
.LBB11_2900:
	v_cmp_ne_u16_e32 vcc, 0, v3
	s_andn2_b64 s[4:5], s[4:5], exec
	s_and_b64 s[8:9], vcc, exec
	v_mov_b32_e32 v2, 0
	s_or_b64 s[4:5], s[4:5], s[8:9]
	s_or_b64 exec, exec, s[6:7]
	s_and_saveexec_b64 s[6:7], s[4:5]
	s_cbranch_execnz .LBB11_851
	s_branch .LBB11_852
.LBB11_2901:
	s_movk_i32 s4, 0x80
	v_cmp_eq_u16_e32 vcc, s4, v3
	s_mov_b64 s[4:5], -1
                                        ; implicit-def: $sgpr10
	s_and_saveexec_b64 s[8:9], vcc
; %bb.2902:
	s_mov_b32 s10, 0x7f800001
	s_xor_b64 s[4:5], exec, -1
; %bb.2903:
	s_or_b64 exec, exec, s[8:9]
	s_and_b64 s[4:5], s[4:5], exec
                                        ; implicit-def: $vgpr3
	s_or_saveexec_b64 s[6:7], s[6:7]
	v_mov_b32_e32 v6, s10
	s_xor_b64 exec, exec, s[6:7]
	s_cbranch_execz .LBB11_854
.LBB11_2904:
	v_cmp_ne_u16_e32 vcc, 0, v3
	s_andn2_b64 s[4:5], s[4:5], exec
	s_and_b64 s[8:9], vcc, exec
	v_mov_b32_e32 v6, 0
	s_or_b64 s[4:5], s[4:5], s[8:9]
	s_or_b64 exec, exec, s[6:7]
	s_and_saveexec_b64 s[6:7], s[4:5]
	s_cbranch_execnz .LBB11_855
	s_branch .LBB11_856
.LBB11_2905:
	s_movk_i32 s4, 0x80
	v_cmp_eq_u16_sdwa s[12:13], v8, s4 src0_sel:BYTE_3 src1_sel:DWORD
	s_mov_b64 s[4:5], -1
                                        ; implicit-def: $sgpr10
	s_and_saveexec_b64 s[8:9], s[12:13]
; %bb.2906:
	s_mov_b32 s10, 0x7f800001
	s_xor_b64 s[4:5], exec, -1
; %bb.2907:
	s_or_b64 exec, exec, s[8:9]
	s_and_b64 s[4:5], s[4:5], exec
	s_or_saveexec_b64 s[6:7], s[6:7]
	v_mov_b32_e32 v2, s10
	s_xor_b64 exec, exec, s[6:7]
	s_cbranch_execz .LBB11_858
.LBB11_2908:
	v_mov_b32_e32 v2, 0
	v_cmp_ne_u16_sdwa s[8:9], v8, v2 src0_sel:BYTE_3 src1_sel:DWORD
	s_andn2_b64 s[4:5], s[4:5], exec
	s_and_b64 s[8:9], s[8:9], exec
	s_or_b64 s[4:5], s[4:5], s[8:9]
	s_or_b64 exec, exec, s[6:7]
	s_and_saveexec_b64 s[6:7], s[4:5]
	s_cbranch_execnz .LBB11_859
	s_branch .LBB11_860
.LBB11_2909:
	s_movk_i32 s4, 0x80
	v_cmp_eq_u16_sdwa s[12:13], v4, s4 src0_sel:BYTE_3 src1_sel:DWORD
	s_mov_b64 s[4:5], -1
                                        ; implicit-def: $sgpr10
	s_and_saveexec_b64 s[8:9], s[12:13]
; %bb.2910:
	s_mov_b32 s10, 0x7f800001
	s_xor_b64 s[4:5], exec, -1
; %bb.2911:
	s_or_b64 exec, exec, s[8:9]
	s_and_b64 s[4:5], s[4:5], exec
	s_or_saveexec_b64 s[6:7], s[6:7]
	v_mov_b32_e32 v3, s10
	s_xor_b64 exec, exec, s[6:7]
	s_cbranch_execz .LBB11_862
.LBB11_2912:
	v_mov_b32_e32 v3, 0
	v_cmp_ne_u16_sdwa s[8:9], v4, v3 src0_sel:BYTE_3 src1_sel:DWORD
	s_andn2_b64 s[4:5], s[4:5], exec
	s_and_b64 s[8:9], s[8:9], exec
	s_or_b64 s[4:5], s[4:5], s[8:9]
	s_or_b64 exec, exec, s[6:7]
	s_and_saveexec_b64 s[6:7], s[4:5]
	s_cbranch_execnz .LBB11_863
	s_branch .LBB11_864
.LBB11_2913:
	s_movk_i32 s4, 0x80
	v_cmp_eq_u16_sdwa s[12:13], v9, s4 src0_sel:BYTE_0 src1_sel:DWORD
	s_mov_b64 s[4:5], -1
                                        ; implicit-def: $sgpr10
	s_and_saveexec_b64 s[8:9], s[12:13]
; %bb.2914:
	s_mov_b32 s10, 0x7f800001
	s_xor_b64 s[4:5], exec, -1
; %bb.2915:
	s_or_b64 exec, exec, s[8:9]
	s_and_b64 s[4:5], s[4:5], exec
	s_or_saveexec_b64 s[6:7], s[6:7]
	v_mov_b32_e32 v2, s10
	s_xor_b64 exec, exec, s[6:7]
	s_cbranch_execz .LBB11_866
.LBB11_2916:
	v_mov_b32_e32 v2, 0
	v_cmp_ne_u16_sdwa s[8:9], v9, v2 src0_sel:BYTE_0 src1_sel:DWORD
	s_andn2_b64 s[4:5], s[4:5], exec
	s_and_b64 s[8:9], s[8:9], exec
	s_or_b64 s[4:5], s[4:5], s[8:9]
	s_or_b64 exec, exec, s[6:7]
	s_and_saveexec_b64 s[6:7], s[4:5]
	s_cbranch_execnz .LBB11_867
	s_branch .LBB11_868
.LBB11_2917:
	s_movk_i32 s4, 0x80
	v_cmp_eq_u16_sdwa s[12:13], v5, s4 src0_sel:BYTE_0 src1_sel:DWORD
	s_mov_b64 s[4:5], -1
                                        ; implicit-def: $sgpr10
	s_and_saveexec_b64 s[8:9], s[12:13]
; %bb.2918:
	s_mov_b32 s10, 0x7f800001
	s_xor_b64 s[4:5], exec, -1
; %bb.2919:
	s_or_b64 exec, exec, s[8:9]
	s_and_b64 s[4:5], s[4:5], exec
	s_or_saveexec_b64 s[6:7], s[6:7]
	v_mov_b32_e32 v3, s10
	s_xor_b64 exec, exec, s[6:7]
	s_cbranch_execz .LBB11_870
.LBB11_2920:
	v_mov_b32_e32 v3, 0
	v_cmp_ne_u16_sdwa s[8:9], v5, v3 src0_sel:BYTE_0 src1_sel:DWORD
	s_andn2_b64 s[4:5], s[4:5], exec
	s_and_b64 s[8:9], s[8:9], exec
	s_or_b64 s[4:5], s[4:5], s[8:9]
	s_or_b64 exec, exec, s[6:7]
	s_and_saveexec_b64 s[6:7], s[4:5]
	s_cbranch_execnz .LBB11_871
	s_branch .LBB11_872
.LBB11_2921:
	s_movk_i32 s4, 0x80
	v_cmp_eq_u16_sdwa s[12:13], v3, s4 src0_sel:BYTE_0 src1_sel:DWORD
	s_mov_b64 s[4:5], -1
                                        ; implicit-def: $sgpr10
	s_and_saveexec_b64 s[8:9], s[12:13]
; %bb.2922:
	s_mov_b32 s10, 0x7f800001
	s_xor_b64 s[4:5], exec, -1
; %bb.2923:
	s_or_b64 exec, exec, s[8:9]
	s_and_b64 s[4:5], s[4:5], exec
	s_or_saveexec_b64 s[6:7], s[6:7]
	v_mov_b32_e32 v2, s10
	s_xor_b64 exec, exec, s[6:7]
	s_cbranch_execz .LBB11_874
.LBB11_2924:
	v_mov_b32_e32 v2, 0
	v_cmp_ne_u16_sdwa s[8:9], v3, v2 src0_sel:BYTE_0 src1_sel:DWORD
	s_andn2_b64 s[4:5], s[4:5], exec
	s_and_b64 s[8:9], s[8:9], exec
	s_or_b64 s[4:5], s[4:5], s[8:9]
	s_or_b64 exec, exec, s[6:7]
	s_and_saveexec_b64 s[6:7], s[4:5]
	s_cbranch_execnz .LBB11_875
	s_branch .LBB11_876
.LBB11_2925:
	s_movk_i32 s4, 0x80
	v_cmp_eq_u16_sdwa s[12:13], v3, s4 src0_sel:BYTE_0 src1_sel:DWORD
	s_mov_b64 s[4:5], -1
                                        ; implicit-def: $sgpr10
	s_and_saveexec_b64 s[8:9], s[12:13]
; %bb.2926:
	s_mov_b32 s10, 0x7f800001
	s_xor_b64 s[4:5], exec, -1
; %bb.2927:
	s_or_b64 exec, exec, s[8:9]
	s_and_b64 s[4:5], s[4:5], exec
	s_or_saveexec_b64 s[6:7], s[6:7]
	v_mov_b32_e32 v4, s10
	s_xor_b64 exec, exec, s[6:7]
	s_cbranch_execz .LBB11_878
.LBB11_2928:
	v_mov_b32_e32 v4, 0
	v_cmp_ne_u16_sdwa s[8:9], v3, v4 src0_sel:BYTE_0 src1_sel:DWORD
	s_andn2_b64 s[4:5], s[4:5], exec
	s_and_b64 s[8:9], s[8:9], exec
	s_or_b64 s[4:5], s[4:5], s[8:9]
	s_or_b64 exec, exec, s[6:7]
	s_and_saveexec_b64 s[6:7], s[4:5]
	s_cbranch_execnz .LBB11_879
	s_branch .LBB11_880
.LBB11_2929:
	s_movk_i32 s4, 0x80
	v_cmp_eq_u16_e32 vcc, s4, v3
	s_mov_b64 s[4:5], -1
                                        ; implicit-def: $sgpr10
	s_and_saveexec_b64 s[8:9], vcc
; %bb.2930:
	s_mov_b32 s10, 0x7f800001
	s_xor_b64 s[4:5], exec, -1
; %bb.2931:
	s_or_b64 exec, exec, s[8:9]
	s_and_b64 s[4:5], s[4:5], exec
                                        ; implicit-def: $vgpr3
	s_or_saveexec_b64 s[6:7], s[6:7]
	v_mov_b32_e32 v2, s10
	s_xor_b64 exec, exec, s[6:7]
	s_cbranch_execz .LBB11_882
.LBB11_2932:
	v_cmp_ne_u16_e32 vcc, 0, v3
	s_andn2_b64 s[4:5], s[4:5], exec
	s_and_b64 s[8:9], vcc, exec
	v_mov_b32_e32 v2, 0
	s_or_b64 s[4:5], s[4:5], s[8:9]
	s_or_b64 exec, exec, s[6:7]
	s_and_saveexec_b64 s[6:7], s[4:5]
	s_cbranch_execnz .LBB11_883
	s_branch .LBB11_884
.LBB11_2933:
	s_movk_i32 s4, 0x80
	v_cmp_eq_u16_e32 vcc, s4, v3
	s_mov_b64 s[4:5], -1
                                        ; implicit-def: $sgpr10
	s_and_saveexec_b64 s[8:9], vcc
; %bb.2934:
	s_mov_b32 s10, 0x7f800001
	s_xor_b64 s[4:5], exec, -1
; %bb.2935:
	s_or_b64 exec, exec, s[8:9]
	s_and_b64 s[4:5], s[4:5], exec
                                        ; implicit-def: $vgpr3
	s_or_saveexec_b64 s[6:7], s[6:7]
	v_mov_b32_e32 v4, s10
	s_xor_b64 exec, exec, s[6:7]
	s_cbranch_execz .LBB11_886
.LBB11_2936:
	v_cmp_ne_u16_e32 vcc, 0, v3
	s_andn2_b64 s[4:5], s[4:5], exec
	s_and_b64 s[8:9], vcc, exec
	v_mov_b32_e32 v4, 0
	s_or_b64 s[4:5], s[4:5], s[8:9]
	s_or_b64 exec, exec, s[6:7]
	s_and_saveexec_b64 s[6:7], s[4:5]
	s_cbranch_execnz .LBB11_887
	s_branch .LBB11_888
.LBB11_2937:
	s_movk_i32 s4, 0x80
	v_cmp_eq_u16_sdwa s[12:13], v9, s4 src0_sel:BYTE_3 src1_sel:DWORD
	s_mov_b64 s[4:5], -1
                                        ; implicit-def: $sgpr10
	s_and_saveexec_b64 s[8:9], s[12:13]
; %bb.2938:
	s_mov_b32 s10, 0x7f800001
	s_xor_b64 s[4:5], exec, -1
; %bb.2939:
	s_or_b64 exec, exec, s[8:9]
	s_and_b64 s[4:5], s[4:5], exec
	s_or_saveexec_b64 s[6:7], s[6:7]
	v_mov_b32_e32 v2, s10
	s_xor_b64 exec, exec, s[6:7]
	s_cbranch_execz .LBB11_890
.LBB11_2940:
	v_mov_b32_e32 v2, 0
	v_cmp_ne_u16_sdwa s[8:9], v9, v2 src0_sel:BYTE_3 src1_sel:DWORD
	s_andn2_b64 s[4:5], s[4:5], exec
	s_and_b64 s[8:9], s[8:9], exec
	s_or_b64 s[4:5], s[4:5], s[8:9]
	s_or_b64 exec, exec, s[6:7]
	s_and_saveexec_b64 s[6:7], s[4:5]
	s_cbranch_execnz .LBB11_891
	s_branch .LBB11_892
.LBB11_2941:
	s_movk_i32 s4, 0x80
	v_cmp_eq_u16_sdwa s[12:13], v5, s4 src0_sel:BYTE_3 src1_sel:DWORD
	s_mov_b64 s[4:5], -1
                                        ; implicit-def: $sgpr10
	s_and_saveexec_b64 s[8:9], s[12:13]
; %bb.2942:
	s_mov_b32 s10, 0x7f800001
	s_xor_b64 s[4:5], exec, -1
; %bb.2943:
	s_or_b64 exec, exec, s[8:9]
	s_and_b64 s[4:5], s[4:5], exec
	s_or_saveexec_b64 s[6:7], s[6:7]
	v_mov_b32_e32 v3, s10
	s_xor_b64 exec, exec, s[6:7]
	s_cbranch_execz .LBB11_894
.LBB11_2944:
	v_mov_b32_e32 v3, 0
	v_cmp_ne_u16_sdwa s[8:9], v5, v3 src0_sel:BYTE_3 src1_sel:DWORD
	s_andn2_b64 s[4:5], s[4:5], exec
	s_and_b64 s[8:9], s[8:9], exec
	s_or_b64 s[4:5], s[4:5], s[8:9]
	s_or_b64 exec, exec, s[6:7]
	s_and_saveexec_b64 s[6:7], s[4:5]
	s_cbranch_execnz .LBB11_895
	s_branch .LBB11_896
.LBB11_2945:
	s_movk_i32 s4, 0x80
	v_cmp_eq_u16_sdwa s[12:13], v6, s4 src0_sel:BYTE_0 src1_sel:DWORD
	s_mov_b64 s[4:5], -1
                                        ; implicit-def: $sgpr10
	s_and_saveexec_b64 s[8:9], s[12:13]
; %bb.2946:
	s_mov_b32 s10, 0x7f800001
	s_xor_b64 s[4:5], exec, -1
; %bb.2947:
	s_or_b64 exec, exec, s[8:9]
	s_and_b64 s[4:5], s[4:5], exec
	s_or_saveexec_b64 s[6:7], s[6:7]
	v_mov_b32_e32 v12, s10
	s_xor_b64 exec, exec, s[6:7]
	s_cbranch_execz .LBB11_898
.LBB11_2948:
	v_mov_b32_e32 v12, 0
	v_cmp_ne_u16_sdwa s[8:9], v6, v12 src0_sel:BYTE_0 src1_sel:DWORD
	s_andn2_b64 s[4:5], s[4:5], exec
	s_and_b64 s[8:9], s[8:9], exec
	s_or_b64 s[4:5], s[4:5], s[8:9]
	s_or_b64 exec, exec, s[6:7]
	s_and_saveexec_b64 s[6:7], s[4:5]
	s_cbranch_execnz .LBB11_899
	s_branch .LBB11_900
.LBB11_2949:
	s_movk_i32 s4, 0x80
	v_cmp_eq_u16_sdwa s[12:13], v2, s4 src0_sel:BYTE_0 src1_sel:DWORD
	s_mov_b64 s[4:5], -1
                                        ; implicit-def: $sgpr10
	s_and_saveexec_b64 s[8:9], s[12:13]
; %bb.2950:
	s_mov_b32 s10, 0x7f800001
	s_xor_b64 s[4:5], exec, -1
; %bb.2951:
	s_or_b64 exec, exec, s[8:9]
	s_and_b64 s[4:5], s[4:5], exec
	s_or_saveexec_b64 s[6:7], s[6:7]
	v_mov_b32_e32 v13, s10
	s_xor_b64 exec, exec, s[6:7]
	s_cbranch_execz .LBB11_902
.LBB11_2952:
	v_mov_b32_e32 v13, 0
	v_cmp_ne_u16_sdwa s[8:9], v2, v13 src0_sel:BYTE_0 src1_sel:DWORD
	s_andn2_b64 s[4:5], s[4:5], exec
	s_and_b64 s[8:9], s[8:9], exec
	s_or_b64 s[4:5], s[4:5], s[8:9]
	s_or_b64 exec, exec, s[6:7]
	s_and_saveexec_b64 s[6:7], s[4:5]
	s_cbranch_execnz .LBB11_903
	s_branch .LBB11_904
.LBB11_2953:
	s_movk_i32 s4, 0x80
	v_cmp_eq_u16_sdwa s[12:13], v13, s4 src0_sel:BYTE_0 src1_sel:DWORD
	s_mov_b64 s[4:5], -1
                                        ; implicit-def: $sgpr10
	s_and_saveexec_b64 s[8:9], s[12:13]
; %bb.2954:
	s_mov_b32 s10, 0x7f800001
	s_xor_b64 s[4:5], exec, -1
; %bb.2955:
	s_or_b64 exec, exec, s[8:9]
	s_and_b64 s[4:5], s[4:5], exec
	s_or_saveexec_b64 s[6:7], s[6:7]
	v_mov_b32_e32 v12, s10
	s_xor_b64 exec, exec, s[6:7]
	s_cbranch_execz .LBB11_906
.LBB11_2956:
	v_mov_b32_e32 v12, 0
	v_cmp_ne_u16_sdwa s[8:9], v13, v12 src0_sel:BYTE_0 src1_sel:DWORD
	s_andn2_b64 s[4:5], s[4:5], exec
	s_and_b64 s[8:9], s[8:9], exec
	s_or_b64 s[4:5], s[4:5], s[8:9]
	s_or_b64 exec, exec, s[6:7]
	s_and_saveexec_b64 s[6:7], s[4:5]
	s_cbranch_execnz .LBB11_907
	s_branch .LBB11_908
.LBB11_2957:
	s_movk_i32 s4, 0x80
	v_cmp_eq_u16_sdwa s[12:13], v13, s4 src0_sel:BYTE_0 src1_sel:DWORD
	s_mov_b64 s[4:5], -1
                                        ; implicit-def: $sgpr10
	s_and_saveexec_b64 s[8:9], s[12:13]
; %bb.2958:
	s_mov_b32 s10, 0x7f800001
	s_xor_b64 s[4:5], exec, -1
; %bb.2959:
	s_or_b64 exec, exec, s[8:9]
	s_and_b64 s[4:5], s[4:5], exec
	s_or_saveexec_b64 s[6:7], s[6:7]
	v_mov_b32_e32 v14, s10
	s_xor_b64 exec, exec, s[6:7]
	s_cbranch_execz .LBB11_910
.LBB11_2960:
	v_mov_b32_e32 v14, 0
	v_cmp_ne_u16_sdwa s[8:9], v13, v14 src0_sel:BYTE_0 src1_sel:DWORD
	s_andn2_b64 s[4:5], s[4:5], exec
	s_and_b64 s[8:9], s[8:9], exec
	s_or_b64 s[4:5], s[4:5], s[8:9]
	s_or_b64 exec, exec, s[6:7]
	s_and_saveexec_b64 s[6:7], s[4:5]
	s_cbranch_execnz .LBB11_911
	s_branch .LBB11_912
.LBB11_2961:
	s_movk_i32 s4, 0x80
	v_cmp_eq_u16_e32 vcc, s4, v13
	s_mov_b64 s[4:5], -1
                                        ; implicit-def: $sgpr10
	s_and_saveexec_b64 s[8:9], vcc
; %bb.2962:
	s_mov_b32 s10, 0x7f800001
	s_xor_b64 s[4:5], exec, -1
; %bb.2963:
	s_or_b64 exec, exec, s[8:9]
	s_and_b64 s[4:5], s[4:5], exec
                                        ; implicit-def: $vgpr13
	s_or_saveexec_b64 s[6:7], s[6:7]
	v_mov_b32_e32 v12, s10
	s_xor_b64 exec, exec, s[6:7]
	s_cbranch_execz .LBB11_914
.LBB11_2964:
	v_cmp_ne_u16_e32 vcc, 0, v13
	s_andn2_b64 s[4:5], s[4:5], exec
	s_and_b64 s[8:9], vcc, exec
	v_mov_b32_e32 v12, 0
	s_or_b64 s[4:5], s[4:5], s[8:9]
	s_or_b64 exec, exec, s[6:7]
	s_and_saveexec_b64 s[6:7], s[4:5]
	s_cbranch_execnz .LBB11_915
	s_branch .LBB11_916
.LBB11_2965:
	s_movk_i32 s4, 0x80
	v_cmp_eq_u16_e32 vcc, s4, v13
	s_mov_b64 s[4:5], -1
                                        ; implicit-def: $sgpr10
	s_and_saveexec_b64 s[8:9], vcc
; %bb.2966:
	s_mov_b32 s10, 0x7f800001
	s_xor_b64 s[4:5], exec, -1
; %bb.2967:
	s_or_b64 exec, exec, s[8:9]
	s_and_b64 s[4:5], s[4:5], exec
                                        ; implicit-def: $vgpr13
	s_or_saveexec_b64 s[6:7], s[6:7]
	v_mov_b32_e32 v14, s10
	s_xor_b64 exec, exec, s[6:7]
	s_cbranch_execz .LBB11_918
.LBB11_2968:
	v_cmp_ne_u16_e32 vcc, 0, v13
	s_andn2_b64 s[4:5], s[4:5], exec
	s_and_b64 s[8:9], vcc, exec
	v_mov_b32_e32 v14, 0
	s_or_b64 s[4:5], s[4:5], s[8:9]
	s_or_b64 exec, exec, s[6:7]
	s_and_saveexec_b64 s[6:7], s[4:5]
	s_cbranch_execnz .LBB11_919
	s_branch .LBB11_920
.LBB11_2969:
	s_movk_i32 s4, 0x80
	v_cmp_eq_u16_sdwa s[12:13], v6, s4 src0_sel:BYTE_3 src1_sel:DWORD
	s_mov_b64 s[4:5], -1
                                        ; implicit-def: $sgpr10
	s_and_saveexec_b64 s[8:9], s[12:13]
; %bb.2970:
	s_mov_b32 s10, 0x7f800001
	s_xor_b64 s[4:5], exec, -1
; %bb.2971:
	s_or_b64 exec, exec, s[8:9]
	s_and_b64 s[4:5], s[4:5], exec
	s_or_saveexec_b64 s[6:7], s[6:7]
	v_mov_b32_e32 v12, s10
	s_xor_b64 exec, exec, s[6:7]
	s_cbranch_execz .LBB11_922
.LBB11_2972:
	v_mov_b32_e32 v12, 0
	v_cmp_ne_u16_sdwa s[8:9], v6, v12 src0_sel:BYTE_3 src1_sel:DWORD
	s_andn2_b64 s[4:5], s[4:5], exec
	s_and_b64 s[8:9], s[8:9], exec
	s_or_b64 s[4:5], s[4:5], s[8:9]
	s_or_b64 exec, exec, s[6:7]
	s_and_saveexec_b64 s[6:7], s[4:5]
	s_cbranch_execnz .LBB11_923
	s_branch .LBB11_924
.LBB11_2973:
	s_movk_i32 s4, 0x80
	v_cmp_eq_u16_sdwa s[12:13], v2, s4 src0_sel:BYTE_3 src1_sel:DWORD
	s_mov_b64 s[4:5], -1
                                        ; implicit-def: $sgpr10
	s_and_saveexec_b64 s[8:9], s[12:13]
; %bb.2974:
	s_mov_b32 s10, 0x7f800001
	s_xor_b64 s[4:5], exec, -1
; %bb.2975:
	s_or_b64 exec, exec, s[8:9]
	s_and_b64 s[4:5], s[4:5], exec
	s_or_saveexec_b64 s[6:7], s[6:7]
	v_mov_b32_e32 v6, s10
	s_xor_b64 exec, exec, s[6:7]
	s_cbranch_execz .LBB11_926
.LBB11_2976:
	v_mov_b32_e32 v6, 0
	v_cmp_ne_u16_sdwa s[8:9], v2, v6 src0_sel:BYTE_3 src1_sel:DWORD
	s_andn2_b64 s[4:5], s[4:5], exec
	s_and_b64 s[8:9], s[8:9], exec
	s_or_b64 s[4:5], s[4:5], s[8:9]
	s_or_b64 exec, exec, s[6:7]
	s_and_saveexec_b64 s[6:7], s[4:5]
	s_cbranch_execnz .LBB11_927
	s_branch .LBB11_928
.LBB11_2977:
	s_movk_i32 s4, 0x80
	v_cmp_eq_u16_sdwa s[12:13], v7, s4 src0_sel:BYTE_0 src1_sel:DWORD
	s_mov_b64 s[4:5], -1
                                        ; implicit-def: $sgpr10
	s_and_saveexec_b64 s[8:9], s[12:13]
; %bb.2978:
	s_mov_b32 s10, 0x7f800001
	s_xor_b64 s[4:5], exec, -1
; %bb.2979:
	s_or_b64 exec, exec, s[8:9]
	s_and_b64 s[4:5], s[4:5], exec
	s_or_saveexec_b64 s[6:7], s[6:7]
	v_mov_b32_e32 v2, s10
	s_xor_b64 exec, exec, s[6:7]
	s_cbranch_execz .LBB11_930
.LBB11_2980:
	v_mov_b32_e32 v2, 0
	v_cmp_ne_u16_sdwa s[8:9], v7, v2 src0_sel:BYTE_0 src1_sel:DWORD
	s_andn2_b64 s[4:5], s[4:5], exec
	s_and_b64 s[8:9], s[8:9], exec
	s_or_b64 s[4:5], s[4:5], s[8:9]
	s_or_b64 exec, exec, s[6:7]
	s_and_saveexec_b64 s[6:7], s[4:5]
	s_cbranch_execnz .LBB11_931
	s_branch .LBB11_932
.LBB11_2981:
	s_movk_i32 s4, 0x80
	v_cmp_eq_u16_sdwa s[12:13], v3, s4 src0_sel:BYTE_0 src1_sel:DWORD
	s_mov_b64 s[4:5], -1
                                        ; implicit-def: $sgpr10
	s_and_saveexec_b64 s[8:9], s[12:13]
; %bb.2982:
	s_mov_b32 s10, 0x7f800001
	s_xor_b64 s[4:5], exec, -1
; %bb.2983:
	s_or_b64 exec, exec, s[8:9]
	s_and_b64 s[4:5], s[4:5], exec
	s_or_saveexec_b64 s[6:7], s[6:7]
	v_mov_b32_e32 v6, s10
	s_xor_b64 exec, exec, s[6:7]
	s_cbranch_execz .LBB11_934
.LBB11_2984:
	v_mov_b32_e32 v6, 0
	v_cmp_ne_u16_sdwa s[8:9], v3, v6 src0_sel:BYTE_0 src1_sel:DWORD
	s_andn2_b64 s[4:5], s[4:5], exec
	s_and_b64 s[8:9], s[8:9], exec
	s_or_b64 s[4:5], s[4:5], s[8:9]
	s_or_b64 exec, exec, s[6:7]
	s_and_saveexec_b64 s[6:7], s[4:5]
	s_cbranch_execnz .LBB11_935
	s_branch .LBB11_936
.LBB11_2985:
	s_movk_i32 s4, 0x80
	v_cmp_eq_u16_sdwa s[12:13], v6, s4 src0_sel:BYTE_0 src1_sel:DWORD
	s_mov_b64 s[4:5], -1
                                        ; implicit-def: $sgpr10
	s_and_saveexec_b64 s[8:9], s[12:13]
; %bb.2986:
	s_mov_b32 s10, 0x7f800001
	s_xor_b64 s[4:5], exec, -1
; %bb.2987:
	s_or_b64 exec, exec, s[8:9]
	s_and_b64 s[4:5], s[4:5], exec
	s_or_saveexec_b64 s[6:7], s[6:7]
	v_mov_b32_e32 v2, s10
	s_xor_b64 exec, exec, s[6:7]
	s_cbranch_execz .LBB11_938
.LBB11_2988:
	v_mov_b32_e32 v2, 0
	v_cmp_ne_u16_sdwa s[8:9], v6, v2 src0_sel:BYTE_0 src1_sel:DWORD
	s_andn2_b64 s[4:5], s[4:5], exec
	s_and_b64 s[8:9], s[8:9], exec
	s_or_b64 s[4:5], s[4:5], s[8:9]
	s_or_b64 exec, exec, s[6:7]
	s_and_saveexec_b64 s[6:7], s[4:5]
	s_cbranch_execnz .LBB11_939
	s_branch .LBB11_940
.LBB11_2989:
	s_movk_i32 s4, 0x80
	v_cmp_eq_u16_sdwa s[12:13], v6, s4 src0_sel:BYTE_0 src1_sel:DWORD
	s_mov_b64 s[4:5], -1
                                        ; implicit-def: $sgpr10
	s_and_saveexec_b64 s[8:9], s[12:13]
; %bb.2990:
	s_mov_b32 s10, 0x7f800001
	s_xor_b64 s[4:5], exec, -1
; %bb.2991:
	s_or_b64 exec, exec, s[8:9]
	s_and_b64 s[4:5], s[4:5], exec
	s_or_saveexec_b64 s[6:7], s[6:7]
	v_mov_b32_e32 v12, s10
	s_xor_b64 exec, exec, s[6:7]
	s_cbranch_execz .LBB11_942
.LBB11_2992:
	v_mov_b32_e32 v12, 0
	v_cmp_ne_u16_sdwa s[8:9], v6, v12 src0_sel:BYTE_0 src1_sel:DWORD
	s_andn2_b64 s[4:5], s[4:5], exec
	s_and_b64 s[8:9], s[8:9], exec
	s_or_b64 s[4:5], s[4:5], s[8:9]
	s_or_b64 exec, exec, s[6:7]
	s_and_saveexec_b64 s[6:7], s[4:5]
	s_cbranch_execnz .LBB11_943
	s_branch .LBB11_944
.LBB11_2993:
	s_movk_i32 s4, 0x80
	v_cmp_eq_u16_e32 vcc, s4, v6
	s_mov_b64 s[4:5], -1
                                        ; implicit-def: $sgpr10
	s_and_saveexec_b64 s[8:9], vcc
; %bb.2994:
	s_mov_b32 s10, 0x7f800001
	s_xor_b64 s[4:5], exec, -1
; %bb.2995:
	s_or_b64 exec, exec, s[8:9]
	s_and_b64 s[4:5], s[4:5], exec
                                        ; implicit-def: $vgpr6
	s_or_saveexec_b64 s[6:7], s[6:7]
	v_mov_b32_e32 v2, s10
	s_xor_b64 exec, exec, s[6:7]
	s_cbranch_execz .LBB11_946
.LBB11_2996:
	v_cmp_ne_u16_e32 vcc, 0, v6
	s_andn2_b64 s[4:5], s[4:5], exec
	s_and_b64 s[8:9], vcc, exec
	v_mov_b32_e32 v2, 0
	s_or_b64 s[4:5], s[4:5], s[8:9]
	s_or_b64 exec, exec, s[6:7]
	s_and_saveexec_b64 s[6:7], s[4:5]
	s_cbranch_execnz .LBB11_947
	s_branch .LBB11_948
.LBB11_2997:
	s_movk_i32 s4, 0x80
	v_cmp_eq_u16_e32 vcc, s4, v6
	s_mov_b64 s[4:5], -1
                                        ; implicit-def: $sgpr10
	s_and_saveexec_b64 s[8:9], vcc
; %bb.2998:
	s_mov_b32 s10, 0x7f800001
	s_xor_b64 s[4:5], exec, -1
; %bb.2999:
	s_or_b64 exec, exec, s[8:9]
	s_and_b64 s[4:5], s[4:5], exec
                                        ; implicit-def: $vgpr6
	s_or_saveexec_b64 s[6:7], s[6:7]
	v_mov_b32_e32 v12, s10
	s_xor_b64 exec, exec, s[6:7]
	s_cbranch_execz .LBB11_950
.LBB11_3000:
	v_cmp_ne_u16_e32 vcc, 0, v6
	s_andn2_b64 s[4:5], s[4:5], exec
	s_and_b64 s[8:9], vcc, exec
	v_mov_b32_e32 v12, 0
	s_or_b64 s[4:5], s[4:5], s[8:9]
	s_or_b64 exec, exec, s[6:7]
	s_and_saveexec_b64 s[6:7], s[4:5]
	s_cbranch_execnz .LBB11_951
	s_branch .LBB11_952
.LBB11_3001:
	s_movk_i32 s4, 0x80
	v_cmp_eq_u16_sdwa s[12:13], v7, s4 src0_sel:BYTE_3 src1_sel:DWORD
	s_mov_b64 s[4:5], -1
                                        ; implicit-def: $sgpr10
	s_and_saveexec_b64 s[8:9], s[12:13]
; %bb.3002:
	s_mov_b32 s10, 0x7f800001
	s_xor_b64 s[4:5], exec, -1
; %bb.3003:
	s_or_b64 exec, exec, s[8:9]
	s_and_b64 s[4:5], s[4:5], exec
	s_or_saveexec_b64 s[6:7], s[6:7]
	v_mov_b32_e32 v2, s10
	s_xor_b64 exec, exec, s[6:7]
	s_cbranch_execz .LBB11_954
.LBB11_3004:
	v_mov_b32_e32 v2, 0
	v_cmp_ne_u16_sdwa s[8:9], v7, v2 src0_sel:BYTE_3 src1_sel:DWORD
	s_andn2_b64 s[4:5], s[4:5], exec
	s_and_b64 s[8:9], s[8:9], exec
	s_or_b64 s[4:5], s[4:5], s[8:9]
	s_or_b64 exec, exec, s[6:7]
	s_and_saveexec_b64 s[6:7], s[4:5]
	s_cbranch_execnz .LBB11_955
	s_branch .LBB11_956
.LBB11_3005:
	s_movk_i32 s4, 0x80
	v_cmp_eq_u16_sdwa s[12:13], v3, s4 src0_sel:BYTE_3 src1_sel:DWORD
	s_mov_b64 s[4:5], -1
                                        ; implicit-def: $sgpr10
	s_and_saveexec_b64 s[8:9], s[12:13]
; %bb.3006:
	s_mov_b32 s10, 0x7f800001
	s_xor_b64 s[4:5], exec, -1
; %bb.3007:
	s_or_b64 exec, exec, s[8:9]
	s_and_b64 s[4:5], s[4:5], exec
	s_or_saveexec_b64 s[6:7], s[6:7]
	v_mov_b32_e32 v6, s10
	s_xor_b64 exec, exec, s[6:7]
	s_cbranch_execz .LBB11_958
.LBB11_3008:
	v_mov_b32_e32 v6, 0
	v_cmp_ne_u16_sdwa s[8:9], v3, v6 src0_sel:BYTE_3 src1_sel:DWORD
	s_andn2_b64 s[4:5], s[4:5], exec
	s_and_b64 s[8:9], s[8:9], exec
	s_or_b64 s[4:5], s[4:5], s[8:9]
	s_or_b64 exec, exec, s[6:7]
	s_and_saveexec_b64 s[6:7], s[4:5]
	s_cbranch_execnz .LBB11_959
	s_branch .LBB11_960
.LBB11_3009:
	s_movk_i32 s4, 0x80
	v_cmp_eq_u16_sdwa s[12:13], v8, s4 src0_sel:BYTE_0 src1_sel:DWORD
	s_mov_b64 s[4:5], -1
                                        ; implicit-def: $sgpr10
	s_and_saveexec_b64 s[8:9], s[12:13]
; %bb.3010:
	s_mov_b32 s10, 0x7f800001
	s_xor_b64 s[4:5], exec, -1
; %bb.3011:
	s_or_b64 exec, exec, s[8:9]
	s_and_b64 s[4:5], s[4:5], exec
	s_or_saveexec_b64 s[6:7], s[6:7]
	v_mov_b32_e32 v2, s10
	s_xor_b64 exec, exec, s[6:7]
	s_cbranch_execz .LBB11_962
.LBB11_3012:
	v_mov_b32_e32 v2, 0
	v_cmp_ne_u16_sdwa s[8:9], v8, v2 src0_sel:BYTE_0 src1_sel:DWORD
	s_andn2_b64 s[4:5], s[4:5], exec
	s_and_b64 s[8:9], s[8:9], exec
	s_or_b64 s[4:5], s[4:5], s[8:9]
	s_or_b64 exec, exec, s[6:7]
	s_and_saveexec_b64 s[6:7], s[4:5]
	s_cbranch_execnz .LBB11_963
	s_branch .LBB11_964
.LBB11_3013:
	s_movk_i32 s4, 0x80
	v_cmp_eq_u16_sdwa s[12:13], v4, s4 src0_sel:BYTE_0 src1_sel:DWORD
	s_mov_b64 s[4:5], -1
                                        ; implicit-def: $sgpr10
	s_and_saveexec_b64 s[8:9], s[12:13]
; %bb.3014:
	s_mov_b32 s10, 0x7f800001
	s_xor_b64 s[4:5], exec, -1
; %bb.3015:
	s_or_b64 exec, exec, s[8:9]
	s_and_b64 s[4:5], s[4:5], exec
	s_or_saveexec_b64 s[6:7], s[6:7]
	v_mov_b32_e32 v3, s10
	s_xor_b64 exec, exec, s[6:7]
	s_cbranch_execz .LBB11_966
.LBB11_3016:
	v_mov_b32_e32 v3, 0
	v_cmp_ne_u16_sdwa s[8:9], v4, v3 src0_sel:BYTE_0 src1_sel:DWORD
	s_andn2_b64 s[4:5], s[4:5], exec
	s_and_b64 s[8:9], s[8:9], exec
	s_or_b64 s[4:5], s[4:5], s[8:9]
	s_or_b64 exec, exec, s[6:7]
	s_and_saveexec_b64 s[6:7], s[4:5]
	s_cbranch_execnz .LBB11_967
	s_branch .LBB11_968
.LBB11_3017:
	s_movk_i32 s4, 0x80
	v_cmp_eq_u16_sdwa s[12:13], v3, s4 src0_sel:BYTE_0 src1_sel:DWORD
	s_mov_b64 s[4:5], -1
                                        ; implicit-def: $sgpr10
	s_and_saveexec_b64 s[8:9], s[12:13]
; %bb.3018:
	s_mov_b32 s10, 0x7f800001
	s_xor_b64 s[4:5], exec, -1
; %bb.3019:
	s_or_b64 exec, exec, s[8:9]
	s_and_b64 s[4:5], s[4:5], exec
	s_or_saveexec_b64 s[6:7], s[6:7]
	v_mov_b32_e32 v2, s10
	s_xor_b64 exec, exec, s[6:7]
	s_cbranch_execz .LBB11_970
.LBB11_3020:
	v_mov_b32_e32 v2, 0
	v_cmp_ne_u16_sdwa s[8:9], v3, v2 src0_sel:BYTE_0 src1_sel:DWORD
	s_andn2_b64 s[4:5], s[4:5], exec
	s_and_b64 s[8:9], s[8:9], exec
	s_or_b64 s[4:5], s[4:5], s[8:9]
	s_or_b64 exec, exec, s[6:7]
	s_and_saveexec_b64 s[6:7], s[4:5]
	s_cbranch_execnz .LBB11_971
	s_branch .LBB11_972
.LBB11_3021:
	s_movk_i32 s4, 0x80
	v_cmp_eq_u16_sdwa s[12:13], v3, s4 src0_sel:BYTE_0 src1_sel:DWORD
	s_mov_b64 s[4:5], -1
                                        ; implicit-def: $sgpr10
	s_and_saveexec_b64 s[8:9], s[12:13]
; %bb.3022:
	s_mov_b32 s10, 0x7f800001
	s_xor_b64 s[4:5], exec, -1
; %bb.3023:
	s_or_b64 exec, exec, s[8:9]
	s_and_b64 s[4:5], s[4:5], exec
	s_or_saveexec_b64 s[6:7], s[6:7]
	v_mov_b32_e32 v6, s10
	s_xor_b64 exec, exec, s[6:7]
	s_cbranch_execz .LBB11_974
.LBB11_3024:
	v_mov_b32_e32 v6, 0
	v_cmp_ne_u16_sdwa s[8:9], v3, v6 src0_sel:BYTE_0 src1_sel:DWORD
	s_andn2_b64 s[4:5], s[4:5], exec
	s_and_b64 s[8:9], s[8:9], exec
	s_or_b64 s[4:5], s[4:5], s[8:9]
	s_or_b64 exec, exec, s[6:7]
	s_and_saveexec_b64 s[6:7], s[4:5]
	s_cbranch_execnz .LBB11_975
	s_branch .LBB11_976
.LBB11_3025:
	s_movk_i32 s4, 0x80
	v_cmp_eq_u16_e32 vcc, s4, v3
	s_mov_b64 s[4:5], -1
                                        ; implicit-def: $sgpr10
	s_and_saveexec_b64 s[8:9], vcc
; %bb.3026:
	s_mov_b32 s10, 0x7f800001
	s_xor_b64 s[4:5], exec, -1
; %bb.3027:
	s_or_b64 exec, exec, s[8:9]
	s_and_b64 s[4:5], s[4:5], exec
                                        ; implicit-def: $vgpr3
	s_or_saveexec_b64 s[6:7], s[6:7]
	v_mov_b32_e32 v2, s10
	s_xor_b64 exec, exec, s[6:7]
	s_cbranch_execz .LBB11_978
.LBB11_3028:
	v_cmp_ne_u16_e32 vcc, 0, v3
	s_andn2_b64 s[4:5], s[4:5], exec
	s_and_b64 s[8:9], vcc, exec
	v_mov_b32_e32 v2, 0
	s_or_b64 s[4:5], s[4:5], s[8:9]
	s_or_b64 exec, exec, s[6:7]
	s_and_saveexec_b64 s[6:7], s[4:5]
	s_cbranch_execnz .LBB11_979
	s_branch .LBB11_980
.LBB11_3029:
	s_movk_i32 s4, 0x80
	v_cmp_eq_u16_e32 vcc, s4, v3
	s_mov_b64 s[4:5], -1
                                        ; implicit-def: $sgpr10
	s_and_saveexec_b64 s[8:9], vcc
; %bb.3030:
	s_mov_b32 s10, 0x7f800001
	s_xor_b64 s[4:5], exec, -1
; %bb.3031:
	s_or_b64 exec, exec, s[8:9]
	s_and_b64 s[4:5], s[4:5], exec
                                        ; implicit-def: $vgpr3
	s_or_saveexec_b64 s[6:7], s[6:7]
	v_mov_b32_e32 v6, s10
	s_xor_b64 exec, exec, s[6:7]
	s_cbranch_execz .LBB11_982
.LBB11_3032:
	v_cmp_ne_u16_e32 vcc, 0, v3
	s_andn2_b64 s[4:5], s[4:5], exec
	s_and_b64 s[8:9], vcc, exec
	v_mov_b32_e32 v6, 0
	s_or_b64 s[4:5], s[4:5], s[8:9]
	s_or_b64 exec, exec, s[6:7]
	s_and_saveexec_b64 s[6:7], s[4:5]
	s_cbranch_execnz .LBB11_983
	s_branch .LBB11_984
.LBB11_3033:
	s_movk_i32 s4, 0x80
	v_cmp_eq_u16_sdwa s[12:13], v8, s4 src0_sel:BYTE_3 src1_sel:DWORD
	s_mov_b64 s[4:5], -1
                                        ; implicit-def: $sgpr10
	s_and_saveexec_b64 s[8:9], s[12:13]
; %bb.3034:
	s_mov_b32 s10, 0x7f800001
	s_xor_b64 s[4:5], exec, -1
; %bb.3035:
	s_or_b64 exec, exec, s[8:9]
	s_and_b64 s[4:5], s[4:5], exec
	s_or_saveexec_b64 s[6:7], s[6:7]
	v_mov_b32_e32 v2, s10
	s_xor_b64 exec, exec, s[6:7]
	s_cbranch_execz .LBB11_986
.LBB11_3036:
	v_mov_b32_e32 v2, 0
	v_cmp_ne_u16_sdwa s[8:9], v8, v2 src0_sel:BYTE_3 src1_sel:DWORD
	s_andn2_b64 s[4:5], s[4:5], exec
	s_and_b64 s[8:9], s[8:9], exec
	s_or_b64 s[4:5], s[4:5], s[8:9]
	s_or_b64 exec, exec, s[6:7]
	s_and_saveexec_b64 s[6:7], s[4:5]
	s_cbranch_execnz .LBB11_987
	s_branch .LBB11_988
.LBB11_3037:
	s_movk_i32 s4, 0x80
	v_cmp_eq_u16_sdwa s[12:13], v4, s4 src0_sel:BYTE_3 src1_sel:DWORD
	s_mov_b64 s[4:5], -1
                                        ; implicit-def: $sgpr10
	s_and_saveexec_b64 s[8:9], s[12:13]
; %bb.3038:
	s_mov_b32 s10, 0x7f800001
	s_xor_b64 s[4:5], exec, -1
; %bb.3039:
	s_or_b64 exec, exec, s[8:9]
	s_and_b64 s[4:5], s[4:5], exec
	s_or_saveexec_b64 s[6:7], s[6:7]
	v_mov_b32_e32 v3, s10
	s_xor_b64 exec, exec, s[6:7]
	s_cbranch_execz .LBB11_990
.LBB11_3040:
	v_mov_b32_e32 v3, 0
	v_cmp_ne_u16_sdwa s[8:9], v4, v3 src0_sel:BYTE_3 src1_sel:DWORD
	s_andn2_b64 s[4:5], s[4:5], exec
	s_and_b64 s[8:9], s[8:9], exec
	s_or_b64 s[4:5], s[4:5], s[8:9]
	s_or_b64 exec, exec, s[6:7]
	s_and_saveexec_b64 s[6:7], s[4:5]
	s_cbranch_execnz .LBB11_991
	s_branch .LBB11_992
.LBB11_3041:
	s_movk_i32 s4, 0x80
	v_cmp_eq_u16_sdwa s[12:13], v9, s4 src0_sel:BYTE_0 src1_sel:DWORD
	s_mov_b64 s[4:5], -1
                                        ; implicit-def: $sgpr10
	s_and_saveexec_b64 s[8:9], s[12:13]
; %bb.3042:
	s_mov_b32 s10, 0x7f800001
	s_xor_b64 s[4:5], exec, -1
; %bb.3043:
	s_or_b64 exec, exec, s[8:9]
	s_and_b64 s[4:5], s[4:5], exec
	s_or_saveexec_b64 s[6:7], s[6:7]
	v_mov_b32_e32 v2, s10
	s_xor_b64 exec, exec, s[6:7]
	s_cbranch_execz .LBB11_994
.LBB11_3044:
	v_mov_b32_e32 v2, 0
	v_cmp_ne_u16_sdwa s[8:9], v9, v2 src0_sel:BYTE_0 src1_sel:DWORD
	s_andn2_b64 s[4:5], s[4:5], exec
	s_and_b64 s[8:9], s[8:9], exec
	s_or_b64 s[4:5], s[4:5], s[8:9]
	s_or_b64 exec, exec, s[6:7]
	s_and_saveexec_b64 s[6:7], s[4:5]
	s_cbranch_execnz .LBB11_995
	s_branch .LBB11_996
.LBB11_3045:
	s_movk_i32 s4, 0x80
	v_cmp_eq_u16_sdwa s[12:13], v5, s4 src0_sel:BYTE_0 src1_sel:DWORD
	s_mov_b64 s[4:5], -1
                                        ; implicit-def: $sgpr10
	s_and_saveexec_b64 s[8:9], s[12:13]
; %bb.3046:
	s_mov_b32 s10, 0x7f800001
	s_xor_b64 s[4:5], exec, -1
; %bb.3047:
	s_or_b64 exec, exec, s[8:9]
	s_and_b64 s[4:5], s[4:5], exec
	s_or_saveexec_b64 s[6:7], s[6:7]
	v_mov_b32_e32 v3, s10
	s_xor_b64 exec, exec, s[6:7]
	s_cbranch_execz .LBB11_998
.LBB11_3048:
	v_mov_b32_e32 v3, 0
	v_cmp_ne_u16_sdwa s[8:9], v5, v3 src0_sel:BYTE_0 src1_sel:DWORD
	s_andn2_b64 s[4:5], s[4:5], exec
	s_and_b64 s[8:9], s[8:9], exec
	s_or_b64 s[4:5], s[4:5], s[8:9]
	s_or_b64 exec, exec, s[6:7]
	s_and_saveexec_b64 s[6:7], s[4:5]
	s_cbranch_execnz .LBB11_999
	s_branch .LBB11_1000
.LBB11_3049:
	s_movk_i32 s4, 0x80
	v_cmp_eq_u16_sdwa s[12:13], v3, s4 src0_sel:BYTE_0 src1_sel:DWORD
	s_mov_b64 s[4:5], -1
                                        ; implicit-def: $sgpr10
	s_and_saveexec_b64 s[8:9], s[12:13]
; %bb.3050:
	s_mov_b32 s10, 0x7f800001
	s_xor_b64 s[4:5], exec, -1
; %bb.3051:
	s_or_b64 exec, exec, s[8:9]
	s_and_b64 s[4:5], s[4:5], exec
	s_or_saveexec_b64 s[6:7], s[6:7]
	v_mov_b32_e32 v2, s10
	s_xor_b64 exec, exec, s[6:7]
	s_cbranch_execz .LBB11_1002
.LBB11_3052:
	v_mov_b32_e32 v2, 0
	v_cmp_ne_u16_sdwa s[8:9], v3, v2 src0_sel:BYTE_0 src1_sel:DWORD
	s_andn2_b64 s[4:5], s[4:5], exec
	s_and_b64 s[8:9], s[8:9], exec
	s_or_b64 s[4:5], s[4:5], s[8:9]
	s_or_b64 exec, exec, s[6:7]
	s_and_saveexec_b64 s[6:7], s[4:5]
	s_cbranch_execnz .LBB11_1003
	s_branch .LBB11_1004
.LBB11_3053:
	s_movk_i32 s4, 0x80
	v_cmp_eq_u16_sdwa s[12:13], v3, s4 src0_sel:BYTE_0 src1_sel:DWORD
	s_mov_b64 s[4:5], -1
                                        ; implicit-def: $sgpr10
	s_and_saveexec_b64 s[8:9], s[12:13]
; %bb.3054:
	s_mov_b32 s10, 0x7f800001
	s_xor_b64 s[4:5], exec, -1
; %bb.3055:
	s_or_b64 exec, exec, s[8:9]
	s_and_b64 s[4:5], s[4:5], exec
	s_or_saveexec_b64 s[6:7], s[6:7]
	v_mov_b32_e32 v4, s10
	s_xor_b64 exec, exec, s[6:7]
	s_cbranch_execz .LBB11_1006
.LBB11_3056:
	v_mov_b32_e32 v4, 0
	v_cmp_ne_u16_sdwa s[8:9], v3, v4 src0_sel:BYTE_0 src1_sel:DWORD
	s_andn2_b64 s[4:5], s[4:5], exec
	s_and_b64 s[8:9], s[8:9], exec
	s_or_b64 s[4:5], s[4:5], s[8:9]
	s_or_b64 exec, exec, s[6:7]
	s_and_saveexec_b64 s[6:7], s[4:5]
	s_cbranch_execnz .LBB11_1007
	s_branch .LBB11_1008
.LBB11_3057:
	s_movk_i32 s4, 0x80
	v_cmp_eq_u16_e32 vcc, s4, v3
	s_mov_b64 s[4:5], -1
                                        ; implicit-def: $sgpr10
	s_and_saveexec_b64 s[8:9], vcc
; %bb.3058:
	s_mov_b32 s10, 0x7f800001
	s_xor_b64 s[4:5], exec, -1
; %bb.3059:
	s_or_b64 exec, exec, s[8:9]
	s_and_b64 s[4:5], s[4:5], exec
                                        ; implicit-def: $vgpr3
	s_or_saveexec_b64 s[6:7], s[6:7]
	v_mov_b32_e32 v2, s10
	s_xor_b64 exec, exec, s[6:7]
	s_cbranch_execz .LBB11_1010
.LBB11_3060:
	v_cmp_ne_u16_e32 vcc, 0, v3
	s_andn2_b64 s[4:5], s[4:5], exec
	s_and_b64 s[8:9], vcc, exec
	v_mov_b32_e32 v2, 0
	s_or_b64 s[4:5], s[4:5], s[8:9]
	s_or_b64 exec, exec, s[6:7]
	s_and_saveexec_b64 s[6:7], s[4:5]
	s_cbranch_execnz .LBB11_1011
	s_branch .LBB11_1012
.LBB11_3061:
	s_movk_i32 s4, 0x80
	v_cmp_eq_u16_e32 vcc, s4, v3
	s_mov_b64 s[4:5], -1
                                        ; implicit-def: $sgpr10
	s_and_saveexec_b64 s[8:9], vcc
; %bb.3062:
	s_mov_b32 s10, 0x7f800001
	s_xor_b64 s[4:5], exec, -1
; %bb.3063:
	s_or_b64 exec, exec, s[8:9]
	s_and_b64 s[4:5], s[4:5], exec
                                        ; implicit-def: $vgpr3
	s_or_saveexec_b64 s[6:7], s[6:7]
	v_mov_b32_e32 v4, s10
	s_xor_b64 exec, exec, s[6:7]
	s_cbranch_execz .LBB11_1014
.LBB11_3064:
	v_cmp_ne_u16_e32 vcc, 0, v3
	s_andn2_b64 s[4:5], s[4:5], exec
	s_and_b64 s[8:9], vcc, exec
	v_mov_b32_e32 v4, 0
	s_or_b64 s[4:5], s[4:5], s[8:9]
	s_or_b64 exec, exec, s[6:7]
	s_and_saveexec_b64 s[6:7], s[4:5]
	s_cbranch_execnz .LBB11_1015
	s_branch .LBB11_1016
.LBB11_3065:
	s_movk_i32 s4, 0x80
	v_cmp_eq_u16_sdwa s[12:13], v9, s4 src0_sel:BYTE_3 src1_sel:DWORD
	s_mov_b64 s[4:5], -1
                                        ; implicit-def: $sgpr10
	s_and_saveexec_b64 s[8:9], s[12:13]
; %bb.3066:
	s_mov_b32 s10, 0x7f800001
	s_xor_b64 s[4:5], exec, -1
; %bb.3067:
	s_or_b64 exec, exec, s[8:9]
	s_and_b64 s[4:5], s[4:5], exec
	s_or_saveexec_b64 s[6:7], s[6:7]
	v_mov_b32_e32 v2, s10
	s_xor_b64 exec, exec, s[6:7]
	s_cbranch_execz .LBB11_1018
.LBB11_3068:
	v_mov_b32_e32 v2, 0
	v_cmp_ne_u16_sdwa s[8:9], v9, v2 src0_sel:BYTE_3 src1_sel:DWORD
	s_andn2_b64 s[4:5], s[4:5], exec
	s_and_b64 s[8:9], s[8:9], exec
	s_or_b64 s[4:5], s[4:5], s[8:9]
	s_or_b64 exec, exec, s[6:7]
	s_and_saveexec_b64 s[6:7], s[4:5]
	s_cbranch_execnz .LBB11_1019
	s_branch .LBB11_1020
.LBB11_3069:
	s_movk_i32 s4, 0x80
	v_cmp_eq_u16_sdwa s[12:13], v5, s4 src0_sel:BYTE_3 src1_sel:DWORD
	s_mov_b64 s[4:5], -1
                                        ; implicit-def: $sgpr10
	s_and_saveexec_b64 s[8:9], s[12:13]
; %bb.3070:
	s_mov_b32 s10, 0x7f800001
	s_xor_b64 s[4:5], exec, -1
; %bb.3071:
	s_or_b64 exec, exec, s[8:9]
	s_and_b64 s[4:5], s[4:5], exec
	s_or_saveexec_b64 s[6:7], s[6:7]
	v_mov_b32_e32 v3, s10
	s_xor_b64 exec, exec, s[6:7]
	s_cbranch_execz .LBB11_1022
.LBB11_3072:
	v_mov_b32_e32 v3, 0
	v_cmp_ne_u16_sdwa s[8:9], v5, v3 src0_sel:BYTE_3 src1_sel:DWORD
	s_andn2_b64 s[4:5], s[4:5], exec
	s_and_b64 s[8:9], s[8:9], exec
	s_or_b64 s[4:5], s[4:5], s[8:9]
	s_or_b64 exec, exec, s[6:7]
	s_and_saveexec_b64 s[6:7], s[4:5]
	s_cbranch_execnz .LBB11_1023
	s_branch .LBB11_1024
.LBB11_3073:
	s_movk_i32 s4, 0x80
	v_cmp_eq_u16_sdwa s[12:13], v6, s4 src0_sel:BYTE_0 src1_sel:DWORD
	s_mov_b64 s[4:5], -1
                                        ; implicit-def: $sgpr10
	s_and_saveexec_b64 s[8:9], s[12:13]
; %bb.3074:
	s_mov_b32 s10, 0x7f800001
	s_xor_b64 s[4:5], exec, -1
; %bb.3075:
	s_or_b64 exec, exec, s[8:9]
	s_and_b64 s[4:5], s[4:5], exec
	s_or_saveexec_b64 s[6:7], s[6:7]
	v_mov_b32_e32 v12, s10
	s_xor_b64 exec, exec, s[6:7]
	s_cbranch_execz .LBB11_1026
.LBB11_3076:
	v_mov_b32_e32 v12, 0
	v_cmp_ne_u16_sdwa s[8:9], v6, v12 src0_sel:BYTE_0 src1_sel:DWORD
	s_andn2_b64 s[4:5], s[4:5], exec
	s_and_b64 s[8:9], s[8:9], exec
	s_or_b64 s[4:5], s[4:5], s[8:9]
	s_or_b64 exec, exec, s[6:7]
	s_and_saveexec_b64 s[6:7], s[4:5]
	s_cbranch_execnz .LBB11_1027
	s_branch .LBB11_1028
.LBB11_3077:
	s_movk_i32 s4, 0x80
	v_cmp_eq_u16_sdwa s[12:13], v2, s4 src0_sel:BYTE_0 src1_sel:DWORD
	s_mov_b64 s[4:5], -1
                                        ; implicit-def: $sgpr10
	s_and_saveexec_b64 s[8:9], s[12:13]
; %bb.3078:
	s_mov_b32 s10, 0x7f800001
	s_xor_b64 s[4:5], exec, -1
; %bb.3079:
	s_or_b64 exec, exec, s[8:9]
	s_and_b64 s[4:5], s[4:5], exec
	s_or_saveexec_b64 s[6:7], s[6:7]
	v_mov_b32_e32 v13, s10
	s_xor_b64 exec, exec, s[6:7]
	s_cbranch_execz .LBB11_1030
.LBB11_3080:
	v_mov_b32_e32 v13, 0
	v_cmp_ne_u16_sdwa s[8:9], v2, v13 src0_sel:BYTE_0 src1_sel:DWORD
	s_andn2_b64 s[4:5], s[4:5], exec
	s_and_b64 s[8:9], s[8:9], exec
	s_or_b64 s[4:5], s[4:5], s[8:9]
	s_or_b64 exec, exec, s[6:7]
	s_and_saveexec_b64 s[6:7], s[4:5]
	s_cbranch_execnz .LBB11_1031
	s_branch .LBB11_1032
.LBB11_3081:
	s_movk_i32 s4, 0x80
	v_cmp_eq_u16_sdwa s[12:13], v13, s4 src0_sel:BYTE_0 src1_sel:DWORD
	s_mov_b64 s[4:5], -1
                                        ; implicit-def: $sgpr10
	s_and_saveexec_b64 s[8:9], s[12:13]
; %bb.3082:
	s_mov_b32 s10, 0x7f800001
	s_xor_b64 s[4:5], exec, -1
; %bb.3083:
	s_or_b64 exec, exec, s[8:9]
	s_and_b64 s[4:5], s[4:5], exec
	s_or_saveexec_b64 s[6:7], s[6:7]
	v_mov_b32_e32 v12, s10
	s_xor_b64 exec, exec, s[6:7]
	s_cbranch_execz .LBB11_1034
.LBB11_3084:
	v_mov_b32_e32 v12, 0
	v_cmp_ne_u16_sdwa s[8:9], v13, v12 src0_sel:BYTE_0 src1_sel:DWORD
	s_andn2_b64 s[4:5], s[4:5], exec
	s_and_b64 s[8:9], s[8:9], exec
	s_or_b64 s[4:5], s[4:5], s[8:9]
	s_or_b64 exec, exec, s[6:7]
	s_and_saveexec_b64 s[6:7], s[4:5]
	s_cbranch_execnz .LBB11_1035
	s_branch .LBB11_1036
.LBB11_3085:
	s_movk_i32 s4, 0x80
	v_cmp_eq_u16_sdwa s[12:13], v13, s4 src0_sel:BYTE_0 src1_sel:DWORD
	s_mov_b64 s[4:5], -1
                                        ; implicit-def: $sgpr10
	s_and_saveexec_b64 s[8:9], s[12:13]
; %bb.3086:
	s_mov_b32 s10, 0x7f800001
	s_xor_b64 s[4:5], exec, -1
; %bb.3087:
	s_or_b64 exec, exec, s[8:9]
	s_and_b64 s[4:5], s[4:5], exec
	s_or_saveexec_b64 s[6:7], s[6:7]
	v_mov_b32_e32 v14, s10
	s_xor_b64 exec, exec, s[6:7]
	s_cbranch_execz .LBB11_1038
.LBB11_3088:
	v_mov_b32_e32 v14, 0
	v_cmp_ne_u16_sdwa s[8:9], v13, v14 src0_sel:BYTE_0 src1_sel:DWORD
	s_andn2_b64 s[4:5], s[4:5], exec
	s_and_b64 s[8:9], s[8:9], exec
	s_or_b64 s[4:5], s[4:5], s[8:9]
	s_or_b64 exec, exec, s[6:7]
	s_and_saveexec_b64 s[6:7], s[4:5]
	s_cbranch_execnz .LBB11_1039
	s_branch .LBB11_1040
.LBB11_3089:
	s_movk_i32 s4, 0x80
	v_cmp_eq_u16_e32 vcc, s4, v13
	s_mov_b64 s[4:5], -1
                                        ; implicit-def: $sgpr10
	s_and_saveexec_b64 s[8:9], vcc
; %bb.3090:
	s_mov_b32 s10, 0x7f800001
	s_xor_b64 s[4:5], exec, -1
; %bb.3091:
	s_or_b64 exec, exec, s[8:9]
	s_and_b64 s[4:5], s[4:5], exec
                                        ; implicit-def: $vgpr13
	s_or_saveexec_b64 s[6:7], s[6:7]
	v_mov_b32_e32 v12, s10
	s_xor_b64 exec, exec, s[6:7]
	s_cbranch_execz .LBB11_1042
.LBB11_3092:
	v_cmp_ne_u16_e32 vcc, 0, v13
	s_andn2_b64 s[4:5], s[4:5], exec
	s_and_b64 s[8:9], vcc, exec
	v_mov_b32_e32 v12, 0
	s_or_b64 s[4:5], s[4:5], s[8:9]
	s_or_b64 exec, exec, s[6:7]
	s_and_saveexec_b64 s[6:7], s[4:5]
	s_cbranch_execnz .LBB11_1043
	s_branch .LBB11_1044
.LBB11_3093:
	s_movk_i32 s4, 0x80
	v_cmp_eq_u16_e32 vcc, s4, v13
	s_mov_b64 s[4:5], -1
                                        ; implicit-def: $sgpr10
	s_and_saveexec_b64 s[8:9], vcc
; %bb.3094:
	s_mov_b32 s10, 0x7f800001
	s_xor_b64 s[4:5], exec, -1
; %bb.3095:
	s_or_b64 exec, exec, s[8:9]
	s_and_b64 s[4:5], s[4:5], exec
                                        ; implicit-def: $vgpr13
	s_or_saveexec_b64 s[6:7], s[6:7]
	v_mov_b32_e32 v14, s10
	s_xor_b64 exec, exec, s[6:7]
	s_cbranch_execz .LBB11_1046
.LBB11_3096:
	v_cmp_ne_u16_e32 vcc, 0, v13
	s_andn2_b64 s[4:5], s[4:5], exec
	s_and_b64 s[8:9], vcc, exec
	v_mov_b32_e32 v14, 0
	s_or_b64 s[4:5], s[4:5], s[8:9]
	s_or_b64 exec, exec, s[6:7]
	s_and_saveexec_b64 s[6:7], s[4:5]
	s_cbranch_execnz .LBB11_1047
	s_branch .LBB11_1048
.LBB11_3097:
	s_movk_i32 s4, 0x80
	v_cmp_eq_u16_sdwa s[12:13], v6, s4 src0_sel:BYTE_3 src1_sel:DWORD
	s_mov_b64 s[4:5], -1
                                        ; implicit-def: $sgpr10
	s_and_saveexec_b64 s[8:9], s[12:13]
; %bb.3098:
	s_mov_b32 s10, 0x7f800001
	s_xor_b64 s[4:5], exec, -1
; %bb.3099:
	s_or_b64 exec, exec, s[8:9]
	s_and_b64 s[4:5], s[4:5], exec
	s_or_saveexec_b64 s[6:7], s[6:7]
	v_mov_b32_e32 v12, s10
	s_xor_b64 exec, exec, s[6:7]
	s_cbranch_execz .LBB11_1050
.LBB11_3100:
	v_mov_b32_e32 v12, 0
	v_cmp_ne_u16_sdwa s[8:9], v6, v12 src0_sel:BYTE_3 src1_sel:DWORD
	s_andn2_b64 s[4:5], s[4:5], exec
	s_and_b64 s[8:9], s[8:9], exec
	s_or_b64 s[4:5], s[4:5], s[8:9]
	s_or_b64 exec, exec, s[6:7]
	s_and_saveexec_b64 s[6:7], s[4:5]
	s_cbranch_execnz .LBB11_1051
	s_branch .LBB11_1052
.LBB11_3101:
	s_movk_i32 s4, 0x80
	v_cmp_eq_u16_sdwa s[12:13], v2, s4 src0_sel:BYTE_3 src1_sel:DWORD
	s_mov_b64 s[4:5], -1
                                        ; implicit-def: $sgpr10
	s_and_saveexec_b64 s[8:9], s[12:13]
; %bb.3102:
	s_mov_b32 s10, 0x7f800001
	s_xor_b64 s[4:5], exec, -1
; %bb.3103:
	s_or_b64 exec, exec, s[8:9]
	s_and_b64 s[4:5], s[4:5], exec
	s_or_saveexec_b64 s[6:7], s[6:7]
	v_mov_b32_e32 v6, s10
	s_xor_b64 exec, exec, s[6:7]
	s_cbranch_execz .LBB11_1054
.LBB11_3104:
	v_mov_b32_e32 v6, 0
	v_cmp_ne_u16_sdwa s[8:9], v2, v6 src0_sel:BYTE_3 src1_sel:DWORD
	s_andn2_b64 s[4:5], s[4:5], exec
	s_and_b64 s[8:9], s[8:9], exec
	s_or_b64 s[4:5], s[4:5], s[8:9]
	s_or_b64 exec, exec, s[6:7]
	s_and_saveexec_b64 s[6:7], s[4:5]
	s_cbranch_execnz .LBB11_1055
	s_branch .LBB11_1056
.LBB11_3105:
	s_movk_i32 s4, 0x80
	v_cmp_eq_u16_sdwa s[12:13], v7, s4 src0_sel:BYTE_0 src1_sel:DWORD
	s_mov_b64 s[4:5], -1
                                        ; implicit-def: $sgpr10
	s_and_saveexec_b64 s[8:9], s[12:13]
; %bb.3106:
	s_mov_b32 s10, 0x7f800001
	s_xor_b64 s[4:5], exec, -1
; %bb.3107:
	s_or_b64 exec, exec, s[8:9]
	s_and_b64 s[4:5], s[4:5], exec
	s_or_saveexec_b64 s[6:7], s[6:7]
	v_mov_b32_e32 v2, s10
	s_xor_b64 exec, exec, s[6:7]
	s_cbranch_execz .LBB11_1058
.LBB11_3108:
	v_mov_b32_e32 v2, 0
	v_cmp_ne_u16_sdwa s[8:9], v7, v2 src0_sel:BYTE_0 src1_sel:DWORD
	s_andn2_b64 s[4:5], s[4:5], exec
	s_and_b64 s[8:9], s[8:9], exec
	s_or_b64 s[4:5], s[4:5], s[8:9]
	s_or_b64 exec, exec, s[6:7]
	s_and_saveexec_b64 s[6:7], s[4:5]
	s_cbranch_execnz .LBB11_1059
	s_branch .LBB11_1060
.LBB11_3109:
	s_movk_i32 s4, 0x80
	v_cmp_eq_u16_sdwa s[12:13], v3, s4 src0_sel:BYTE_0 src1_sel:DWORD
	s_mov_b64 s[4:5], -1
                                        ; implicit-def: $sgpr10
	s_and_saveexec_b64 s[8:9], s[12:13]
; %bb.3110:
	s_mov_b32 s10, 0x7f800001
	s_xor_b64 s[4:5], exec, -1
; %bb.3111:
	s_or_b64 exec, exec, s[8:9]
	s_and_b64 s[4:5], s[4:5], exec
	s_or_saveexec_b64 s[6:7], s[6:7]
	v_mov_b32_e32 v6, s10
	s_xor_b64 exec, exec, s[6:7]
	s_cbranch_execz .LBB11_1062
.LBB11_3112:
	v_mov_b32_e32 v6, 0
	v_cmp_ne_u16_sdwa s[8:9], v3, v6 src0_sel:BYTE_0 src1_sel:DWORD
	s_andn2_b64 s[4:5], s[4:5], exec
	s_and_b64 s[8:9], s[8:9], exec
	s_or_b64 s[4:5], s[4:5], s[8:9]
	s_or_b64 exec, exec, s[6:7]
	s_and_saveexec_b64 s[6:7], s[4:5]
	s_cbranch_execnz .LBB11_1063
	s_branch .LBB11_1064
.LBB11_3113:
	s_movk_i32 s4, 0x80
	v_cmp_eq_u16_sdwa s[12:13], v6, s4 src0_sel:BYTE_0 src1_sel:DWORD
	s_mov_b64 s[4:5], -1
                                        ; implicit-def: $sgpr10
	s_and_saveexec_b64 s[8:9], s[12:13]
; %bb.3114:
	s_mov_b32 s10, 0x7f800001
	s_xor_b64 s[4:5], exec, -1
; %bb.3115:
	s_or_b64 exec, exec, s[8:9]
	s_and_b64 s[4:5], s[4:5], exec
	s_or_saveexec_b64 s[6:7], s[6:7]
	v_mov_b32_e32 v2, s10
	s_xor_b64 exec, exec, s[6:7]
	s_cbranch_execz .LBB11_1066
.LBB11_3116:
	v_mov_b32_e32 v2, 0
	v_cmp_ne_u16_sdwa s[8:9], v6, v2 src0_sel:BYTE_0 src1_sel:DWORD
	s_andn2_b64 s[4:5], s[4:5], exec
	s_and_b64 s[8:9], s[8:9], exec
	s_or_b64 s[4:5], s[4:5], s[8:9]
	s_or_b64 exec, exec, s[6:7]
	s_and_saveexec_b64 s[6:7], s[4:5]
	s_cbranch_execnz .LBB11_1067
	s_branch .LBB11_1068
.LBB11_3117:
	s_movk_i32 s4, 0x80
	v_cmp_eq_u16_sdwa s[12:13], v6, s4 src0_sel:BYTE_0 src1_sel:DWORD
	s_mov_b64 s[4:5], -1
                                        ; implicit-def: $sgpr10
	s_and_saveexec_b64 s[8:9], s[12:13]
; %bb.3118:
	s_mov_b32 s10, 0x7f800001
	s_xor_b64 s[4:5], exec, -1
; %bb.3119:
	s_or_b64 exec, exec, s[8:9]
	s_and_b64 s[4:5], s[4:5], exec
	s_or_saveexec_b64 s[6:7], s[6:7]
	v_mov_b32_e32 v12, s10
	s_xor_b64 exec, exec, s[6:7]
	s_cbranch_execz .LBB11_1070
.LBB11_3120:
	v_mov_b32_e32 v12, 0
	v_cmp_ne_u16_sdwa s[8:9], v6, v12 src0_sel:BYTE_0 src1_sel:DWORD
	s_andn2_b64 s[4:5], s[4:5], exec
	s_and_b64 s[8:9], s[8:9], exec
	s_or_b64 s[4:5], s[4:5], s[8:9]
	s_or_b64 exec, exec, s[6:7]
	s_and_saveexec_b64 s[6:7], s[4:5]
	s_cbranch_execnz .LBB11_1071
	s_branch .LBB11_1072
.LBB11_3121:
	s_movk_i32 s4, 0x80
	v_cmp_eq_u16_e32 vcc, s4, v6
	s_mov_b64 s[4:5], -1
                                        ; implicit-def: $sgpr10
	s_and_saveexec_b64 s[8:9], vcc
; %bb.3122:
	s_mov_b32 s10, 0x7f800001
	s_xor_b64 s[4:5], exec, -1
; %bb.3123:
	s_or_b64 exec, exec, s[8:9]
	s_and_b64 s[4:5], s[4:5], exec
                                        ; implicit-def: $vgpr6
	s_or_saveexec_b64 s[6:7], s[6:7]
	v_mov_b32_e32 v2, s10
	s_xor_b64 exec, exec, s[6:7]
	s_cbranch_execz .LBB11_1074
.LBB11_3124:
	v_cmp_ne_u16_e32 vcc, 0, v6
	s_andn2_b64 s[4:5], s[4:5], exec
	s_and_b64 s[8:9], vcc, exec
	v_mov_b32_e32 v2, 0
	s_or_b64 s[4:5], s[4:5], s[8:9]
	s_or_b64 exec, exec, s[6:7]
	s_and_saveexec_b64 s[6:7], s[4:5]
	s_cbranch_execnz .LBB11_1075
	s_branch .LBB11_1076
.LBB11_3125:
	s_movk_i32 s4, 0x80
	v_cmp_eq_u16_e32 vcc, s4, v6
	s_mov_b64 s[4:5], -1
                                        ; implicit-def: $sgpr10
	s_and_saveexec_b64 s[8:9], vcc
; %bb.3126:
	s_mov_b32 s10, 0x7f800001
	s_xor_b64 s[4:5], exec, -1
; %bb.3127:
	s_or_b64 exec, exec, s[8:9]
	s_and_b64 s[4:5], s[4:5], exec
                                        ; implicit-def: $vgpr6
	s_or_saveexec_b64 s[6:7], s[6:7]
	v_mov_b32_e32 v12, s10
	s_xor_b64 exec, exec, s[6:7]
	s_cbranch_execz .LBB11_1078
.LBB11_3128:
	v_cmp_ne_u16_e32 vcc, 0, v6
	s_andn2_b64 s[4:5], s[4:5], exec
	s_and_b64 s[8:9], vcc, exec
	v_mov_b32_e32 v12, 0
	s_or_b64 s[4:5], s[4:5], s[8:9]
	s_or_b64 exec, exec, s[6:7]
	s_and_saveexec_b64 s[6:7], s[4:5]
	s_cbranch_execnz .LBB11_1079
	s_branch .LBB11_1080
.LBB11_3129:
	s_movk_i32 s4, 0x80
	v_cmp_eq_u16_sdwa s[12:13], v7, s4 src0_sel:BYTE_3 src1_sel:DWORD
	s_mov_b64 s[4:5], -1
                                        ; implicit-def: $sgpr10
	s_and_saveexec_b64 s[8:9], s[12:13]
; %bb.3130:
	s_mov_b32 s10, 0x7f800001
	s_xor_b64 s[4:5], exec, -1
; %bb.3131:
	s_or_b64 exec, exec, s[8:9]
	s_and_b64 s[4:5], s[4:5], exec
	s_or_saveexec_b64 s[6:7], s[6:7]
	v_mov_b32_e32 v2, s10
	s_xor_b64 exec, exec, s[6:7]
	s_cbranch_execz .LBB11_1082
.LBB11_3132:
	v_mov_b32_e32 v2, 0
	v_cmp_ne_u16_sdwa s[8:9], v7, v2 src0_sel:BYTE_3 src1_sel:DWORD
	s_andn2_b64 s[4:5], s[4:5], exec
	s_and_b64 s[8:9], s[8:9], exec
	s_or_b64 s[4:5], s[4:5], s[8:9]
	s_or_b64 exec, exec, s[6:7]
	s_and_saveexec_b64 s[6:7], s[4:5]
	s_cbranch_execnz .LBB11_1083
	s_branch .LBB11_1084
.LBB11_3133:
	s_movk_i32 s4, 0x80
	v_cmp_eq_u16_sdwa s[12:13], v3, s4 src0_sel:BYTE_3 src1_sel:DWORD
	s_mov_b64 s[4:5], -1
                                        ; implicit-def: $sgpr10
	s_and_saveexec_b64 s[8:9], s[12:13]
; %bb.3134:
	s_mov_b32 s10, 0x7f800001
	s_xor_b64 s[4:5], exec, -1
; %bb.3135:
	s_or_b64 exec, exec, s[8:9]
	s_and_b64 s[4:5], s[4:5], exec
	s_or_saveexec_b64 s[6:7], s[6:7]
	v_mov_b32_e32 v6, s10
	s_xor_b64 exec, exec, s[6:7]
	s_cbranch_execz .LBB11_1086
.LBB11_3136:
	v_mov_b32_e32 v6, 0
	v_cmp_ne_u16_sdwa s[8:9], v3, v6 src0_sel:BYTE_3 src1_sel:DWORD
	s_andn2_b64 s[4:5], s[4:5], exec
	s_and_b64 s[8:9], s[8:9], exec
	s_or_b64 s[4:5], s[4:5], s[8:9]
	s_or_b64 exec, exec, s[6:7]
	s_and_saveexec_b64 s[6:7], s[4:5]
	s_cbranch_execnz .LBB11_1087
	s_branch .LBB11_1088
.LBB11_3137:
	s_movk_i32 s4, 0x80
	v_cmp_eq_u16_sdwa s[12:13], v8, s4 src0_sel:BYTE_0 src1_sel:DWORD
	s_mov_b64 s[4:5], -1
                                        ; implicit-def: $sgpr10
	s_and_saveexec_b64 s[8:9], s[12:13]
; %bb.3138:
	s_mov_b32 s10, 0x7f800001
	s_xor_b64 s[4:5], exec, -1
; %bb.3139:
	s_or_b64 exec, exec, s[8:9]
	s_and_b64 s[4:5], s[4:5], exec
	s_or_saveexec_b64 s[6:7], s[6:7]
	v_mov_b32_e32 v2, s10
	s_xor_b64 exec, exec, s[6:7]
	s_cbranch_execz .LBB11_1090
.LBB11_3140:
	v_mov_b32_e32 v2, 0
	v_cmp_ne_u16_sdwa s[8:9], v8, v2 src0_sel:BYTE_0 src1_sel:DWORD
	s_andn2_b64 s[4:5], s[4:5], exec
	s_and_b64 s[8:9], s[8:9], exec
	s_or_b64 s[4:5], s[4:5], s[8:9]
	s_or_b64 exec, exec, s[6:7]
	s_and_saveexec_b64 s[6:7], s[4:5]
	s_cbranch_execnz .LBB11_1091
	s_branch .LBB11_1092
.LBB11_3141:
	s_movk_i32 s4, 0x80
	v_cmp_eq_u16_sdwa s[12:13], v4, s4 src0_sel:BYTE_0 src1_sel:DWORD
	s_mov_b64 s[4:5], -1
                                        ; implicit-def: $sgpr10
	s_and_saveexec_b64 s[8:9], s[12:13]
; %bb.3142:
	s_mov_b32 s10, 0x7f800001
	s_xor_b64 s[4:5], exec, -1
; %bb.3143:
	s_or_b64 exec, exec, s[8:9]
	s_and_b64 s[4:5], s[4:5], exec
	s_or_saveexec_b64 s[6:7], s[6:7]
	v_mov_b32_e32 v3, s10
	s_xor_b64 exec, exec, s[6:7]
	s_cbranch_execz .LBB11_1094
.LBB11_3144:
	v_mov_b32_e32 v3, 0
	v_cmp_ne_u16_sdwa s[8:9], v4, v3 src0_sel:BYTE_0 src1_sel:DWORD
	s_andn2_b64 s[4:5], s[4:5], exec
	s_and_b64 s[8:9], s[8:9], exec
	s_or_b64 s[4:5], s[4:5], s[8:9]
	s_or_b64 exec, exec, s[6:7]
	s_and_saveexec_b64 s[6:7], s[4:5]
	s_cbranch_execnz .LBB11_1095
	s_branch .LBB11_1096
.LBB11_3145:
	s_movk_i32 s4, 0x80
	v_cmp_eq_u16_sdwa s[12:13], v3, s4 src0_sel:BYTE_0 src1_sel:DWORD
	s_mov_b64 s[4:5], -1
                                        ; implicit-def: $sgpr10
	s_and_saveexec_b64 s[8:9], s[12:13]
; %bb.3146:
	s_mov_b32 s10, 0x7f800001
	s_xor_b64 s[4:5], exec, -1
; %bb.3147:
	s_or_b64 exec, exec, s[8:9]
	s_and_b64 s[4:5], s[4:5], exec
	s_or_saveexec_b64 s[6:7], s[6:7]
	v_mov_b32_e32 v2, s10
	s_xor_b64 exec, exec, s[6:7]
	s_cbranch_execz .LBB11_1098
.LBB11_3148:
	v_mov_b32_e32 v2, 0
	v_cmp_ne_u16_sdwa s[8:9], v3, v2 src0_sel:BYTE_0 src1_sel:DWORD
	s_andn2_b64 s[4:5], s[4:5], exec
	s_and_b64 s[8:9], s[8:9], exec
	s_or_b64 s[4:5], s[4:5], s[8:9]
	s_or_b64 exec, exec, s[6:7]
	s_and_saveexec_b64 s[6:7], s[4:5]
	s_cbranch_execnz .LBB11_1099
	s_branch .LBB11_1100
.LBB11_3149:
	s_movk_i32 s4, 0x80
	v_cmp_eq_u16_sdwa s[12:13], v3, s4 src0_sel:BYTE_0 src1_sel:DWORD
	s_mov_b64 s[4:5], -1
                                        ; implicit-def: $sgpr10
	s_and_saveexec_b64 s[8:9], s[12:13]
; %bb.3150:
	s_mov_b32 s10, 0x7f800001
	s_xor_b64 s[4:5], exec, -1
; %bb.3151:
	s_or_b64 exec, exec, s[8:9]
	s_and_b64 s[4:5], s[4:5], exec
	s_or_saveexec_b64 s[6:7], s[6:7]
	v_mov_b32_e32 v6, s10
	s_xor_b64 exec, exec, s[6:7]
	s_cbranch_execz .LBB11_1102
.LBB11_3152:
	v_mov_b32_e32 v6, 0
	v_cmp_ne_u16_sdwa s[8:9], v3, v6 src0_sel:BYTE_0 src1_sel:DWORD
	s_andn2_b64 s[4:5], s[4:5], exec
	s_and_b64 s[8:9], s[8:9], exec
	s_or_b64 s[4:5], s[4:5], s[8:9]
	s_or_b64 exec, exec, s[6:7]
	s_and_saveexec_b64 s[6:7], s[4:5]
	s_cbranch_execnz .LBB11_1103
	s_branch .LBB11_1104
.LBB11_3153:
	s_movk_i32 s4, 0x80
	v_cmp_eq_u16_e32 vcc, s4, v3
	s_mov_b64 s[4:5], -1
                                        ; implicit-def: $sgpr10
	s_and_saveexec_b64 s[8:9], vcc
; %bb.3154:
	s_mov_b32 s10, 0x7f800001
	s_xor_b64 s[4:5], exec, -1
; %bb.3155:
	s_or_b64 exec, exec, s[8:9]
	s_and_b64 s[4:5], s[4:5], exec
                                        ; implicit-def: $vgpr3
	s_or_saveexec_b64 s[6:7], s[6:7]
	v_mov_b32_e32 v2, s10
	s_xor_b64 exec, exec, s[6:7]
	s_cbranch_execz .LBB11_1106
.LBB11_3156:
	v_cmp_ne_u16_e32 vcc, 0, v3
	s_andn2_b64 s[4:5], s[4:5], exec
	s_and_b64 s[8:9], vcc, exec
	v_mov_b32_e32 v2, 0
	s_or_b64 s[4:5], s[4:5], s[8:9]
	s_or_b64 exec, exec, s[6:7]
	s_and_saveexec_b64 s[6:7], s[4:5]
	s_cbranch_execnz .LBB11_1107
	s_branch .LBB11_1108
.LBB11_3157:
	s_movk_i32 s4, 0x80
	v_cmp_eq_u16_e32 vcc, s4, v3
	s_mov_b64 s[4:5], -1
                                        ; implicit-def: $sgpr10
	s_and_saveexec_b64 s[8:9], vcc
; %bb.3158:
	s_mov_b32 s10, 0x7f800001
	s_xor_b64 s[4:5], exec, -1
; %bb.3159:
	s_or_b64 exec, exec, s[8:9]
	s_and_b64 s[4:5], s[4:5], exec
                                        ; implicit-def: $vgpr3
	s_or_saveexec_b64 s[6:7], s[6:7]
	v_mov_b32_e32 v6, s10
	s_xor_b64 exec, exec, s[6:7]
	s_cbranch_execz .LBB11_1110
.LBB11_3160:
	v_cmp_ne_u16_e32 vcc, 0, v3
	s_andn2_b64 s[4:5], s[4:5], exec
	s_and_b64 s[8:9], vcc, exec
	v_mov_b32_e32 v6, 0
	s_or_b64 s[4:5], s[4:5], s[8:9]
	s_or_b64 exec, exec, s[6:7]
	s_and_saveexec_b64 s[6:7], s[4:5]
	s_cbranch_execnz .LBB11_1111
	s_branch .LBB11_1112
.LBB11_3161:
	s_movk_i32 s4, 0x80
	v_cmp_eq_u16_sdwa s[12:13], v8, s4 src0_sel:BYTE_3 src1_sel:DWORD
	s_mov_b64 s[4:5], -1
                                        ; implicit-def: $sgpr10
	s_and_saveexec_b64 s[8:9], s[12:13]
; %bb.3162:
	s_mov_b32 s10, 0x7f800001
	s_xor_b64 s[4:5], exec, -1
; %bb.3163:
	s_or_b64 exec, exec, s[8:9]
	s_and_b64 s[4:5], s[4:5], exec
	s_or_saveexec_b64 s[6:7], s[6:7]
	v_mov_b32_e32 v2, s10
	s_xor_b64 exec, exec, s[6:7]
	s_cbranch_execz .LBB11_1114
.LBB11_3164:
	v_mov_b32_e32 v2, 0
	v_cmp_ne_u16_sdwa s[8:9], v8, v2 src0_sel:BYTE_3 src1_sel:DWORD
	s_andn2_b64 s[4:5], s[4:5], exec
	s_and_b64 s[8:9], s[8:9], exec
	s_or_b64 s[4:5], s[4:5], s[8:9]
	s_or_b64 exec, exec, s[6:7]
	s_and_saveexec_b64 s[6:7], s[4:5]
	s_cbranch_execnz .LBB11_1115
	s_branch .LBB11_1116
.LBB11_3165:
	s_movk_i32 s4, 0x80
	v_cmp_eq_u16_sdwa s[12:13], v4, s4 src0_sel:BYTE_3 src1_sel:DWORD
	s_mov_b64 s[4:5], -1
                                        ; implicit-def: $sgpr10
	s_and_saveexec_b64 s[8:9], s[12:13]
; %bb.3166:
	s_mov_b32 s10, 0x7f800001
	s_xor_b64 s[4:5], exec, -1
; %bb.3167:
	s_or_b64 exec, exec, s[8:9]
	s_and_b64 s[4:5], s[4:5], exec
	s_or_saveexec_b64 s[6:7], s[6:7]
	v_mov_b32_e32 v3, s10
	s_xor_b64 exec, exec, s[6:7]
	s_cbranch_execz .LBB11_1118
.LBB11_3168:
	v_mov_b32_e32 v3, 0
	v_cmp_ne_u16_sdwa s[8:9], v4, v3 src0_sel:BYTE_3 src1_sel:DWORD
	s_andn2_b64 s[4:5], s[4:5], exec
	s_and_b64 s[8:9], s[8:9], exec
	s_or_b64 s[4:5], s[4:5], s[8:9]
	s_or_b64 exec, exec, s[6:7]
	s_and_saveexec_b64 s[6:7], s[4:5]
	s_cbranch_execnz .LBB11_1119
	s_branch .LBB11_1120
.LBB11_3169:
	s_movk_i32 s4, 0x80
	v_cmp_eq_u16_sdwa s[12:13], v9, s4 src0_sel:BYTE_0 src1_sel:DWORD
	s_mov_b64 s[4:5], -1
                                        ; implicit-def: $sgpr10
	s_and_saveexec_b64 s[8:9], s[12:13]
; %bb.3170:
	s_mov_b32 s10, 0x7f800001
	s_xor_b64 s[4:5], exec, -1
; %bb.3171:
	s_or_b64 exec, exec, s[8:9]
	s_and_b64 s[4:5], s[4:5], exec
	s_or_saveexec_b64 s[6:7], s[6:7]
	v_mov_b32_e32 v2, s10
	s_xor_b64 exec, exec, s[6:7]
	s_cbranch_execz .LBB11_1122
.LBB11_3172:
	v_mov_b32_e32 v2, 0
	v_cmp_ne_u16_sdwa s[8:9], v9, v2 src0_sel:BYTE_0 src1_sel:DWORD
	s_andn2_b64 s[4:5], s[4:5], exec
	s_and_b64 s[8:9], s[8:9], exec
	s_or_b64 s[4:5], s[4:5], s[8:9]
	s_or_b64 exec, exec, s[6:7]
	s_and_saveexec_b64 s[6:7], s[4:5]
	s_cbranch_execnz .LBB11_1123
	s_branch .LBB11_1124
.LBB11_3173:
	s_movk_i32 s4, 0x80
	v_cmp_eq_u16_sdwa s[12:13], v5, s4 src0_sel:BYTE_0 src1_sel:DWORD
	s_mov_b64 s[4:5], -1
                                        ; implicit-def: $sgpr10
	s_and_saveexec_b64 s[8:9], s[12:13]
; %bb.3174:
	s_mov_b32 s10, 0x7f800001
	s_xor_b64 s[4:5], exec, -1
; %bb.3175:
	s_or_b64 exec, exec, s[8:9]
	s_and_b64 s[4:5], s[4:5], exec
	s_or_saveexec_b64 s[6:7], s[6:7]
	v_mov_b32_e32 v3, s10
	s_xor_b64 exec, exec, s[6:7]
	s_cbranch_execz .LBB11_1126
.LBB11_3176:
	v_mov_b32_e32 v3, 0
	v_cmp_ne_u16_sdwa s[8:9], v5, v3 src0_sel:BYTE_0 src1_sel:DWORD
	s_andn2_b64 s[4:5], s[4:5], exec
	s_and_b64 s[8:9], s[8:9], exec
	s_or_b64 s[4:5], s[4:5], s[8:9]
	s_or_b64 exec, exec, s[6:7]
	s_and_saveexec_b64 s[6:7], s[4:5]
	s_cbranch_execnz .LBB11_1127
	s_branch .LBB11_1128
.LBB11_3177:
	s_movk_i32 s4, 0x80
	v_cmp_eq_u16_sdwa s[12:13], v3, s4 src0_sel:BYTE_0 src1_sel:DWORD
	s_mov_b64 s[4:5], -1
                                        ; implicit-def: $sgpr10
	s_and_saveexec_b64 s[8:9], s[12:13]
; %bb.3178:
	s_mov_b32 s10, 0x7f800001
	s_xor_b64 s[4:5], exec, -1
; %bb.3179:
	s_or_b64 exec, exec, s[8:9]
	s_and_b64 s[4:5], s[4:5], exec
	s_or_saveexec_b64 s[6:7], s[6:7]
	v_mov_b32_e32 v2, s10
	s_xor_b64 exec, exec, s[6:7]
	s_cbranch_execz .LBB11_1130
.LBB11_3180:
	v_mov_b32_e32 v2, 0
	v_cmp_ne_u16_sdwa s[8:9], v3, v2 src0_sel:BYTE_0 src1_sel:DWORD
	s_andn2_b64 s[4:5], s[4:5], exec
	s_and_b64 s[8:9], s[8:9], exec
	s_or_b64 s[4:5], s[4:5], s[8:9]
	s_or_b64 exec, exec, s[6:7]
	s_and_saveexec_b64 s[6:7], s[4:5]
	s_cbranch_execnz .LBB11_1131
	s_branch .LBB11_1132
.LBB11_3181:
	s_movk_i32 s4, 0x80
	v_cmp_eq_u16_sdwa s[12:13], v3, s4 src0_sel:BYTE_0 src1_sel:DWORD
	s_mov_b64 s[4:5], -1
                                        ; implicit-def: $sgpr10
	s_and_saveexec_b64 s[8:9], s[12:13]
; %bb.3182:
	s_mov_b32 s10, 0x7f800001
	s_xor_b64 s[4:5], exec, -1
; %bb.3183:
	s_or_b64 exec, exec, s[8:9]
	s_and_b64 s[4:5], s[4:5], exec
	s_or_saveexec_b64 s[6:7], s[6:7]
	v_mov_b32_e32 v4, s10
	s_xor_b64 exec, exec, s[6:7]
	s_cbranch_execz .LBB11_1134
.LBB11_3184:
	v_mov_b32_e32 v4, 0
	v_cmp_ne_u16_sdwa s[8:9], v3, v4 src0_sel:BYTE_0 src1_sel:DWORD
	s_andn2_b64 s[4:5], s[4:5], exec
	s_and_b64 s[8:9], s[8:9], exec
	s_or_b64 s[4:5], s[4:5], s[8:9]
	s_or_b64 exec, exec, s[6:7]
	s_and_saveexec_b64 s[6:7], s[4:5]
	s_cbranch_execnz .LBB11_1135
	s_branch .LBB11_1136
.LBB11_3185:
	s_movk_i32 s4, 0x80
	v_cmp_eq_u16_e32 vcc, s4, v3
	s_mov_b64 s[4:5], -1
                                        ; implicit-def: $sgpr10
	s_and_saveexec_b64 s[8:9], vcc
; %bb.3186:
	s_mov_b32 s10, 0x7f800001
	s_xor_b64 s[4:5], exec, -1
; %bb.3187:
	s_or_b64 exec, exec, s[8:9]
	s_and_b64 s[4:5], s[4:5], exec
                                        ; implicit-def: $vgpr3
	s_or_saveexec_b64 s[6:7], s[6:7]
	v_mov_b32_e32 v2, s10
	s_xor_b64 exec, exec, s[6:7]
	s_cbranch_execz .LBB11_1138
.LBB11_3188:
	v_cmp_ne_u16_e32 vcc, 0, v3
	s_andn2_b64 s[4:5], s[4:5], exec
	s_and_b64 s[8:9], vcc, exec
	v_mov_b32_e32 v2, 0
	s_or_b64 s[4:5], s[4:5], s[8:9]
	s_or_b64 exec, exec, s[6:7]
	s_and_saveexec_b64 s[6:7], s[4:5]
	s_cbranch_execnz .LBB11_1139
	s_branch .LBB11_1140
.LBB11_3189:
	s_movk_i32 s4, 0x80
	v_cmp_eq_u16_e32 vcc, s4, v3
	s_mov_b64 s[4:5], -1
                                        ; implicit-def: $sgpr10
	s_and_saveexec_b64 s[8:9], vcc
; %bb.3190:
	s_mov_b32 s10, 0x7f800001
	s_xor_b64 s[4:5], exec, -1
; %bb.3191:
	s_or_b64 exec, exec, s[8:9]
	s_and_b64 s[4:5], s[4:5], exec
                                        ; implicit-def: $vgpr3
	s_or_saveexec_b64 s[6:7], s[6:7]
	v_mov_b32_e32 v4, s10
	s_xor_b64 exec, exec, s[6:7]
	s_cbranch_execz .LBB11_1142
.LBB11_3192:
	v_cmp_ne_u16_e32 vcc, 0, v3
	s_andn2_b64 s[4:5], s[4:5], exec
	s_and_b64 s[8:9], vcc, exec
	v_mov_b32_e32 v4, 0
	s_or_b64 s[4:5], s[4:5], s[8:9]
	s_or_b64 exec, exec, s[6:7]
	s_and_saveexec_b64 s[6:7], s[4:5]
	s_cbranch_execnz .LBB11_1143
	s_branch .LBB11_1144
.LBB11_3193:
	s_movk_i32 s4, 0x80
	v_cmp_eq_u16_sdwa s[12:13], v9, s4 src0_sel:BYTE_3 src1_sel:DWORD
	s_mov_b64 s[4:5], -1
                                        ; implicit-def: $sgpr10
	s_and_saveexec_b64 s[8:9], s[12:13]
; %bb.3194:
	s_mov_b32 s10, 0x7f800001
	s_xor_b64 s[4:5], exec, -1
; %bb.3195:
	s_or_b64 exec, exec, s[8:9]
	s_and_b64 s[4:5], s[4:5], exec
	s_or_saveexec_b64 s[6:7], s[6:7]
	v_mov_b32_e32 v2, s10
	s_xor_b64 exec, exec, s[6:7]
	s_cbranch_execz .LBB11_1146
.LBB11_3196:
	v_mov_b32_e32 v2, 0
	v_cmp_ne_u16_sdwa s[8:9], v9, v2 src0_sel:BYTE_3 src1_sel:DWORD
	s_andn2_b64 s[4:5], s[4:5], exec
	s_and_b64 s[8:9], s[8:9], exec
	s_or_b64 s[4:5], s[4:5], s[8:9]
	s_or_b64 exec, exec, s[6:7]
	s_and_saveexec_b64 s[6:7], s[4:5]
	s_cbranch_execnz .LBB11_1147
	s_branch .LBB11_1148
.LBB11_3197:
	s_movk_i32 s4, 0x80
	v_cmp_eq_u16_sdwa s[12:13], v5, s4 src0_sel:BYTE_3 src1_sel:DWORD
	s_mov_b64 s[4:5], -1
                                        ; implicit-def: $sgpr10
	s_and_saveexec_b64 s[8:9], s[12:13]
; %bb.3198:
	s_mov_b32 s10, 0x7f800001
	s_xor_b64 s[4:5], exec, -1
; %bb.3199:
	s_or_b64 exec, exec, s[8:9]
	s_and_b64 s[4:5], s[4:5], exec
	s_or_saveexec_b64 s[6:7], s[6:7]
	v_mov_b32_e32 v3, s10
	s_xor_b64 exec, exec, s[6:7]
	s_cbranch_execz .LBB11_1150
.LBB11_3200:
	v_mov_b32_e32 v3, 0
	v_cmp_ne_u16_sdwa s[8:9], v5, v3 src0_sel:BYTE_3 src1_sel:DWORD
	s_andn2_b64 s[4:5], s[4:5], exec
	s_and_b64 s[8:9], s[8:9], exec
	s_or_b64 s[4:5], s[4:5], s[8:9]
	s_or_b64 exec, exec, s[6:7]
	s_and_saveexec_b64 s[6:7], s[4:5]
	s_cbranch_execnz .LBB11_1151
	s_branch .LBB11_1152
.LBB11_3201:
	s_movk_i32 s4, 0x80
	v_cmp_eq_u16_sdwa s[12:13], v6, s4 src0_sel:BYTE_0 src1_sel:DWORD
	s_mov_b64 s[4:5], -1
                                        ; implicit-def: $sgpr10
	s_and_saveexec_b64 s[8:9], s[12:13]
; %bb.3202:
	s_mov_b32 s10, 0x7f800001
	s_xor_b64 s[4:5], exec, -1
; %bb.3203:
	s_or_b64 exec, exec, s[8:9]
	s_and_b64 s[4:5], s[4:5], exec
	s_or_saveexec_b64 s[6:7], s[6:7]
	v_mov_b32_e32 v12, s10
	s_xor_b64 exec, exec, s[6:7]
	s_cbranch_execz .LBB11_1154
.LBB11_3204:
	v_mov_b32_e32 v12, 0
	v_cmp_ne_u16_sdwa s[8:9], v6, v12 src0_sel:BYTE_0 src1_sel:DWORD
	s_andn2_b64 s[4:5], s[4:5], exec
	s_and_b64 s[8:9], s[8:9], exec
	s_or_b64 s[4:5], s[4:5], s[8:9]
	s_or_b64 exec, exec, s[6:7]
	s_and_saveexec_b64 s[6:7], s[4:5]
	s_cbranch_execnz .LBB11_1155
	s_branch .LBB11_1156
.LBB11_3205:
	s_movk_i32 s4, 0x80
	v_cmp_eq_u16_sdwa s[12:13], v2, s4 src0_sel:BYTE_0 src1_sel:DWORD
	s_mov_b64 s[4:5], -1
                                        ; implicit-def: $sgpr10
	s_and_saveexec_b64 s[8:9], s[12:13]
; %bb.3206:
	s_mov_b32 s10, 0x7f800001
	s_xor_b64 s[4:5], exec, -1
; %bb.3207:
	s_or_b64 exec, exec, s[8:9]
	s_and_b64 s[4:5], s[4:5], exec
	s_or_saveexec_b64 s[6:7], s[6:7]
	v_mov_b32_e32 v13, s10
	s_xor_b64 exec, exec, s[6:7]
	s_cbranch_execz .LBB11_1158
.LBB11_3208:
	v_mov_b32_e32 v13, 0
	v_cmp_ne_u16_sdwa s[8:9], v2, v13 src0_sel:BYTE_0 src1_sel:DWORD
	s_andn2_b64 s[4:5], s[4:5], exec
	s_and_b64 s[8:9], s[8:9], exec
	s_or_b64 s[4:5], s[4:5], s[8:9]
	s_or_b64 exec, exec, s[6:7]
	s_and_saveexec_b64 s[6:7], s[4:5]
	s_cbranch_execnz .LBB11_1159
	s_branch .LBB11_1160
.LBB11_3209:
	s_movk_i32 s4, 0x80
	v_cmp_eq_u16_sdwa s[12:13], v13, s4 src0_sel:BYTE_0 src1_sel:DWORD
	s_mov_b64 s[4:5], -1
                                        ; implicit-def: $sgpr10
	s_and_saveexec_b64 s[8:9], s[12:13]
; %bb.3210:
	s_mov_b32 s10, 0x7f800001
	s_xor_b64 s[4:5], exec, -1
; %bb.3211:
	s_or_b64 exec, exec, s[8:9]
	s_and_b64 s[4:5], s[4:5], exec
	s_or_saveexec_b64 s[6:7], s[6:7]
	v_mov_b32_e32 v12, s10
	s_xor_b64 exec, exec, s[6:7]
	s_cbranch_execz .LBB11_1162
.LBB11_3212:
	v_mov_b32_e32 v12, 0
	v_cmp_ne_u16_sdwa s[8:9], v13, v12 src0_sel:BYTE_0 src1_sel:DWORD
	s_andn2_b64 s[4:5], s[4:5], exec
	s_and_b64 s[8:9], s[8:9], exec
	s_or_b64 s[4:5], s[4:5], s[8:9]
	s_or_b64 exec, exec, s[6:7]
	s_and_saveexec_b64 s[6:7], s[4:5]
	s_cbranch_execnz .LBB11_1163
	s_branch .LBB11_1164
.LBB11_3213:
	s_movk_i32 s4, 0x80
	v_cmp_eq_u16_sdwa s[12:13], v13, s4 src0_sel:BYTE_0 src1_sel:DWORD
	s_mov_b64 s[4:5], -1
                                        ; implicit-def: $sgpr10
	s_and_saveexec_b64 s[8:9], s[12:13]
; %bb.3214:
	s_mov_b32 s10, 0x7f800001
	s_xor_b64 s[4:5], exec, -1
; %bb.3215:
	s_or_b64 exec, exec, s[8:9]
	s_and_b64 s[4:5], s[4:5], exec
	s_or_saveexec_b64 s[6:7], s[6:7]
	v_mov_b32_e32 v14, s10
	s_xor_b64 exec, exec, s[6:7]
	s_cbranch_execz .LBB11_1166
.LBB11_3216:
	v_mov_b32_e32 v14, 0
	v_cmp_ne_u16_sdwa s[8:9], v13, v14 src0_sel:BYTE_0 src1_sel:DWORD
	s_andn2_b64 s[4:5], s[4:5], exec
	s_and_b64 s[8:9], s[8:9], exec
	s_or_b64 s[4:5], s[4:5], s[8:9]
	s_or_b64 exec, exec, s[6:7]
	s_and_saveexec_b64 s[6:7], s[4:5]
	s_cbranch_execnz .LBB11_1167
	s_branch .LBB11_1168
.LBB11_3217:
	s_movk_i32 s4, 0x80
	v_cmp_eq_u16_e32 vcc, s4, v13
	s_mov_b64 s[4:5], -1
                                        ; implicit-def: $sgpr10
	s_and_saveexec_b64 s[8:9], vcc
; %bb.3218:
	s_mov_b32 s10, 0x7f800001
	s_xor_b64 s[4:5], exec, -1
; %bb.3219:
	s_or_b64 exec, exec, s[8:9]
	s_and_b64 s[4:5], s[4:5], exec
                                        ; implicit-def: $vgpr13
	s_or_saveexec_b64 s[6:7], s[6:7]
	v_mov_b32_e32 v12, s10
	s_xor_b64 exec, exec, s[6:7]
	s_cbranch_execz .LBB11_1170
.LBB11_3220:
	v_cmp_ne_u16_e32 vcc, 0, v13
	s_andn2_b64 s[4:5], s[4:5], exec
	s_and_b64 s[8:9], vcc, exec
	v_mov_b32_e32 v12, 0
	s_or_b64 s[4:5], s[4:5], s[8:9]
	s_or_b64 exec, exec, s[6:7]
	s_and_saveexec_b64 s[6:7], s[4:5]
	s_cbranch_execnz .LBB11_1171
	s_branch .LBB11_1172
.LBB11_3221:
	s_movk_i32 s4, 0x80
	v_cmp_eq_u16_e32 vcc, s4, v13
	s_mov_b64 s[4:5], -1
                                        ; implicit-def: $sgpr10
	s_and_saveexec_b64 s[8:9], vcc
; %bb.3222:
	s_mov_b32 s10, 0x7f800001
	s_xor_b64 s[4:5], exec, -1
; %bb.3223:
	s_or_b64 exec, exec, s[8:9]
	s_and_b64 s[4:5], s[4:5], exec
                                        ; implicit-def: $vgpr13
	s_or_saveexec_b64 s[6:7], s[6:7]
	v_mov_b32_e32 v14, s10
	s_xor_b64 exec, exec, s[6:7]
	s_cbranch_execz .LBB11_1174
.LBB11_3224:
	v_cmp_ne_u16_e32 vcc, 0, v13
	s_andn2_b64 s[4:5], s[4:5], exec
	s_and_b64 s[8:9], vcc, exec
	v_mov_b32_e32 v14, 0
	s_or_b64 s[4:5], s[4:5], s[8:9]
	s_or_b64 exec, exec, s[6:7]
	s_and_saveexec_b64 s[6:7], s[4:5]
	s_cbranch_execnz .LBB11_1175
	s_branch .LBB11_1176
.LBB11_3225:
	s_movk_i32 s4, 0x80
	v_cmp_eq_u16_sdwa s[12:13], v6, s4 src0_sel:BYTE_3 src1_sel:DWORD
	s_mov_b64 s[4:5], -1
                                        ; implicit-def: $sgpr10
	s_and_saveexec_b64 s[8:9], s[12:13]
; %bb.3226:
	s_mov_b32 s10, 0x7f800001
	s_xor_b64 s[4:5], exec, -1
; %bb.3227:
	s_or_b64 exec, exec, s[8:9]
	s_and_b64 s[4:5], s[4:5], exec
	s_or_saveexec_b64 s[6:7], s[6:7]
	v_mov_b32_e32 v12, s10
	s_xor_b64 exec, exec, s[6:7]
	s_cbranch_execz .LBB11_1178
.LBB11_3228:
	v_mov_b32_e32 v12, 0
	v_cmp_ne_u16_sdwa s[8:9], v6, v12 src0_sel:BYTE_3 src1_sel:DWORD
	s_andn2_b64 s[4:5], s[4:5], exec
	s_and_b64 s[8:9], s[8:9], exec
	s_or_b64 s[4:5], s[4:5], s[8:9]
	s_or_b64 exec, exec, s[6:7]
	s_and_saveexec_b64 s[6:7], s[4:5]
	s_cbranch_execnz .LBB11_1179
	s_branch .LBB11_1180
.LBB11_3229:
	s_movk_i32 s4, 0x80
	v_cmp_eq_u16_sdwa s[12:13], v2, s4 src0_sel:BYTE_3 src1_sel:DWORD
	s_mov_b64 s[4:5], -1
                                        ; implicit-def: $sgpr10
	s_and_saveexec_b64 s[8:9], s[12:13]
; %bb.3230:
	s_mov_b32 s10, 0x7f800001
	s_xor_b64 s[4:5], exec, -1
; %bb.3231:
	s_or_b64 exec, exec, s[8:9]
	s_and_b64 s[4:5], s[4:5], exec
	s_or_saveexec_b64 s[6:7], s[6:7]
	v_mov_b32_e32 v6, s10
	s_xor_b64 exec, exec, s[6:7]
	s_cbranch_execz .LBB11_1182
.LBB11_3232:
	v_mov_b32_e32 v6, 0
	v_cmp_ne_u16_sdwa s[8:9], v2, v6 src0_sel:BYTE_3 src1_sel:DWORD
	s_andn2_b64 s[4:5], s[4:5], exec
	s_and_b64 s[8:9], s[8:9], exec
	s_or_b64 s[4:5], s[4:5], s[8:9]
	s_or_b64 exec, exec, s[6:7]
	s_and_saveexec_b64 s[6:7], s[4:5]
	s_cbranch_execnz .LBB11_1183
	s_branch .LBB11_1184
.LBB11_3233:
	s_movk_i32 s4, 0x80
	v_cmp_eq_u16_sdwa s[12:13], v7, s4 src0_sel:BYTE_0 src1_sel:DWORD
	s_mov_b64 s[4:5], -1
                                        ; implicit-def: $sgpr10
	s_and_saveexec_b64 s[8:9], s[12:13]
; %bb.3234:
	s_mov_b32 s10, 0x7f800001
	s_xor_b64 s[4:5], exec, -1
; %bb.3235:
	s_or_b64 exec, exec, s[8:9]
	s_and_b64 s[4:5], s[4:5], exec
	s_or_saveexec_b64 s[6:7], s[6:7]
	v_mov_b32_e32 v2, s10
	s_xor_b64 exec, exec, s[6:7]
	s_cbranch_execz .LBB11_1186
.LBB11_3236:
	v_mov_b32_e32 v2, 0
	v_cmp_ne_u16_sdwa s[8:9], v7, v2 src0_sel:BYTE_0 src1_sel:DWORD
	s_andn2_b64 s[4:5], s[4:5], exec
	s_and_b64 s[8:9], s[8:9], exec
	s_or_b64 s[4:5], s[4:5], s[8:9]
	s_or_b64 exec, exec, s[6:7]
	s_and_saveexec_b64 s[6:7], s[4:5]
	s_cbranch_execnz .LBB11_1187
	s_branch .LBB11_1188
.LBB11_3237:
	s_movk_i32 s4, 0x80
	v_cmp_eq_u16_sdwa s[12:13], v3, s4 src0_sel:BYTE_0 src1_sel:DWORD
	s_mov_b64 s[4:5], -1
                                        ; implicit-def: $sgpr10
	s_and_saveexec_b64 s[8:9], s[12:13]
; %bb.3238:
	s_mov_b32 s10, 0x7f800001
	s_xor_b64 s[4:5], exec, -1
; %bb.3239:
	s_or_b64 exec, exec, s[8:9]
	s_and_b64 s[4:5], s[4:5], exec
	s_or_saveexec_b64 s[6:7], s[6:7]
	v_mov_b32_e32 v6, s10
	s_xor_b64 exec, exec, s[6:7]
	s_cbranch_execz .LBB11_1190
.LBB11_3240:
	v_mov_b32_e32 v6, 0
	v_cmp_ne_u16_sdwa s[8:9], v3, v6 src0_sel:BYTE_0 src1_sel:DWORD
	s_andn2_b64 s[4:5], s[4:5], exec
	s_and_b64 s[8:9], s[8:9], exec
	s_or_b64 s[4:5], s[4:5], s[8:9]
	s_or_b64 exec, exec, s[6:7]
	s_and_saveexec_b64 s[6:7], s[4:5]
	s_cbranch_execnz .LBB11_1191
	s_branch .LBB11_1192
.LBB11_3241:
	s_movk_i32 s4, 0x80
	v_cmp_eq_u16_sdwa s[12:13], v6, s4 src0_sel:BYTE_0 src1_sel:DWORD
	s_mov_b64 s[4:5], -1
                                        ; implicit-def: $sgpr10
	s_and_saveexec_b64 s[8:9], s[12:13]
; %bb.3242:
	s_mov_b32 s10, 0x7f800001
	s_xor_b64 s[4:5], exec, -1
; %bb.3243:
	s_or_b64 exec, exec, s[8:9]
	s_and_b64 s[4:5], s[4:5], exec
	s_or_saveexec_b64 s[6:7], s[6:7]
	v_mov_b32_e32 v2, s10
	s_xor_b64 exec, exec, s[6:7]
	s_cbranch_execz .LBB11_1194
.LBB11_3244:
	v_mov_b32_e32 v2, 0
	v_cmp_ne_u16_sdwa s[8:9], v6, v2 src0_sel:BYTE_0 src1_sel:DWORD
	s_andn2_b64 s[4:5], s[4:5], exec
	s_and_b64 s[8:9], s[8:9], exec
	s_or_b64 s[4:5], s[4:5], s[8:9]
	s_or_b64 exec, exec, s[6:7]
	s_and_saveexec_b64 s[6:7], s[4:5]
	s_cbranch_execnz .LBB11_1195
	s_branch .LBB11_1196
.LBB11_3245:
	s_movk_i32 s4, 0x80
	v_cmp_eq_u16_sdwa s[12:13], v6, s4 src0_sel:BYTE_0 src1_sel:DWORD
	s_mov_b64 s[4:5], -1
                                        ; implicit-def: $sgpr10
	s_and_saveexec_b64 s[8:9], s[12:13]
; %bb.3246:
	s_mov_b32 s10, 0x7f800001
	s_xor_b64 s[4:5], exec, -1
; %bb.3247:
	s_or_b64 exec, exec, s[8:9]
	s_and_b64 s[4:5], s[4:5], exec
	s_or_saveexec_b64 s[6:7], s[6:7]
	v_mov_b32_e32 v12, s10
	s_xor_b64 exec, exec, s[6:7]
	s_cbranch_execz .LBB11_1198
.LBB11_3248:
	v_mov_b32_e32 v12, 0
	v_cmp_ne_u16_sdwa s[8:9], v6, v12 src0_sel:BYTE_0 src1_sel:DWORD
	s_andn2_b64 s[4:5], s[4:5], exec
	s_and_b64 s[8:9], s[8:9], exec
	s_or_b64 s[4:5], s[4:5], s[8:9]
	s_or_b64 exec, exec, s[6:7]
	s_and_saveexec_b64 s[6:7], s[4:5]
	s_cbranch_execnz .LBB11_1199
	s_branch .LBB11_1200
.LBB11_3249:
	s_movk_i32 s4, 0x80
	v_cmp_eq_u16_e32 vcc, s4, v6
	s_mov_b64 s[4:5], -1
                                        ; implicit-def: $sgpr10
	s_and_saveexec_b64 s[8:9], vcc
; %bb.3250:
	s_mov_b32 s10, 0x7f800001
	s_xor_b64 s[4:5], exec, -1
; %bb.3251:
	s_or_b64 exec, exec, s[8:9]
	s_and_b64 s[4:5], s[4:5], exec
                                        ; implicit-def: $vgpr6
	s_or_saveexec_b64 s[6:7], s[6:7]
	v_mov_b32_e32 v2, s10
	s_xor_b64 exec, exec, s[6:7]
	s_cbranch_execz .LBB11_1202
.LBB11_3252:
	v_cmp_ne_u16_e32 vcc, 0, v6
	s_andn2_b64 s[4:5], s[4:5], exec
	s_and_b64 s[8:9], vcc, exec
	v_mov_b32_e32 v2, 0
	s_or_b64 s[4:5], s[4:5], s[8:9]
	s_or_b64 exec, exec, s[6:7]
	s_and_saveexec_b64 s[6:7], s[4:5]
	s_cbranch_execnz .LBB11_1203
	s_branch .LBB11_1204
.LBB11_3253:
	s_movk_i32 s4, 0x80
	v_cmp_eq_u16_e32 vcc, s4, v6
	s_mov_b64 s[4:5], -1
                                        ; implicit-def: $sgpr10
	s_and_saveexec_b64 s[8:9], vcc
; %bb.3254:
	s_mov_b32 s10, 0x7f800001
	s_xor_b64 s[4:5], exec, -1
; %bb.3255:
	s_or_b64 exec, exec, s[8:9]
	s_and_b64 s[4:5], s[4:5], exec
                                        ; implicit-def: $vgpr6
	s_or_saveexec_b64 s[6:7], s[6:7]
	v_mov_b32_e32 v12, s10
	s_xor_b64 exec, exec, s[6:7]
	s_cbranch_execz .LBB11_1206
.LBB11_3256:
	v_cmp_ne_u16_e32 vcc, 0, v6
	s_andn2_b64 s[4:5], s[4:5], exec
	s_and_b64 s[8:9], vcc, exec
	v_mov_b32_e32 v12, 0
	s_or_b64 s[4:5], s[4:5], s[8:9]
	s_or_b64 exec, exec, s[6:7]
	s_and_saveexec_b64 s[6:7], s[4:5]
	s_cbranch_execnz .LBB11_1207
	s_branch .LBB11_1208
.LBB11_3257:
	s_movk_i32 s4, 0x80
	v_cmp_eq_u16_sdwa s[12:13], v7, s4 src0_sel:BYTE_3 src1_sel:DWORD
	s_mov_b64 s[4:5], -1
                                        ; implicit-def: $sgpr10
	s_and_saveexec_b64 s[8:9], s[12:13]
; %bb.3258:
	s_mov_b32 s10, 0x7f800001
	s_xor_b64 s[4:5], exec, -1
; %bb.3259:
	s_or_b64 exec, exec, s[8:9]
	s_and_b64 s[4:5], s[4:5], exec
	s_or_saveexec_b64 s[6:7], s[6:7]
	v_mov_b32_e32 v2, s10
	s_xor_b64 exec, exec, s[6:7]
	s_cbranch_execz .LBB11_1210
.LBB11_3260:
	v_mov_b32_e32 v2, 0
	v_cmp_ne_u16_sdwa s[8:9], v7, v2 src0_sel:BYTE_3 src1_sel:DWORD
	s_andn2_b64 s[4:5], s[4:5], exec
	s_and_b64 s[8:9], s[8:9], exec
	s_or_b64 s[4:5], s[4:5], s[8:9]
	s_or_b64 exec, exec, s[6:7]
	s_and_saveexec_b64 s[6:7], s[4:5]
	s_cbranch_execnz .LBB11_1211
	s_branch .LBB11_1212
.LBB11_3261:
	s_movk_i32 s4, 0x80
	v_cmp_eq_u16_sdwa s[12:13], v3, s4 src0_sel:BYTE_3 src1_sel:DWORD
	s_mov_b64 s[4:5], -1
                                        ; implicit-def: $sgpr10
	s_and_saveexec_b64 s[8:9], s[12:13]
; %bb.3262:
	s_mov_b32 s10, 0x7f800001
	s_xor_b64 s[4:5], exec, -1
; %bb.3263:
	s_or_b64 exec, exec, s[8:9]
	s_and_b64 s[4:5], s[4:5], exec
	s_or_saveexec_b64 s[6:7], s[6:7]
	v_mov_b32_e32 v6, s10
	s_xor_b64 exec, exec, s[6:7]
	s_cbranch_execz .LBB11_1214
.LBB11_3264:
	v_mov_b32_e32 v6, 0
	v_cmp_ne_u16_sdwa s[8:9], v3, v6 src0_sel:BYTE_3 src1_sel:DWORD
	s_andn2_b64 s[4:5], s[4:5], exec
	s_and_b64 s[8:9], s[8:9], exec
	s_or_b64 s[4:5], s[4:5], s[8:9]
	s_or_b64 exec, exec, s[6:7]
	s_and_saveexec_b64 s[6:7], s[4:5]
	s_cbranch_execnz .LBB11_1215
	s_branch .LBB11_1216
.LBB11_3265:
	s_movk_i32 s4, 0x80
	v_cmp_eq_u16_sdwa s[12:13], v8, s4 src0_sel:BYTE_0 src1_sel:DWORD
	s_mov_b64 s[4:5], -1
                                        ; implicit-def: $sgpr10
	s_and_saveexec_b64 s[8:9], s[12:13]
; %bb.3266:
	s_mov_b32 s10, 0x7f800001
	s_xor_b64 s[4:5], exec, -1
; %bb.3267:
	s_or_b64 exec, exec, s[8:9]
	s_and_b64 s[4:5], s[4:5], exec
	s_or_saveexec_b64 s[6:7], s[6:7]
	v_mov_b32_e32 v2, s10
	s_xor_b64 exec, exec, s[6:7]
	s_cbranch_execz .LBB11_1218
.LBB11_3268:
	v_mov_b32_e32 v2, 0
	v_cmp_ne_u16_sdwa s[8:9], v8, v2 src0_sel:BYTE_0 src1_sel:DWORD
	s_andn2_b64 s[4:5], s[4:5], exec
	s_and_b64 s[8:9], s[8:9], exec
	s_or_b64 s[4:5], s[4:5], s[8:9]
	s_or_b64 exec, exec, s[6:7]
	s_and_saveexec_b64 s[6:7], s[4:5]
	s_cbranch_execnz .LBB11_1219
	s_branch .LBB11_1220
.LBB11_3269:
	s_movk_i32 s4, 0x80
	v_cmp_eq_u16_sdwa s[12:13], v4, s4 src0_sel:BYTE_0 src1_sel:DWORD
	s_mov_b64 s[4:5], -1
                                        ; implicit-def: $sgpr10
	s_and_saveexec_b64 s[8:9], s[12:13]
; %bb.3270:
	s_mov_b32 s10, 0x7f800001
	s_xor_b64 s[4:5], exec, -1
; %bb.3271:
	s_or_b64 exec, exec, s[8:9]
	s_and_b64 s[4:5], s[4:5], exec
	s_or_saveexec_b64 s[6:7], s[6:7]
	v_mov_b32_e32 v3, s10
	s_xor_b64 exec, exec, s[6:7]
	s_cbranch_execz .LBB11_1222
.LBB11_3272:
	v_mov_b32_e32 v3, 0
	v_cmp_ne_u16_sdwa s[8:9], v4, v3 src0_sel:BYTE_0 src1_sel:DWORD
	s_andn2_b64 s[4:5], s[4:5], exec
	s_and_b64 s[8:9], s[8:9], exec
	s_or_b64 s[4:5], s[4:5], s[8:9]
	s_or_b64 exec, exec, s[6:7]
	s_and_saveexec_b64 s[6:7], s[4:5]
	s_cbranch_execnz .LBB11_1223
	s_branch .LBB11_1224
.LBB11_3273:
	s_movk_i32 s4, 0x80
	v_cmp_eq_u16_sdwa s[12:13], v3, s4 src0_sel:BYTE_0 src1_sel:DWORD
	s_mov_b64 s[4:5], -1
                                        ; implicit-def: $sgpr10
	s_and_saveexec_b64 s[8:9], s[12:13]
; %bb.3274:
	s_mov_b32 s10, 0x7f800001
	s_xor_b64 s[4:5], exec, -1
; %bb.3275:
	s_or_b64 exec, exec, s[8:9]
	s_and_b64 s[4:5], s[4:5], exec
	s_or_saveexec_b64 s[6:7], s[6:7]
	v_mov_b32_e32 v2, s10
	s_xor_b64 exec, exec, s[6:7]
	s_cbranch_execz .LBB11_1226
.LBB11_3276:
	v_mov_b32_e32 v2, 0
	v_cmp_ne_u16_sdwa s[8:9], v3, v2 src0_sel:BYTE_0 src1_sel:DWORD
	s_andn2_b64 s[4:5], s[4:5], exec
	s_and_b64 s[8:9], s[8:9], exec
	s_or_b64 s[4:5], s[4:5], s[8:9]
	s_or_b64 exec, exec, s[6:7]
	s_and_saveexec_b64 s[6:7], s[4:5]
	s_cbranch_execnz .LBB11_1227
	s_branch .LBB11_1228
.LBB11_3277:
	s_movk_i32 s4, 0x80
	v_cmp_eq_u16_sdwa s[12:13], v3, s4 src0_sel:BYTE_0 src1_sel:DWORD
	s_mov_b64 s[4:5], -1
                                        ; implicit-def: $sgpr10
	s_and_saveexec_b64 s[8:9], s[12:13]
; %bb.3278:
	s_mov_b32 s10, 0x7f800001
	s_xor_b64 s[4:5], exec, -1
; %bb.3279:
	s_or_b64 exec, exec, s[8:9]
	s_and_b64 s[4:5], s[4:5], exec
	s_or_saveexec_b64 s[6:7], s[6:7]
	v_mov_b32_e32 v6, s10
	s_xor_b64 exec, exec, s[6:7]
	s_cbranch_execz .LBB11_1230
.LBB11_3280:
	v_mov_b32_e32 v6, 0
	v_cmp_ne_u16_sdwa s[8:9], v3, v6 src0_sel:BYTE_0 src1_sel:DWORD
	s_andn2_b64 s[4:5], s[4:5], exec
	s_and_b64 s[8:9], s[8:9], exec
	s_or_b64 s[4:5], s[4:5], s[8:9]
	s_or_b64 exec, exec, s[6:7]
	s_and_saveexec_b64 s[6:7], s[4:5]
	s_cbranch_execnz .LBB11_1231
	s_branch .LBB11_1232
.LBB11_3281:
	s_movk_i32 s4, 0x80
	v_cmp_eq_u16_e32 vcc, s4, v3
	s_mov_b64 s[4:5], -1
                                        ; implicit-def: $sgpr10
	s_and_saveexec_b64 s[8:9], vcc
; %bb.3282:
	s_mov_b32 s10, 0x7f800001
	s_xor_b64 s[4:5], exec, -1
; %bb.3283:
	s_or_b64 exec, exec, s[8:9]
	s_and_b64 s[4:5], s[4:5], exec
                                        ; implicit-def: $vgpr3
	s_or_saveexec_b64 s[6:7], s[6:7]
	v_mov_b32_e32 v2, s10
	s_xor_b64 exec, exec, s[6:7]
	s_cbranch_execz .LBB11_1234
.LBB11_3284:
	v_cmp_ne_u16_e32 vcc, 0, v3
	s_andn2_b64 s[4:5], s[4:5], exec
	s_and_b64 s[8:9], vcc, exec
	v_mov_b32_e32 v2, 0
	s_or_b64 s[4:5], s[4:5], s[8:9]
	s_or_b64 exec, exec, s[6:7]
	s_and_saveexec_b64 s[6:7], s[4:5]
	s_cbranch_execnz .LBB11_1235
	s_branch .LBB11_1236
.LBB11_3285:
	s_movk_i32 s4, 0x80
	v_cmp_eq_u16_e32 vcc, s4, v3
	s_mov_b64 s[4:5], -1
                                        ; implicit-def: $sgpr10
	s_and_saveexec_b64 s[8:9], vcc
; %bb.3286:
	s_mov_b32 s10, 0x7f800001
	s_xor_b64 s[4:5], exec, -1
; %bb.3287:
	s_or_b64 exec, exec, s[8:9]
	s_and_b64 s[4:5], s[4:5], exec
                                        ; implicit-def: $vgpr3
	s_or_saveexec_b64 s[6:7], s[6:7]
	v_mov_b32_e32 v6, s10
	s_xor_b64 exec, exec, s[6:7]
	s_cbranch_execz .LBB11_1238
.LBB11_3288:
	v_cmp_ne_u16_e32 vcc, 0, v3
	s_andn2_b64 s[4:5], s[4:5], exec
	s_and_b64 s[8:9], vcc, exec
	v_mov_b32_e32 v6, 0
	s_or_b64 s[4:5], s[4:5], s[8:9]
	s_or_b64 exec, exec, s[6:7]
	s_and_saveexec_b64 s[6:7], s[4:5]
	s_cbranch_execnz .LBB11_1239
	s_branch .LBB11_1240
.LBB11_3289:
	s_movk_i32 s4, 0x80
	v_cmp_eq_u16_sdwa s[12:13], v8, s4 src0_sel:BYTE_3 src1_sel:DWORD
	s_mov_b64 s[4:5], -1
                                        ; implicit-def: $sgpr10
	s_and_saveexec_b64 s[8:9], s[12:13]
; %bb.3290:
	s_mov_b32 s10, 0x7f800001
	s_xor_b64 s[4:5], exec, -1
; %bb.3291:
	s_or_b64 exec, exec, s[8:9]
	s_and_b64 s[4:5], s[4:5], exec
	s_or_saveexec_b64 s[6:7], s[6:7]
	v_mov_b32_e32 v2, s10
	s_xor_b64 exec, exec, s[6:7]
	s_cbranch_execz .LBB11_1242
.LBB11_3292:
	v_mov_b32_e32 v2, 0
	v_cmp_ne_u16_sdwa s[8:9], v8, v2 src0_sel:BYTE_3 src1_sel:DWORD
	s_andn2_b64 s[4:5], s[4:5], exec
	s_and_b64 s[8:9], s[8:9], exec
	s_or_b64 s[4:5], s[4:5], s[8:9]
	s_or_b64 exec, exec, s[6:7]
	s_and_saveexec_b64 s[6:7], s[4:5]
	s_cbranch_execnz .LBB11_1243
	s_branch .LBB11_1244
.LBB11_3293:
	s_movk_i32 s4, 0x80
	v_cmp_eq_u16_sdwa s[12:13], v4, s4 src0_sel:BYTE_3 src1_sel:DWORD
	s_mov_b64 s[4:5], -1
                                        ; implicit-def: $sgpr10
	s_and_saveexec_b64 s[8:9], s[12:13]
; %bb.3294:
	s_mov_b32 s10, 0x7f800001
	s_xor_b64 s[4:5], exec, -1
; %bb.3295:
	s_or_b64 exec, exec, s[8:9]
	s_and_b64 s[4:5], s[4:5], exec
	s_or_saveexec_b64 s[6:7], s[6:7]
	v_mov_b32_e32 v3, s10
	s_xor_b64 exec, exec, s[6:7]
	s_cbranch_execz .LBB11_1246
.LBB11_3296:
	v_mov_b32_e32 v3, 0
	v_cmp_ne_u16_sdwa s[8:9], v4, v3 src0_sel:BYTE_3 src1_sel:DWORD
	s_andn2_b64 s[4:5], s[4:5], exec
	s_and_b64 s[8:9], s[8:9], exec
	s_or_b64 s[4:5], s[4:5], s[8:9]
	s_or_b64 exec, exec, s[6:7]
	s_and_saveexec_b64 s[6:7], s[4:5]
	s_cbranch_execnz .LBB11_1247
	s_branch .LBB11_1248
.LBB11_3297:
	s_movk_i32 s4, 0x80
	v_cmp_eq_u16_sdwa s[12:13], v9, s4 src0_sel:BYTE_0 src1_sel:DWORD
	s_mov_b64 s[4:5], -1
                                        ; implicit-def: $sgpr10
	s_and_saveexec_b64 s[8:9], s[12:13]
; %bb.3298:
	s_mov_b32 s10, 0x7f800001
	s_xor_b64 s[4:5], exec, -1
; %bb.3299:
	s_or_b64 exec, exec, s[8:9]
	s_and_b64 s[4:5], s[4:5], exec
	s_or_saveexec_b64 s[6:7], s[6:7]
	v_mov_b32_e32 v2, s10
	s_xor_b64 exec, exec, s[6:7]
	s_cbranch_execz .LBB11_1250
.LBB11_3300:
	v_mov_b32_e32 v2, 0
	v_cmp_ne_u16_sdwa s[8:9], v9, v2 src0_sel:BYTE_0 src1_sel:DWORD
	s_andn2_b64 s[4:5], s[4:5], exec
	s_and_b64 s[8:9], s[8:9], exec
	s_or_b64 s[4:5], s[4:5], s[8:9]
	s_or_b64 exec, exec, s[6:7]
	s_and_saveexec_b64 s[6:7], s[4:5]
	s_cbranch_execnz .LBB11_1251
	s_branch .LBB11_1252
.LBB11_3301:
	s_movk_i32 s4, 0x80
	v_cmp_eq_u16_sdwa s[12:13], v5, s4 src0_sel:BYTE_0 src1_sel:DWORD
	s_mov_b64 s[4:5], -1
                                        ; implicit-def: $sgpr10
	s_and_saveexec_b64 s[8:9], s[12:13]
; %bb.3302:
	s_mov_b32 s10, 0x7f800001
	s_xor_b64 s[4:5], exec, -1
; %bb.3303:
	s_or_b64 exec, exec, s[8:9]
	s_and_b64 s[4:5], s[4:5], exec
	s_or_saveexec_b64 s[6:7], s[6:7]
	v_mov_b32_e32 v3, s10
	s_xor_b64 exec, exec, s[6:7]
	s_cbranch_execz .LBB11_1254
.LBB11_3304:
	v_mov_b32_e32 v3, 0
	v_cmp_ne_u16_sdwa s[8:9], v5, v3 src0_sel:BYTE_0 src1_sel:DWORD
	s_andn2_b64 s[4:5], s[4:5], exec
	s_and_b64 s[8:9], s[8:9], exec
	s_or_b64 s[4:5], s[4:5], s[8:9]
	s_or_b64 exec, exec, s[6:7]
	s_and_saveexec_b64 s[6:7], s[4:5]
	s_cbranch_execnz .LBB11_1255
	s_branch .LBB11_1256
.LBB11_3305:
	s_movk_i32 s4, 0x80
	v_cmp_eq_u16_sdwa s[12:13], v3, s4 src0_sel:BYTE_0 src1_sel:DWORD
	s_mov_b64 s[4:5], -1
                                        ; implicit-def: $sgpr10
	s_and_saveexec_b64 s[8:9], s[12:13]
; %bb.3306:
	s_mov_b32 s10, 0x7f800001
	s_xor_b64 s[4:5], exec, -1
; %bb.3307:
	s_or_b64 exec, exec, s[8:9]
	s_and_b64 s[4:5], s[4:5], exec
	s_or_saveexec_b64 s[6:7], s[6:7]
	v_mov_b32_e32 v2, s10
	s_xor_b64 exec, exec, s[6:7]
	s_cbranch_execz .LBB11_1258
.LBB11_3308:
	v_mov_b32_e32 v2, 0
	v_cmp_ne_u16_sdwa s[8:9], v3, v2 src0_sel:BYTE_0 src1_sel:DWORD
	s_andn2_b64 s[4:5], s[4:5], exec
	s_and_b64 s[8:9], s[8:9], exec
	s_or_b64 s[4:5], s[4:5], s[8:9]
	s_or_b64 exec, exec, s[6:7]
	s_and_saveexec_b64 s[6:7], s[4:5]
	s_cbranch_execnz .LBB11_1259
	s_branch .LBB11_1260
.LBB11_3309:
	s_movk_i32 s4, 0x80
	v_cmp_eq_u16_sdwa s[12:13], v3, s4 src0_sel:BYTE_0 src1_sel:DWORD
	s_mov_b64 s[4:5], -1
                                        ; implicit-def: $sgpr10
	s_and_saveexec_b64 s[8:9], s[12:13]
; %bb.3310:
	s_mov_b32 s10, 0x7f800001
	s_xor_b64 s[4:5], exec, -1
; %bb.3311:
	s_or_b64 exec, exec, s[8:9]
	s_and_b64 s[4:5], s[4:5], exec
	s_or_saveexec_b64 s[6:7], s[6:7]
	v_mov_b32_e32 v4, s10
	s_xor_b64 exec, exec, s[6:7]
	s_cbranch_execz .LBB11_1262
.LBB11_3312:
	v_mov_b32_e32 v4, 0
	v_cmp_ne_u16_sdwa s[8:9], v3, v4 src0_sel:BYTE_0 src1_sel:DWORD
	s_andn2_b64 s[4:5], s[4:5], exec
	s_and_b64 s[8:9], s[8:9], exec
	s_or_b64 s[4:5], s[4:5], s[8:9]
	s_or_b64 exec, exec, s[6:7]
	s_and_saveexec_b64 s[6:7], s[4:5]
	s_cbranch_execnz .LBB11_1263
	s_branch .LBB11_1264
.LBB11_3313:
	s_movk_i32 s4, 0x80
	v_cmp_eq_u16_e32 vcc, s4, v3
	s_mov_b64 s[4:5], -1
                                        ; implicit-def: $sgpr10
	s_and_saveexec_b64 s[8:9], vcc
; %bb.3314:
	s_mov_b32 s10, 0x7f800001
	s_xor_b64 s[4:5], exec, -1
; %bb.3315:
	s_or_b64 exec, exec, s[8:9]
	s_and_b64 s[4:5], s[4:5], exec
                                        ; implicit-def: $vgpr3
	s_or_saveexec_b64 s[6:7], s[6:7]
	v_mov_b32_e32 v2, s10
	s_xor_b64 exec, exec, s[6:7]
	s_cbranch_execz .LBB11_1266
.LBB11_3316:
	v_cmp_ne_u16_e32 vcc, 0, v3
	s_andn2_b64 s[4:5], s[4:5], exec
	s_and_b64 s[8:9], vcc, exec
	v_mov_b32_e32 v2, 0
	s_or_b64 s[4:5], s[4:5], s[8:9]
	s_or_b64 exec, exec, s[6:7]
	s_and_saveexec_b64 s[6:7], s[4:5]
	s_cbranch_execnz .LBB11_1267
	s_branch .LBB11_1268
.LBB11_3317:
	s_movk_i32 s4, 0x80
	v_cmp_eq_u16_e32 vcc, s4, v3
	s_mov_b64 s[4:5], -1
                                        ; implicit-def: $sgpr10
	s_and_saveexec_b64 s[8:9], vcc
; %bb.3318:
	s_mov_b32 s10, 0x7f800001
	s_xor_b64 s[4:5], exec, -1
; %bb.3319:
	s_or_b64 exec, exec, s[8:9]
	s_and_b64 s[4:5], s[4:5], exec
                                        ; implicit-def: $vgpr3
	s_or_saveexec_b64 s[6:7], s[6:7]
	v_mov_b32_e32 v4, s10
	s_xor_b64 exec, exec, s[6:7]
	s_cbranch_execz .LBB11_1270
.LBB11_3320:
	v_cmp_ne_u16_e32 vcc, 0, v3
	s_andn2_b64 s[4:5], s[4:5], exec
	s_and_b64 s[8:9], vcc, exec
	v_mov_b32_e32 v4, 0
	s_or_b64 s[4:5], s[4:5], s[8:9]
	s_or_b64 exec, exec, s[6:7]
	s_and_saveexec_b64 s[6:7], s[4:5]
	s_cbranch_execnz .LBB11_1271
	s_branch .LBB11_1272
.LBB11_3321:
	s_movk_i32 s4, 0x80
	v_cmp_eq_u16_sdwa s[12:13], v9, s4 src0_sel:BYTE_3 src1_sel:DWORD
	s_mov_b64 s[4:5], -1
                                        ; implicit-def: $sgpr10
	s_and_saveexec_b64 s[8:9], s[12:13]
; %bb.3322:
	s_mov_b32 s10, 0x7f800001
	s_xor_b64 s[4:5], exec, -1
; %bb.3323:
	s_or_b64 exec, exec, s[8:9]
	s_and_b64 s[4:5], s[4:5], exec
	s_or_saveexec_b64 s[6:7], s[6:7]
	v_mov_b32_e32 v2, s10
	s_xor_b64 exec, exec, s[6:7]
	s_cbranch_execz .LBB11_1274
.LBB11_3324:
	v_mov_b32_e32 v2, 0
	v_cmp_ne_u16_sdwa s[8:9], v9, v2 src0_sel:BYTE_3 src1_sel:DWORD
	s_andn2_b64 s[4:5], s[4:5], exec
	s_and_b64 s[8:9], s[8:9], exec
	s_or_b64 s[4:5], s[4:5], s[8:9]
	s_or_b64 exec, exec, s[6:7]
	s_and_saveexec_b64 s[6:7], s[4:5]
	s_cbranch_execnz .LBB11_1275
	s_branch .LBB11_1276
.LBB11_3325:
	s_movk_i32 s4, 0x80
	v_cmp_eq_u16_sdwa s[12:13], v5, s4 src0_sel:BYTE_3 src1_sel:DWORD
	s_mov_b64 s[4:5], -1
                                        ; implicit-def: $sgpr10
	s_and_saveexec_b64 s[8:9], s[12:13]
; %bb.3326:
	s_mov_b32 s10, 0x7f800001
	s_xor_b64 s[4:5], exec, -1
; %bb.3327:
	s_or_b64 exec, exec, s[8:9]
	s_and_b64 s[4:5], s[4:5], exec
	s_or_saveexec_b64 s[6:7], s[6:7]
	v_mov_b32_e32 v3, s10
	s_xor_b64 exec, exec, s[6:7]
	s_cbranch_execz .LBB11_1278
.LBB11_3328:
	v_mov_b32_e32 v3, 0
	v_cmp_ne_u16_sdwa s[8:9], v5, v3 src0_sel:BYTE_3 src1_sel:DWORD
	s_andn2_b64 s[4:5], s[4:5], exec
	s_and_b64 s[8:9], s[8:9], exec
	s_or_b64 s[4:5], s[4:5], s[8:9]
	s_or_b64 exec, exec, s[6:7]
	s_and_saveexec_b64 s[6:7], s[4:5]
	s_cbranch_execnz .LBB11_1279
	s_branch .LBB11_1280
.LBB11_3329:
	s_movk_i32 s4, 0x80
	v_cmp_eq_u16_sdwa s[12:13], v6, s4 src0_sel:BYTE_0 src1_sel:DWORD
	s_mov_b64 s[4:5], -1
                                        ; implicit-def: $sgpr10
	s_and_saveexec_b64 s[8:9], s[12:13]
; %bb.3330:
	s_mov_b32 s10, 0x7f800001
	s_xor_b64 s[4:5], exec, -1
; %bb.3331:
	s_or_b64 exec, exec, s[8:9]
	s_and_b64 s[4:5], s[4:5], exec
	s_or_saveexec_b64 s[6:7], s[6:7]
	v_mov_b32_e32 v12, s10
	s_xor_b64 exec, exec, s[6:7]
	s_cbranch_execz .LBB11_1282
.LBB11_3332:
	v_mov_b32_e32 v12, 0
	v_cmp_ne_u16_sdwa s[8:9], v6, v12 src0_sel:BYTE_0 src1_sel:DWORD
	s_andn2_b64 s[4:5], s[4:5], exec
	s_and_b64 s[8:9], s[8:9], exec
	s_or_b64 s[4:5], s[4:5], s[8:9]
	s_or_b64 exec, exec, s[6:7]
	s_and_saveexec_b64 s[6:7], s[4:5]
	s_cbranch_execnz .LBB11_1283
	s_branch .LBB11_1284
.LBB11_3333:
	s_movk_i32 s4, 0x80
	v_cmp_eq_u16_sdwa s[12:13], v2, s4 src0_sel:BYTE_0 src1_sel:DWORD
	s_mov_b64 s[4:5], -1
                                        ; implicit-def: $sgpr10
	s_and_saveexec_b64 s[8:9], s[12:13]
; %bb.3334:
	s_mov_b32 s10, 0x7f800001
	s_xor_b64 s[4:5], exec, -1
; %bb.3335:
	s_or_b64 exec, exec, s[8:9]
	s_and_b64 s[4:5], s[4:5], exec
	s_or_saveexec_b64 s[6:7], s[6:7]
	v_mov_b32_e32 v13, s10
	s_xor_b64 exec, exec, s[6:7]
	s_cbranch_execz .LBB11_1286
.LBB11_3336:
	v_mov_b32_e32 v13, 0
	v_cmp_ne_u16_sdwa s[8:9], v2, v13 src0_sel:BYTE_0 src1_sel:DWORD
	s_andn2_b64 s[4:5], s[4:5], exec
	s_and_b64 s[8:9], s[8:9], exec
	s_or_b64 s[4:5], s[4:5], s[8:9]
	s_or_b64 exec, exec, s[6:7]
	s_and_saveexec_b64 s[6:7], s[4:5]
	s_cbranch_execnz .LBB11_1287
	s_branch .LBB11_1288
.LBB11_3337:
	s_movk_i32 s4, 0x80
	v_cmp_eq_u16_sdwa s[12:13], v13, s4 src0_sel:BYTE_0 src1_sel:DWORD
	s_mov_b64 s[4:5], -1
                                        ; implicit-def: $sgpr10
	s_and_saveexec_b64 s[8:9], s[12:13]
; %bb.3338:
	s_mov_b32 s10, 0x7f800001
	s_xor_b64 s[4:5], exec, -1
; %bb.3339:
	s_or_b64 exec, exec, s[8:9]
	s_and_b64 s[4:5], s[4:5], exec
	s_or_saveexec_b64 s[6:7], s[6:7]
	v_mov_b32_e32 v12, s10
	s_xor_b64 exec, exec, s[6:7]
	s_cbranch_execz .LBB11_1290
.LBB11_3340:
	v_mov_b32_e32 v12, 0
	v_cmp_ne_u16_sdwa s[8:9], v13, v12 src0_sel:BYTE_0 src1_sel:DWORD
	s_andn2_b64 s[4:5], s[4:5], exec
	s_and_b64 s[8:9], s[8:9], exec
	s_or_b64 s[4:5], s[4:5], s[8:9]
	s_or_b64 exec, exec, s[6:7]
	s_and_saveexec_b64 s[6:7], s[4:5]
	s_cbranch_execnz .LBB11_1291
	s_branch .LBB11_1292
.LBB11_3341:
	s_movk_i32 s4, 0x80
	v_cmp_eq_u16_sdwa s[12:13], v13, s4 src0_sel:BYTE_0 src1_sel:DWORD
	s_mov_b64 s[4:5], -1
                                        ; implicit-def: $sgpr10
	s_and_saveexec_b64 s[8:9], s[12:13]
; %bb.3342:
	s_mov_b32 s10, 0x7f800001
	s_xor_b64 s[4:5], exec, -1
; %bb.3343:
	s_or_b64 exec, exec, s[8:9]
	s_and_b64 s[4:5], s[4:5], exec
	s_or_saveexec_b64 s[6:7], s[6:7]
	v_mov_b32_e32 v14, s10
	s_xor_b64 exec, exec, s[6:7]
	s_cbranch_execz .LBB11_1294
.LBB11_3344:
	v_mov_b32_e32 v14, 0
	v_cmp_ne_u16_sdwa s[8:9], v13, v14 src0_sel:BYTE_0 src1_sel:DWORD
	s_andn2_b64 s[4:5], s[4:5], exec
	s_and_b64 s[8:9], s[8:9], exec
	s_or_b64 s[4:5], s[4:5], s[8:9]
	s_or_b64 exec, exec, s[6:7]
	s_and_saveexec_b64 s[6:7], s[4:5]
	s_cbranch_execnz .LBB11_1295
	s_branch .LBB11_1296
.LBB11_3345:
	s_movk_i32 s4, 0x80
	v_cmp_eq_u16_e32 vcc, s4, v13
	s_mov_b64 s[4:5], -1
                                        ; implicit-def: $sgpr10
	s_and_saveexec_b64 s[8:9], vcc
; %bb.3346:
	s_mov_b32 s10, 0x7f800001
	s_xor_b64 s[4:5], exec, -1
; %bb.3347:
	s_or_b64 exec, exec, s[8:9]
	s_and_b64 s[4:5], s[4:5], exec
                                        ; implicit-def: $vgpr13
	s_or_saveexec_b64 s[6:7], s[6:7]
	v_mov_b32_e32 v12, s10
	s_xor_b64 exec, exec, s[6:7]
	s_cbranch_execz .LBB11_1298
.LBB11_3348:
	v_cmp_ne_u16_e32 vcc, 0, v13
	s_andn2_b64 s[4:5], s[4:5], exec
	s_and_b64 s[8:9], vcc, exec
	v_mov_b32_e32 v12, 0
	s_or_b64 s[4:5], s[4:5], s[8:9]
	s_or_b64 exec, exec, s[6:7]
	s_and_saveexec_b64 s[6:7], s[4:5]
	s_cbranch_execnz .LBB11_1299
	s_branch .LBB11_1300
.LBB11_3349:
	s_movk_i32 s4, 0x80
	v_cmp_eq_u16_e32 vcc, s4, v13
	s_mov_b64 s[4:5], -1
                                        ; implicit-def: $sgpr10
	s_and_saveexec_b64 s[8:9], vcc
; %bb.3350:
	s_mov_b32 s10, 0x7f800001
	s_xor_b64 s[4:5], exec, -1
; %bb.3351:
	s_or_b64 exec, exec, s[8:9]
	s_and_b64 s[4:5], s[4:5], exec
                                        ; implicit-def: $vgpr13
	s_or_saveexec_b64 s[6:7], s[6:7]
	v_mov_b32_e32 v14, s10
	s_xor_b64 exec, exec, s[6:7]
	s_cbranch_execz .LBB11_1302
.LBB11_3352:
	v_cmp_ne_u16_e32 vcc, 0, v13
	s_andn2_b64 s[4:5], s[4:5], exec
	s_and_b64 s[8:9], vcc, exec
	v_mov_b32_e32 v14, 0
	s_or_b64 s[4:5], s[4:5], s[8:9]
	s_or_b64 exec, exec, s[6:7]
	s_and_saveexec_b64 s[6:7], s[4:5]
	s_cbranch_execnz .LBB11_1303
	s_branch .LBB11_1304
.LBB11_3353:
	s_movk_i32 s4, 0x80
	v_cmp_eq_u16_sdwa s[12:13], v6, s4 src0_sel:BYTE_3 src1_sel:DWORD
	s_mov_b64 s[4:5], -1
                                        ; implicit-def: $sgpr10
	s_and_saveexec_b64 s[8:9], s[12:13]
; %bb.3354:
	s_mov_b32 s10, 0x7f800001
	s_xor_b64 s[4:5], exec, -1
; %bb.3355:
	s_or_b64 exec, exec, s[8:9]
	s_and_b64 s[4:5], s[4:5], exec
	s_or_saveexec_b64 s[6:7], s[6:7]
	v_mov_b32_e32 v12, s10
	s_xor_b64 exec, exec, s[6:7]
	s_cbranch_execz .LBB11_1306
.LBB11_3356:
	v_mov_b32_e32 v12, 0
	v_cmp_ne_u16_sdwa s[8:9], v6, v12 src0_sel:BYTE_3 src1_sel:DWORD
	s_andn2_b64 s[4:5], s[4:5], exec
	s_and_b64 s[8:9], s[8:9], exec
	s_or_b64 s[4:5], s[4:5], s[8:9]
	s_or_b64 exec, exec, s[6:7]
	s_and_saveexec_b64 s[6:7], s[4:5]
	s_cbranch_execnz .LBB11_1307
	s_branch .LBB11_1308
.LBB11_3357:
	s_movk_i32 s4, 0x80
	v_cmp_eq_u16_sdwa s[12:13], v2, s4 src0_sel:BYTE_3 src1_sel:DWORD
	s_mov_b64 s[4:5], -1
                                        ; implicit-def: $sgpr10
	s_and_saveexec_b64 s[8:9], s[12:13]
; %bb.3358:
	s_mov_b32 s10, 0x7f800001
	s_xor_b64 s[4:5], exec, -1
; %bb.3359:
	s_or_b64 exec, exec, s[8:9]
	s_and_b64 s[4:5], s[4:5], exec
	s_or_saveexec_b64 s[6:7], s[6:7]
	v_mov_b32_e32 v6, s10
	s_xor_b64 exec, exec, s[6:7]
	s_cbranch_execz .LBB11_1310
.LBB11_3360:
	v_mov_b32_e32 v6, 0
	v_cmp_ne_u16_sdwa s[8:9], v2, v6 src0_sel:BYTE_3 src1_sel:DWORD
	s_andn2_b64 s[4:5], s[4:5], exec
	s_and_b64 s[8:9], s[8:9], exec
	s_or_b64 s[4:5], s[4:5], s[8:9]
	s_or_b64 exec, exec, s[6:7]
	s_and_saveexec_b64 s[6:7], s[4:5]
	s_cbranch_execnz .LBB11_1311
	s_branch .LBB11_1312
.LBB11_3361:
	s_movk_i32 s4, 0x80
	v_cmp_eq_u16_sdwa s[12:13], v7, s4 src0_sel:BYTE_0 src1_sel:DWORD
	s_mov_b64 s[4:5], -1
                                        ; implicit-def: $sgpr10
	s_and_saveexec_b64 s[8:9], s[12:13]
; %bb.3362:
	s_mov_b32 s10, 0x7f800001
	s_xor_b64 s[4:5], exec, -1
; %bb.3363:
	s_or_b64 exec, exec, s[8:9]
	s_and_b64 s[4:5], s[4:5], exec
	s_or_saveexec_b64 s[6:7], s[6:7]
	v_mov_b32_e32 v2, s10
	s_xor_b64 exec, exec, s[6:7]
	s_cbranch_execz .LBB11_1314
.LBB11_3364:
	v_mov_b32_e32 v2, 0
	v_cmp_ne_u16_sdwa s[8:9], v7, v2 src0_sel:BYTE_0 src1_sel:DWORD
	s_andn2_b64 s[4:5], s[4:5], exec
	s_and_b64 s[8:9], s[8:9], exec
	s_or_b64 s[4:5], s[4:5], s[8:9]
	s_or_b64 exec, exec, s[6:7]
	s_and_saveexec_b64 s[6:7], s[4:5]
	s_cbranch_execnz .LBB11_1315
	s_branch .LBB11_1316
.LBB11_3365:
	s_movk_i32 s4, 0x80
	v_cmp_eq_u16_sdwa s[12:13], v3, s4 src0_sel:BYTE_0 src1_sel:DWORD
	s_mov_b64 s[4:5], -1
                                        ; implicit-def: $sgpr10
	s_and_saveexec_b64 s[8:9], s[12:13]
; %bb.3366:
	s_mov_b32 s10, 0x7f800001
	s_xor_b64 s[4:5], exec, -1
; %bb.3367:
	s_or_b64 exec, exec, s[8:9]
	s_and_b64 s[4:5], s[4:5], exec
	s_or_saveexec_b64 s[6:7], s[6:7]
	v_mov_b32_e32 v6, s10
	s_xor_b64 exec, exec, s[6:7]
	s_cbranch_execz .LBB11_1318
.LBB11_3368:
	v_mov_b32_e32 v6, 0
	v_cmp_ne_u16_sdwa s[8:9], v3, v6 src0_sel:BYTE_0 src1_sel:DWORD
	s_andn2_b64 s[4:5], s[4:5], exec
	s_and_b64 s[8:9], s[8:9], exec
	s_or_b64 s[4:5], s[4:5], s[8:9]
	s_or_b64 exec, exec, s[6:7]
	s_and_saveexec_b64 s[6:7], s[4:5]
	s_cbranch_execnz .LBB11_1319
	s_branch .LBB11_1320
.LBB11_3369:
	s_movk_i32 s4, 0x80
	v_cmp_eq_u16_sdwa s[12:13], v6, s4 src0_sel:BYTE_0 src1_sel:DWORD
	s_mov_b64 s[4:5], -1
                                        ; implicit-def: $sgpr10
	s_and_saveexec_b64 s[8:9], s[12:13]
; %bb.3370:
	s_mov_b32 s10, 0x7f800001
	s_xor_b64 s[4:5], exec, -1
; %bb.3371:
	s_or_b64 exec, exec, s[8:9]
	s_and_b64 s[4:5], s[4:5], exec
	s_or_saveexec_b64 s[6:7], s[6:7]
	v_mov_b32_e32 v2, s10
	s_xor_b64 exec, exec, s[6:7]
	s_cbranch_execz .LBB11_1322
.LBB11_3372:
	v_mov_b32_e32 v2, 0
	v_cmp_ne_u16_sdwa s[8:9], v6, v2 src0_sel:BYTE_0 src1_sel:DWORD
	s_andn2_b64 s[4:5], s[4:5], exec
	s_and_b64 s[8:9], s[8:9], exec
	s_or_b64 s[4:5], s[4:5], s[8:9]
	s_or_b64 exec, exec, s[6:7]
	s_and_saveexec_b64 s[6:7], s[4:5]
	s_cbranch_execnz .LBB11_1323
	s_branch .LBB11_1324
.LBB11_3373:
	s_movk_i32 s4, 0x80
	v_cmp_eq_u16_sdwa s[12:13], v6, s4 src0_sel:BYTE_0 src1_sel:DWORD
	s_mov_b64 s[4:5], -1
                                        ; implicit-def: $sgpr10
	s_and_saveexec_b64 s[8:9], s[12:13]
; %bb.3374:
	s_mov_b32 s10, 0x7f800001
	s_xor_b64 s[4:5], exec, -1
; %bb.3375:
	s_or_b64 exec, exec, s[8:9]
	s_and_b64 s[4:5], s[4:5], exec
	s_or_saveexec_b64 s[6:7], s[6:7]
	v_mov_b32_e32 v12, s10
	s_xor_b64 exec, exec, s[6:7]
	s_cbranch_execz .LBB11_1326
.LBB11_3376:
	v_mov_b32_e32 v12, 0
	v_cmp_ne_u16_sdwa s[8:9], v6, v12 src0_sel:BYTE_0 src1_sel:DWORD
	s_andn2_b64 s[4:5], s[4:5], exec
	s_and_b64 s[8:9], s[8:9], exec
	s_or_b64 s[4:5], s[4:5], s[8:9]
	s_or_b64 exec, exec, s[6:7]
	s_and_saveexec_b64 s[6:7], s[4:5]
	s_cbranch_execnz .LBB11_1327
	s_branch .LBB11_1328
.LBB11_3377:
	s_movk_i32 s4, 0x80
	v_cmp_eq_u16_e32 vcc, s4, v6
	s_mov_b64 s[4:5], -1
                                        ; implicit-def: $sgpr10
	s_and_saveexec_b64 s[8:9], vcc
; %bb.3378:
	s_mov_b32 s10, 0x7f800001
	s_xor_b64 s[4:5], exec, -1
; %bb.3379:
	s_or_b64 exec, exec, s[8:9]
	s_and_b64 s[4:5], s[4:5], exec
                                        ; implicit-def: $vgpr6
	s_or_saveexec_b64 s[6:7], s[6:7]
	v_mov_b32_e32 v2, s10
	s_xor_b64 exec, exec, s[6:7]
	s_cbranch_execz .LBB11_1330
.LBB11_3380:
	v_cmp_ne_u16_e32 vcc, 0, v6
	s_andn2_b64 s[4:5], s[4:5], exec
	s_and_b64 s[8:9], vcc, exec
	v_mov_b32_e32 v2, 0
	s_or_b64 s[4:5], s[4:5], s[8:9]
	s_or_b64 exec, exec, s[6:7]
	s_and_saveexec_b64 s[6:7], s[4:5]
	s_cbranch_execnz .LBB11_1331
	s_branch .LBB11_1332
.LBB11_3381:
	s_movk_i32 s4, 0x80
	v_cmp_eq_u16_e32 vcc, s4, v6
	s_mov_b64 s[4:5], -1
                                        ; implicit-def: $sgpr10
	s_and_saveexec_b64 s[8:9], vcc
; %bb.3382:
	s_mov_b32 s10, 0x7f800001
	s_xor_b64 s[4:5], exec, -1
; %bb.3383:
	s_or_b64 exec, exec, s[8:9]
	s_and_b64 s[4:5], s[4:5], exec
                                        ; implicit-def: $vgpr6
	s_or_saveexec_b64 s[6:7], s[6:7]
	v_mov_b32_e32 v12, s10
	s_xor_b64 exec, exec, s[6:7]
	s_cbranch_execz .LBB11_1334
.LBB11_3384:
	v_cmp_ne_u16_e32 vcc, 0, v6
	s_andn2_b64 s[4:5], s[4:5], exec
	s_and_b64 s[8:9], vcc, exec
	v_mov_b32_e32 v12, 0
	s_or_b64 s[4:5], s[4:5], s[8:9]
	s_or_b64 exec, exec, s[6:7]
	s_and_saveexec_b64 s[6:7], s[4:5]
	s_cbranch_execnz .LBB11_1335
	s_branch .LBB11_1336
.LBB11_3385:
	s_movk_i32 s4, 0x80
	v_cmp_eq_u16_sdwa s[12:13], v7, s4 src0_sel:BYTE_3 src1_sel:DWORD
	s_mov_b64 s[4:5], -1
                                        ; implicit-def: $sgpr10
	s_and_saveexec_b64 s[8:9], s[12:13]
; %bb.3386:
	s_mov_b32 s10, 0x7f800001
	s_xor_b64 s[4:5], exec, -1
; %bb.3387:
	s_or_b64 exec, exec, s[8:9]
	s_and_b64 s[4:5], s[4:5], exec
	s_or_saveexec_b64 s[6:7], s[6:7]
	v_mov_b32_e32 v2, s10
	s_xor_b64 exec, exec, s[6:7]
	s_cbranch_execz .LBB11_1338
.LBB11_3388:
	v_mov_b32_e32 v2, 0
	v_cmp_ne_u16_sdwa s[8:9], v7, v2 src0_sel:BYTE_3 src1_sel:DWORD
	s_andn2_b64 s[4:5], s[4:5], exec
	s_and_b64 s[8:9], s[8:9], exec
	s_or_b64 s[4:5], s[4:5], s[8:9]
	s_or_b64 exec, exec, s[6:7]
	s_and_saveexec_b64 s[6:7], s[4:5]
	s_cbranch_execnz .LBB11_1339
	s_branch .LBB11_1340
.LBB11_3389:
	s_movk_i32 s4, 0x80
	v_cmp_eq_u16_sdwa s[12:13], v3, s4 src0_sel:BYTE_3 src1_sel:DWORD
	s_mov_b64 s[4:5], -1
                                        ; implicit-def: $sgpr10
	s_and_saveexec_b64 s[8:9], s[12:13]
; %bb.3390:
	s_mov_b32 s10, 0x7f800001
	s_xor_b64 s[4:5], exec, -1
; %bb.3391:
	s_or_b64 exec, exec, s[8:9]
	s_and_b64 s[4:5], s[4:5], exec
	s_or_saveexec_b64 s[6:7], s[6:7]
	v_mov_b32_e32 v6, s10
	s_xor_b64 exec, exec, s[6:7]
	s_cbranch_execz .LBB11_1342
.LBB11_3392:
	v_mov_b32_e32 v6, 0
	v_cmp_ne_u16_sdwa s[8:9], v3, v6 src0_sel:BYTE_3 src1_sel:DWORD
	s_andn2_b64 s[4:5], s[4:5], exec
	s_and_b64 s[8:9], s[8:9], exec
	s_or_b64 s[4:5], s[4:5], s[8:9]
	s_or_b64 exec, exec, s[6:7]
	s_and_saveexec_b64 s[6:7], s[4:5]
	s_cbranch_execnz .LBB11_1343
	s_branch .LBB11_1344
.LBB11_3393:
	s_movk_i32 s4, 0x80
	v_cmp_eq_u16_sdwa s[12:13], v8, s4 src0_sel:BYTE_0 src1_sel:DWORD
	s_mov_b64 s[4:5], -1
                                        ; implicit-def: $sgpr10
	s_and_saveexec_b64 s[8:9], s[12:13]
; %bb.3394:
	s_mov_b32 s10, 0x7f800001
	s_xor_b64 s[4:5], exec, -1
; %bb.3395:
	s_or_b64 exec, exec, s[8:9]
	s_and_b64 s[4:5], s[4:5], exec
	s_or_saveexec_b64 s[6:7], s[6:7]
	v_mov_b32_e32 v2, s10
	s_xor_b64 exec, exec, s[6:7]
	s_cbranch_execz .LBB11_1346
.LBB11_3396:
	v_mov_b32_e32 v2, 0
	v_cmp_ne_u16_sdwa s[8:9], v8, v2 src0_sel:BYTE_0 src1_sel:DWORD
	s_andn2_b64 s[4:5], s[4:5], exec
	s_and_b64 s[8:9], s[8:9], exec
	s_or_b64 s[4:5], s[4:5], s[8:9]
	s_or_b64 exec, exec, s[6:7]
	s_and_saveexec_b64 s[6:7], s[4:5]
	s_cbranch_execnz .LBB11_1347
	s_branch .LBB11_1348
.LBB11_3397:
	s_movk_i32 s4, 0x80
	v_cmp_eq_u16_sdwa s[12:13], v4, s4 src0_sel:BYTE_0 src1_sel:DWORD
	s_mov_b64 s[4:5], -1
                                        ; implicit-def: $sgpr10
	s_and_saveexec_b64 s[8:9], s[12:13]
; %bb.3398:
	s_mov_b32 s10, 0x7f800001
	s_xor_b64 s[4:5], exec, -1
; %bb.3399:
	s_or_b64 exec, exec, s[8:9]
	s_and_b64 s[4:5], s[4:5], exec
	s_or_saveexec_b64 s[6:7], s[6:7]
	v_mov_b32_e32 v3, s10
	s_xor_b64 exec, exec, s[6:7]
	s_cbranch_execz .LBB11_1350
.LBB11_3400:
	v_mov_b32_e32 v3, 0
	v_cmp_ne_u16_sdwa s[8:9], v4, v3 src0_sel:BYTE_0 src1_sel:DWORD
	s_andn2_b64 s[4:5], s[4:5], exec
	s_and_b64 s[8:9], s[8:9], exec
	s_or_b64 s[4:5], s[4:5], s[8:9]
	s_or_b64 exec, exec, s[6:7]
	s_and_saveexec_b64 s[6:7], s[4:5]
	s_cbranch_execnz .LBB11_1351
	s_branch .LBB11_1352
.LBB11_3401:
	s_movk_i32 s4, 0x80
	v_cmp_eq_u16_sdwa s[12:13], v3, s4 src0_sel:BYTE_0 src1_sel:DWORD
	s_mov_b64 s[4:5], -1
                                        ; implicit-def: $sgpr10
	s_and_saveexec_b64 s[8:9], s[12:13]
; %bb.3402:
	s_mov_b32 s10, 0x7f800001
	s_xor_b64 s[4:5], exec, -1
; %bb.3403:
	s_or_b64 exec, exec, s[8:9]
	s_and_b64 s[4:5], s[4:5], exec
	s_or_saveexec_b64 s[6:7], s[6:7]
	v_mov_b32_e32 v2, s10
	s_xor_b64 exec, exec, s[6:7]
	s_cbranch_execz .LBB11_1354
.LBB11_3404:
	v_mov_b32_e32 v2, 0
	v_cmp_ne_u16_sdwa s[8:9], v3, v2 src0_sel:BYTE_0 src1_sel:DWORD
	s_andn2_b64 s[4:5], s[4:5], exec
	s_and_b64 s[8:9], s[8:9], exec
	s_or_b64 s[4:5], s[4:5], s[8:9]
	s_or_b64 exec, exec, s[6:7]
	s_and_saveexec_b64 s[6:7], s[4:5]
	s_cbranch_execnz .LBB11_1355
	s_branch .LBB11_1356
.LBB11_3405:
	s_movk_i32 s4, 0x80
	v_cmp_eq_u16_sdwa s[12:13], v3, s4 src0_sel:BYTE_0 src1_sel:DWORD
	s_mov_b64 s[4:5], -1
                                        ; implicit-def: $sgpr10
	s_and_saveexec_b64 s[8:9], s[12:13]
; %bb.3406:
	s_mov_b32 s10, 0x7f800001
	s_xor_b64 s[4:5], exec, -1
; %bb.3407:
	s_or_b64 exec, exec, s[8:9]
	s_and_b64 s[4:5], s[4:5], exec
	s_or_saveexec_b64 s[6:7], s[6:7]
	v_mov_b32_e32 v6, s10
	s_xor_b64 exec, exec, s[6:7]
	s_cbranch_execz .LBB11_1358
.LBB11_3408:
	v_mov_b32_e32 v6, 0
	v_cmp_ne_u16_sdwa s[8:9], v3, v6 src0_sel:BYTE_0 src1_sel:DWORD
	s_andn2_b64 s[4:5], s[4:5], exec
	s_and_b64 s[8:9], s[8:9], exec
	s_or_b64 s[4:5], s[4:5], s[8:9]
	s_or_b64 exec, exec, s[6:7]
	s_and_saveexec_b64 s[6:7], s[4:5]
	s_cbranch_execnz .LBB11_1359
	s_branch .LBB11_1360
.LBB11_3409:
	s_movk_i32 s4, 0x80
	v_cmp_eq_u16_e32 vcc, s4, v3
	s_mov_b64 s[4:5], -1
                                        ; implicit-def: $sgpr10
	s_and_saveexec_b64 s[8:9], vcc
; %bb.3410:
	s_mov_b32 s10, 0x7f800001
	s_xor_b64 s[4:5], exec, -1
; %bb.3411:
	s_or_b64 exec, exec, s[8:9]
	s_and_b64 s[4:5], s[4:5], exec
                                        ; implicit-def: $vgpr3
	s_or_saveexec_b64 s[6:7], s[6:7]
	v_mov_b32_e32 v2, s10
	s_xor_b64 exec, exec, s[6:7]
	s_cbranch_execz .LBB11_1362
.LBB11_3412:
	v_cmp_ne_u16_e32 vcc, 0, v3
	s_andn2_b64 s[4:5], s[4:5], exec
	s_and_b64 s[8:9], vcc, exec
	v_mov_b32_e32 v2, 0
	s_or_b64 s[4:5], s[4:5], s[8:9]
	s_or_b64 exec, exec, s[6:7]
	s_and_saveexec_b64 s[6:7], s[4:5]
	s_cbranch_execnz .LBB11_1363
	s_branch .LBB11_1364
.LBB11_3413:
	s_movk_i32 s4, 0x80
	v_cmp_eq_u16_e32 vcc, s4, v3
	s_mov_b64 s[4:5], -1
                                        ; implicit-def: $sgpr10
	s_and_saveexec_b64 s[8:9], vcc
; %bb.3414:
	s_mov_b32 s10, 0x7f800001
	s_xor_b64 s[4:5], exec, -1
; %bb.3415:
	s_or_b64 exec, exec, s[8:9]
	s_and_b64 s[4:5], s[4:5], exec
                                        ; implicit-def: $vgpr3
	s_or_saveexec_b64 s[6:7], s[6:7]
	v_mov_b32_e32 v6, s10
	s_xor_b64 exec, exec, s[6:7]
	s_cbranch_execz .LBB11_1366
.LBB11_3416:
	v_cmp_ne_u16_e32 vcc, 0, v3
	s_andn2_b64 s[4:5], s[4:5], exec
	s_and_b64 s[8:9], vcc, exec
	v_mov_b32_e32 v6, 0
	s_or_b64 s[4:5], s[4:5], s[8:9]
	s_or_b64 exec, exec, s[6:7]
	s_and_saveexec_b64 s[6:7], s[4:5]
	s_cbranch_execnz .LBB11_1367
	s_branch .LBB11_1368
.LBB11_3417:
	s_movk_i32 s4, 0x80
	v_cmp_eq_u16_sdwa s[12:13], v8, s4 src0_sel:BYTE_3 src1_sel:DWORD
	s_mov_b64 s[4:5], -1
                                        ; implicit-def: $sgpr10
	s_and_saveexec_b64 s[8:9], s[12:13]
; %bb.3418:
	s_mov_b32 s10, 0x7f800001
	s_xor_b64 s[4:5], exec, -1
; %bb.3419:
	s_or_b64 exec, exec, s[8:9]
	s_and_b64 s[4:5], s[4:5], exec
	s_or_saveexec_b64 s[6:7], s[6:7]
	v_mov_b32_e32 v2, s10
	s_xor_b64 exec, exec, s[6:7]
	s_cbranch_execz .LBB11_1370
.LBB11_3420:
	v_mov_b32_e32 v2, 0
	v_cmp_ne_u16_sdwa s[8:9], v8, v2 src0_sel:BYTE_3 src1_sel:DWORD
	s_andn2_b64 s[4:5], s[4:5], exec
	s_and_b64 s[8:9], s[8:9], exec
	s_or_b64 s[4:5], s[4:5], s[8:9]
	s_or_b64 exec, exec, s[6:7]
	s_and_saveexec_b64 s[6:7], s[4:5]
	s_cbranch_execnz .LBB11_1371
	s_branch .LBB11_1372
.LBB11_3421:
	s_movk_i32 s4, 0x80
	v_cmp_eq_u16_sdwa s[12:13], v4, s4 src0_sel:BYTE_3 src1_sel:DWORD
	s_mov_b64 s[4:5], -1
                                        ; implicit-def: $sgpr10
	s_and_saveexec_b64 s[8:9], s[12:13]
; %bb.3422:
	s_mov_b32 s10, 0x7f800001
	s_xor_b64 s[4:5], exec, -1
; %bb.3423:
	s_or_b64 exec, exec, s[8:9]
	s_and_b64 s[4:5], s[4:5], exec
	s_or_saveexec_b64 s[6:7], s[6:7]
	v_mov_b32_e32 v3, s10
	s_xor_b64 exec, exec, s[6:7]
	s_cbranch_execz .LBB11_1374
.LBB11_3424:
	v_mov_b32_e32 v3, 0
	v_cmp_ne_u16_sdwa s[8:9], v4, v3 src0_sel:BYTE_3 src1_sel:DWORD
	s_andn2_b64 s[4:5], s[4:5], exec
	s_and_b64 s[8:9], s[8:9], exec
	s_or_b64 s[4:5], s[4:5], s[8:9]
	s_or_b64 exec, exec, s[6:7]
	s_and_saveexec_b64 s[6:7], s[4:5]
	s_cbranch_execnz .LBB11_1375
	s_branch .LBB11_1376
.LBB11_3425:
	s_movk_i32 s4, 0x80
	v_cmp_eq_u16_sdwa s[12:13], v9, s4 src0_sel:BYTE_0 src1_sel:DWORD
	s_mov_b64 s[4:5], -1
                                        ; implicit-def: $sgpr10
	s_and_saveexec_b64 s[8:9], s[12:13]
; %bb.3426:
	s_mov_b32 s10, 0x7f800001
	s_xor_b64 s[4:5], exec, -1
; %bb.3427:
	s_or_b64 exec, exec, s[8:9]
	s_and_b64 s[4:5], s[4:5], exec
	s_or_saveexec_b64 s[6:7], s[6:7]
	v_mov_b32_e32 v2, s10
	s_xor_b64 exec, exec, s[6:7]
	s_cbranch_execz .LBB11_1378
.LBB11_3428:
	v_mov_b32_e32 v2, 0
	v_cmp_ne_u16_sdwa s[8:9], v9, v2 src0_sel:BYTE_0 src1_sel:DWORD
	s_andn2_b64 s[4:5], s[4:5], exec
	s_and_b64 s[8:9], s[8:9], exec
	s_or_b64 s[4:5], s[4:5], s[8:9]
	s_or_b64 exec, exec, s[6:7]
	s_and_saveexec_b64 s[6:7], s[4:5]
	s_cbranch_execnz .LBB11_1379
	s_branch .LBB11_1380
.LBB11_3429:
	s_movk_i32 s4, 0x80
	v_cmp_eq_u16_sdwa s[12:13], v5, s4 src0_sel:BYTE_0 src1_sel:DWORD
	s_mov_b64 s[4:5], -1
                                        ; implicit-def: $sgpr10
	s_and_saveexec_b64 s[8:9], s[12:13]
; %bb.3430:
	s_mov_b32 s10, 0x7f800001
	s_xor_b64 s[4:5], exec, -1
; %bb.3431:
	s_or_b64 exec, exec, s[8:9]
	s_and_b64 s[4:5], s[4:5], exec
	s_or_saveexec_b64 s[6:7], s[6:7]
	v_mov_b32_e32 v3, s10
	s_xor_b64 exec, exec, s[6:7]
	s_cbranch_execz .LBB11_1382
.LBB11_3432:
	v_mov_b32_e32 v3, 0
	v_cmp_ne_u16_sdwa s[8:9], v5, v3 src0_sel:BYTE_0 src1_sel:DWORD
	s_andn2_b64 s[4:5], s[4:5], exec
	s_and_b64 s[8:9], s[8:9], exec
	s_or_b64 s[4:5], s[4:5], s[8:9]
	s_or_b64 exec, exec, s[6:7]
	s_and_saveexec_b64 s[6:7], s[4:5]
	s_cbranch_execnz .LBB11_1383
	s_branch .LBB11_1384
.LBB11_3433:
	s_movk_i32 s4, 0x80
	v_cmp_eq_u16_sdwa s[12:13], v3, s4 src0_sel:BYTE_0 src1_sel:DWORD
	s_mov_b64 s[4:5], -1
                                        ; implicit-def: $sgpr10
	s_and_saveexec_b64 s[8:9], s[12:13]
; %bb.3434:
	s_mov_b32 s10, 0x7f800001
	s_xor_b64 s[4:5], exec, -1
; %bb.3435:
	s_or_b64 exec, exec, s[8:9]
	s_and_b64 s[4:5], s[4:5], exec
	s_or_saveexec_b64 s[6:7], s[6:7]
	v_mov_b32_e32 v2, s10
	s_xor_b64 exec, exec, s[6:7]
	s_cbranch_execz .LBB11_1386
.LBB11_3436:
	v_mov_b32_e32 v2, 0
	v_cmp_ne_u16_sdwa s[8:9], v3, v2 src0_sel:BYTE_0 src1_sel:DWORD
	s_andn2_b64 s[4:5], s[4:5], exec
	s_and_b64 s[8:9], s[8:9], exec
	s_or_b64 s[4:5], s[4:5], s[8:9]
	s_or_b64 exec, exec, s[6:7]
	s_and_saveexec_b64 s[6:7], s[4:5]
	s_cbranch_execnz .LBB11_1387
	s_branch .LBB11_1388
.LBB11_3437:
	s_movk_i32 s4, 0x80
	v_cmp_eq_u16_sdwa s[12:13], v3, s4 src0_sel:BYTE_0 src1_sel:DWORD
	s_mov_b64 s[4:5], -1
                                        ; implicit-def: $sgpr10
	s_and_saveexec_b64 s[8:9], s[12:13]
; %bb.3438:
	s_mov_b32 s10, 0x7f800001
	s_xor_b64 s[4:5], exec, -1
; %bb.3439:
	s_or_b64 exec, exec, s[8:9]
	s_and_b64 s[4:5], s[4:5], exec
	s_or_saveexec_b64 s[6:7], s[6:7]
	v_mov_b32_e32 v4, s10
	s_xor_b64 exec, exec, s[6:7]
	s_cbranch_execz .LBB11_1390
.LBB11_3440:
	v_mov_b32_e32 v4, 0
	v_cmp_ne_u16_sdwa s[8:9], v3, v4 src0_sel:BYTE_0 src1_sel:DWORD
	s_andn2_b64 s[4:5], s[4:5], exec
	s_and_b64 s[8:9], s[8:9], exec
	s_or_b64 s[4:5], s[4:5], s[8:9]
	s_or_b64 exec, exec, s[6:7]
	s_and_saveexec_b64 s[6:7], s[4:5]
	s_cbranch_execnz .LBB11_1391
	s_branch .LBB11_1392
.LBB11_3441:
	s_movk_i32 s4, 0x80
	v_cmp_eq_u16_e32 vcc, s4, v3
	s_mov_b64 s[4:5], -1
                                        ; implicit-def: $sgpr10
	s_and_saveexec_b64 s[8:9], vcc
; %bb.3442:
	s_mov_b32 s10, 0x7f800001
	s_xor_b64 s[4:5], exec, -1
; %bb.3443:
	s_or_b64 exec, exec, s[8:9]
	s_and_b64 s[4:5], s[4:5], exec
                                        ; implicit-def: $vgpr3
	s_or_saveexec_b64 s[6:7], s[6:7]
	v_mov_b32_e32 v2, s10
	s_xor_b64 exec, exec, s[6:7]
	s_cbranch_execz .LBB11_1394
.LBB11_3444:
	v_cmp_ne_u16_e32 vcc, 0, v3
	s_andn2_b64 s[4:5], s[4:5], exec
	s_and_b64 s[8:9], vcc, exec
	v_mov_b32_e32 v2, 0
	s_or_b64 s[4:5], s[4:5], s[8:9]
	s_or_b64 exec, exec, s[6:7]
	s_and_saveexec_b64 s[6:7], s[4:5]
	s_cbranch_execnz .LBB11_1395
	s_branch .LBB11_1396
.LBB11_3445:
	s_movk_i32 s4, 0x80
	v_cmp_eq_u16_e32 vcc, s4, v3
	s_mov_b64 s[4:5], -1
                                        ; implicit-def: $sgpr10
	s_and_saveexec_b64 s[8:9], vcc
; %bb.3446:
	s_mov_b32 s10, 0x7f800001
	s_xor_b64 s[4:5], exec, -1
; %bb.3447:
	s_or_b64 exec, exec, s[8:9]
	s_and_b64 s[4:5], s[4:5], exec
                                        ; implicit-def: $vgpr3
	s_or_saveexec_b64 s[6:7], s[6:7]
	v_mov_b32_e32 v4, s10
	s_xor_b64 exec, exec, s[6:7]
	s_cbranch_execz .LBB11_1398
.LBB11_3448:
	v_cmp_ne_u16_e32 vcc, 0, v3
	s_andn2_b64 s[4:5], s[4:5], exec
	s_and_b64 s[8:9], vcc, exec
	v_mov_b32_e32 v4, 0
	s_or_b64 s[4:5], s[4:5], s[8:9]
	s_or_b64 exec, exec, s[6:7]
	s_and_saveexec_b64 s[6:7], s[4:5]
	s_cbranch_execnz .LBB11_1399
	s_branch .LBB11_1400
.LBB11_3449:
	s_movk_i32 s4, 0x80
	v_cmp_eq_u16_sdwa s[12:13], v9, s4 src0_sel:BYTE_3 src1_sel:DWORD
	s_mov_b64 s[4:5], -1
                                        ; implicit-def: $sgpr10
	s_and_saveexec_b64 s[8:9], s[12:13]
; %bb.3450:
	s_mov_b32 s10, 0x7f800001
	s_xor_b64 s[4:5], exec, -1
; %bb.3451:
	s_or_b64 exec, exec, s[8:9]
	s_and_b64 s[4:5], s[4:5], exec
	s_or_saveexec_b64 s[6:7], s[6:7]
	v_mov_b32_e32 v2, s10
	s_xor_b64 exec, exec, s[6:7]
	s_cbranch_execz .LBB11_1402
.LBB11_3452:
	v_mov_b32_e32 v2, 0
	v_cmp_ne_u16_sdwa s[8:9], v9, v2 src0_sel:BYTE_3 src1_sel:DWORD
	s_andn2_b64 s[4:5], s[4:5], exec
	s_and_b64 s[8:9], s[8:9], exec
	s_or_b64 s[4:5], s[4:5], s[8:9]
	s_or_b64 exec, exec, s[6:7]
	s_and_saveexec_b64 s[6:7], s[4:5]
	s_cbranch_execnz .LBB11_1403
	s_branch .LBB11_1404
.LBB11_3453:
	s_movk_i32 s4, 0x80
	v_cmp_eq_u16_sdwa s[12:13], v5, s4 src0_sel:BYTE_3 src1_sel:DWORD
	s_mov_b64 s[4:5], -1
                                        ; implicit-def: $sgpr10
	s_and_saveexec_b64 s[8:9], s[12:13]
; %bb.3454:
	s_mov_b32 s10, 0x7f800001
	s_xor_b64 s[4:5], exec, -1
; %bb.3455:
	s_or_b64 exec, exec, s[8:9]
	s_and_b64 s[4:5], s[4:5], exec
	s_or_saveexec_b64 s[6:7], s[6:7]
	v_mov_b32_e32 v3, s10
	s_xor_b64 exec, exec, s[6:7]
	s_cbranch_execz .LBB11_1406
.LBB11_3456:
	v_mov_b32_e32 v3, 0
	v_cmp_ne_u16_sdwa s[8:9], v5, v3 src0_sel:BYTE_3 src1_sel:DWORD
	s_andn2_b64 s[4:5], s[4:5], exec
	s_and_b64 s[8:9], s[8:9], exec
	s_or_b64 s[4:5], s[4:5], s[8:9]
	s_or_b64 exec, exec, s[6:7]
	s_and_saveexec_b64 s[6:7], s[4:5]
	s_cbranch_execnz .LBB11_1407
	s_branch .LBB11_1408
.LBB11_3457:
	s_movk_i32 s4, 0x80
	v_cmp_eq_u16_sdwa s[12:13], v6, s4 src0_sel:BYTE_0 src1_sel:DWORD
	s_mov_b64 s[4:5], -1
                                        ; implicit-def: $sgpr10
	s_and_saveexec_b64 s[8:9], s[12:13]
; %bb.3458:
	s_mov_b32 s10, 0x7f800001
	s_xor_b64 s[4:5], exec, -1
; %bb.3459:
	s_or_b64 exec, exec, s[8:9]
	s_and_b64 s[4:5], s[4:5], exec
	s_or_saveexec_b64 s[6:7], s[6:7]
	v_mov_b32_e32 v12, s10
	s_xor_b64 exec, exec, s[6:7]
	s_cbranch_execz .LBB11_1410
.LBB11_3460:
	v_mov_b32_e32 v12, 0
	v_cmp_ne_u16_sdwa s[8:9], v6, v12 src0_sel:BYTE_0 src1_sel:DWORD
	s_andn2_b64 s[4:5], s[4:5], exec
	s_and_b64 s[8:9], s[8:9], exec
	s_or_b64 s[4:5], s[4:5], s[8:9]
	s_or_b64 exec, exec, s[6:7]
	s_and_saveexec_b64 s[6:7], s[4:5]
	s_cbranch_execnz .LBB11_1411
	s_branch .LBB11_1412
.LBB11_3461:
	s_movk_i32 s4, 0x80
	v_cmp_eq_u16_sdwa s[12:13], v2, s4 src0_sel:BYTE_0 src1_sel:DWORD
	s_mov_b64 s[4:5], -1
                                        ; implicit-def: $sgpr10
	s_and_saveexec_b64 s[8:9], s[12:13]
; %bb.3462:
	s_mov_b32 s10, 0x7f800001
	s_xor_b64 s[4:5], exec, -1
; %bb.3463:
	s_or_b64 exec, exec, s[8:9]
	s_and_b64 s[4:5], s[4:5], exec
	s_or_saveexec_b64 s[6:7], s[6:7]
	v_mov_b32_e32 v13, s10
	s_xor_b64 exec, exec, s[6:7]
	s_cbranch_execz .LBB11_1414
.LBB11_3464:
	v_mov_b32_e32 v13, 0
	v_cmp_ne_u16_sdwa s[8:9], v2, v13 src0_sel:BYTE_0 src1_sel:DWORD
	s_andn2_b64 s[4:5], s[4:5], exec
	s_and_b64 s[8:9], s[8:9], exec
	s_or_b64 s[4:5], s[4:5], s[8:9]
	s_or_b64 exec, exec, s[6:7]
	s_and_saveexec_b64 s[6:7], s[4:5]
	s_cbranch_execnz .LBB11_1415
	s_branch .LBB11_1416
.LBB11_3465:
	s_movk_i32 s4, 0x80
	v_cmp_eq_u16_sdwa s[12:13], v13, s4 src0_sel:BYTE_0 src1_sel:DWORD
	s_mov_b64 s[4:5], -1
                                        ; implicit-def: $sgpr10
	s_and_saveexec_b64 s[8:9], s[12:13]
; %bb.3466:
	s_mov_b32 s10, 0x7f800001
	s_xor_b64 s[4:5], exec, -1
; %bb.3467:
	s_or_b64 exec, exec, s[8:9]
	s_and_b64 s[4:5], s[4:5], exec
	s_or_saveexec_b64 s[6:7], s[6:7]
	v_mov_b32_e32 v12, s10
	s_xor_b64 exec, exec, s[6:7]
	s_cbranch_execz .LBB11_1418
.LBB11_3468:
	v_mov_b32_e32 v12, 0
	v_cmp_ne_u16_sdwa s[8:9], v13, v12 src0_sel:BYTE_0 src1_sel:DWORD
	s_andn2_b64 s[4:5], s[4:5], exec
	s_and_b64 s[8:9], s[8:9], exec
	s_or_b64 s[4:5], s[4:5], s[8:9]
	s_or_b64 exec, exec, s[6:7]
	s_and_saveexec_b64 s[6:7], s[4:5]
	s_cbranch_execnz .LBB11_1419
	s_branch .LBB11_1420
.LBB11_3469:
	s_movk_i32 s4, 0x80
	v_cmp_eq_u16_sdwa s[12:13], v13, s4 src0_sel:BYTE_0 src1_sel:DWORD
	s_mov_b64 s[4:5], -1
                                        ; implicit-def: $sgpr10
	s_and_saveexec_b64 s[8:9], s[12:13]
; %bb.3470:
	s_mov_b32 s10, 0x7f800001
	s_xor_b64 s[4:5], exec, -1
; %bb.3471:
	s_or_b64 exec, exec, s[8:9]
	s_and_b64 s[4:5], s[4:5], exec
	s_or_saveexec_b64 s[6:7], s[6:7]
	v_mov_b32_e32 v14, s10
	s_xor_b64 exec, exec, s[6:7]
	s_cbranch_execz .LBB11_1422
.LBB11_3472:
	v_mov_b32_e32 v14, 0
	v_cmp_ne_u16_sdwa s[8:9], v13, v14 src0_sel:BYTE_0 src1_sel:DWORD
	s_andn2_b64 s[4:5], s[4:5], exec
	s_and_b64 s[8:9], s[8:9], exec
	s_or_b64 s[4:5], s[4:5], s[8:9]
	s_or_b64 exec, exec, s[6:7]
	s_and_saveexec_b64 s[6:7], s[4:5]
	s_cbranch_execnz .LBB11_1423
	s_branch .LBB11_1424
.LBB11_3473:
	s_movk_i32 s4, 0x80
	v_cmp_eq_u16_e32 vcc, s4, v13
	s_mov_b64 s[4:5], -1
                                        ; implicit-def: $sgpr10
	s_and_saveexec_b64 s[8:9], vcc
; %bb.3474:
	s_mov_b32 s10, 0x7f800001
	s_xor_b64 s[4:5], exec, -1
; %bb.3475:
	s_or_b64 exec, exec, s[8:9]
	s_and_b64 s[4:5], s[4:5], exec
                                        ; implicit-def: $vgpr13
	s_or_saveexec_b64 s[6:7], s[6:7]
	v_mov_b32_e32 v12, s10
	s_xor_b64 exec, exec, s[6:7]
	s_cbranch_execz .LBB11_1426
.LBB11_3476:
	v_cmp_ne_u16_e32 vcc, 0, v13
	s_andn2_b64 s[4:5], s[4:5], exec
	s_and_b64 s[8:9], vcc, exec
	v_mov_b32_e32 v12, 0
	s_or_b64 s[4:5], s[4:5], s[8:9]
	s_or_b64 exec, exec, s[6:7]
	s_and_saveexec_b64 s[6:7], s[4:5]
	s_cbranch_execnz .LBB11_1427
	s_branch .LBB11_1428
.LBB11_3477:
	s_movk_i32 s4, 0x80
	v_cmp_eq_u16_e32 vcc, s4, v13
	s_mov_b64 s[4:5], -1
                                        ; implicit-def: $sgpr10
	s_and_saveexec_b64 s[8:9], vcc
; %bb.3478:
	s_mov_b32 s10, 0x7f800001
	s_xor_b64 s[4:5], exec, -1
; %bb.3479:
	s_or_b64 exec, exec, s[8:9]
	s_and_b64 s[4:5], s[4:5], exec
                                        ; implicit-def: $vgpr13
	s_or_saveexec_b64 s[6:7], s[6:7]
	v_mov_b32_e32 v14, s10
	s_xor_b64 exec, exec, s[6:7]
	s_cbranch_execz .LBB11_1430
.LBB11_3480:
	v_cmp_ne_u16_e32 vcc, 0, v13
	s_andn2_b64 s[4:5], s[4:5], exec
	s_and_b64 s[8:9], vcc, exec
	v_mov_b32_e32 v14, 0
	s_or_b64 s[4:5], s[4:5], s[8:9]
	s_or_b64 exec, exec, s[6:7]
	s_and_saveexec_b64 s[6:7], s[4:5]
	s_cbranch_execnz .LBB11_1431
	s_branch .LBB11_1432
.LBB11_3481:
	s_movk_i32 s4, 0x80
	v_cmp_eq_u16_sdwa s[12:13], v6, s4 src0_sel:BYTE_3 src1_sel:DWORD
	s_mov_b64 s[4:5], -1
                                        ; implicit-def: $sgpr10
	s_and_saveexec_b64 s[8:9], s[12:13]
; %bb.3482:
	s_mov_b32 s10, 0x7f800001
	s_xor_b64 s[4:5], exec, -1
; %bb.3483:
	s_or_b64 exec, exec, s[8:9]
	s_and_b64 s[4:5], s[4:5], exec
	s_or_saveexec_b64 s[6:7], s[6:7]
	v_mov_b32_e32 v12, s10
	s_xor_b64 exec, exec, s[6:7]
	s_cbranch_execz .LBB11_1434
.LBB11_3484:
	v_mov_b32_e32 v12, 0
	v_cmp_ne_u16_sdwa s[8:9], v6, v12 src0_sel:BYTE_3 src1_sel:DWORD
	s_andn2_b64 s[4:5], s[4:5], exec
	s_and_b64 s[8:9], s[8:9], exec
	s_or_b64 s[4:5], s[4:5], s[8:9]
	s_or_b64 exec, exec, s[6:7]
	s_and_saveexec_b64 s[6:7], s[4:5]
	s_cbranch_execnz .LBB11_1435
	s_branch .LBB11_1436
.LBB11_3485:
	s_movk_i32 s4, 0x80
	v_cmp_eq_u16_sdwa s[12:13], v2, s4 src0_sel:BYTE_3 src1_sel:DWORD
	s_mov_b64 s[4:5], -1
                                        ; implicit-def: $sgpr10
	s_and_saveexec_b64 s[8:9], s[12:13]
; %bb.3486:
	s_mov_b32 s10, 0x7f800001
	s_xor_b64 s[4:5], exec, -1
; %bb.3487:
	s_or_b64 exec, exec, s[8:9]
	s_and_b64 s[4:5], s[4:5], exec
	s_or_saveexec_b64 s[6:7], s[6:7]
	v_mov_b32_e32 v6, s10
	s_xor_b64 exec, exec, s[6:7]
	s_cbranch_execz .LBB11_1438
.LBB11_3488:
	v_mov_b32_e32 v6, 0
	v_cmp_ne_u16_sdwa s[8:9], v2, v6 src0_sel:BYTE_3 src1_sel:DWORD
	s_andn2_b64 s[4:5], s[4:5], exec
	s_and_b64 s[8:9], s[8:9], exec
	s_or_b64 s[4:5], s[4:5], s[8:9]
	s_or_b64 exec, exec, s[6:7]
	s_and_saveexec_b64 s[6:7], s[4:5]
	s_cbranch_execnz .LBB11_1439
	s_branch .LBB11_1440
.LBB11_3489:
	s_movk_i32 s4, 0x80
	v_cmp_eq_u16_sdwa s[12:13], v7, s4 src0_sel:BYTE_0 src1_sel:DWORD
	s_mov_b64 s[4:5], -1
                                        ; implicit-def: $sgpr10
	s_and_saveexec_b64 s[8:9], s[12:13]
; %bb.3490:
	s_mov_b32 s10, 0x7f800001
	s_xor_b64 s[4:5], exec, -1
; %bb.3491:
	s_or_b64 exec, exec, s[8:9]
	s_and_b64 s[4:5], s[4:5], exec
	s_or_saveexec_b64 s[6:7], s[6:7]
	v_mov_b32_e32 v2, s10
	s_xor_b64 exec, exec, s[6:7]
	s_cbranch_execz .LBB11_1442
.LBB11_3492:
	v_mov_b32_e32 v2, 0
	v_cmp_ne_u16_sdwa s[8:9], v7, v2 src0_sel:BYTE_0 src1_sel:DWORD
	s_andn2_b64 s[4:5], s[4:5], exec
	s_and_b64 s[8:9], s[8:9], exec
	s_or_b64 s[4:5], s[4:5], s[8:9]
	s_or_b64 exec, exec, s[6:7]
	s_and_saveexec_b64 s[6:7], s[4:5]
	s_cbranch_execnz .LBB11_1443
	s_branch .LBB11_1444
.LBB11_3493:
	s_movk_i32 s4, 0x80
	v_cmp_eq_u16_sdwa s[12:13], v3, s4 src0_sel:BYTE_0 src1_sel:DWORD
	s_mov_b64 s[4:5], -1
                                        ; implicit-def: $sgpr10
	s_and_saveexec_b64 s[8:9], s[12:13]
; %bb.3494:
	s_mov_b32 s10, 0x7f800001
	s_xor_b64 s[4:5], exec, -1
; %bb.3495:
	s_or_b64 exec, exec, s[8:9]
	s_and_b64 s[4:5], s[4:5], exec
	s_or_saveexec_b64 s[6:7], s[6:7]
	v_mov_b32_e32 v6, s10
	s_xor_b64 exec, exec, s[6:7]
	s_cbranch_execz .LBB11_1446
.LBB11_3496:
	v_mov_b32_e32 v6, 0
	v_cmp_ne_u16_sdwa s[8:9], v3, v6 src0_sel:BYTE_0 src1_sel:DWORD
	s_andn2_b64 s[4:5], s[4:5], exec
	s_and_b64 s[8:9], s[8:9], exec
	s_or_b64 s[4:5], s[4:5], s[8:9]
	s_or_b64 exec, exec, s[6:7]
	s_and_saveexec_b64 s[6:7], s[4:5]
	s_cbranch_execnz .LBB11_1447
	s_branch .LBB11_1448
.LBB11_3497:
	s_movk_i32 s4, 0x80
	v_cmp_eq_u16_sdwa s[12:13], v6, s4 src0_sel:BYTE_0 src1_sel:DWORD
	s_mov_b64 s[4:5], -1
                                        ; implicit-def: $sgpr10
	s_and_saveexec_b64 s[8:9], s[12:13]
; %bb.3498:
	s_mov_b32 s10, 0x7f800001
	s_xor_b64 s[4:5], exec, -1
; %bb.3499:
	s_or_b64 exec, exec, s[8:9]
	s_and_b64 s[4:5], s[4:5], exec
	s_or_saveexec_b64 s[6:7], s[6:7]
	v_mov_b32_e32 v2, s10
	s_xor_b64 exec, exec, s[6:7]
	s_cbranch_execz .LBB11_1450
.LBB11_3500:
	v_mov_b32_e32 v2, 0
	v_cmp_ne_u16_sdwa s[8:9], v6, v2 src0_sel:BYTE_0 src1_sel:DWORD
	s_andn2_b64 s[4:5], s[4:5], exec
	s_and_b64 s[8:9], s[8:9], exec
	s_or_b64 s[4:5], s[4:5], s[8:9]
	s_or_b64 exec, exec, s[6:7]
	s_and_saveexec_b64 s[6:7], s[4:5]
	s_cbranch_execnz .LBB11_1451
	s_branch .LBB11_1452
.LBB11_3501:
	s_movk_i32 s4, 0x80
	v_cmp_eq_u16_sdwa s[12:13], v6, s4 src0_sel:BYTE_0 src1_sel:DWORD
	s_mov_b64 s[4:5], -1
                                        ; implicit-def: $sgpr10
	s_and_saveexec_b64 s[8:9], s[12:13]
; %bb.3502:
	s_mov_b32 s10, 0x7f800001
	s_xor_b64 s[4:5], exec, -1
; %bb.3503:
	s_or_b64 exec, exec, s[8:9]
	s_and_b64 s[4:5], s[4:5], exec
	s_or_saveexec_b64 s[6:7], s[6:7]
	v_mov_b32_e32 v12, s10
	s_xor_b64 exec, exec, s[6:7]
	s_cbranch_execz .LBB11_1454
.LBB11_3504:
	v_mov_b32_e32 v12, 0
	v_cmp_ne_u16_sdwa s[8:9], v6, v12 src0_sel:BYTE_0 src1_sel:DWORD
	s_andn2_b64 s[4:5], s[4:5], exec
	s_and_b64 s[8:9], s[8:9], exec
	s_or_b64 s[4:5], s[4:5], s[8:9]
	s_or_b64 exec, exec, s[6:7]
	s_and_saveexec_b64 s[6:7], s[4:5]
	s_cbranch_execnz .LBB11_1455
	s_branch .LBB11_1456
.LBB11_3505:
	s_movk_i32 s4, 0x80
	v_cmp_eq_u16_e32 vcc, s4, v6
	s_mov_b64 s[4:5], -1
                                        ; implicit-def: $sgpr10
	s_and_saveexec_b64 s[8:9], vcc
; %bb.3506:
	s_mov_b32 s10, 0x7f800001
	s_xor_b64 s[4:5], exec, -1
; %bb.3507:
	s_or_b64 exec, exec, s[8:9]
	s_and_b64 s[4:5], s[4:5], exec
                                        ; implicit-def: $vgpr6
	s_or_saveexec_b64 s[6:7], s[6:7]
	v_mov_b32_e32 v2, s10
	s_xor_b64 exec, exec, s[6:7]
	s_cbranch_execz .LBB11_1458
.LBB11_3508:
	v_cmp_ne_u16_e32 vcc, 0, v6
	s_andn2_b64 s[4:5], s[4:5], exec
	s_and_b64 s[8:9], vcc, exec
	v_mov_b32_e32 v2, 0
	s_or_b64 s[4:5], s[4:5], s[8:9]
	s_or_b64 exec, exec, s[6:7]
	s_and_saveexec_b64 s[6:7], s[4:5]
	s_cbranch_execnz .LBB11_1459
	s_branch .LBB11_1460
.LBB11_3509:
	s_movk_i32 s4, 0x80
	v_cmp_eq_u16_e32 vcc, s4, v6
	s_mov_b64 s[4:5], -1
                                        ; implicit-def: $sgpr10
	s_and_saveexec_b64 s[8:9], vcc
; %bb.3510:
	s_mov_b32 s10, 0x7f800001
	s_xor_b64 s[4:5], exec, -1
; %bb.3511:
	s_or_b64 exec, exec, s[8:9]
	s_and_b64 s[4:5], s[4:5], exec
                                        ; implicit-def: $vgpr6
	s_or_saveexec_b64 s[6:7], s[6:7]
	v_mov_b32_e32 v12, s10
	s_xor_b64 exec, exec, s[6:7]
	s_cbranch_execz .LBB11_1462
.LBB11_3512:
	v_cmp_ne_u16_e32 vcc, 0, v6
	s_andn2_b64 s[4:5], s[4:5], exec
	s_and_b64 s[8:9], vcc, exec
	v_mov_b32_e32 v12, 0
	s_or_b64 s[4:5], s[4:5], s[8:9]
	s_or_b64 exec, exec, s[6:7]
	s_and_saveexec_b64 s[6:7], s[4:5]
	s_cbranch_execnz .LBB11_1463
	s_branch .LBB11_1464
.LBB11_3513:
	s_movk_i32 s4, 0x80
	v_cmp_eq_u16_sdwa s[12:13], v7, s4 src0_sel:BYTE_3 src1_sel:DWORD
	s_mov_b64 s[4:5], -1
                                        ; implicit-def: $sgpr10
	s_and_saveexec_b64 s[8:9], s[12:13]
; %bb.3514:
	s_mov_b32 s10, 0x7f800001
	s_xor_b64 s[4:5], exec, -1
; %bb.3515:
	s_or_b64 exec, exec, s[8:9]
	s_and_b64 s[4:5], s[4:5], exec
	s_or_saveexec_b64 s[6:7], s[6:7]
	v_mov_b32_e32 v2, s10
	s_xor_b64 exec, exec, s[6:7]
	s_cbranch_execz .LBB11_1466
.LBB11_3516:
	v_mov_b32_e32 v2, 0
	v_cmp_ne_u16_sdwa s[8:9], v7, v2 src0_sel:BYTE_3 src1_sel:DWORD
	s_andn2_b64 s[4:5], s[4:5], exec
	s_and_b64 s[8:9], s[8:9], exec
	s_or_b64 s[4:5], s[4:5], s[8:9]
	s_or_b64 exec, exec, s[6:7]
	s_and_saveexec_b64 s[6:7], s[4:5]
	s_cbranch_execnz .LBB11_1467
	s_branch .LBB11_1468
.LBB11_3517:
	s_movk_i32 s4, 0x80
	v_cmp_eq_u16_sdwa s[12:13], v3, s4 src0_sel:BYTE_3 src1_sel:DWORD
	s_mov_b64 s[4:5], -1
                                        ; implicit-def: $sgpr10
	s_and_saveexec_b64 s[8:9], s[12:13]
; %bb.3518:
	s_mov_b32 s10, 0x7f800001
	s_xor_b64 s[4:5], exec, -1
; %bb.3519:
	s_or_b64 exec, exec, s[8:9]
	s_and_b64 s[4:5], s[4:5], exec
	s_or_saveexec_b64 s[6:7], s[6:7]
	v_mov_b32_e32 v6, s10
	s_xor_b64 exec, exec, s[6:7]
	s_cbranch_execz .LBB11_1470
.LBB11_3520:
	v_mov_b32_e32 v6, 0
	v_cmp_ne_u16_sdwa s[8:9], v3, v6 src0_sel:BYTE_3 src1_sel:DWORD
	s_andn2_b64 s[4:5], s[4:5], exec
	s_and_b64 s[8:9], s[8:9], exec
	s_or_b64 s[4:5], s[4:5], s[8:9]
	s_or_b64 exec, exec, s[6:7]
	s_and_saveexec_b64 s[6:7], s[4:5]
	s_cbranch_execnz .LBB11_1471
	s_branch .LBB11_1472
.LBB11_3521:
	s_movk_i32 s4, 0x80
	v_cmp_eq_u16_sdwa s[12:13], v8, s4 src0_sel:BYTE_0 src1_sel:DWORD
	s_mov_b64 s[4:5], -1
                                        ; implicit-def: $sgpr10
	s_and_saveexec_b64 s[8:9], s[12:13]
; %bb.3522:
	s_mov_b32 s10, 0x7f800001
	s_xor_b64 s[4:5], exec, -1
; %bb.3523:
	s_or_b64 exec, exec, s[8:9]
	s_and_b64 s[4:5], s[4:5], exec
	s_or_saveexec_b64 s[6:7], s[6:7]
	v_mov_b32_e32 v2, s10
	s_xor_b64 exec, exec, s[6:7]
	s_cbranch_execz .LBB11_1474
.LBB11_3524:
	v_mov_b32_e32 v2, 0
	v_cmp_ne_u16_sdwa s[8:9], v8, v2 src0_sel:BYTE_0 src1_sel:DWORD
	s_andn2_b64 s[4:5], s[4:5], exec
	s_and_b64 s[8:9], s[8:9], exec
	s_or_b64 s[4:5], s[4:5], s[8:9]
	s_or_b64 exec, exec, s[6:7]
	s_and_saveexec_b64 s[6:7], s[4:5]
	s_cbranch_execnz .LBB11_1475
	s_branch .LBB11_1476
.LBB11_3525:
	s_movk_i32 s4, 0x80
	v_cmp_eq_u16_sdwa s[12:13], v4, s4 src0_sel:BYTE_0 src1_sel:DWORD
	s_mov_b64 s[4:5], -1
                                        ; implicit-def: $sgpr10
	s_and_saveexec_b64 s[8:9], s[12:13]
; %bb.3526:
	s_mov_b32 s10, 0x7f800001
	s_xor_b64 s[4:5], exec, -1
; %bb.3527:
	s_or_b64 exec, exec, s[8:9]
	s_and_b64 s[4:5], s[4:5], exec
	s_or_saveexec_b64 s[6:7], s[6:7]
	v_mov_b32_e32 v3, s10
	s_xor_b64 exec, exec, s[6:7]
	s_cbranch_execz .LBB11_1478
.LBB11_3528:
	v_mov_b32_e32 v3, 0
	v_cmp_ne_u16_sdwa s[8:9], v4, v3 src0_sel:BYTE_0 src1_sel:DWORD
	s_andn2_b64 s[4:5], s[4:5], exec
	s_and_b64 s[8:9], s[8:9], exec
	s_or_b64 s[4:5], s[4:5], s[8:9]
	s_or_b64 exec, exec, s[6:7]
	s_and_saveexec_b64 s[6:7], s[4:5]
	s_cbranch_execnz .LBB11_1479
	s_branch .LBB11_1480
.LBB11_3529:
	s_movk_i32 s4, 0x80
	v_cmp_eq_u16_sdwa s[12:13], v3, s4 src0_sel:BYTE_0 src1_sel:DWORD
	s_mov_b64 s[4:5], -1
                                        ; implicit-def: $sgpr10
	s_and_saveexec_b64 s[8:9], s[12:13]
; %bb.3530:
	s_mov_b32 s10, 0x7f800001
	s_xor_b64 s[4:5], exec, -1
; %bb.3531:
	s_or_b64 exec, exec, s[8:9]
	s_and_b64 s[4:5], s[4:5], exec
	s_or_saveexec_b64 s[6:7], s[6:7]
	v_mov_b32_e32 v2, s10
	s_xor_b64 exec, exec, s[6:7]
	s_cbranch_execz .LBB11_1482
.LBB11_3532:
	v_mov_b32_e32 v2, 0
	v_cmp_ne_u16_sdwa s[8:9], v3, v2 src0_sel:BYTE_0 src1_sel:DWORD
	s_andn2_b64 s[4:5], s[4:5], exec
	s_and_b64 s[8:9], s[8:9], exec
	s_or_b64 s[4:5], s[4:5], s[8:9]
	s_or_b64 exec, exec, s[6:7]
	s_and_saveexec_b64 s[6:7], s[4:5]
	s_cbranch_execnz .LBB11_1483
	s_branch .LBB11_1484
.LBB11_3533:
	s_movk_i32 s4, 0x80
	v_cmp_eq_u16_sdwa s[12:13], v3, s4 src0_sel:BYTE_0 src1_sel:DWORD
	s_mov_b64 s[4:5], -1
                                        ; implicit-def: $sgpr10
	s_and_saveexec_b64 s[8:9], s[12:13]
; %bb.3534:
	s_mov_b32 s10, 0x7f800001
	s_xor_b64 s[4:5], exec, -1
; %bb.3535:
	s_or_b64 exec, exec, s[8:9]
	s_and_b64 s[4:5], s[4:5], exec
	s_or_saveexec_b64 s[6:7], s[6:7]
	v_mov_b32_e32 v6, s10
	s_xor_b64 exec, exec, s[6:7]
	s_cbranch_execz .LBB11_1486
.LBB11_3536:
	v_mov_b32_e32 v6, 0
	v_cmp_ne_u16_sdwa s[8:9], v3, v6 src0_sel:BYTE_0 src1_sel:DWORD
	s_andn2_b64 s[4:5], s[4:5], exec
	s_and_b64 s[8:9], s[8:9], exec
	s_or_b64 s[4:5], s[4:5], s[8:9]
	s_or_b64 exec, exec, s[6:7]
	s_and_saveexec_b64 s[6:7], s[4:5]
	s_cbranch_execnz .LBB11_1487
	s_branch .LBB11_1488
.LBB11_3537:
	s_movk_i32 s4, 0x80
	v_cmp_eq_u16_e32 vcc, s4, v3
	s_mov_b64 s[4:5], -1
                                        ; implicit-def: $sgpr10
	s_and_saveexec_b64 s[8:9], vcc
; %bb.3538:
	s_mov_b32 s10, 0x7f800001
	s_xor_b64 s[4:5], exec, -1
; %bb.3539:
	s_or_b64 exec, exec, s[8:9]
	s_and_b64 s[4:5], s[4:5], exec
                                        ; implicit-def: $vgpr3
	s_or_saveexec_b64 s[6:7], s[6:7]
	v_mov_b32_e32 v2, s10
	s_xor_b64 exec, exec, s[6:7]
	s_cbranch_execz .LBB11_1490
.LBB11_3540:
	v_cmp_ne_u16_e32 vcc, 0, v3
	s_andn2_b64 s[4:5], s[4:5], exec
	s_and_b64 s[8:9], vcc, exec
	v_mov_b32_e32 v2, 0
	s_or_b64 s[4:5], s[4:5], s[8:9]
	s_or_b64 exec, exec, s[6:7]
	s_and_saveexec_b64 s[6:7], s[4:5]
	s_cbranch_execnz .LBB11_1491
	s_branch .LBB11_1492
.LBB11_3541:
	s_movk_i32 s4, 0x80
	v_cmp_eq_u16_e32 vcc, s4, v3
	s_mov_b64 s[4:5], -1
                                        ; implicit-def: $sgpr10
	s_and_saveexec_b64 s[8:9], vcc
; %bb.3542:
	s_mov_b32 s10, 0x7f800001
	s_xor_b64 s[4:5], exec, -1
; %bb.3543:
	s_or_b64 exec, exec, s[8:9]
	s_and_b64 s[4:5], s[4:5], exec
                                        ; implicit-def: $vgpr3
	s_or_saveexec_b64 s[6:7], s[6:7]
	v_mov_b32_e32 v6, s10
	s_xor_b64 exec, exec, s[6:7]
	s_cbranch_execz .LBB11_1494
.LBB11_3544:
	v_cmp_ne_u16_e32 vcc, 0, v3
	s_andn2_b64 s[4:5], s[4:5], exec
	s_and_b64 s[8:9], vcc, exec
	v_mov_b32_e32 v6, 0
	s_or_b64 s[4:5], s[4:5], s[8:9]
	s_or_b64 exec, exec, s[6:7]
	s_and_saveexec_b64 s[6:7], s[4:5]
	s_cbranch_execnz .LBB11_1495
	s_branch .LBB11_1496
.LBB11_3545:
	s_movk_i32 s4, 0x80
	v_cmp_eq_u16_sdwa s[12:13], v8, s4 src0_sel:BYTE_3 src1_sel:DWORD
	s_mov_b64 s[4:5], -1
                                        ; implicit-def: $sgpr10
	s_and_saveexec_b64 s[8:9], s[12:13]
; %bb.3546:
	s_mov_b32 s10, 0x7f800001
	s_xor_b64 s[4:5], exec, -1
; %bb.3547:
	s_or_b64 exec, exec, s[8:9]
	s_and_b64 s[4:5], s[4:5], exec
	s_or_saveexec_b64 s[6:7], s[6:7]
	v_mov_b32_e32 v2, s10
	s_xor_b64 exec, exec, s[6:7]
	s_cbranch_execz .LBB11_1498
.LBB11_3548:
	v_mov_b32_e32 v2, 0
	v_cmp_ne_u16_sdwa s[8:9], v8, v2 src0_sel:BYTE_3 src1_sel:DWORD
	s_andn2_b64 s[4:5], s[4:5], exec
	s_and_b64 s[8:9], s[8:9], exec
	s_or_b64 s[4:5], s[4:5], s[8:9]
	s_or_b64 exec, exec, s[6:7]
	s_and_saveexec_b64 s[6:7], s[4:5]
	s_cbranch_execnz .LBB11_1499
	s_branch .LBB11_1500
.LBB11_3549:
	s_movk_i32 s4, 0x80
	v_cmp_eq_u16_sdwa s[12:13], v4, s4 src0_sel:BYTE_3 src1_sel:DWORD
	s_mov_b64 s[4:5], -1
                                        ; implicit-def: $sgpr10
	s_and_saveexec_b64 s[8:9], s[12:13]
; %bb.3550:
	s_mov_b32 s10, 0x7f800001
	s_xor_b64 s[4:5], exec, -1
; %bb.3551:
	s_or_b64 exec, exec, s[8:9]
	s_and_b64 s[4:5], s[4:5], exec
	s_or_saveexec_b64 s[6:7], s[6:7]
	v_mov_b32_e32 v3, s10
	s_xor_b64 exec, exec, s[6:7]
	s_cbranch_execz .LBB11_1502
.LBB11_3552:
	v_mov_b32_e32 v3, 0
	v_cmp_ne_u16_sdwa s[8:9], v4, v3 src0_sel:BYTE_3 src1_sel:DWORD
	s_andn2_b64 s[4:5], s[4:5], exec
	s_and_b64 s[8:9], s[8:9], exec
	s_or_b64 s[4:5], s[4:5], s[8:9]
	s_or_b64 exec, exec, s[6:7]
	s_and_saveexec_b64 s[6:7], s[4:5]
	s_cbranch_execnz .LBB11_1503
	s_branch .LBB11_1504
.LBB11_3553:
	s_movk_i32 s4, 0x80
	v_cmp_eq_u16_sdwa s[12:13], v9, s4 src0_sel:BYTE_0 src1_sel:DWORD
	s_mov_b64 s[4:5], -1
                                        ; implicit-def: $sgpr10
	s_and_saveexec_b64 s[8:9], s[12:13]
; %bb.3554:
	s_mov_b32 s10, 0x7f800001
	s_xor_b64 s[4:5], exec, -1
; %bb.3555:
	s_or_b64 exec, exec, s[8:9]
	s_and_b64 s[4:5], s[4:5], exec
	s_or_saveexec_b64 s[6:7], s[6:7]
	v_mov_b32_e32 v2, s10
	s_xor_b64 exec, exec, s[6:7]
	s_cbranch_execz .LBB11_1506
.LBB11_3556:
	v_mov_b32_e32 v2, 0
	v_cmp_ne_u16_sdwa s[8:9], v9, v2 src0_sel:BYTE_0 src1_sel:DWORD
	s_andn2_b64 s[4:5], s[4:5], exec
	s_and_b64 s[8:9], s[8:9], exec
	s_or_b64 s[4:5], s[4:5], s[8:9]
	s_or_b64 exec, exec, s[6:7]
	s_and_saveexec_b64 s[6:7], s[4:5]
	s_cbranch_execnz .LBB11_1507
	s_branch .LBB11_1508
.LBB11_3557:
	s_movk_i32 s4, 0x80
	v_cmp_eq_u16_sdwa s[12:13], v5, s4 src0_sel:BYTE_0 src1_sel:DWORD
	s_mov_b64 s[4:5], -1
                                        ; implicit-def: $sgpr10
	s_and_saveexec_b64 s[8:9], s[12:13]
; %bb.3558:
	s_mov_b32 s10, 0x7f800001
	s_xor_b64 s[4:5], exec, -1
; %bb.3559:
	s_or_b64 exec, exec, s[8:9]
	s_and_b64 s[4:5], s[4:5], exec
	s_or_saveexec_b64 s[6:7], s[6:7]
	v_mov_b32_e32 v3, s10
	s_xor_b64 exec, exec, s[6:7]
	s_cbranch_execz .LBB11_1510
.LBB11_3560:
	v_mov_b32_e32 v3, 0
	v_cmp_ne_u16_sdwa s[8:9], v5, v3 src0_sel:BYTE_0 src1_sel:DWORD
	s_andn2_b64 s[4:5], s[4:5], exec
	s_and_b64 s[8:9], s[8:9], exec
	s_or_b64 s[4:5], s[4:5], s[8:9]
	s_or_b64 exec, exec, s[6:7]
	s_and_saveexec_b64 s[6:7], s[4:5]
	s_cbranch_execnz .LBB11_1511
	s_branch .LBB11_1512
.LBB11_3561:
	s_movk_i32 s4, 0x80
	v_cmp_eq_u16_sdwa s[12:13], v3, s4 src0_sel:BYTE_0 src1_sel:DWORD
	s_mov_b64 s[4:5], -1
                                        ; implicit-def: $sgpr10
	s_and_saveexec_b64 s[8:9], s[12:13]
; %bb.3562:
	s_mov_b32 s10, 0x7f800001
	s_xor_b64 s[4:5], exec, -1
; %bb.3563:
	s_or_b64 exec, exec, s[8:9]
	s_and_b64 s[4:5], s[4:5], exec
	s_or_saveexec_b64 s[6:7], s[6:7]
	v_mov_b32_e32 v2, s10
	s_xor_b64 exec, exec, s[6:7]
	s_cbranch_execz .LBB11_1514
.LBB11_3564:
	v_mov_b32_e32 v2, 0
	v_cmp_ne_u16_sdwa s[8:9], v3, v2 src0_sel:BYTE_0 src1_sel:DWORD
	s_andn2_b64 s[4:5], s[4:5], exec
	s_and_b64 s[8:9], s[8:9], exec
	s_or_b64 s[4:5], s[4:5], s[8:9]
	s_or_b64 exec, exec, s[6:7]
	s_and_saveexec_b64 s[6:7], s[4:5]
	s_cbranch_execnz .LBB11_1515
	s_branch .LBB11_1516
.LBB11_3565:
	s_movk_i32 s4, 0x80
	v_cmp_eq_u16_sdwa s[12:13], v3, s4 src0_sel:BYTE_0 src1_sel:DWORD
	s_mov_b64 s[4:5], -1
                                        ; implicit-def: $sgpr10
	s_and_saveexec_b64 s[8:9], s[12:13]
; %bb.3566:
	s_mov_b32 s10, 0x7f800001
	s_xor_b64 s[4:5], exec, -1
; %bb.3567:
	s_or_b64 exec, exec, s[8:9]
	s_and_b64 s[4:5], s[4:5], exec
	s_or_saveexec_b64 s[6:7], s[6:7]
	v_mov_b32_e32 v4, s10
	s_xor_b64 exec, exec, s[6:7]
	s_cbranch_execz .LBB11_1518
.LBB11_3568:
	v_mov_b32_e32 v4, 0
	v_cmp_ne_u16_sdwa s[8:9], v3, v4 src0_sel:BYTE_0 src1_sel:DWORD
	s_andn2_b64 s[4:5], s[4:5], exec
	s_and_b64 s[8:9], s[8:9], exec
	s_or_b64 s[4:5], s[4:5], s[8:9]
	s_or_b64 exec, exec, s[6:7]
	s_and_saveexec_b64 s[6:7], s[4:5]
	s_cbranch_execnz .LBB11_1519
	s_branch .LBB11_1520
.LBB11_3569:
	s_movk_i32 s4, 0x80
	v_cmp_eq_u16_e32 vcc, s4, v3
	s_mov_b64 s[4:5], -1
                                        ; implicit-def: $sgpr10
	s_and_saveexec_b64 s[8:9], vcc
; %bb.3570:
	s_mov_b32 s10, 0x7f800001
	s_xor_b64 s[4:5], exec, -1
; %bb.3571:
	s_or_b64 exec, exec, s[8:9]
	s_and_b64 s[4:5], s[4:5], exec
                                        ; implicit-def: $vgpr3
	s_or_saveexec_b64 s[6:7], s[6:7]
	v_mov_b32_e32 v2, s10
	s_xor_b64 exec, exec, s[6:7]
	s_cbranch_execz .LBB11_1522
.LBB11_3572:
	v_cmp_ne_u16_e32 vcc, 0, v3
	s_andn2_b64 s[4:5], s[4:5], exec
	s_and_b64 s[8:9], vcc, exec
	v_mov_b32_e32 v2, 0
	s_or_b64 s[4:5], s[4:5], s[8:9]
	s_or_b64 exec, exec, s[6:7]
	s_and_saveexec_b64 s[6:7], s[4:5]
	s_cbranch_execnz .LBB11_1523
	s_branch .LBB11_1524
.LBB11_3573:
	s_movk_i32 s4, 0x80
	v_cmp_eq_u16_e32 vcc, s4, v3
	s_mov_b64 s[4:5], -1
                                        ; implicit-def: $sgpr10
	s_and_saveexec_b64 s[8:9], vcc
; %bb.3574:
	s_mov_b32 s10, 0x7f800001
	s_xor_b64 s[4:5], exec, -1
; %bb.3575:
	s_or_b64 exec, exec, s[8:9]
	s_and_b64 s[4:5], s[4:5], exec
                                        ; implicit-def: $vgpr3
	s_or_saveexec_b64 s[6:7], s[6:7]
	v_mov_b32_e32 v4, s10
	s_xor_b64 exec, exec, s[6:7]
	s_cbranch_execz .LBB11_1526
.LBB11_3576:
	v_cmp_ne_u16_e32 vcc, 0, v3
	s_andn2_b64 s[4:5], s[4:5], exec
	s_and_b64 s[8:9], vcc, exec
	v_mov_b32_e32 v4, 0
	s_or_b64 s[4:5], s[4:5], s[8:9]
	s_or_b64 exec, exec, s[6:7]
	s_and_saveexec_b64 s[6:7], s[4:5]
	s_cbranch_execnz .LBB11_1527
	s_branch .LBB11_1528
.LBB11_3577:
	s_movk_i32 s4, 0x80
	v_cmp_eq_u16_sdwa s[12:13], v9, s4 src0_sel:BYTE_3 src1_sel:DWORD
	s_mov_b64 s[4:5], -1
                                        ; implicit-def: $sgpr10
	s_and_saveexec_b64 s[8:9], s[12:13]
; %bb.3578:
	s_mov_b32 s10, 0x7f800001
	s_xor_b64 s[4:5], exec, -1
; %bb.3579:
	s_or_b64 exec, exec, s[8:9]
	s_and_b64 s[4:5], s[4:5], exec
	s_or_saveexec_b64 s[6:7], s[6:7]
	v_mov_b32_e32 v2, s10
	s_xor_b64 exec, exec, s[6:7]
	s_cbranch_execz .LBB11_1530
.LBB11_3580:
	v_mov_b32_e32 v2, 0
	v_cmp_ne_u16_sdwa s[8:9], v9, v2 src0_sel:BYTE_3 src1_sel:DWORD
	s_andn2_b64 s[4:5], s[4:5], exec
	s_and_b64 s[8:9], s[8:9], exec
	s_or_b64 s[4:5], s[4:5], s[8:9]
	s_or_b64 exec, exec, s[6:7]
	s_and_saveexec_b64 s[6:7], s[4:5]
	s_cbranch_execnz .LBB11_1531
	s_branch .LBB11_1532
.LBB11_3581:
	s_movk_i32 s4, 0x80
	v_cmp_eq_u16_sdwa s[12:13], v5, s4 src0_sel:BYTE_3 src1_sel:DWORD
	s_mov_b64 s[4:5], -1
                                        ; implicit-def: $sgpr10
	s_and_saveexec_b64 s[8:9], s[12:13]
; %bb.3582:
	s_mov_b32 s10, 0x7f800001
	s_xor_b64 s[4:5], exec, -1
; %bb.3583:
	s_or_b64 exec, exec, s[8:9]
	s_and_b64 s[4:5], s[4:5], exec
	s_or_saveexec_b64 s[6:7], s[6:7]
	v_mov_b32_e32 v3, s10
	s_xor_b64 exec, exec, s[6:7]
	s_cbranch_execz .LBB11_1534
.LBB11_3584:
	v_mov_b32_e32 v3, 0
	v_cmp_ne_u16_sdwa s[8:9], v5, v3 src0_sel:BYTE_3 src1_sel:DWORD
	s_andn2_b64 s[4:5], s[4:5], exec
	s_and_b64 s[8:9], s[8:9], exec
	s_or_b64 s[4:5], s[4:5], s[8:9]
	s_or_b64 exec, exec, s[6:7]
	s_and_saveexec_b64 s[6:7], s[4:5]
	s_cbranch_execnz .LBB11_1535
	s_branch .LBB11_1536
.LBB11_3585:
	s_movk_i32 s4, 0x80
	v_cmp_eq_u16_sdwa s[12:13], v6, s4 src0_sel:BYTE_0 src1_sel:DWORD
	s_mov_b64 s[4:5], -1
                                        ; implicit-def: $sgpr10
	s_and_saveexec_b64 s[8:9], s[12:13]
; %bb.3586:
	s_mov_b32 s10, 0x7f800001
	s_xor_b64 s[4:5], exec, -1
; %bb.3587:
	s_or_b64 exec, exec, s[8:9]
	s_and_b64 s[4:5], s[4:5], exec
	s_or_saveexec_b64 s[6:7], s[6:7]
	v_mov_b32_e32 v12, s10
	s_xor_b64 exec, exec, s[6:7]
	s_cbranch_execz .LBB11_1538
.LBB11_3588:
	v_mov_b32_e32 v12, 0
	v_cmp_ne_u16_sdwa s[8:9], v6, v12 src0_sel:BYTE_0 src1_sel:DWORD
	s_andn2_b64 s[4:5], s[4:5], exec
	s_and_b64 s[8:9], s[8:9], exec
	s_or_b64 s[4:5], s[4:5], s[8:9]
	s_or_b64 exec, exec, s[6:7]
	s_and_saveexec_b64 s[6:7], s[4:5]
	s_cbranch_execnz .LBB11_1539
	s_branch .LBB11_1540
.LBB11_3589:
	s_movk_i32 s4, 0x80
	v_cmp_eq_u16_sdwa s[12:13], v2, s4 src0_sel:BYTE_0 src1_sel:DWORD
	s_mov_b64 s[4:5], -1
                                        ; implicit-def: $sgpr10
	s_and_saveexec_b64 s[8:9], s[12:13]
; %bb.3590:
	s_mov_b32 s10, 0x7f800001
	s_xor_b64 s[4:5], exec, -1
; %bb.3591:
	s_or_b64 exec, exec, s[8:9]
	s_and_b64 s[4:5], s[4:5], exec
	s_or_saveexec_b64 s[6:7], s[6:7]
	v_mov_b32_e32 v13, s10
	s_xor_b64 exec, exec, s[6:7]
	s_cbranch_execz .LBB11_1542
.LBB11_3592:
	v_mov_b32_e32 v13, 0
	v_cmp_ne_u16_sdwa s[8:9], v2, v13 src0_sel:BYTE_0 src1_sel:DWORD
	s_andn2_b64 s[4:5], s[4:5], exec
	s_and_b64 s[8:9], s[8:9], exec
	s_or_b64 s[4:5], s[4:5], s[8:9]
	s_or_b64 exec, exec, s[6:7]
	s_and_saveexec_b64 s[6:7], s[4:5]
	s_cbranch_execnz .LBB11_1543
	s_branch .LBB11_1544
.LBB11_3593:
	s_movk_i32 s4, 0x80
	v_cmp_eq_u16_sdwa s[12:13], v13, s4 src0_sel:BYTE_0 src1_sel:DWORD
	s_mov_b64 s[4:5], -1
                                        ; implicit-def: $sgpr10
	s_and_saveexec_b64 s[8:9], s[12:13]
; %bb.3594:
	s_mov_b32 s10, 0x7f800001
	s_xor_b64 s[4:5], exec, -1
; %bb.3595:
	s_or_b64 exec, exec, s[8:9]
	s_and_b64 s[4:5], s[4:5], exec
	s_or_saveexec_b64 s[6:7], s[6:7]
	v_mov_b32_e32 v12, s10
	s_xor_b64 exec, exec, s[6:7]
	s_cbranch_execz .LBB11_1546
.LBB11_3596:
	v_mov_b32_e32 v12, 0
	v_cmp_ne_u16_sdwa s[8:9], v13, v12 src0_sel:BYTE_0 src1_sel:DWORD
	s_andn2_b64 s[4:5], s[4:5], exec
	s_and_b64 s[8:9], s[8:9], exec
	s_or_b64 s[4:5], s[4:5], s[8:9]
	s_or_b64 exec, exec, s[6:7]
	s_and_saveexec_b64 s[6:7], s[4:5]
	s_cbranch_execnz .LBB11_1547
	s_branch .LBB11_1548
.LBB11_3597:
	s_movk_i32 s4, 0x80
	v_cmp_eq_u16_sdwa s[12:13], v13, s4 src0_sel:BYTE_0 src1_sel:DWORD
	s_mov_b64 s[4:5], -1
                                        ; implicit-def: $sgpr10
	s_and_saveexec_b64 s[8:9], s[12:13]
; %bb.3598:
	s_mov_b32 s10, 0x7f800001
	s_xor_b64 s[4:5], exec, -1
; %bb.3599:
	s_or_b64 exec, exec, s[8:9]
	s_and_b64 s[4:5], s[4:5], exec
	s_or_saveexec_b64 s[6:7], s[6:7]
	v_mov_b32_e32 v14, s10
	s_xor_b64 exec, exec, s[6:7]
	s_cbranch_execz .LBB11_1550
.LBB11_3600:
	v_mov_b32_e32 v14, 0
	v_cmp_ne_u16_sdwa s[8:9], v13, v14 src0_sel:BYTE_0 src1_sel:DWORD
	s_andn2_b64 s[4:5], s[4:5], exec
	s_and_b64 s[8:9], s[8:9], exec
	s_or_b64 s[4:5], s[4:5], s[8:9]
	s_or_b64 exec, exec, s[6:7]
	s_and_saveexec_b64 s[6:7], s[4:5]
	s_cbranch_execnz .LBB11_1551
	s_branch .LBB11_1552
.LBB11_3601:
	s_movk_i32 s4, 0x80
	v_cmp_eq_u16_e32 vcc, s4, v13
	s_mov_b64 s[4:5], -1
                                        ; implicit-def: $sgpr10
	s_and_saveexec_b64 s[8:9], vcc
; %bb.3602:
	s_mov_b32 s10, 0x7f800001
	s_xor_b64 s[4:5], exec, -1
; %bb.3603:
	s_or_b64 exec, exec, s[8:9]
	s_and_b64 s[4:5], s[4:5], exec
                                        ; implicit-def: $vgpr13
	s_or_saveexec_b64 s[6:7], s[6:7]
	v_mov_b32_e32 v12, s10
	s_xor_b64 exec, exec, s[6:7]
	s_cbranch_execz .LBB11_1554
.LBB11_3604:
	v_cmp_ne_u16_e32 vcc, 0, v13
	s_andn2_b64 s[4:5], s[4:5], exec
	s_and_b64 s[8:9], vcc, exec
	v_mov_b32_e32 v12, 0
	s_or_b64 s[4:5], s[4:5], s[8:9]
	s_or_b64 exec, exec, s[6:7]
	s_and_saveexec_b64 s[6:7], s[4:5]
	s_cbranch_execnz .LBB11_1555
	s_branch .LBB11_1556
.LBB11_3605:
	s_movk_i32 s4, 0x80
	v_cmp_eq_u16_e32 vcc, s4, v13
	s_mov_b64 s[4:5], -1
                                        ; implicit-def: $sgpr10
	s_and_saveexec_b64 s[8:9], vcc
; %bb.3606:
	s_mov_b32 s10, 0x7f800001
	s_xor_b64 s[4:5], exec, -1
; %bb.3607:
	s_or_b64 exec, exec, s[8:9]
	s_and_b64 s[4:5], s[4:5], exec
                                        ; implicit-def: $vgpr13
	s_or_saveexec_b64 s[6:7], s[6:7]
	v_mov_b32_e32 v14, s10
	s_xor_b64 exec, exec, s[6:7]
	s_cbranch_execz .LBB11_1558
.LBB11_3608:
	v_cmp_ne_u16_e32 vcc, 0, v13
	s_andn2_b64 s[4:5], s[4:5], exec
	s_and_b64 s[8:9], vcc, exec
	v_mov_b32_e32 v14, 0
	s_or_b64 s[4:5], s[4:5], s[8:9]
	s_or_b64 exec, exec, s[6:7]
	s_and_saveexec_b64 s[6:7], s[4:5]
	s_cbranch_execnz .LBB11_1559
	s_branch .LBB11_1560
.LBB11_3609:
	s_movk_i32 s4, 0x80
	v_cmp_eq_u16_sdwa s[12:13], v6, s4 src0_sel:BYTE_3 src1_sel:DWORD
	s_mov_b64 s[4:5], -1
                                        ; implicit-def: $sgpr10
	s_and_saveexec_b64 s[8:9], s[12:13]
; %bb.3610:
	s_mov_b32 s10, 0x7f800001
	s_xor_b64 s[4:5], exec, -1
; %bb.3611:
	s_or_b64 exec, exec, s[8:9]
	s_and_b64 s[4:5], s[4:5], exec
	s_or_saveexec_b64 s[6:7], s[6:7]
	v_mov_b32_e32 v12, s10
	s_xor_b64 exec, exec, s[6:7]
	s_cbranch_execz .LBB11_1562
.LBB11_3612:
	v_mov_b32_e32 v12, 0
	v_cmp_ne_u16_sdwa s[8:9], v6, v12 src0_sel:BYTE_3 src1_sel:DWORD
	s_andn2_b64 s[4:5], s[4:5], exec
	s_and_b64 s[8:9], s[8:9], exec
	s_or_b64 s[4:5], s[4:5], s[8:9]
	s_or_b64 exec, exec, s[6:7]
	s_and_saveexec_b64 s[6:7], s[4:5]
	s_cbranch_execnz .LBB11_1563
	s_branch .LBB11_1564
.LBB11_3613:
	s_movk_i32 s4, 0x80
	v_cmp_eq_u16_sdwa s[12:13], v2, s4 src0_sel:BYTE_3 src1_sel:DWORD
	s_mov_b64 s[4:5], -1
                                        ; implicit-def: $sgpr10
	s_and_saveexec_b64 s[8:9], s[12:13]
; %bb.3614:
	s_mov_b32 s10, 0x7f800001
	s_xor_b64 s[4:5], exec, -1
; %bb.3615:
	s_or_b64 exec, exec, s[8:9]
	s_and_b64 s[4:5], s[4:5], exec
	s_or_saveexec_b64 s[6:7], s[6:7]
	v_mov_b32_e32 v6, s10
	s_xor_b64 exec, exec, s[6:7]
	s_cbranch_execz .LBB11_1566
.LBB11_3616:
	v_mov_b32_e32 v6, 0
	v_cmp_ne_u16_sdwa s[8:9], v2, v6 src0_sel:BYTE_3 src1_sel:DWORD
	s_andn2_b64 s[4:5], s[4:5], exec
	s_and_b64 s[8:9], s[8:9], exec
	s_or_b64 s[4:5], s[4:5], s[8:9]
	s_or_b64 exec, exec, s[6:7]
	s_and_saveexec_b64 s[6:7], s[4:5]
	s_cbranch_execnz .LBB11_1567
	s_branch .LBB11_1568
.LBB11_3617:
	s_movk_i32 s4, 0x80
	v_cmp_eq_u16_sdwa s[12:13], v7, s4 src0_sel:BYTE_0 src1_sel:DWORD
	s_mov_b64 s[4:5], -1
                                        ; implicit-def: $sgpr10
	s_and_saveexec_b64 s[8:9], s[12:13]
; %bb.3618:
	s_mov_b32 s10, 0x7f800001
	s_xor_b64 s[4:5], exec, -1
; %bb.3619:
	s_or_b64 exec, exec, s[8:9]
	s_and_b64 s[4:5], s[4:5], exec
	s_or_saveexec_b64 s[6:7], s[6:7]
	v_mov_b32_e32 v2, s10
	s_xor_b64 exec, exec, s[6:7]
	s_cbranch_execz .LBB11_1570
.LBB11_3620:
	v_mov_b32_e32 v2, 0
	v_cmp_ne_u16_sdwa s[8:9], v7, v2 src0_sel:BYTE_0 src1_sel:DWORD
	s_andn2_b64 s[4:5], s[4:5], exec
	s_and_b64 s[8:9], s[8:9], exec
	s_or_b64 s[4:5], s[4:5], s[8:9]
	s_or_b64 exec, exec, s[6:7]
	s_and_saveexec_b64 s[6:7], s[4:5]
	s_cbranch_execnz .LBB11_1571
	s_branch .LBB11_1572
.LBB11_3621:
	s_movk_i32 s4, 0x80
	v_cmp_eq_u16_sdwa s[12:13], v3, s4 src0_sel:BYTE_0 src1_sel:DWORD
	s_mov_b64 s[4:5], -1
                                        ; implicit-def: $sgpr10
	s_and_saveexec_b64 s[8:9], s[12:13]
; %bb.3622:
	s_mov_b32 s10, 0x7f800001
	s_xor_b64 s[4:5], exec, -1
; %bb.3623:
	s_or_b64 exec, exec, s[8:9]
	s_and_b64 s[4:5], s[4:5], exec
	s_or_saveexec_b64 s[6:7], s[6:7]
	v_mov_b32_e32 v6, s10
	s_xor_b64 exec, exec, s[6:7]
	s_cbranch_execz .LBB11_1574
.LBB11_3624:
	v_mov_b32_e32 v6, 0
	v_cmp_ne_u16_sdwa s[8:9], v3, v6 src0_sel:BYTE_0 src1_sel:DWORD
	s_andn2_b64 s[4:5], s[4:5], exec
	s_and_b64 s[8:9], s[8:9], exec
	s_or_b64 s[4:5], s[4:5], s[8:9]
	s_or_b64 exec, exec, s[6:7]
	s_and_saveexec_b64 s[6:7], s[4:5]
	s_cbranch_execnz .LBB11_1575
	s_branch .LBB11_1576
.LBB11_3625:
	s_movk_i32 s4, 0x80
	v_cmp_eq_u16_sdwa s[12:13], v6, s4 src0_sel:BYTE_0 src1_sel:DWORD
	s_mov_b64 s[4:5], -1
                                        ; implicit-def: $sgpr10
	s_and_saveexec_b64 s[8:9], s[12:13]
; %bb.3626:
	s_mov_b32 s10, 0x7f800001
	s_xor_b64 s[4:5], exec, -1
; %bb.3627:
	s_or_b64 exec, exec, s[8:9]
	s_and_b64 s[4:5], s[4:5], exec
	s_or_saveexec_b64 s[6:7], s[6:7]
	v_mov_b32_e32 v2, s10
	s_xor_b64 exec, exec, s[6:7]
	s_cbranch_execz .LBB11_1578
.LBB11_3628:
	v_mov_b32_e32 v2, 0
	v_cmp_ne_u16_sdwa s[8:9], v6, v2 src0_sel:BYTE_0 src1_sel:DWORD
	s_andn2_b64 s[4:5], s[4:5], exec
	s_and_b64 s[8:9], s[8:9], exec
	s_or_b64 s[4:5], s[4:5], s[8:9]
	s_or_b64 exec, exec, s[6:7]
	s_and_saveexec_b64 s[6:7], s[4:5]
	s_cbranch_execnz .LBB11_1579
	s_branch .LBB11_1580
.LBB11_3629:
	s_movk_i32 s4, 0x80
	v_cmp_eq_u16_sdwa s[12:13], v6, s4 src0_sel:BYTE_0 src1_sel:DWORD
	s_mov_b64 s[4:5], -1
                                        ; implicit-def: $sgpr10
	s_and_saveexec_b64 s[8:9], s[12:13]
; %bb.3630:
	s_mov_b32 s10, 0x7f800001
	s_xor_b64 s[4:5], exec, -1
; %bb.3631:
	s_or_b64 exec, exec, s[8:9]
	s_and_b64 s[4:5], s[4:5], exec
	s_or_saveexec_b64 s[6:7], s[6:7]
	v_mov_b32_e32 v12, s10
	s_xor_b64 exec, exec, s[6:7]
	s_cbranch_execz .LBB11_1582
.LBB11_3632:
	v_mov_b32_e32 v12, 0
	v_cmp_ne_u16_sdwa s[8:9], v6, v12 src0_sel:BYTE_0 src1_sel:DWORD
	s_andn2_b64 s[4:5], s[4:5], exec
	s_and_b64 s[8:9], s[8:9], exec
	s_or_b64 s[4:5], s[4:5], s[8:9]
	s_or_b64 exec, exec, s[6:7]
	s_and_saveexec_b64 s[6:7], s[4:5]
	s_cbranch_execnz .LBB11_1583
	s_branch .LBB11_1584
.LBB11_3633:
	s_movk_i32 s4, 0x80
	v_cmp_eq_u16_e32 vcc, s4, v6
	s_mov_b64 s[4:5], -1
                                        ; implicit-def: $sgpr10
	s_and_saveexec_b64 s[8:9], vcc
; %bb.3634:
	s_mov_b32 s10, 0x7f800001
	s_xor_b64 s[4:5], exec, -1
; %bb.3635:
	s_or_b64 exec, exec, s[8:9]
	s_and_b64 s[4:5], s[4:5], exec
                                        ; implicit-def: $vgpr6
	s_or_saveexec_b64 s[6:7], s[6:7]
	v_mov_b32_e32 v2, s10
	s_xor_b64 exec, exec, s[6:7]
	s_cbranch_execz .LBB11_1586
.LBB11_3636:
	v_cmp_ne_u16_e32 vcc, 0, v6
	s_andn2_b64 s[4:5], s[4:5], exec
	s_and_b64 s[8:9], vcc, exec
	v_mov_b32_e32 v2, 0
	s_or_b64 s[4:5], s[4:5], s[8:9]
	s_or_b64 exec, exec, s[6:7]
	s_and_saveexec_b64 s[6:7], s[4:5]
	s_cbranch_execnz .LBB11_1587
	s_branch .LBB11_1588
.LBB11_3637:
	s_movk_i32 s4, 0x80
	v_cmp_eq_u16_e32 vcc, s4, v6
	s_mov_b64 s[4:5], -1
                                        ; implicit-def: $sgpr10
	s_and_saveexec_b64 s[8:9], vcc
; %bb.3638:
	s_mov_b32 s10, 0x7f800001
	s_xor_b64 s[4:5], exec, -1
; %bb.3639:
	s_or_b64 exec, exec, s[8:9]
	s_and_b64 s[4:5], s[4:5], exec
                                        ; implicit-def: $vgpr6
	s_or_saveexec_b64 s[6:7], s[6:7]
	v_mov_b32_e32 v12, s10
	s_xor_b64 exec, exec, s[6:7]
	s_cbranch_execz .LBB11_1590
.LBB11_3640:
	v_cmp_ne_u16_e32 vcc, 0, v6
	s_andn2_b64 s[4:5], s[4:5], exec
	s_and_b64 s[8:9], vcc, exec
	v_mov_b32_e32 v12, 0
	s_or_b64 s[4:5], s[4:5], s[8:9]
	s_or_b64 exec, exec, s[6:7]
	s_and_saveexec_b64 s[6:7], s[4:5]
	s_cbranch_execnz .LBB11_1591
	s_branch .LBB11_1592
.LBB11_3641:
	s_movk_i32 s4, 0x80
	v_cmp_eq_u16_sdwa s[12:13], v7, s4 src0_sel:BYTE_3 src1_sel:DWORD
	s_mov_b64 s[4:5], -1
                                        ; implicit-def: $sgpr10
	s_and_saveexec_b64 s[8:9], s[12:13]
; %bb.3642:
	s_mov_b32 s10, 0x7f800001
	s_xor_b64 s[4:5], exec, -1
; %bb.3643:
	s_or_b64 exec, exec, s[8:9]
	s_and_b64 s[4:5], s[4:5], exec
	s_or_saveexec_b64 s[6:7], s[6:7]
	v_mov_b32_e32 v2, s10
	s_xor_b64 exec, exec, s[6:7]
	s_cbranch_execz .LBB11_1594
.LBB11_3644:
	v_mov_b32_e32 v2, 0
	v_cmp_ne_u16_sdwa s[8:9], v7, v2 src0_sel:BYTE_3 src1_sel:DWORD
	s_andn2_b64 s[4:5], s[4:5], exec
	s_and_b64 s[8:9], s[8:9], exec
	s_or_b64 s[4:5], s[4:5], s[8:9]
	s_or_b64 exec, exec, s[6:7]
	s_and_saveexec_b64 s[6:7], s[4:5]
	s_cbranch_execnz .LBB11_1595
	s_branch .LBB11_1596
.LBB11_3645:
	s_movk_i32 s4, 0x80
	v_cmp_eq_u16_sdwa s[12:13], v3, s4 src0_sel:BYTE_3 src1_sel:DWORD
	s_mov_b64 s[4:5], -1
                                        ; implicit-def: $sgpr10
	s_and_saveexec_b64 s[8:9], s[12:13]
; %bb.3646:
	s_mov_b32 s10, 0x7f800001
	s_xor_b64 s[4:5], exec, -1
; %bb.3647:
	s_or_b64 exec, exec, s[8:9]
	s_and_b64 s[4:5], s[4:5], exec
	s_or_saveexec_b64 s[6:7], s[6:7]
	v_mov_b32_e32 v6, s10
	s_xor_b64 exec, exec, s[6:7]
	s_cbranch_execz .LBB11_1598
.LBB11_3648:
	v_mov_b32_e32 v6, 0
	v_cmp_ne_u16_sdwa s[8:9], v3, v6 src0_sel:BYTE_3 src1_sel:DWORD
	s_andn2_b64 s[4:5], s[4:5], exec
	s_and_b64 s[8:9], s[8:9], exec
	s_or_b64 s[4:5], s[4:5], s[8:9]
	s_or_b64 exec, exec, s[6:7]
	s_and_saveexec_b64 s[6:7], s[4:5]
	s_cbranch_execnz .LBB11_1599
	s_branch .LBB11_1600
.LBB11_3649:
	s_movk_i32 s4, 0x80
	v_cmp_eq_u16_sdwa s[12:13], v8, s4 src0_sel:BYTE_0 src1_sel:DWORD
	s_mov_b64 s[4:5], -1
                                        ; implicit-def: $sgpr10
	s_and_saveexec_b64 s[8:9], s[12:13]
; %bb.3650:
	s_mov_b32 s10, 0x7f800001
	s_xor_b64 s[4:5], exec, -1
; %bb.3651:
	s_or_b64 exec, exec, s[8:9]
	s_and_b64 s[4:5], s[4:5], exec
	s_or_saveexec_b64 s[6:7], s[6:7]
	v_mov_b32_e32 v2, s10
	s_xor_b64 exec, exec, s[6:7]
	s_cbranch_execz .LBB11_1602
.LBB11_3652:
	v_mov_b32_e32 v2, 0
	v_cmp_ne_u16_sdwa s[8:9], v8, v2 src0_sel:BYTE_0 src1_sel:DWORD
	s_andn2_b64 s[4:5], s[4:5], exec
	s_and_b64 s[8:9], s[8:9], exec
	s_or_b64 s[4:5], s[4:5], s[8:9]
	s_or_b64 exec, exec, s[6:7]
	s_and_saveexec_b64 s[6:7], s[4:5]
	s_cbranch_execnz .LBB11_1603
	s_branch .LBB11_1604
.LBB11_3653:
	s_movk_i32 s4, 0x80
	v_cmp_eq_u16_sdwa s[12:13], v4, s4 src0_sel:BYTE_0 src1_sel:DWORD
	s_mov_b64 s[4:5], -1
                                        ; implicit-def: $sgpr10
	s_and_saveexec_b64 s[8:9], s[12:13]
; %bb.3654:
	s_mov_b32 s10, 0x7f800001
	s_xor_b64 s[4:5], exec, -1
; %bb.3655:
	s_or_b64 exec, exec, s[8:9]
	s_and_b64 s[4:5], s[4:5], exec
	s_or_saveexec_b64 s[6:7], s[6:7]
	v_mov_b32_e32 v3, s10
	s_xor_b64 exec, exec, s[6:7]
	s_cbranch_execz .LBB11_1606
.LBB11_3656:
	v_mov_b32_e32 v3, 0
	v_cmp_ne_u16_sdwa s[8:9], v4, v3 src0_sel:BYTE_0 src1_sel:DWORD
	s_andn2_b64 s[4:5], s[4:5], exec
	s_and_b64 s[8:9], s[8:9], exec
	s_or_b64 s[4:5], s[4:5], s[8:9]
	s_or_b64 exec, exec, s[6:7]
	s_and_saveexec_b64 s[6:7], s[4:5]
	s_cbranch_execnz .LBB11_1607
	s_branch .LBB11_1608
.LBB11_3657:
	s_movk_i32 s4, 0x80
	v_cmp_eq_u16_sdwa s[12:13], v3, s4 src0_sel:BYTE_0 src1_sel:DWORD
	s_mov_b64 s[4:5], -1
                                        ; implicit-def: $sgpr10
	s_and_saveexec_b64 s[8:9], s[12:13]
; %bb.3658:
	s_mov_b32 s10, 0x7f800001
	s_xor_b64 s[4:5], exec, -1
; %bb.3659:
	s_or_b64 exec, exec, s[8:9]
	s_and_b64 s[4:5], s[4:5], exec
	s_or_saveexec_b64 s[6:7], s[6:7]
	v_mov_b32_e32 v2, s10
	s_xor_b64 exec, exec, s[6:7]
	s_cbranch_execz .LBB11_1610
.LBB11_3660:
	v_mov_b32_e32 v2, 0
	v_cmp_ne_u16_sdwa s[8:9], v3, v2 src0_sel:BYTE_0 src1_sel:DWORD
	s_andn2_b64 s[4:5], s[4:5], exec
	s_and_b64 s[8:9], s[8:9], exec
	s_or_b64 s[4:5], s[4:5], s[8:9]
	s_or_b64 exec, exec, s[6:7]
	s_and_saveexec_b64 s[6:7], s[4:5]
	s_cbranch_execnz .LBB11_1611
	s_branch .LBB11_1612
.LBB11_3661:
	s_movk_i32 s4, 0x80
	v_cmp_eq_u16_sdwa s[12:13], v3, s4 src0_sel:BYTE_0 src1_sel:DWORD
	s_mov_b64 s[4:5], -1
                                        ; implicit-def: $sgpr10
	s_and_saveexec_b64 s[8:9], s[12:13]
; %bb.3662:
	s_mov_b32 s10, 0x7f800001
	s_xor_b64 s[4:5], exec, -1
; %bb.3663:
	s_or_b64 exec, exec, s[8:9]
	s_and_b64 s[4:5], s[4:5], exec
	s_or_saveexec_b64 s[6:7], s[6:7]
	v_mov_b32_e32 v6, s10
	s_xor_b64 exec, exec, s[6:7]
	s_cbranch_execz .LBB11_1614
.LBB11_3664:
	v_mov_b32_e32 v6, 0
	v_cmp_ne_u16_sdwa s[8:9], v3, v6 src0_sel:BYTE_0 src1_sel:DWORD
	s_andn2_b64 s[4:5], s[4:5], exec
	s_and_b64 s[8:9], s[8:9], exec
	s_or_b64 s[4:5], s[4:5], s[8:9]
	s_or_b64 exec, exec, s[6:7]
	s_and_saveexec_b64 s[6:7], s[4:5]
	s_cbranch_execnz .LBB11_1615
	s_branch .LBB11_1616
.LBB11_3665:
	s_movk_i32 s4, 0x80
	v_cmp_eq_u16_e32 vcc, s4, v3
	s_mov_b64 s[4:5], -1
                                        ; implicit-def: $sgpr10
	s_and_saveexec_b64 s[8:9], vcc
; %bb.3666:
	s_mov_b32 s10, 0x7f800001
	s_xor_b64 s[4:5], exec, -1
; %bb.3667:
	s_or_b64 exec, exec, s[8:9]
	s_and_b64 s[4:5], s[4:5], exec
                                        ; implicit-def: $vgpr3
	s_or_saveexec_b64 s[6:7], s[6:7]
	v_mov_b32_e32 v2, s10
	s_xor_b64 exec, exec, s[6:7]
	s_cbranch_execz .LBB11_1618
.LBB11_3668:
	v_cmp_ne_u16_e32 vcc, 0, v3
	s_andn2_b64 s[4:5], s[4:5], exec
	s_and_b64 s[8:9], vcc, exec
	v_mov_b32_e32 v2, 0
	s_or_b64 s[4:5], s[4:5], s[8:9]
	s_or_b64 exec, exec, s[6:7]
	s_and_saveexec_b64 s[6:7], s[4:5]
	s_cbranch_execnz .LBB11_1619
	s_branch .LBB11_1620
.LBB11_3669:
	s_movk_i32 s4, 0x80
	v_cmp_eq_u16_e32 vcc, s4, v3
	s_mov_b64 s[4:5], -1
                                        ; implicit-def: $sgpr10
	s_and_saveexec_b64 s[8:9], vcc
; %bb.3670:
	s_mov_b32 s10, 0x7f800001
	s_xor_b64 s[4:5], exec, -1
; %bb.3671:
	s_or_b64 exec, exec, s[8:9]
	s_and_b64 s[4:5], s[4:5], exec
                                        ; implicit-def: $vgpr3
	s_or_saveexec_b64 s[6:7], s[6:7]
	v_mov_b32_e32 v6, s10
	s_xor_b64 exec, exec, s[6:7]
	s_cbranch_execz .LBB11_1622
.LBB11_3672:
	v_cmp_ne_u16_e32 vcc, 0, v3
	s_andn2_b64 s[4:5], s[4:5], exec
	s_and_b64 s[8:9], vcc, exec
	v_mov_b32_e32 v6, 0
	s_or_b64 s[4:5], s[4:5], s[8:9]
	s_or_b64 exec, exec, s[6:7]
	s_and_saveexec_b64 s[6:7], s[4:5]
	s_cbranch_execnz .LBB11_1623
	s_branch .LBB11_1624
.LBB11_3673:
	s_movk_i32 s4, 0x80
	v_cmp_eq_u16_sdwa s[12:13], v8, s4 src0_sel:BYTE_3 src1_sel:DWORD
	s_mov_b64 s[4:5], -1
                                        ; implicit-def: $sgpr10
	s_and_saveexec_b64 s[8:9], s[12:13]
; %bb.3674:
	s_mov_b32 s10, 0x7f800001
	s_xor_b64 s[4:5], exec, -1
; %bb.3675:
	s_or_b64 exec, exec, s[8:9]
	s_and_b64 s[4:5], s[4:5], exec
	s_or_saveexec_b64 s[6:7], s[6:7]
	v_mov_b32_e32 v2, s10
	s_xor_b64 exec, exec, s[6:7]
	s_cbranch_execz .LBB11_1626
.LBB11_3676:
	v_mov_b32_e32 v2, 0
	v_cmp_ne_u16_sdwa s[8:9], v8, v2 src0_sel:BYTE_3 src1_sel:DWORD
	s_andn2_b64 s[4:5], s[4:5], exec
	s_and_b64 s[8:9], s[8:9], exec
	s_or_b64 s[4:5], s[4:5], s[8:9]
	s_or_b64 exec, exec, s[6:7]
	s_and_saveexec_b64 s[6:7], s[4:5]
	s_cbranch_execnz .LBB11_1627
	s_branch .LBB11_1628
.LBB11_3677:
	s_movk_i32 s4, 0x80
	v_cmp_eq_u16_sdwa s[12:13], v4, s4 src0_sel:BYTE_3 src1_sel:DWORD
	s_mov_b64 s[4:5], -1
                                        ; implicit-def: $sgpr10
	s_and_saveexec_b64 s[8:9], s[12:13]
; %bb.3678:
	s_mov_b32 s10, 0x7f800001
	s_xor_b64 s[4:5], exec, -1
; %bb.3679:
	s_or_b64 exec, exec, s[8:9]
	s_and_b64 s[4:5], s[4:5], exec
	s_or_saveexec_b64 s[6:7], s[6:7]
	v_mov_b32_e32 v3, s10
	s_xor_b64 exec, exec, s[6:7]
	s_cbranch_execz .LBB11_1630
.LBB11_3680:
	v_mov_b32_e32 v3, 0
	v_cmp_ne_u16_sdwa s[8:9], v4, v3 src0_sel:BYTE_3 src1_sel:DWORD
	s_andn2_b64 s[4:5], s[4:5], exec
	s_and_b64 s[8:9], s[8:9], exec
	s_or_b64 s[4:5], s[4:5], s[8:9]
	s_or_b64 exec, exec, s[6:7]
	s_and_saveexec_b64 s[6:7], s[4:5]
	s_cbranch_execnz .LBB11_1631
	s_branch .LBB11_1632
.LBB11_3681:
	s_movk_i32 s4, 0x80
	v_cmp_eq_u16_sdwa s[12:13], v9, s4 src0_sel:BYTE_0 src1_sel:DWORD
	s_mov_b64 s[4:5], -1
                                        ; implicit-def: $sgpr10
	s_and_saveexec_b64 s[8:9], s[12:13]
; %bb.3682:
	s_mov_b32 s10, 0x7f800001
	s_xor_b64 s[4:5], exec, -1
; %bb.3683:
	s_or_b64 exec, exec, s[8:9]
	s_and_b64 s[4:5], s[4:5], exec
	s_or_saveexec_b64 s[6:7], s[6:7]
	v_mov_b32_e32 v2, s10
	s_xor_b64 exec, exec, s[6:7]
	s_cbranch_execz .LBB11_1634
.LBB11_3684:
	v_mov_b32_e32 v2, 0
	v_cmp_ne_u16_sdwa s[8:9], v9, v2 src0_sel:BYTE_0 src1_sel:DWORD
	s_andn2_b64 s[4:5], s[4:5], exec
	s_and_b64 s[8:9], s[8:9], exec
	s_or_b64 s[4:5], s[4:5], s[8:9]
	s_or_b64 exec, exec, s[6:7]
	s_and_saveexec_b64 s[6:7], s[4:5]
	s_cbranch_execnz .LBB11_1635
	s_branch .LBB11_1636
.LBB11_3685:
	s_movk_i32 s4, 0x80
	v_cmp_eq_u16_sdwa s[12:13], v5, s4 src0_sel:BYTE_0 src1_sel:DWORD
	s_mov_b64 s[4:5], -1
                                        ; implicit-def: $sgpr10
	s_and_saveexec_b64 s[8:9], s[12:13]
; %bb.3686:
	s_mov_b32 s10, 0x7f800001
	s_xor_b64 s[4:5], exec, -1
; %bb.3687:
	s_or_b64 exec, exec, s[8:9]
	s_and_b64 s[4:5], s[4:5], exec
	s_or_saveexec_b64 s[6:7], s[6:7]
	v_mov_b32_e32 v3, s10
	s_xor_b64 exec, exec, s[6:7]
	s_cbranch_execz .LBB11_1638
.LBB11_3688:
	v_mov_b32_e32 v3, 0
	v_cmp_ne_u16_sdwa s[8:9], v5, v3 src0_sel:BYTE_0 src1_sel:DWORD
	s_andn2_b64 s[4:5], s[4:5], exec
	s_and_b64 s[8:9], s[8:9], exec
	s_or_b64 s[4:5], s[4:5], s[8:9]
	s_or_b64 exec, exec, s[6:7]
	s_and_saveexec_b64 s[6:7], s[4:5]
	s_cbranch_execnz .LBB11_1639
	s_branch .LBB11_1640
.LBB11_3689:
	s_movk_i32 s4, 0x80
	v_cmp_eq_u16_sdwa s[12:13], v3, s4 src0_sel:BYTE_0 src1_sel:DWORD
	s_mov_b64 s[4:5], -1
                                        ; implicit-def: $sgpr10
	s_and_saveexec_b64 s[8:9], s[12:13]
; %bb.3690:
	s_mov_b32 s10, 0x7f800001
	s_xor_b64 s[4:5], exec, -1
; %bb.3691:
	s_or_b64 exec, exec, s[8:9]
	s_and_b64 s[4:5], s[4:5], exec
	s_or_saveexec_b64 s[6:7], s[6:7]
	v_mov_b32_e32 v2, s10
	s_xor_b64 exec, exec, s[6:7]
	s_cbranch_execz .LBB11_1642
.LBB11_3692:
	v_mov_b32_e32 v2, 0
	v_cmp_ne_u16_sdwa s[8:9], v3, v2 src0_sel:BYTE_0 src1_sel:DWORD
	s_andn2_b64 s[4:5], s[4:5], exec
	s_and_b64 s[8:9], s[8:9], exec
	s_or_b64 s[4:5], s[4:5], s[8:9]
	s_or_b64 exec, exec, s[6:7]
	s_and_saveexec_b64 s[6:7], s[4:5]
	s_cbranch_execnz .LBB11_1643
	s_branch .LBB11_1644
.LBB11_3693:
	s_movk_i32 s4, 0x80
	v_cmp_eq_u16_sdwa s[12:13], v3, s4 src0_sel:BYTE_0 src1_sel:DWORD
	s_mov_b64 s[4:5], -1
                                        ; implicit-def: $sgpr10
	s_and_saveexec_b64 s[8:9], s[12:13]
; %bb.3694:
	s_mov_b32 s10, 0x7f800001
	s_xor_b64 s[4:5], exec, -1
; %bb.3695:
	s_or_b64 exec, exec, s[8:9]
	s_and_b64 s[4:5], s[4:5], exec
	s_or_saveexec_b64 s[6:7], s[6:7]
	v_mov_b32_e32 v4, s10
	s_xor_b64 exec, exec, s[6:7]
	s_cbranch_execz .LBB11_1646
.LBB11_3696:
	v_mov_b32_e32 v4, 0
	v_cmp_ne_u16_sdwa s[8:9], v3, v4 src0_sel:BYTE_0 src1_sel:DWORD
	s_andn2_b64 s[4:5], s[4:5], exec
	s_and_b64 s[8:9], s[8:9], exec
	s_or_b64 s[4:5], s[4:5], s[8:9]
	s_or_b64 exec, exec, s[6:7]
	s_and_saveexec_b64 s[6:7], s[4:5]
	s_cbranch_execnz .LBB11_1647
	s_branch .LBB11_1648
.LBB11_3697:
	s_movk_i32 s4, 0x80
	v_cmp_eq_u16_e32 vcc, s4, v3
	s_mov_b64 s[4:5], -1
                                        ; implicit-def: $sgpr10
	s_and_saveexec_b64 s[8:9], vcc
; %bb.3698:
	s_mov_b32 s10, 0x7f800001
	s_xor_b64 s[4:5], exec, -1
; %bb.3699:
	s_or_b64 exec, exec, s[8:9]
	s_and_b64 s[4:5], s[4:5], exec
                                        ; implicit-def: $vgpr3
	s_or_saveexec_b64 s[6:7], s[6:7]
	v_mov_b32_e32 v2, s10
	s_xor_b64 exec, exec, s[6:7]
	s_cbranch_execz .LBB11_1650
.LBB11_3700:
	v_cmp_ne_u16_e32 vcc, 0, v3
	s_andn2_b64 s[4:5], s[4:5], exec
	s_and_b64 s[8:9], vcc, exec
	v_mov_b32_e32 v2, 0
	s_or_b64 s[4:5], s[4:5], s[8:9]
	s_or_b64 exec, exec, s[6:7]
	s_and_saveexec_b64 s[6:7], s[4:5]
	s_cbranch_execnz .LBB11_1651
	s_branch .LBB11_1652
.LBB11_3701:
	s_movk_i32 s4, 0x80
	v_cmp_eq_u16_e32 vcc, s4, v3
	s_mov_b64 s[4:5], -1
                                        ; implicit-def: $sgpr10
	s_and_saveexec_b64 s[8:9], vcc
; %bb.3702:
	s_mov_b32 s10, 0x7f800001
	s_xor_b64 s[4:5], exec, -1
; %bb.3703:
	s_or_b64 exec, exec, s[8:9]
	s_and_b64 s[4:5], s[4:5], exec
                                        ; implicit-def: $vgpr3
	s_or_saveexec_b64 s[6:7], s[6:7]
	v_mov_b32_e32 v4, s10
	s_xor_b64 exec, exec, s[6:7]
	s_cbranch_execz .LBB11_1654
.LBB11_3704:
	v_cmp_ne_u16_e32 vcc, 0, v3
	s_andn2_b64 s[4:5], s[4:5], exec
	s_and_b64 s[8:9], vcc, exec
	v_mov_b32_e32 v4, 0
	s_or_b64 s[4:5], s[4:5], s[8:9]
	s_or_b64 exec, exec, s[6:7]
	s_and_saveexec_b64 s[6:7], s[4:5]
	s_cbranch_execnz .LBB11_1655
	s_branch .LBB11_1656
.LBB11_3705:
	s_movk_i32 s4, 0x80
	v_cmp_eq_u16_sdwa s[12:13], v9, s4 src0_sel:BYTE_3 src1_sel:DWORD
	s_mov_b64 s[4:5], -1
                                        ; implicit-def: $sgpr10
	s_and_saveexec_b64 s[8:9], s[12:13]
; %bb.3706:
	s_mov_b32 s10, 0x7f800001
	s_xor_b64 s[4:5], exec, -1
; %bb.3707:
	s_or_b64 exec, exec, s[8:9]
	s_and_b64 s[4:5], s[4:5], exec
	s_or_saveexec_b64 s[6:7], s[6:7]
	v_mov_b32_e32 v2, s10
	s_xor_b64 exec, exec, s[6:7]
	s_cbranch_execz .LBB11_1658
.LBB11_3708:
	v_mov_b32_e32 v2, 0
	v_cmp_ne_u16_sdwa s[8:9], v9, v2 src0_sel:BYTE_3 src1_sel:DWORD
	s_andn2_b64 s[4:5], s[4:5], exec
	s_and_b64 s[8:9], s[8:9], exec
	s_or_b64 s[4:5], s[4:5], s[8:9]
	s_or_b64 exec, exec, s[6:7]
	s_and_saveexec_b64 s[6:7], s[4:5]
	s_cbranch_execnz .LBB11_1659
	s_branch .LBB11_1660
.LBB11_3709:
	s_movk_i32 s4, 0x80
	v_cmp_eq_u16_sdwa s[12:13], v5, s4 src0_sel:BYTE_3 src1_sel:DWORD
	s_mov_b64 s[4:5], -1
                                        ; implicit-def: $sgpr10
	s_and_saveexec_b64 s[8:9], s[12:13]
; %bb.3710:
	s_mov_b32 s10, 0x7f800001
	s_xor_b64 s[4:5], exec, -1
; %bb.3711:
	s_or_b64 exec, exec, s[8:9]
	s_and_b64 s[4:5], s[4:5], exec
	s_or_saveexec_b64 s[6:7], s[6:7]
	v_mov_b32_e32 v3, s10
	s_xor_b64 exec, exec, s[6:7]
	s_cbranch_execz .LBB11_1662
.LBB11_3712:
	v_mov_b32_e32 v3, 0
	v_cmp_ne_u16_sdwa s[8:9], v5, v3 src0_sel:BYTE_3 src1_sel:DWORD
	s_andn2_b64 s[4:5], s[4:5], exec
	s_and_b64 s[8:9], s[8:9], exec
	s_or_b64 s[4:5], s[4:5], s[8:9]
	s_or_b64 exec, exec, s[6:7]
	s_and_saveexec_b64 s[6:7], s[4:5]
	s_cbranch_execnz .LBB11_1663
	s_branch .LBB11_1664
.LBB11_3713:
	s_movk_i32 s4, 0x80
	v_cmp_eq_u16_sdwa s[12:13], v6, s4 src0_sel:BYTE_0 src1_sel:DWORD
	s_mov_b64 s[4:5], -1
                                        ; implicit-def: $sgpr10
	s_and_saveexec_b64 s[8:9], s[12:13]
; %bb.3714:
	s_mov_b32 s10, 0x7f800001
	s_xor_b64 s[4:5], exec, -1
; %bb.3715:
	s_or_b64 exec, exec, s[8:9]
	s_and_b64 s[4:5], s[4:5], exec
	s_or_saveexec_b64 s[6:7], s[6:7]
	v_mov_b32_e32 v12, s10
	s_xor_b64 exec, exec, s[6:7]
	s_cbranch_execz .LBB11_1666
.LBB11_3716:
	v_mov_b32_e32 v12, 0
	v_cmp_ne_u16_sdwa s[8:9], v6, v12 src0_sel:BYTE_0 src1_sel:DWORD
	s_andn2_b64 s[4:5], s[4:5], exec
	s_and_b64 s[8:9], s[8:9], exec
	s_or_b64 s[4:5], s[4:5], s[8:9]
	s_or_b64 exec, exec, s[6:7]
	s_and_saveexec_b64 s[6:7], s[4:5]
	s_cbranch_execnz .LBB11_1667
	s_branch .LBB11_1668
.LBB11_3717:
	s_movk_i32 s4, 0x80
	v_cmp_eq_u16_sdwa s[12:13], v2, s4 src0_sel:BYTE_0 src1_sel:DWORD
	s_mov_b64 s[4:5], -1
                                        ; implicit-def: $sgpr10
	s_and_saveexec_b64 s[8:9], s[12:13]
; %bb.3718:
	s_mov_b32 s10, 0x7f800001
	s_xor_b64 s[4:5], exec, -1
; %bb.3719:
	s_or_b64 exec, exec, s[8:9]
	s_and_b64 s[4:5], s[4:5], exec
	s_or_saveexec_b64 s[6:7], s[6:7]
	v_mov_b32_e32 v13, s10
	s_xor_b64 exec, exec, s[6:7]
	s_cbranch_execz .LBB11_1670
.LBB11_3720:
	v_mov_b32_e32 v13, 0
	v_cmp_ne_u16_sdwa s[8:9], v2, v13 src0_sel:BYTE_0 src1_sel:DWORD
	s_andn2_b64 s[4:5], s[4:5], exec
	s_and_b64 s[8:9], s[8:9], exec
	s_or_b64 s[4:5], s[4:5], s[8:9]
	s_or_b64 exec, exec, s[6:7]
	s_and_saveexec_b64 s[6:7], s[4:5]
	s_cbranch_execnz .LBB11_1671
	s_branch .LBB11_1672
.LBB11_3721:
	s_movk_i32 s4, 0x80
	v_cmp_eq_u16_sdwa s[12:13], v13, s4 src0_sel:BYTE_0 src1_sel:DWORD
	s_mov_b64 s[4:5], -1
                                        ; implicit-def: $sgpr10
	s_and_saveexec_b64 s[8:9], s[12:13]
; %bb.3722:
	s_mov_b32 s10, 0x7f800001
	s_xor_b64 s[4:5], exec, -1
; %bb.3723:
	s_or_b64 exec, exec, s[8:9]
	s_and_b64 s[4:5], s[4:5], exec
	s_or_saveexec_b64 s[6:7], s[6:7]
	v_mov_b32_e32 v12, s10
	s_xor_b64 exec, exec, s[6:7]
	s_cbranch_execz .LBB11_1674
.LBB11_3724:
	v_mov_b32_e32 v12, 0
	v_cmp_ne_u16_sdwa s[8:9], v13, v12 src0_sel:BYTE_0 src1_sel:DWORD
	s_andn2_b64 s[4:5], s[4:5], exec
	s_and_b64 s[8:9], s[8:9], exec
	s_or_b64 s[4:5], s[4:5], s[8:9]
	s_or_b64 exec, exec, s[6:7]
	s_and_saveexec_b64 s[6:7], s[4:5]
	s_cbranch_execnz .LBB11_1675
	s_branch .LBB11_1676
.LBB11_3725:
	s_movk_i32 s4, 0x80
	v_cmp_eq_u16_sdwa s[12:13], v13, s4 src0_sel:BYTE_0 src1_sel:DWORD
	s_mov_b64 s[4:5], -1
                                        ; implicit-def: $sgpr10
	s_and_saveexec_b64 s[8:9], s[12:13]
; %bb.3726:
	s_mov_b32 s10, 0x7f800001
	s_xor_b64 s[4:5], exec, -1
; %bb.3727:
	s_or_b64 exec, exec, s[8:9]
	s_and_b64 s[4:5], s[4:5], exec
	s_or_saveexec_b64 s[6:7], s[6:7]
	v_mov_b32_e32 v14, s10
	s_xor_b64 exec, exec, s[6:7]
	s_cbranch_execz .LBB11_1678
.LBB11_3728:
	v_mov_b32_e32 v14, 0
	v_cmp_ne_u16_sdwa s[8:9], v13, v14 src0_sel:BYTE_0 src1_sel:DWORD
	s_andn2_b64 s[4:5], s[4:5], exec
	s_and_b64 s[8:9], s[8:9], exec
	s_or_b64 s[4:5], s[4:5], s[8:9]
	s_or_b64 exec, exec, s[6:7]
	s_and_saveexec_b64 s[6:7], s[4:5]
	s_cbranch_execnz .LBB11_1679
	s_branch .LBB11_1680
.LBB11_3729:
	s_movk_i32 s4, 0x80
	v_cmp_eq_u16_e32 vcc, s4, v13
	s_mov_b64 s[4:5], -1
                                        ; implicit-def: $sgpr10
	s_and_saveexec_b64 s[8:9], vcc
; %bb.3730:
	s_mov_b32 s10, 0x7f800001
	s_xor_b64 s[4:5], exec, -1
; %bb.3731:
	s_or_b64 exec, exec, s[8:9]
	s_and_b64 s[4:5], s[4:5], exec
                                        ; implicit-def: $vgpr13
	s_or_saveexec_b64 s[6:7], s[6:7]
	v_mov_b32_e32 v12, s10
	s_xor_b64 exec, exec, s[6:7]
	s_cbranch_execz .LBB11_1682
.LBB11_3732:
	v_cmp_ne_u16_e32 vcc, 0, v13
	s_andn2_b64 s[4:5], s[4:5], exec
	s_and_b64 s[8:9], vcc, exec
	v_mov_b32_e32 v12, 0
	s_or_b64 s[4:5], s[4:5], s[8:9]
	s_or_b64 exec, exec, s[6:7]
	s_and_saveexec_b64 s[6:7], s[4:5]
	s_cbranch_execnz .LBB11_1683
	s_branch .LBB11_1684
.LBB11_3733:
	s_movk_i32 s4, 0x80
	v_cmp_eq_u16_e32 vcc, s4, v13
	s_mov_b64 s[4:5], -1
                                        ; implicit-def: $sgpr10
	s_and_saveexec_b64 s[8:9], vcc
; %bb.3734:
	s_mov_b32 s10, 0x7f800001
	s_xor_b64 s[4:5], exec, -1
; %bb.3735:
	s_or_b64 exec, exec, s[8:9]
	s_and_b64 s[4:5], s[4:5], exec
                                        ; implicit-def: $vgpr13
	s_or_saveexec_b64 s[6:7], s[6:7]
	v_mov_b32_e32 v14, s10
	s_xor_b64 exec, exec, s[6:7]
	s_cbranch_execz .LBB11_1686
.LBB11_3736:
	v_cmp_ne_u16_e32 vcc, 0, v13
	s_andn2_b64 s[4:5], s[4:5], exec
	s_and_b64 s[8:9], vcc, exec
	v_mov_b32_e32 v14, 0
	s_or_b64 s[4:5], s[4:5], s[8:9]
	s_or_b64 exec, exec, s[6:7]
	s_and_saveexec_b64 s[6:7], s[4:5]
	s_cbranch_execnz .LBB11_1687
	s_branch .LBB11_1688
.LBB11_3737:
	s_movk_i32 s4, 0x80
	v_cmp_eq_u16_sdwa s[12:13], v6, s4 src0_sel:BYTE_3 src1_sel:DWORD
	s_mov_b64 s[4:5], -1
                                        ; implicit-def: $sgpr10
	s_and_saveexec_b64 s[8:9], s[12:13]
; %bb.3738:
	s_mov_b32 s10, 0x7f800001
	s_xor_b64 s[4:5], exec, -1
; %bb.3739:
	s_or_b64 exec, exec, s[8:9]
	s_and_b64 s[4:5], s[4:5], exec
	s_or_saveexec_b64 s[6:7], s[6:7]
	v_mov_b32_e32 v12, s10
	s_xor_b64 exec, exec, s[6:7]
	s_cbranch_execz .LBB11_1690
.LBB11_3740:
	v_mov_b32_e32 v12, 0
	v_cmp_ne_u16_sdwa s[8:9], v6, v12 src0_sel:BYTE_3 src1_sel:DWORD
	s_andn2_b64 s[4:5], s[4:5], exec
	s_and_b64 s[8:9], s[8:9], exec
	s_or_b64 s[4:5], s[4:5], s[8:9]
	s_or_b64 exec, exec, s[6:7]
	s_and_saveexec_b64 s[6:7], s[4:5]
	s_cbranch_execnz .LBB11_1691
	s_branch .LBB11_1692
.LBB11_3741:
	s_movk_i32 s4, 0x80
	v_cmp_eq_u16_sdwa s[12:13], v2, s4 src0_sel:BYTE_3 src1_sel:DWORD
	s_mov_b64 s[4:5], -1
                                        ; implicit-def: $sgpr10
	s_and_saveexec_b64 s[8:9], s[12:13]
; %bb.3742:
	s_mov_b32 s10, 0x7f800001
	s_xor_b64 s[4:5], exec, -1
; %bb.3743:
	s_or_b64 exec, exec, s[8:9]
	s_and_b64 s[4:5], s[4:5], exec
	s_or_saveexec_b64 s[6:7], s[6:7]
	v_mov_b32_e32 v6, s10
	s_xor_b64 exec, exec, s[6:7]
	s_cbranch_execz .LBB11_1694
.LBB11_3744:
	v_mov_b32_e32 v6, 0
	v_cmp_ne_u16_sdwa s[8:9], v2, v6 src0_sel:BYTE_3 src1_sel:DWORD
	s_andn2_b64 s[4:5], s[4:5], exec
	s_and_b64 s[8:9], s[8:9], exec
	s_or_b64 s[4:5], s[4:5], s[8:9]
	s_or_b64 exec, exec, s[6:7]
	s_and_saveexec_b64 s[6:7], s[4:5]
	s_cbranch_execnz .LBB11_1695
	s_branch .LBB11_1696
.LBB11_3745:
	s_movk_i32 s4, 0x80
	v_cmp_eq_u16_sdwa s[12:13], v7, s4 src0_sel:BYTE_0 src1_sel:DWORD
	s_mov_b64 s[4:5], -1
                                        ; implicit-def: $sgpr10
	s_and_saveexec_b64 s[8:9], s[12:13]
; %bb.3746:
	s_mov_b32 s10, 0x7f800001
	s_xor_b64 s[4:5], exec, -1
; %bb.3747:
	s_or_b64 exec, exec, s[8:9]
	s_and_b64 s[4:5], s[4:5], exec
	s_or_saveexec_b64 s[6:7], s[6:7]
	v_mov_b32_e32 v2, s10
	s_xor_b64 exec, exec, s[6:7]
	s_cbranch_execz .LBB11_1698
.LBB11_3748:
	v_mov_b32_e32 v2, 0
	v_cmp_ne_u16_sdwa s[8:9], v7, v2 src0_sel:BYTE_0 src1_sel:DWORD
	s_andn2_b64 s[4:5], s[4:5], exec
	s_and_b64 s[8:9], s[8:9], exec
	s_or_b64 s[4:5], s[4:5], s[8:9]
	s_or_b64 exec, exec, s[6:7]
	s_and_saveexec_b64 s[6:7], s[4:5]
	s_cbranch_execnz .LBB11_1699
	s_branch .LBB11_1700
.LBB11_3749:
	s_movk_i32 s4, 0x80
	v_cmp_eq_u16_sdwa s[12:13], v3, s4 src0_sel:BYTE_0 src1_sel:DWORD
	s_mov_b64 s[4:5], -1
                                        ; implicit-def: $sgpr10
	s_and_saveexec_b64 s[8:9], s[12:13]
; %bb.3750:
	s_mov_b32 s10, 0x7f800001
	s_xor_b64 s[4:5], exec, -1
; %bb.3751:
	s_or_b64 exec, exec, s[8:9]
	s_and_b64 s[4:5], s[4:5], exec
	s_or_saveexec_b64 s[6:7], s[6:7]
	v_mov_b32_e32 v6, s10
	s_xor_b64 exec, exec, s[6:7]
	s_cbranch_execz .LBB11_1702
.LBB11_3752:
	v_mov_b32_e32 v6, 0
	v_cmp_ne_u16_sdwa s[8:9], v3, v6 src0_sel:BYTE_0 src1_sel:DWORD
	s_andn2_b64 s[4:5], s[4:5], exec
	s_and_b64 s[8:9], s[8:9], exec
	s_or_b64 s[4:5], s[4:5], s[8:9]
	s_or_b64 exec, exec, s[6:7]
	s_and_saveexec_b64 s[6:7], s[4:5]
	s_cbranch_execnz .LBB11_1703
	s_branch .LBB11_1704
.LBB11_3753:
	s_movk_i32 s4, 0x80
	v_cmp_eq_u16_sdwa s[12:13], v6, s4 src0_sel:BYTE_0 src1_sel:DWORD
	s_mov_b64 s[4:5], -1
                                        ; implicit-def: $sgpr10
	s_and_saveexec_b64 s[8:9], s[12:13]
; %bb.3754:
	s_mov_b32 s10, 0x7f800001
	s_xor_b64 s[4:5], exec, -1
; %bb.3755:
	s_or_b64 exec, exec, s[8:9]
	s_and_b64 s[4:5], s[4:5], exec
	s_or_saveexec_b64 s[6:7], s[6:7]
	v_mov_b32_e32 v2, s10
	s_xor_b64 exec, exec, s[6:7]
	s_cbranch_execz .LBB11_1706
.LBB11_3756:
	v_mov_b32_e32 v2, 0
	v_cmp_ne_u16_sdwa s[8:9], v6, v2 src0_sel:BYTE_0 src1_sel:DWORD
	s_andn2_b64 s[4:5], s[4:5], exec
	s_and_b64 s[8:9], s[8:9], exec
	s_or_b64 s[4:5], s[4:5], s[8:9]
	s_or_b64 exec, exec, s[6:7]
	s_and_saveexec_b64 s[6:7], s[4:5]
	s_cbranch_execnz .LBB11_1707
	s_branch .LBB11_1708
.LBB11_3757:
	s_movk_i32 s4, 0x80
	v_cmp_eq_u16_sdwa s[12:13], v6, s4 src0_sel:BYTE_0 src1_sel:DWORD
	s_mov_b64 s[4:5], -1
                                        ; implicit-def: $sgpr10
	s_and_saveexec_b64 s[8:9], s[12:13]
; %bb.3758:
	s_mov_b32 s10, 0x7f800001
	s_xor_b64 s[4:5], exec, -1
; %bb.3759:
	s_or_b64 exec, exec, s[8:9]
	s_and_b64 s[4:5], s[4:5], exec
	s_or_saveexec_b64 s[6:7], s[6:7]
	v_mov_b32_e32 v12, s10
	s_xor_b64 exec, exec, s[6:7]
	s_cbranch_execz .LBB11_1710
.LBB11_3760:
	v_mov_b32_e32 v12, 0
	v_cmp_ne_u16_sdwa s[8:9], v6, v12 src0_sel:BYTE_0 src1_sel:DWORD
	s_andn2_b64 s[4:5], s[4:5], exec
	s_and_b64 s[8:9], s[8:9], exec
	s_or_b64 s[4:5], s[4:5], s[8:9]
	s_or_b64 exec, exec, s[6:7]
	s_and_saveexec_b64 s[6:7], s[4:5]
	s_cbranch_execnz .LBB11_1711
	s_branch .LBB11_1712
.LBB11_3761:
	s_movk_i32 s4, 0x80
	v_cmp_eq_u16_e32 vcc, s4, v6
	s_mov_b64 s[4:5], -1
                                        ; implicit-def: $sgpr10
	s_and_saveexec_b64 s[8:9], vcc
; %bb.3762:
	s_mov_b32 s10, 0x7f800001
	s_xor_b64 s[4:5], exec, -1
; %bb.3763:
	s_or_b64 exec, exec, s[8:9]
	s_and_b64 s[4:5], s[4:5], exec
                                        ; implicit-def: $vgpr6
	s_or_saveexec_b64 s[6:7], s[6:7]
	v_mov_b32_e32 v2, s10
	s_xor_b64 exec, exec, s[6:7]
	s_cbranch_execz .LBB11_1714
.LBB11_3764:
	v_cmp_ne_u16_e32 vcc, 0, v6
	s_andn2_b64 s[4:5], s[4:5], exec
	s_and_b64 s[8:9], vcc, exec
	v_mov_b32_e32 v2, 0
	s_or_b64 s[4:5], s[4:5], s[8:9]
	s_or_b64 exec, exec, s[6:7]
	s_and_saveexec_b64 s[6:7], s[4:5]
	s_cbranch_execnz .LBB11_1715
	s_branch .LBB11_1716
.LBB11_3765:
	s_movk_i32 s4, 0x80
	v_cmp_eq_u16_e32 vcc, s4, v6
	s_mov_b64 s[4:5], -1
                                        ; implicit-def: $sgpr10
	s_and_saveexec_b64 s[8:9], vcc
; %bb.3766:
	s_mov_b32 s10, 0x7f800001
	s_xor_b64 s[4:5], exec, -1
; %bb.3767:
	s_or_b64 exec, exec, s[8:9]
	s_and_b64 s[4:5], s[4:5], exec
                                        ; implicit-def: $vgpr6
	s_or_saveexec_b64 s[6:7], s[6:7]
	v_mov_b32_e32 v12, s10
	s_xor_b64 exec, exec, s[6:7]
	s_cbranch_execz .LBB11_1718
.LBB11_3768:
	v_cmp_ne_u16_e32 vcc, 0, v6
	s_andn2_b64 s[4:5], s[4:5], exec
	s_and_b64 s[8:9], vcc, exec
	v_mov_b32_e32 v12, 0
	s_or_b64 s[4:5], s[4:5], s[8:9]
	s_or_b64 exec, exec, s[6:7]
	s_and_saveexec_b64 s[6:7], s[4:5]
	s_cbranch_execnz .LBB11_1719
	s_branch .LBB11_1720
.LBB11_3769:
	s_movk_i32 s4, 0x80
	v_cmp_eq_u16_sdwa s[12:13], v7, s4 src0_sel:BYTE_3 src1_sel:DWORD
	s_mov_b64 s[4:5], -1
                                        ; implicit-def: $sgpr10
	s_and_saveexec_b64 s[8:9], s[12:13]
; %bb.3770:
	s_mov_b32 s10, 0x7f800001
	s_xor_b64 s[4:5], exec, -1
; %bb.3771:
	s_or_b64 exec, exec, s[8:9]
	s_and_b64 s[4:5], s[4:5], exec
	s_or_saveexec_b64 s[6:7], s[6:7]
	v_mov_b32_e32 v2, s10
	s_xor_b64 exec, exec, s[6:7]
	s_cbranch_execz .LBB11_1722
.LBB11_3772:
	v_mov_b32_e32 v2, 0
	v_cmp_ne_u16_sdwa s[8:9], v7, v2 src0_sel:BYTE_3 src1_sel:DWORD
	s_andn2_b64 s[4:5], s[4:5], exec
	s_and_b64 s[8:9], s[8:9], exec
	s_or_b64 s[4:5], s[4:5], s[8:9]
	s_or_b64 exec, exec, s[6:7]
	s_and_saveexec_b64 s[6:7], s[4:5]
	s_cbranch_execnz .LBB11_1723
	s_branch .LBB11_1724
.LBB11_3773:
	s_movk_i32 s4, 0x80
	v_cmp_eq_u16_sdwa s[12:13], v3, s4 src0_sel:BYTE_3 src1_sel:DWORD
	s_mov_b64 s[4:5], -1
                                        ; implicit-def: $sgpr10
	s_and_saveexec_b64 s[8:9], s[12:13]
; %bb.3774:
	s_mov_b32 s10, 0x7f800001
	s_xor_b64 s[4:5], exec, -1
; %bb.3775:
	s_or_b64 exec, exec, s[8:9]
	s_and_b64 s[4:5], s[4:5], exec
	s_or_saveexec_b64 s[6:7], s[6:7]
	v_mov_b32_e32 v6, s10
	s_xor_b64 exec, exec, s[6:7]
	s_cbranch_execz .LBB11_1726
.LBB11_3776:
	v_mov_b32_e32 v6, 0
	v_cmp_ne_u16_sdwa s[8:9], v3, v6 src0_sel:BYTE_3 src1_sel:DWORD
	s_andn2_b64 s[4:5], s[4:5], exec
	s_and_b64 s[8:9], s[8:9], exec
	s_or_b64 s[4:5], s[4:5], s[8:9]
	s_or_b64 exec, exec, s[6:7]
	s_and_saveexec_b64 s[6:7], s[4:5]
	s_cbranch_execnz .LBB11_1727
	s_branch .LBB11_1728
.LBB11_3777:
	s_movk_i32 s4, 0x80
	v_cmp_eq_u16_sdwa s[12:13], v8, s4 src0_sel:BYTE_0 src1_sel:DWORD
	s_mov_b64 s[4:5], -1
                                        ; implicit-def: $sgpr10
	s_and_saveexec_b64 s[8:9], s[12:13]
; %bb.3778:
	s_mov_b32 s10, 0x7f800001
	s_xor_b64 s[4:5], exec, -1
; %bb.3779:
	s_or_b64 exec, exec, s[8:9]
	s_and_b64 s[4:5], s[4:5], exec
	s_or_saveexec_b64 s[6:7], s[6:7]
	v_mov_b32_e32 v2, s10
	s_xor_b64 exec, exec, s[6:7]
	s_cbranch_execz .LBB11_1730
.LBB11_3780:
	v_mov_b32_e32 v2, 0
	v_cmp_ne_u16_sdwa s[8:9], v8, v2 src0_sel:BYTE_0 src1_sel:DWORD
	s_andn2_b64 s[4:5], s[4:5], exec
	s_and_b64 s[8:9], s[8:9], exec
	s_or_b64 s[4:5], s[4:5], s[8:9]
	s_or_b64 exec, exec, s[6:7]
	s_and_saveexec_b64 s[6:7], s[4:5]
	s_cbranch_execnz .LBB11_1731
	s_branch .LBB11_1732
.LBB11_3781:
	s_movk_i32 s4, 0x80
	v_cmp_eq_u16_sdwa s[12:13], v4, s4 src0_sel:BYTE_0 src1_sel:DWORD
	s_mov_b64 s[4:5], -1
                                        ; implicit-def: $sgpr10
	s_and_saveexec_b64 s[8:9], s[12:13]
; %bb.3782:
	s_mov_b32 s10, 0x7f800001
	s_xor_b64 s[4:5], exec, -1
; %bb.3783:
	s_or_b64 exec, exec, s[8:9]
	s_and_b64 s[4:5], s[4:5], exec
	s_or_saveexec_b64 s[6:7], s[6:7]
	v_mov_b32_e32 v3, s10
	s_xor_b64 exec, exec, s[6:7]
	s_cbranch_execz .LBB11_1734
.LBB11_3784:
	v_mov_b32_e32 v3, 0
	v_cmp_ne_u16_sdwa s[8:9], v4, v3 src0_sel:BYTE_0 src1_sel:DWORD
	s_andn2_b64 s[4:5], s[4:5], exec
	s_and_b64 s[8:9], s[8:9], exec
	s_or_b64 s[4:5], s[4:5], s[8:9]
	s_or_b64 exec, exec, s[6:7]
	s_and_saveexec_b64 s[6:7], s[4:5]
	s_cbranch_execnz .LBB11_1735
	s_branch .LBB11_1736
.LBB11_3785:
	s_movk_i32 s4, 0x80
	v_cmp_eq_u16_sdwa s[12:13], v3, s4 src0_sel:BYTE_0 src1_sel:DWORD
	s_mov_b64 s[4:5], -1
                                        ; implicit-def: $sgpr10
	s_and_saveexec_b64 s[8:9], s[12:13]
; %bb.3786:
	s_mov_b32 s10, 0x7f800001
	s_xor_b64 s[4:5], exec, -1
; %bb.3787:
	s_or_b64 exec, exec, s[8:9]
	s_and_b64 s[4:5], s[4:5], exec
	s_or_saveexec_b64 s[6:7], s[6:7]
	v_mov_b32_e32 v2, s10
	s_xor_b64 exec, exec, s[6:7]
	s_cbranch_execz .LBB11_1738
.LBB11_3788:
	v_mov_b32_e32 v2, 0
	v_cmp_ne_u16_sdwa s[8:9], v3, v2 src0_sel:BYTE_0 src1_sel:DWORD
	s_andn2_b64 s[4:5], s[4:5], exec
	s_and_b64 s[8:9], s[8:9], exec
	s_or_b64 s[4:5], s[4:5], s[8:9]
	s_or_b64 exec, exec, s[6:7]
	s_and_saveexec_b64 s[6:7], s[4:5]
	s_cbranch_execnz .LBB11_1739
	s_branch .LBB11_1740
.LBB11_3789:
	s_movk_i32 s4, 0x80
	v_cmp_eq_u16_sdwa s[12:13], v3, s4 src0_sel:BYTE_0 src1_sel:DWORD
	s_mov_b64 s[4:5], -1
                                        ; implicit-def: $sgpr10
	s_and_saveexec_b64 s[8:9], s[12:13]
; %bb.3790:
	s_mov_b32 s10, 0x7f800001
	s_xor_b64 s[4:5], exec, -1
; %bb.3791:
	s_or_b64 exec, exec, s[8:9]
	s_and_b64 s[4:5], s[4:5], exec
	s_or_saveexec_b64 s[6:7], s[6:7]
	v_mov_b32_e32 v6, s10
	s_xor_b64 exec, exec, s[6:7]
	s_cbranch_execz .LBB11_1742
.LBB11_3792:
	v_mov_b32_e32 v6, 0
	v_cmp_ne_u16_sdwa s[8:9], v3, v6 src0_sel:BYTE_0 src1_sel:DWORD
	s_andn2_b64 s[4:5], s[4:5], exec
	s_and_b64 s[8:9], s[8:9], exec
	s_or_b64 s[4:5], s[4:5], s[8:9]
	s_or_b64 exec, exec, s[6:7]
	s_and_saveexec_b64 s[6:7], s[4:5]
	s_cbranch_execnz .LBB11_1743
	s_branch .LBB11_1744
.LBB11_3793:
	s_movk_i32 s4, 0x80
	v_cmp_eq_u16_e32 vcc, s4, v3
	s_mov_b64 s[4:5], -1
                                        ; implicit-def: $sgpr10
	s_and_saveexec_b64 s[8:9], vcc
; %bb.3794:
	s_mov_b32 s10, 0x7f800001
	s_xor_b64 s[4:5], exec, -1
; %bb.3795:
	s_or_b64 exec, exec, s[8:9]
	s_and_b64 s[4:5], s[4:5], exec
                                        ; implicit-def: $vgpr3
	s_or_saveexec_b64 s[6:7], s[6:7]
	v_mov_b32_e32 v2, s10
	s_xor_b64 exec, exec, s[6:7]
	s_cbranch_execz .LBB11_1746
.LBB11_3796:
	v_cmp_ne_u16_e32 vcc, 0, v3
	s_andn2_b64 s[4:5], s[4:5], exec
	s_and_b64 s[8:9], vcc, exec
	v_mov_b32_e32 v2, 0
	s_or_b64 s[4:5], s[4:5], s[8:9]
	s_or_b64 exec, exec, s[6:7]
	s_and_saveexec_b64 s[6:7], s[4:5]
	s_cbranch_execnz .LBB11_1747
	s_branch .LBB11_1748
.LBB11_3797:
	s_movk_i32 s4, 0x80
	v_cmp_eq_u16_e32 vcc, s4, v3
	s_mov_b64 s[4:5], -1
                                        ; implicit-def: $sgpr10
	s_and_saveexec_b64 s[8:9], vcc
; %bb.3798:
	s_mov_b32 s10, 0x7f800001
	s_xor_b64 s[4:5], exec, -1
; %bb.3799:
	s_or_b64 exec, exec, s[8:9]
	s_and_b64 s[4:5], s[4:5], exec
                                        ; implicit-def: $vgpr3
	s_or_saveexec_b64 s[6:7], s[6:7]
	v_mov_b32_e32 v6, s10
	s_xor_b64 exec, exec, s[6:7]
	s_cbranch_execz .LBB11_1750
.LBB11_3800:
	v_cmp_ne_u16_e32 vcc, 0, v3
	s_andn2_b64 s[4:5], s[4:5], exec
	s_and_b64 s[8:9], vcc, exec
	v_mov_b32_e32 v6, 0
	s_or_b64 s[4:5], s[4:5], s[8:9]
	s_or_b64 exec, exec, s[6:7]
	s_and_saveexec_b64 s[6:7], s[4:5]
	s_cbranch_execnz .LBB11_1751
	s_branch .LBB11_1752
.LBB11_3801:
	s_movk_i32 s4, 0x80
	v_cmp_eq_u16_sdwa s[12:13], v8, s4 src0_sel:BYTE_3 src1_sel:DWORD
	s_mov_b64 s[4:5], -1
                                        ; implicit-def: $sgpr10
	s_and_saveexec_b64 s[8:9], s[12:13]
; %bb.3802:
	s_mov_b32 s10, 0x7f800001
	s_xor_b64 s[4:5], exec, -1
; %bb.3803:
	s_or_b64 exec, exec, s[8:9]
	s_and_b64 s[4:5], s[4:5], exec
	s_or_saveexec_b64 s[6:7], s[6:7]
	v_mov_b32_e32 v2, s10
	s_xor_b64 exec, exec, s[6:7]
	s_cbranch_execz .LBB11_1754
.LBB11_3804:
	v_mov_b32_e32 v2, 0
	v_cmp_ne_u16_sdwa s[8:9], v8, v2 src0_sel:BYTE_3 src1_sel:DWORD
	s_andn2_b64 s[4:5], s[4:5], exec
	s_and_b64 s[8:9], s[8:9], exec
	s_or_b64 s[4:5], s[4:5], s[8:9]
	s_or_b64 exec, exec, s[6:7]
	s_and_saveexec_b64 s[6:7], s[4:5]
	s_cbranch_execnz .LBB11_1755
	s_branch .LBB11_1756
.LBB11_3805:
	s_movk_i32 s4, 0x80
	v_cmp_eq_u16_sdwa s[12:13], v4, s4 src0_sel:BYTE_3 src1_sel:DWORD
	s_mov_b64 s[4:5], -1
                                        ; implicit-def: $sgpr10
	s_and_saveexec_b64 s[8:9], s[12:13]
; %bb.3806:
	s_mov_b32 s10, 0x7f800001
	s_xor_b64 s[4:5], exec, -1
; %bb.3807:
	s_or_b64 exec, exec, s[8:9]
	s_and_b64 s[4:5], s[4:5], exec
	s_or_saveexec_b64 s[6:7], s[6:7]
	v_mov_b32_e32 v3, s10
	s_xor_b64 exec, exec, s[6:7]
	s_cbranch_execz .LBB11_1758
.LBB11_3808:
	v_mov_b32_e32 v3, 0
	v_cmp_ne_u16_sdwa s[8:9], v4, v3 src0_sel:BYTE_3 src1_sel:DWORD
	s_andn2_b64 s[4:5], s[4:5], exec
	s_and_b64 s[8:9], s[8:9], exec
	s_or_b64 s[4:5], s[4:5], s[8:9]
	s_or_b64 exec, exec, s[6:7]
	s_and_saveexec_b64 s[6:7], s[4:5]
	s_cbranch_execnz .LBB11_1759
	s_branch .LBB11_1760
.LBB11_3809:
	s_movk_i32 s4, 0x80
	v_cmp_eq_u16_sdwa s[12:13], v9, s4 src0_sel:BYTE_0 src1_sel:DWORD
	s_mov_b64 s[4:5], -1
                                        ; implicit-def: $sgpr10
	s_and_saveexec_b64 s[8:9], s[12:13]
; %bb.3810:
	s_mov_b32 s10, 0x7f800001
	s_xor_b64 s[4:5], exec, -1
; %bb.3811:
	s_or_b64 exec, exec, s[8:9]
	s_and_b64 s[4:5], s[4:5], exec
	s_or_saveexec_b64 s[6:7], s[6:7]
	v_mov_b32_e32 v2, s10
	s_xor_b64 exec, exec, s[6:7]
	s_cbranch_execz .LBB11_1762
.LBB11_3812:
	v_mov_b32_e32 v2, 0
	v_cmp_ne_u16_sdwa s[8:9], v9, v2 src0_sel:BYTE_0 src1_sel:DWORD
	s_andn2_b64 s[4:5], s[4:5], exec
	s_and_b64 s[8:9], s[8:9], exec
	s_or_b64 s[4:5], s[4:5], s[8:9]
	s_or_b64 exec, exec, s[6:7]
	s_and_saveexec_b64 s[6:7], s[4:5]
	s_cbranch_execnz .LBB11_1763
	s_branch .LBB11_1764
.LBB11_3813:
	s_movk_i32 s4, 0x80
	v_cmp_eq_u16_sdwa s[12:13], v5, s4 src0_sel:BYTE_0 src1_sel:DWORD
	s_mov_b64 s[4:5], -1
                                        ; implicit-def: $sgpr10
	s_and_saveexec_b64 s[8:9], s[12:13]
; %bb.3814:
	s_mov_b32 s10, 0x7f800001
	s_xor_b64 s[4:5], exec, -1
; %bb.3815:
	s_or_b64 exec, exec, s[8:9]
	s_and_b64 s[4:5], s[4:5], exec
	s_or_saveexec_b64 s[6:7], s[6:7]
	v_mov_b32_e32 v3, s10
	s_xor_b64 exec, exec, s[6:7]
	s_cbranch_execz .LBB11_1766
.LBB11_3816:
	v_mov_b32_e32 v3, 0
	v_cmp_ne_u16_sdwa s[8:9], v5, v3 src0_sel:BYTE_0 src1_sel:DWORD
	s_andn2_b64 s[4:5], s[4:5], exec
	s_and_b64 s[8:9], s[8:9], exec
	s_or_b64 s[4:5], s[4:5], s[8:9]
	s_or_b64 exec, exec, s[6:7]
	s_and_saveexec_b64 s[6:7], s[4:5]
	s_cbranch_execnz .LBB11_1767
	s_branch .LBB11_1768
.LBB11_3817:
	s_movk_i32 s4, 0x80
	v_cmp_eq_u16_sdwa s[12:13], v3, s4 src0_sel:BYTE_0 src1_sel:DWORD
	s_mov_b64 s[4:5], -1
                                        ; implicit-def: $sgpr10
	s_and_saveexec_b64 s[8:9], s[12:13]
; %bb.3818:
	s_mov_b32 s10, 0x7f800001
	s_xor_b64 s[4:5], exec, -1
; %bb.3819:
	s_or_b64 exec, exec, s[8:9]
	s_and_b64 s[4:5], s[4:5], exec
	s_or_saveexec_b64 s[6:7], s[6:7]
	v_mov_b32_e32 v2, s10
	s_xor_b64 exec, exec, s[6:7]
	s_cbranch_execz .LBB11_1770
.LBB11_3820:
	v_mov_b32_e32 v2, 0
	v_cmp_ne_u16_sdwa s[8:9], v3, v2 src0_sel:BYTE_0 src1_sel:DWORD
	s_andn2_b64 s[4:5], s[4:5], exec
	s_and_b64 s[8:9], s[8:9], exec
	s_or_b64 s[4:5], s[4:5], s[8:9]
	s_or_b64 exec, exec, s[6:7]
	s_and_saveexec_b64 s[6:7], s[4:5]
	s_cbranch_execnz .LBB11_1771
	s_branch .LBB11_1772
.LBB11_3821:
	s_movk_i32 s4, 0x80
	v_cmp_eq_u16_sdwa s[12:13], v3, s4 src0_sel:BYTE_0 src1_sel:DWORD
	s_mov_b64 s[4:5], -1
                                        ; implicit-def: $sgpr10
	s_and_saveexec_b64 s[8:9], s[12:13]
; %bb.3822:
	s_mov_b32 s10, 0x7f800001
	s_xor_b64 s[4:5], exec, -1
; %bb.3823:
	s_or_b64 exec, exec, s[8:9]
	s_and_b64 s[4:5], s[4:5], exec
	s_or_saveexec_b64 s[6:7], s[6:7]
	v_mov_b32_e32 v4, s10
	s_xor_b64 exec, exec, s[6:7]
	s_cbranch_execz .LBB11_1774
.LBB11_3824:
	v_mov_b32_e32 v4, 0
	v_cmp_ne_u16_sdwa s[8:9], v3, v4 src0_sel:BYTE_0 src1_sel:DWORD
	s_andn2_b64 s[4:5], s[4:5], exec
	s_and_b64 s[8:9], s[8:9], exec
	s_or_b64 s[4:5], s[4:5], s[8:9]
	s_or_b64 exec, exec, s[6:7]
	s_and_saveexec_b64 s[6:7], s[4:5]
	s_cbranch_execnz .LBB11_1775
	s_branch .LBB11_1776
.LBB11_3825:
	s_movk_i32 s4, 0x80
	v_cmp_eq_u16_e32 vcc, s4, v3
	s_mov_b64 s[4:5], -1
                                        ; implicit-def: $sgpr10
	s_and_saveexec_b64 s[8:9], vcc
; %bb.3826:
	s_mov_b32 s10, 0x7f800001
	s_xor_b64 s[4:5], exec, -1
; %bb.3827:
	s_or_b64 exec, exec, s[8:9]
	s_and_b64 s[4:5], s[4:5], exec
                                        ; implicit-def: $vgpr3
	s_or_saveexec_b64 s[6:7], s[6:7]
	v_mov_b32_e32 v2, s10
	s_xor_b64 exec, exec, s[6:7]
	s_cbranch_execz .LBB11_1778
.LBB11_3828:
	v_cmp_ne_u16_e32 vcc, 0, v3
	s_andn2_b64 s[4:5], s[4:5], exec
	s_and_b64 s[8:9], vcc, exec
	v_mov_b32_e32 v2, 0
	s_or_b64 s[4:5], s[4:5], s[8:9]
	s_or_b64 exec, exec, s[6:7]
	s_and_saveexec_b64 s[6:7], s[4:5]
	s_cbranch_execnz .LBB11_1779
	s_branch .LBB11_1780
.LBB11_3829:
	s_movk_i32 s4, 0x80
	v_cmp_eq_u16_e32 vcc, s4, v3
	s_mov_b64 s[4:5], -1
                                        ; implicit-def: $sgpr10
	s_and_saveexec_b64 s[8:9], vcc
; %bb.3830:
	s_mov_b32 s10, 0x7f800001
	s_xor_b64 s[4:5], exec, -1
; %bb.3831:
	s_or_b64 exec, exec, s[8:9]
	s_and_b64 s[4:5], s[4:5], exec
                                        ; implicit-def: $vgpr3
	s_or_saveexec_b64 s[6:7], s[6:7]
	v_mov_b32_e32 v4, s10
	s_xor_b64 exec, exec, s[6:7]
	s_cbranch_execz .LBB11_1782
.LBB11_3832:
	v_cmp_ne_u16_e32 vcc, 0, v3
	s_andn2_b64 s[4:5], s[4:5], exec
	s_and_b64 s[8:9], vcc, exec
	v_mov_b32_e32 v4, 0
	s_or_b64 s[4:5], s[4:5], s[8:9]
	s_or_b64 exec, exec, s[6:7]
	s_and_saveexec_b64 s[6:7], s[4:5]
	s_cbranch_execnz .LBB11_1783
	s_branch .LBB11_1784
.LBB11_3833:
	s_movk_i32 s4, 0x80
	v_cmp_eq_u16_sdwa s[12:13], v9, s4 src0_sel:BYTE_3 src1_sel:DWORD
	s_mov_b64 s[4:5], -1
                                        ; implicit-def: $sgpr10
	s_and_saveexec_b64 s[8:9], s[12:13]
; %bb.3834:
	s_mov_b32 s10, 0x7f800001
	s_xor_b64 s[4:5], exec, -1
; %bb.3835:
	s_or_b64 exec, exec, s[8:9]
	s_and_b64 s[4:5], s[4:5], exec
	s_or_saveexec_b64 s[6:7], s[6:7]
	v_mov_b32_e32 v2, s10
	s_xor_b64 exec, exec, s[6:7]
	s_cbranch_execz .LBB11_1786
.LBB11_3836:
	v_mov_b32_e32 v2, 0
	v_cmp_ne_u16_sdwa s[8:9], v9, v2 src0_sel:BYTE_3 src1_sel:DWORD
	s_andn2_b64 s[4:5], s[4:5], exec
	s_and_b64 s[8:9], s[8:9], exec
	s_or_b64 s[4:5], s[4:5], s[8:9]
	s_or_b64 exec, exec, s[6:7]
	s_and_saveexec_b64 s[6:7], s[4:5]
	s_cbranch_execnz .LBB11_1787
	s_branch .LBB11_1788
.LBB11_3837:
	s_movk_i32 s4, 0x80
	v_cmp_eq_u16_sdwa s[12:13], v5, s4 src0_sel:BYTE_3 src1_sel:DWORD
	s_mov_b64 s[4:5], -1
                                        ; implicit-def: $sgpr10
	s_and_saveexec_b64 s[8:9], s[12:13]
; %bb.3838:
	s_mov_b32 s10, 0x7f800001
	s_xor_b64 s[4:5], exec, -1
; %bb.3839:
	s_or_b64 exec, exec, s[8:9]
	s_and_b64 s[4:5], s[4:5], exec
	s_or_saveexec_b64 s[6:7], s[6:7]
	v_mov_b32_e32 v3, s10
	s_xor_b64 exec, exec, s[6:7]
	s_cbranch_execz .LBB11_1790
.LBB11_3840:
	v_mov_b32_e32 v3, 0
	v_cmp_ne_u16_sdwa s[8:9], v5, v3 src0_sel:BYTE_3 src1_sel:DWORD
	s_andn2_b64 s[4:5], s[4:5], exec
	s_and_b64 s[8:9], s[8:9], exec
	s_or_b64 s[4:5], s[4:5], s[8:9]
	s_or_b64 exec, exec, s[6:7]
	s_and_saveexec_b64 s[6:7], s[4:5]
	s_cbranch_execnz .LBB11_1791
	s_branch .LBB11_1792
.LBB11_3841:
	s_movk_i32 s4, 0x80
	v_cmp_eq_u16_sdwa s[12:13], v6, s4 src0_sel:BYTE_0 src1_sel:DWORD
	s_mov_b64 s[4:5], -1
                                        ; implicit-def: $sgpr10
	s_and_saveexec_b64 s[8:9], s[12:13]
; %bb.3842:
	s_mov_b32 s10, 0x7f800001
	s_xor_b64 s[4:5], exec, -1
; %bb.3843:
	s_or_b64 exec, exec, s[8:9]
	s_and_b64 s[4:5], s[4:5], exec
	s_or_saveexec_b64 s[6:7], s[6:7]
	v_mov_b32_e32 v12, s10
	s_xor_b64 exec, exec, s[6:7]
	s_cbranch_execz .LBB11_1794
.LBB11_3844:
	v_mov_b32_e32 v12, 0
	v_cmp_ne_u16_sdwa s[8:9], v6, v12 src0_sel:BYTE_0 src1_sel:DWORD
	s_andn2_b64 s[4:5], s[4:5], exec
	s_and_b64 s[8:9], s[8:9], exec
	s_or_b64 s[4:5], s[4:5], s[8:9]
	s_or_b64 exec, exec, s[6:7]
	s_and_saveexec_b64 s[6:7], s[4:5]
	s_cbranch_execnz .LBB11_1795
	s_branch .LBB11_1796
.LBB11_3845:
	s_movk_i32 s4, 0x80
	v_cmp_eq_u16_sdwa s[12:13], v2, s4 src0_sel:BYTE_0 src1_sel:DWORD
	s_mov_b64 s[4:5], -1
                                        ; implicit-def: $sgpr10
	s_and_saveexec_b64 s[8:9], s[12:13]
; %bb.3846:
	s_mov_b32 s10, 0x7f800001
	s_xor_b64 s[4:5], exec, -1
; %bb.3847:
	s_or_b64 exec, exec, s[8:9]
	s_and_b64 s[4:5], s[4:5], exec
	s_or_saveexec_b64 s[6:7], s[6:7]
	v_mov_b32_e32 v13, s10
	s_xor_b64 exec, exec, s[6:7]
	s_cbranch_execz .LBB11_1798
.LBB11_3848:
	v_mov_b32_e32 v13, 0
	v_cmp_ne_u16_sdwa s[8:9], v2, v13 src0_sel:BYTE_0 src1_sel:DWORD
	s_andn2_b64 s[4:5], s[4:5], exec
	s_and_b64 s[8:9], s[8:9], exec
	s_or_b64 s[4:5], s[4:5], s[8:9]
	s_or_b64 exec, exec, s[6:7]
	s_and_saveexec_b64 s[6:7], s[4:5]
	s_cbranch_execnz .LBB11_1799
	s_branch .LBB11_1800
.LBB11_3849:
	s_movk_i32 s4, 0x80
	v_cmp_eq_u16_sdwa s[12:13], v13, s4 src0_sel:BYTE_0 src1_sel:DWORD
	s_mov_b64 s[4:5], -1
                                        ; implicit-def: $sgpr10
	s_and_saveexec_b64 s[8:9], s[12:13]
; %bb.3850:
	s_mov_b32 s10, 0x7f800001
	s_xor_b64 s[4:5], exec, -1
; %bb.3851:
	s_or_b64 exec, exec, s[8:9]
	s_and_b64 s[4:5], s[4:5], exec
	s_or_saveexec_b64 s[6:7], s[6:7]
	v_mov_b32_e32 v12, s10
	s_xor_b64 exec, exec, s[6:7]
	s_cbranch_execz .LBB11_1802
.LBB11_3852:
	v_mov_b32_e32 v12, 0
	v_cmp_ne_u16_sdwa s[8:9], v13, v12 src0_sel:BYTE_0 src1_sel:DWORD
	s_andn2_b64 s[4:5], s[4:5], exec
	s_and_b64 s[8:9], s[8:9], exec
	s_or_b64 s[4:5], s[4:5], s[8:9]
	s_or_b64 exec, exec, s[6:7]
	s_and_saveexec_b64 s[6:7], s[4:5]
	s_cbranch_execnz .LBB11_1803
	s_branch .LBB11_1804
.LBB11_3853:
	s_movk_i32 s4, 0x80
	v_cmp_eq_u16_sdwa s[12:13], v13, s4 src0_sel:BYTE_0 src1_sel:DWORD
	s_mov_b64 s[4:5], -1
                                        ; implicit-def: $sgpr10
	s_and_saveexec_b64 s[8:9], s[12:13]
; %bb.3854:
	s_mov_b32 s10, 0x7f800001
	s_xor_b64 s[4:5], exec, -1
; %bb.3855:
	s_or_b64 exec, exec, s[8:9]
	s_and_b64 s[4:5], s[4:5], exec
	s_or_saveexec_b64 s[6:7], s[6:7]
	v_mov_b32_e32 v14, s10
	s_xor_b64 exec, exec, s[6:7]
	s_cbranch_execz .LBB11_1806
.LBB11_3856:
	v_mov_b32_e32 v14, 0
	v_cmp_ne_u16_sdwa s[8:9], v13, v14 src0_sel:BYTE_0 src1_sel:DWORD
	s_andn2_b64 s[4:5], s[4:5], exec
	s_and_b64 s[8:9], s[8:9], exec
	s_or_b64 s[4:5], s[4:5], s[8:9]
	s_or_b64 exec, exec, s[6:7]
	s_and_saveexec_b64 s[6:7], s[4:5]
	s_cbranch_execnz .LBB11_1807
	s_branch .LBB11_1808
.LBB11_3857:
	s_movk_i32 s4, 0x80
	v_cmp_eq_u16_e32 vcc, s4, v13
	s_mov_b64 s[4:5], -1
                                        ; implicit-def: $sgpr10
	s_and_saveexec_b64 s[8:9], vcc
; %bb.3858:
	s_mov_b32 s10, 0x7f800001
	s_xor_b64 s[4:5], exec, -1
; %bb.3859:
	s_or_b64 exec, exec, s[8:9]
	s_and_b64 s[4:5], s[4:5], exec
                                        ; implicit-def: $vgpr13
	s_or_saveexec_b64 s[6:7], s[6:7]
	v_mov_b32_e32 v12, s10
	s_xor_b64 exec, exec, s[6:7]
	s_cbranch_execz .LBB11_1810
.LBB11_3860:
	v_cmp_ne_u16_e32 vcc, 0, v13
	s_andn2_b64 s[4:5], s[4:5], exec
	s_and_b64 s[8:9], vcc, exec
	v_mov_b32_e32 v12, 0
	s_or_b64 s[4:5], s[4:5], s[8:9]
	s_or_b64 exec, exec, s[6:7]
	s_and_saveexec_b64 s[6:7], s[4:5]
	s_cbranch_execnz .LBB11_1811
	s_branch .LBB11_1812
.LBB11_3861:
	s_movk_i32 s4, 0x80
	v_cmp_eq_u16_e32 vcc, s4, v13
	s_mov_b64 s[4:5], -1
                                        ; implicit-def: $sgpr10
	s_and_saveexec_b64 s[8:9], vcc
; %bb.3862:
	s_mov_b32 s10, 0x7f800001
	s_xor_b64 s[4:5], exec, -1
; %bb.3863:
	s_or_b64 exec, exec, s[8:9]
	s_and_b64 s[4:5], s[4:5], exec
                                        ; implicit-def: $vgpr13
	s_or_saveexec_b64 s[6:7], s[6:7]
	v_mov_b32_e32 v14, s10
	s_xor_b64 exec, exec, s[6:7]
	s_cbranch_execz .LBB11_1814
.LBB11_3864:
	v_cmp_ne_u16_e32 vcc, 0, v13
	s_andn2_b64 s[4:5], s[4:5], exec
	s_and_b64 s[8:9], vcc, exec
	v_mov_b32_e32 v14, 0
	s_or_b64 s[4:5], s[4:5], s[8:9]
	s_or_b64 exec, exec, s[6:7]
	s_and_saveexec_b64 s[6:7], s[4:5]
	s_cbranch_execnz .LBB11_1815
	s_branch .LBB11_1816
.LBB11_3865:
	s_movk_i32 s4, 0x80
	v_cmp_eq_u16_sdwa s[12:13], v6, s4 src0_sel:BYTE_3 src1_sel:DWORD
	s_mov_b64 s[4:5], -1
                                        ; implicit-def: $sgpr10
	s_and_saveexec_b64 s[8:9], s[12:13]
; %bb.3866:
	s_mov_b32 s10, 0x7f800001
	s_xor_b64 s[4:5], exec, -1
; %bb.3867:
	s_or_b64 exec, exec, s[8:9]
	s_and_b64 s[4:5], s[4:5], exec
	s_or_saveexec_b64 s[6:7], s[6:7]
	v_mov_b32_e32 v12, s10
	s_xor_b64 exec, exec, s[6:7]
	s_cbranch_execz .LBB11_1818
.LBB11_3868:
	v_mov_b32_e32 v12, 0
	v_cmp_ne_u16_sdwa s[8:9], v6, v12 src0_sel:BYTE_3 src1_sel:DWORD
	s_andn2_b64 s[4:5], s[4:5], exec
	s_and_b64 s[8:9], s[8:9], exec
	s_or_b64 s[4:5], s[4:5], s[8:9]
	s_or_b64 exec, exec, s[6:7]
	s_and_saveexec_b64 s[6:7], s[4:5]
	s_cbranch_execnz .LBB11_1819
	s_branch .LBB11_1820
.LBB11_3869:
	s_movk_i32 s4, 0x80
	v_cmp_eq_u16_sdwa s[12:13], v2, s4 src0_sel:BYTE_3 src1_sel:DWORD
	s_mov_b64 s[4:5], -1
                                        ; implicit-def: $sgpr10
	s_and_saveexec_b64 s[8:9], s[12:13]
; %bb.3870:
	s_mov_b32 s10, 0x7f800001
	s_xor_b64 s[4:5], exec, -1
; %bb.3871:
	s_or_b64 exec, exec, s[8:9]
	s_and_b64 s[4:5], s[4:5], exec
	s_or_saveexec_b64 s[6:7], s[6:7]
	v_mov_b32_e32 v6, s10
	s_xor_b64 exec, exec, s[6:7]
	s_cbranch_execz .LBB11_1822
.LBB11_3872:
	v_mov_b32_e32 v6, 0
	v_cmp_ne_u16_sdwa s[8:9], v2, v6 src0_sel:BYTE_3 src1_sel:DWORD
	s_andn2_b64 s[4:5], s[4:5], exec
	s_and_b64 s[8:9], s[8:9], exec
	s_or_b64 s[4:5], s[4:5], s[8:9]
	s_or_b64 exec, exec, s[6:7]
	s_and_saveexec_b64 s[6:7], s[4:5]
	s_cbranch_execnz .LBB11_1823
	s_branch .LBB11_1824
.LBB11_3873:
	s_movk_i32 s4, 0x80
	v_cmp_eq_u16_sdwa s[12:13], v7, s4 src0_sel:BYTE_0 src1_sel:DWORD
	s_mov_b64 s[4:5], -1
                                        ; implicit-def: $sgpr10
	s_and_saveexec_b64 s[8:9], s[12:13]
; %bb.3874:
	s_mov_b32 s10, 0x7f800001
	s_xor_b64 s[4:5], exec, -1
; %bb.3875:
	s_or_b64 exec, exec, s[8:9]
	s_and_b64 s[4:5], s[4:5], exec
	s_or_saveexec_b64 s[6:7], s[6:7]
	v_mov_b32_e32 v2, s10
	s_xor_b64 exec, exec, s[6:7]
	s_cbranch_execz .LBB11_1826
.LBB11_3876:
	v_mov_b32_e32 v2, 0
	v_cmp_ne_u16_sdwa s[8:9], v7, v2 src0_sel:BYTE_0 src1_sel:DWORD
	s_andn2_b64 s[4:5], s[4:5], exec
	s_and_b64 s[8:9], s[8:9], exec
	s_or_b64 s[4:5], s[4:5], s[8:9]
	s_or_b64 exec, exec, s[6:7]
	s_and_saveexec_b64 s[6:7], s[4:5]
	s_cbranch_execnz .LBB11_1827
	s_branch .LBB11_1828
.LBB11_3877:
	s_movk_i32 s4, 0x80
	v_cmp_eq_u16_sdwa s[12:13], v3, s4 src0_sel:BYTE_0 src1_sel:DWORD
	s_mov_b64 s[4:5], -1
                                        ; implicit-def: $sgpr10
	s_and_saveexec_b64 s[8:9], s[12:13]
; %bb.3878:
	s_mov_b32 s10, 0x7f800001
	s_xor_b64 s[4:5], exec, -1
; %bb.3879:
	s_or_b64 exec, exec, s[8:9]
	s_and_b64 s[4:5], s[4:5], exec
	s_or_saveexec_b64 s[6:7], s[6:7]
	v_mov_b32_e32 v6, s10
	s_xor_b64 exec, exec, s[6:7]
	s_cbranch_execz .LBB11_1830
.LBB11_3880:
	v_mov_b32_e32 v6, 0
	v_cmp_ne_u16_sdwa s[8:9], v3, v6 src0_sel:BYTE_0 src1_sel:DWORD
	s_andn2_b64 s[4:5], s[4:5], exec
	s_and_b64 s[8:9], s[8:9], exec
	s_or_b64 s[4:5], s[4:5], s[8:9]
	s_or_b64 exec, exec, s[6:7]
	s_and_saveexec_b64 s[6:7], s[4:5]
	s_cbranch_execnz .LBB11_1831
	s_branch .LBB11_1832
.LBB11_3881:
	s_movk_i32 s4, 0x80
	v_cmp_eq_u16_sdwa s[12:13], v6, s4 src0_sel:BYTE_0 src1_sel:DWORD
	s_mov_b64 s[4:5], -1
                                        ; implicit-def: $sgpr10
	s_and_saveexec_b64 s[8:9], s[12:13]
; %bb.3882:
	s_mov_b32 s10, 0x7f800001
	s_xor_b64 s[4:5], exec, -1
; %bb.3883:
	s_or_b64 exec, exec, s[8:9]
	s_and_b64 s[4:5], s[4:5], exec
	s_or_saveexec_b64 s[6:7], s[6:7]
	v_mov_b32_e32 v2, s10
	s_xor_b64 exec, exec, s[6:7]
	s_cbranch_execz .LBB11_1834
.LBB11_3884:
	v_mov_b32_e32 v2, 0
	v_cmp_ne_u16_sdwa s[8:9], v6, v2 src0_sel:BYTE_0 src1_sel:DWORD
	s_andn2_b64 s[4:5], s[4:5], exec
	s_and_b64 s[8:9], s[8:9], exec
	s_or_b64 s[4:5], s[4:5], s[8:9]
	s_or_b64 exec, exec, s[6:7]
	s_and_saveexec_b64 s[6:7], s[4:5]
	s_cbranch_execnz .LBB11_1835
	s_branch .LBB11_1836
.LBB11_3885:
	s_movk_i32 s4, 0x80
	v_cmp_eq_u16_sdwa s[12:13], v6, s4 src0_sel:BYTE_0 src1_sel:DWORD
	s_mov_b64 s[4:5], -1
                                        ; implicit-def: $sgpr10
	s_and_saveexec_b64 s[8:9], s[12:13]
; %bb.3886:
	s_mov_b32 s10, 0x7f800001
	s_xor_b64 s[4:5], exec, -1
; %bb.3887:
	s_or_b64 exec, exec, s[8:9]
	s_and_b64 s[4:5], s[4:5], exec
	s_or_saveexec_b64 s[6:7], s[6:7]
	v_mov_b32_e32 v12, s10
	s_xor_b64 exec, exec, s[6:7]
	s_cbranch_execz .LBB11_1838
.LBB11_3888:
	v_mov_b32_e32 v12, 0
	v_cmp_ne_u16_sdwa s[8:9], v6, v12 src0_sel:BYTE_0 src1_sel:DWORD
	s_andn2_b64 s[4:5], s[4:5], exec
	s_and_b64 s[8:9], s[8:9], exec
	s_or_b64 s[4:5], s[4:5], s[8:9]
	s_or_b64 exec, exec, s[6:7]
	s_and_saveexec_b64 s[6:7], s[4:5]
	s_cbranch_execnz .LBB11_1839
	s_branch .LBB11_1840
.LBB11_3889:
	s_movk_i32 s4, 0x80
	v_cmp_eq_u16_e32 vcc, s4, v6
	s_mov_b64 s[4:5], -1
                                        ; implicit-def: $sgpr10
	s_and_saveexec_b64 s[8:9], vcc
; %bb.3890:
	s_mov_b32 s10, 0x7f800001
	s_xor_b64 s[4:5], exec, -1
; %bb.3891:
	s_or_b64 exec, exec, s[8:9]
	s_and_b64 s[4:5], s[4:5], exec
                                        ; implicit-def: $vgpr6
	s_or_saveexec_b64 s[6:7], s[6:7]
	v_mov_b32_e32 v2, s10
	s_xor_b64 exec, exec, s[6:7]
	s_cbranch_execz .LBB11_1842
.LBB11_3892:
	v_cmp_ne_u16_e32 vcc, 0, v6
	s_andn2_b64 s[4:5], s[4:5], exec
	s_and_b64 s[8:9], vcc, exec
	v_mov_b32_e32 v2, 0
	s_or_b64 s[4:5], s[4:5], s[8:9]
	s_or_b64 exec, exec, s[6:7]
	s_and_saveexec_b64 s[6:7], s[4:5]
	s_cbranch_execnz .LBB11_1843
	s_branch .LBB11_1844
.LBB11_3893:
	s_movk_i32 s4, 0x80
	v_cmp_eq_u16_e32 vcc, s4, v6
	s_mov_b64 s[4:5], -1
                                        ; implicit-def: $sgpr10
	s_and_saveexec_b64 s[8:9], vcc
; %bb.3894:
	s_mov_b32 s10, 0x7f800001
	s_xor_b64 s[4:5], exec, -1
; %bb.3895:
	s_or_b64 exec, exec, s[8:9]
	s_and_b64 s[4:5], s[4:5], exec
                                        ; implicit-def: $vgpr6
	s_or_saveexec_b64 s[6:7], s[6:7]
	v_mov_b32_e32 v12, s10
	s_xor_b64 exec, exec, s[6:7]
	s_cbranch_execz .LBB11_1846
.LBB11_3896:
	v_cmp_ne_u16_e32 vcc, 0, v6
	s_andn2_b64 s[4:5], s[4:5], exec
	s_and_b64 s[8:9], vcc, exec
	v_mov_b32_e32 v12, 0
	s_or_b64 s[4:5], s[4:5], s[8:9]
	s_or_b64 exec, exec, s[6:7]
	s_and_saveexec_b64 s[6:7], s[4:5]
	s_cbranch_execnz .LBB11_1847
	s_branch .LBB11_1848
.LBB11_3897:
	s_movk_i32 s4, 0x80
	v_cmp_eq_u16_sdwa s[12:13], v7, s4 src0_sel:BYTE_3 src1_sel:DWORD
	s_mov_b64 s[4:5], -1
                                        ; implicit-def: $sgpr10
	s_and_saveexec_b64 s[8:9], s[12:13]
; %bb.3898:
	s_mov_b32 s10, 0x7f800001
	s_xor_b64 s[4:5], exec, -1
; %bb.3899:
	s_or_b64 exec, exec, s[8:9]
	s_and_b64 s[4:5], s[4:5], exec
	s_or_saveexec_b64 s[6:7], s[6:7]
	v_mov_b32_e32 v2, s10
	s_xor_b64 exec, exec, s[6:7]
	s_cbranch_execz .LBB11_1850
.LBB11_3900:
	v_mov_b32_e32 v2, 0
	v_cmp_ne_u16_sdwa s[8:9], v7, v2 src0_sel:BYTE_3 src1_sel:DWORD
	s_andn2_b64 s[4:5], s[4:5], exec
	s_and_b64 s[8:9], s[8:9], exec
	s_or_b64 s[4:5], s[4:5], s[8:9]
	s_or_b64 exec, exec, s[6:7]
	s_and_saveexec_b64 s[6:7], s[4:5]
	s_cbranch_execnz .LBB11_1851
	s_branch .LBB11_1852
.LBB11_3901:
	s_movk_i32 s4, 0x80
	v_cmp_eq_u16_sdwa s[12:13], v3, s4 src0_sel:BYTE_3 src1_sel:DWORD
	s_mov_b64 s[4:5], -1
                                        ; implicit-def: $sgpr10
	s_and_saveexec_b64 s[8:9], s[12:13]
; %bb.3902:
	s_mov_b32 s10, 0x7f800001
	s_xor_b64 s[4:5], exec, -1
; %bb.3903:
	s_or_b64 exec, exec, s[8:9]
	s_and_b64 s[4:5], s[4:5], exec
	s_or_saveexec_b64 s[6:7], s[6:7]
	v_mov_b32_e32 v6, s10
	s_xor_b64 exec, exec, s[6:7]
	s_cbranch_execz .LBB11_1854
.LBB11_3904:
	v_mov_b32_e32 v6, 0
	v_cmp_ne_u16_sdwa s[8:9], v3, v6 src0_sel:BYTE_3 src1_sel:DWORD
	s_andn2_b64 s[4:5], s[4:5], exec
	s_and_b64 s[8:9], s[8:9], exec
	s_or_b64 s[4:5], s[4:5], s[8:9]
	s_or_b64 exec, exec, s[6:7]
	s_and_saveexec_b64 s[6:7], s[4:5]
	s_cbranch_execnz .LBB11_1855
	s_branch .LBB11_1856
.LBB11_3905:
	s_movk_i32 s4, 0x80
	v_cmp_eq_u16_sdwa s[12:13], v8, s4 src0_sel:BYTE_0 src1_sel:DWORD
	s_mov_b64 s[4:5], -1
                                        ; implicit-def: $sgpr10
	s_and_saveexec_b64 s[8:9], s[12:13]
; %bb.3906:
	s_mov_b32 s10, 0x7f800001
	s_xor_b64 s[4:5], exec, -1
; %bb.3907:
	s_or_b64 exec, exec, s[8:9]
	s_and_b64 s[4:5], s[4:5], exec
	s_or_saveexec_b64 s[6:7], s[6:7]
	v_mov_b32_e32 v2, s10
	s_xor_b64 exec, exec, s[6:7]
	s_cbranch_execz .LBB11_1858
.LBB11_3908:
	v_mov_b32_e32 v2, 0
	v_cmp_ne_u16_sdwa s[8:9], v8, v2 src0_sel:BYTE_0 src1_sel:DWORD
	s_andn2_b64 s[4:5], s[4:5], exec
	s_and_b64 s[8:9], s[8:9], exec
	s_or_b64 s[4:5], s[4:5], s[8:9]
	s_or_b64 exec, exec, s[6:7]
	s_and_saveexec_b64 s[6:7], s[4:5]
	s_cbranch_execnz .LBB11_1859
	s_branch .LBB11_1860
.LBB11_3909:
	s_movk_i32 s4, 0x80
	v_cmp_eq_u16_sdwa s[12:13], v4, s4 src0_sel:BYTE_0 src1_sel:DWORD
	s_mov_b64 s[4:5], -1
                                        ; implicit-def: $sgpr10
	s_and_saveexec_b64 s[8:9], s[12:13]
; %bb.3910:
	s_mov_b32 s10, 0x7f800001
	s_xor_b64 s[4:5], exec, -1
; %bb.3911:
	s_or_b64 exec, exec, s[8:9]
	s_and_b64 s[4:5], s[4:5], exec
	s_or_saveexec_b64 s[6:7], s[6:7]
	v_mov_b32_e32 v3, s10
	s_xor_b64 exec, exec, s[6:7]
	s_cbranch_execz .LBB11_1862
.LBB11_3912:
	v_mov_b32_e32 v3, 0
	v_cmp_ne_u16_sdwa s[8:9], v4, v3 src0_sel:BYTE_0 src1_sel:DWORD
	s_andn2_b64 s[4:5], s[4:5], exec
	s_and_b64 s[8:9], s[8:9], exec
	s_or_b64 s[4:5], s[4:5], s[8:9]
	s_or_b64 exec, exec, s[6:7]
	s_and_saveexec_b64 s[6:7], s[4:5]
	s_cbranch_execnz .LBB11_1863
	s_branch .LBB11_1864
.LBB11_3913:
	s_movk_i32 s4, 0x80
	v_cmp_eq_u16_sdwa s[12:13], v3, s4 src0_sel:BYTE_0 src1_sel:DWORD
	s_mov_b64 s[4:5], -1
                                        ; implicit-def: $sgpr10
	s_and_saveexec_b64 s[8:9], s[12:13]
; %bb.3914:
	s_mov_b32 s10, 0x7f800001
	s_xor_b64 s[4:5], exec, -1
; %bb.3915:
	s_or_b64 exec, exec, s[8:9]
	s_and_b64 s[4:5], s[4:5], exec
	s_or_saveexec_b64 s[6:7], s[6:7]
	v_mov_b32_e32 v2, s10
	s_xor_b64 exec, exec, s[6:7]
	s_cbranch_execz .LBB11_1866
.LBB11_3916:
	v_mov_b32_e32 v2, 0
	v_cmp_ne_u16_sdwa s[8:9], v3, v2 src0_sel:BYTE_0 src1_sel:DWORD
	s_andn2_b64 s[4:5], s[4:5], exec
	s_and_b64 s[8:9], s[8:9], exec
	s_or_b64 s[4:5], s[4:5], s[8:9]
	s_or_b64 exec, exec, s[6:7]
	s_and_saveexec_b64 s[6:7], s[4:5]
	s_cbranch_execnz .LBB11_1867
	s_branch .LBB11_1868
.LBB11_3917:
	s_movk_i32 s4, 0x80
	v_cmp_eq_u16_sdwa s[12:13], v3, s4 src0_sel:BYTE_0 src1_sel:DWORD
	s_mov_b64 s[4:5], -1
                                        ; implicit-def: $sgpr10
	s_and_saveexec_b64 s[8:9], s[12:13]
; %bb.3918:
	s_mov_b32 s10, 0x7f800001
	s_xor_b64 s[4:5], exec, -1
; %bb.3919:
	s_or_b64 exec, exec, s[8:9]
	s_and_b64 s[4:5], s[4:5], exec
	s_or_saveexec_b64 s[6:7], s[6:7]
	v_mov_b32_e32 v6, s10
	s_xor_b64 exec, exec, s[6:7]
	s_cbranch_execz .LBB11_1870
.LBB11_3920:
	v_mov_b32_e32 v6, 0
	v_cmp_ne_u16_sdwa s[8:9], v3, v6 src0_sel:BYTE_0 src1_sel:DWORD
	s_andn2_b64 s[4:5], s[4:5], exec
	s_and_b64 s[8:9], s[8:9], exec
	s_or_b64 s[4:5], s[4:5], s[8:9]
	s_or_b64 exec, exec, s[6:7]
	s_and_saveexec_b64 s[6:7], s[4:5]
	s_cbranch_execnz .LBB11_1871
	s_branch .LBB11_1872
.LBB11_3921:
	s_movk_i32 s4, 0x80
	v_cmp_eq_u16_e32 vcc, s4, v3
	s_mov_b64 s[4:5], -1
                                        ; implicit-def: $sgpr10
	s_and_saveexec_b64 s[8:9], vcc
; %bb.3922:
	s_mov_b32 s10, 0x7f800001
	s_xor_b64 s[4:5], exec, -1
; %bb.3923:
	s_or_b64 exec, exec, s[8:9]
	s_and_b64 s[4:5], s[4:5], exec
                                        ; implicit-def: $vgpr3
	s_or_saveexec_b64 s[6:7], s[6:7]
	v_mov_b32_e32 v2, s10
	s_xor_b64 exec, exec, s[6:7]
	s_cbranch_execz .LBB11_1874
.LBB11_3924:
	v_cmp_ne_u16_e32 vcc, 0, v3
	s_andn2_b64 s[4:5], s[4:5], exec
	s_and_b64 s[8:9], vcc, exec
	v_mov_b32_e32 v2, 0
	s_or_b64 s[4:5], s[4:5], s[8:9]
	s_or_b64 exec, exec, s[6:7]
	s_and_saveexec_b64 s[6:7], s[4:5]
	s_cbranch_execnz .LBB11_1875
	s_branch .LBB11_1876
.LBB11_3925:
	s_movk_i32 s4, 0x80
	v_cmp_eq_u16_e32 vcc, s4, v3
	s_mov_b64 s[4:5], -1
                                        ; implicit-def: $sgpr10
	s_and_saveexec_b64 s[8:9], vcc
; %bb.3926:
	s_mov_b32 s10, 0x7f800001
	s_xor_b64 s[4:5], exec, -1
; %bb.3927:
	s_or_b64 exec, exec, s[8:9]
	s_and_b64 s[4:5], s[4:5], exec
                                        ; implicit-def: $vgpr3
	s_or_saveexec_b64 s[6:7], s[6:7]
	v_mov_b32_e32 v6, s10
	s_xor_b64 exec, exec, s[6:7]
	s_cbranch_execz .LBB11_1878
.LBB11_3928:
	v_cmp_ne_u16_e32 vcc, 0, v3
	s_andn2_b64 s[4:5], s[4:5], exec
	s_and_b64 s[8:9], vcc, exec
	v_mov_b32_e32 v6, 0
	s_or_b64 s[4:5], s[4:5], s[8:9]
	s_or_b64 exec, exec, s[6:7]
	s_and_saveexec_b64 s[6:7], s[4:5]
	s_cbranch_execnz .LBB11_1879
	s_branch .LBB11_1880
.LBB11_3929:
	s_movk_i32 s4, 0x80
	v_cmp_eq_u16_sdwa s[12:13], v8, s4 src0_sel:BYTE_3 src1_sel:DWORD
	s_mov_b64 s[4:5], -1
                                        ; implicit-def: $sgpr10
	s_and_saveexec_b64 s[8:9], s[12:13]
; %bb.3930:
	s_mov_b32 s10, 0x7f800001
	s_xor_b64 s[4:5], exec, -1
; %bb.3931:
	s_or_b64 exec, exec, s[8:9]
	s_and_b64 s[4:5], s[4:5], exec
	s_or_saveexec_b64 s[6:7], s[6:7]
	v_mov_b32_e32 v2, s10
	s_xor_b64 exec, exec, s[6:7]
	s_cbranch_execz .LBB11_1882
.LBB11_3932:
	v_mov_b32_e32 v2, 0
	v_cmp_ne_u16_sdwa s[8:9], v8, v2 src0_sel:BYTE_3 src1_sel:DWORD
	s_andn2_b64 s[4:5], s[4:5], exec
	s_and_b64 s[8:9], s[8:9], exec
	s_or_b64 s[4:5], s[4:5], s[8:9]
	s_or_b64 exec, exec, s[6:7]
	s_and_saveexec_b64 s[6:7], s[4:5]
	s_cbranch_execnz .LBB11_1883
	s_branch .LBB11_1884
.LBB11_3933:
	s_movk_i32 s4, 0x80
	v_cmp_eq_u16_sdwa s[12:13], v4, s4 src0_sel:BYTE_3 src1_sel:DWORD
	s_mov_b64 s[4:5], -1
                                        ; implicit-def: $sgpr10
	s_and_saveexec_b64 s[8:9], s[12:13]
; %bb.3934:
	s_mov_b32 s10, 0x7f800001
	s_xor_b64 s[4:5], exec, -1
; %bb.3935:
	s_or_b64 exec, exec, s[8:9]
	s_and_b64 s[4:5], s[4:5], exec
	s_or_saveexec_b64 s[6:7], s[6:7]
	v_mov_b32_e32 v3, s10
	s_xor_b64 exec, exec, s[6:7]
	s_cbranch_execz .LBB11_1886
.LBB11_3936:
	v_mov_b32_e32 v3, 0
	v_cmp_ne_u16_sdwa s[8:9], v4, v3 src0_sel:BYTE_3 src1_sel:DWORD
	s_andn2_b64 s[4:5], s[4:5], exec
	s_and_b64 s[8:9], s[8:9], exec
	s_or_b64 s[4:5], s[4:5], s[8:9]
	s_or_b64 exec, exec, s[6:7]
	s_and_saveexec_b64 s[6:7], s[4:5]
	s_cbranch_execnz .LBB11_1887
	s_branch .LBB11_1888
.LBB11_3937:
	s_movk_i32 s4, 0x80
	v_cmp_eq_u16_sdwa s[12:13], v9, s4 src0_sel:BYTE_0 src1_sel:DWORD
	s_mov_b64 s[4:5], -1
                                        ; implicit-def: $sgpr10
	s_and_saveexec_b64 s[8:9], s[12:13]
; %bb.3938:
	s_mov_b32 s10, 0x7f800001
	s_xor_b64 s[4:5], exec, -1
; %bb.3939:
	s_or_b64 exec, exec, s[8:9]
	s_and_b64 s[4:5], s[4:5], exec
	s_or_saveexec_b64 s[6:7], s[6:7]
	v_mov_b32_e32 v2, s10
	s_xor_b64 exec, exec, s[6:7]
	s_cbranch_execz .LBB11_1890
.LBB11_3940:
	v_mov_b32_e32 v2, 0
	v_cmp_ne_u16_sdwa s[8:9], v9, v2 src0_sel:BYTE_0 src1_sel:DWORD
	s_andn2_b64 s[4:5], s[4:5], exec
	s_and_b64 s[8:9], s[8:9], exec
	s_or_b64 s[4:5], s[4:5], s[8:9]
	s_or_b64 exec, exec, s[6:7]
	s_and_saveexec_b64 s[6:7], s[4:5]
	s_cbranch_execnz .LBB11_1891
	s_branch .LBB11_1892
.LBB11_3941:
	s_movk_i32 s4, 0x80
	v_cmp_eq_u16_sdwa s[12:13], v5, s4 src0_sel:BYTE_0 src1_sel:DWORD
	s_mov_b64 s[4:5], -1
                                        ; implicit-def: $sgpr10
	s_and_saveexec_b64 s[8:9], s[12:13]
; %bb.3942:
	s_mov_b32 s10, 0x7f800001
	s_xor_b64 s[4:5], exec, -1
; %bb.3943:
	s_or_b64 exec, exec, s[8:9]
	s_and_b64 s[4:5], s[4:5], exec
	s_or_saveexec_b64 s[6:7], s[6:7]
	v_mov_b32_e32 v3, s10
	s_xor_b64 exec, exec, s[6:7]
	s_cbranch_execz .LBB11_1894
.LBB11_3944:
	v_mov_b32_e32 v3, 0
	v_cmp_ne_u16_sdwa s[8:9], v5, v3 src0_sel:BYTE_0 src1_sel:DWORD
	s_andn2_b64 s[4:5], s[4:5], exec
	s_and_b64 s[8:9], s[8:9], exec
	s_or_b64 s[4:5], s[4:5], s[8:9]
	s_or_b64 exec, exec, s[6:7]
	s_and_saveexec_b64 s[6:7], s[4:5]
	s_cbranch_execnz .LBB11_1895
	s_branch .LBB11_1896
.LBB11_3945:
	s_movk_i32 s4, 0x80
	v_cmp_eq_u16_sdwa s[12:13], v3, s4 src0_sel:BYTE_0 src1_sel:DWORD
	s_mov_b64 s[4:5], -1
                                        ; implicit-def: $sgpr10
	s_and_saveexec_b64 s[8:9], s[12:13]
; %bb.3946:
	s_mov_b32 s10, 0x7f800001
	s_xor_b64 s[4:5], exec, -1
; %bb.3947:
	s_or_b64 exec, exec, s[8:9]
	s_and_b64 s[4:5], s[4:5], exec
	s_or_saveexec_b64 s[6:7], s[6:7]
	v_mov_b32_e32 v2, s10
	s_xor_b64 exec, exec, s[6:7]
	s_cbranch_execz .LBB11_1898
.LBB11_3948:
	v_mov_b32_e32 v2, 0
	v_cmp_ne_u16_sdwa s[8:9], v3, v2 src0_sel:BYTE_0 src1_sel:DWORD
	s_andn2_b64 s[4:5], s[4:5], exec
	s_and_b64 s[8:9], s[8:9], exec
	s_or_b64 s[4:5], s[4:5], s[8:9]
	s_or_b64 exec, exec, s[6:7]
	s_and_saveexec_b64 s[6:7], s[4:5]
	s_cbranch_execnz .LBB11_1899
	s_branch .LBB11_1900
.LBB11_3949:
	s_movk_i32 s4, 0x80
	v_cmp_eq_u16_sdwa s[12:13], v3, s4 src0_sel:BYTE_0 src1_sel:DWORD
	s_mov_b64 s[4:5], -1
                                        ; implicit-def: $sgpr10
	s_and_saveexec_b64 s[8:9], s[12:13]
; %bb.3950:
	s_mov_b32 s10, 0x7f800001
	s_xor_b64 s[4:5], exec, -1
; %bb.3951:
	s_or_b64 exec, exec, s[8:9]
	s_and_b64 s[4:5], s[4:5], exec
	s_or_saveexec_b64 s[6:7], s[6:7]
	v_mov_b32_e32 v4, s10
	s_xor_b64 exec, exec, s[6:7]
	s_cbranch_execz .LBB11_1902
.LBB11_3952:
	v_mov_b32_e32 v4, 0
	v_cmp_ne_u16_sdwa s[8:9], v3, v4 src0_sel:BYTE_0 src1_sel:DWORD
	s_andn2_b64 s[4:5], s[4:5], exec
	s_and_b64 s[8:9], s[8:9], exec
	s_or_b64 s[4:5], s[4:5], s[8:9]
	s_or_b64 exec, exec, s[6:7]
	s_and_saveexec_b64 s[6:7], s[4:5]
	s_cbranch_execnz .LBB11_1903
	s_branch .LBB11_1904
.LBB11_3953:
	s_movk_i32 s4, 0x80
	v_cmp_eq_u16_e32 vcc, s4, v3
	s_mov_b64 s[4:5], -1
                                        ; implicit-def: $sgpr10
	s_and_saveexec_b64 s[8:9], vcc
; %bb.3954:
	s_mov_b32 s10, 0x7f800001
	s_xor_b64 s[4:5], exec, -1
; %bb.3955:
	s_or_b64 exec, exec, s[8:9]
	s_and_b64 s[4:5], s[4:5], exec
                                        ; implicit-def: $vgpr3
	s_or_saveexec_b64 s[6:7], s[6:7]
	v_mov_b32_e32 v2, s10
	s_xor_b64 exec, exec, s[6:7]
	s_cbranch_execz .LBB11_1906
.LBB11_3956:
	v_cmp_ne_u16_e32 vcc, 0, v3
	s_andn2_b64 s[4:5], s[4:5], exec
	s_and_b64 s[8:9], vcc, exec
	v_mov_b32_e32 v2, 0
	s_or_b64 s[4:5], s[4:5], s[8:9]
	s_or_b64 exec, exec, s[6:7]
	s_and_saveexec_b64 s[6:7], s[4:5]
	s_cbranch_execnz .LBB11_1907
	s_branch .LBB11_1908
.LBB11_3957:
	s_movk_i32 s4, 0x80
	v_cmp_eq_u16_e32 vcc, s4, v3
	s_mov_b64 s[4:5], -1
                                        ; implicit-def: $sgpr10
	s_and_saveexec_b64 s[8:9], vcc
; %bb.3958:
	s_mov_b32 s10, 0x7f800001
	s_xor_b64 s[4:5], exec, -1
; %bb.3959:
	s_or_b64 exec, exec, s[8:9]
	s_and_b64 s[4:5], s[4:5], exec
                                        ; implicit-def: $vgpr3
	s_or_saveexec_b64 s[6:7], s[6:7]
	v_mov_b32_e32 v4, s10
	s_xor_b64 exec, exec, s[6:7]
	s_cbranch_execz .LBB11_1910
.LBB11_3960:
	v_cmp_ne_u16_e32 vcc, 0, v3
	s_andn2_b64 s[4:5], s[4:5], exec
	s_and_b64 s[8:9], vcc, exec
	v_mov_b32_e32 v4, 0
	s_or_b64 s[4:5], s[4:5], s[8:9]
	s_or_b64 exec, exec, s[6:7]
	s_and_saveexec_b64 s[6:7], s[4:5]
	s_cbranch_execnz .LBB11_1911
	s_branch .LBB11_1912
.LBB11_3961:
	s_movk_i32 s4, 0x80
	v_cmp_eq_u16_sdwa s[12:13], v9, s4 src0_sel:BYTE_3 src1_sel:DWORD
	s_mov_b64 s[4:5], -1
                                        ; implicit-def: $sgpr10
	s_and_saveexec_b64 s[8:9], s[12:13]
; %bb.3962:
	s_mov_b32 s10, 0x7f800001
	s_xor_b64 s[4:5], exec, -1
; %bb.3963:
	s_or_b64 exec, exec, s[8:9]
	s_and_b64 s[4:5], s[4:5], exec
	s_or_saveexec_b64 s[6:7], s[6:7]
	v_mov_b32_e32 v2, s10
	s_xor_b64 exec, exec, s[6:7]
	s_cbranch_execz .LBB11_1914
.LBB11_3964:
	v_mov_b32_e32 v2, 0
	v_cmp_ne_u16_sdwa s[8:9], v9, v2 src0_sel:BYTE_3 src1_sel:DWORD
	s_andn2_b64 s[4:5], s[4:5], exec
	s_and_b64 s[8:9], s[8:9], exec
	s_or_b64 s[4:5], s[4:5], s[8:9]
	s_or_b64 exec, exec, s[6:7]
	s_and_saveexec_b64 s[6:7], s[4:5]
	s_cbranch_execnz .LBB11_1915
	s_branch .LBB11_1916
.LBB11_3965:
	s_movk_i32 s4, 0x80
	v_cmp_eq_u16_sdwa s[12:13], v5, s4 src0_sel:BYTE_3 src1_sel:DWORD
	s_mov_b64 s[4:5], -1
                                        ; implicit-def: $sgpr10
	s_and_saveexec_b64 s[8:9], s[12:13]
; %bb.3966:
	s_mov_b32 s10, 0x7f800001
	s_xor_b64 s[4:5], exec, -1
; %bb.3967:
	s_or_b64 exec, exec, s[8:9]
	s_and_b64 s[4:5], s[4:5], exec
	s_or_saveexec_b64 s[6:7], s[6:7]
	v_mov_b32_e32 v3, s10
	s_xor_b64 exec, exec, s[6:7]
	s_cbranch_execz .LBB11_1918
.LBB11_3968:
	v_mov_b32_e32 v3, 0
	v_cmp_ne_u16_sdwa s[8:9], v5, v3 src0_sel:BYTE_3 src1_sel:DWORD
	s_andn2_b64 s[4:5], s[4:5], exec
	s_and_b64 s[8:9], s[8:9], exec
	s_or_b64 s[4:5], s[4:5], s[8:9]
	s_or_b64 exec, exec, s[6:7]
	s_and_saveexec_b64 s[6:7], s[4:5]
	s_cbranch_execnz .LBB11_1919
	s_branch .LBB11_1920
.LBB11_3969:
	s_movk_i32 s4, 0x80
	v_cmp_eq_u16_sdwa s[12:13], v6, s4 src0_sel:BYTE_0 src1_sel:DWORD
	s_mov_b64 s[4:5], -1
                                        ; implicit-def: $sgpr10
	s_and_saveexec_b64 s[8:9], s[12:13]
; %bb.3970:
	s_mov_b32 s10, 0x7f800001
	s_xor_b64 s[4:5], exec, -1
; %bb.3971:
	s_or_b64 exec, exec, s[8:9]
	s_and_b64 s[4:5], s[4:5], exec
	s_or_saveexec_b64 s[6:7], s[6:7]
	v_mov_b32_e32 v10, s10
	s_xor_b64 exec, exec, s[6:7]
	s_cbranch_execz .LBB11_1922
.LBB11_3972:
	v_mov_b32_e32 v10, 0
	v_cmp_ne_u16_sdwa s[8:9], v6, v10 src0_sel:BYTE_0 src1_sel:DWORD
	s_andn2_b64 s[4:5], s[4:5], exec
	s_and_b64 s[8:9], s[8:9], exec
	s_or_b64 s[4:5], s[4:5], s[8:9]
	s_or_b64 exec, exec, s[6:7]
	s_and_saveexec_b64 s[6:7], s[4:5]
	s_cbranch_execnz .LBB11_1923
	s_branch .LBB11_1924
.LBB11_3973:
	s_movk_i32 s4, 0x80
	v_cmp_eq_u16_sdwa s[12:13], v2, s4 src0_sel:BYTE_0 src1_sel:DWORD
	s_mov_b64 s[4:5], -1
                                        ; implicit-def: $sgpr10
	s_and_saveexec_b64 s[8:9], s[12:13]
; %bb.3974:
	s_mov_b32 s10, 0x7f800001
	s_xor_b64 s[4:5], exec, -1
; %bb.3975:
	s_or_b64 exec, exec, s[8:9]
	s_and_b64 s[4:5], s[4:5], exec
	s_or_saveexec_b64 s[6:7], s[6:7]
	v_mov_b32_e32 v11, s10
	s_xor_b64 exec, exec, s[6:7]
	s_cbranch_execz .LBB11_1926
.LBB11_3976:
	v_mov_b32_e32 v11, 0
	v_cmp_ne_u16_sdwa s[8:9], v2, v11 src0_sel:BYTE_0 src1_sel:DWORD
	s_andn2_b64 s[4:5], s[4:5], exec
	s_and_b64 s[8:9], s[8:9], exec
	s_or_b64 s[4:5], s[4:5], s[8:9]
	s_or_b64 exec, exec, s[6:7]
	s_and_saveexec_b64 s[6:7], s[4:5]
	s_cbranch_execnz .LBB11_1927
	s_branch .LBB11_1928
.LBB11_3977:
	s_movk_i32 s4, 0x80
	v_cmp_eq_u16_sdwa s[12:13], v11, s4 src0_sel:BYTE_0 src1_sel:DWORD
	s_mov_b64 s[4:5], -1
                                        ; implicit-def: $sgpr10
	s_and_saveexec_b64 s[8:9], s[12:13]
; %bb.3978:
	s_mov_b32 s10, 0x7f800001
	s_xor_b64 s[4:5], exec, -1
; %bb.3979:
	s_or_b64 exec, exec, s[8:9]
	s_and_b64 s[4:5], s[4:5], exec
	s_or_saveexec_b64 s[6:7], s[6:7]
	v_mov_b32_e32 v10, s10
	s_xor_b64 exec, exec, s[6:7]
	s_cbranch_execz .LBB11_1930
.LBB11_3980:
	v_mov_b32_e32 v10, 0
	v_cmp_ne_u16_sdwa s[8:9], v11, v10 src0_sel:BYTE_0 src1_sel:DWORD
	s_andn2_b64 s[4:5], s[4:5], exec
	s_and_b64 s[8:9], s[8:9], exec
	s_or_b64 s[4:5], s[4:5], s[8:9]
	s_or_b64 exec, exec, s[6:7]
	s_and_saveexec_b64 s[6:7], s[4:5]
	s_cbranch_execnz .LBB11_1931
	s_branch .LBB11_1932
.LBB11_3981:
	s_movk_i32 s4, 0x80
	v_cmp_eq_u16_sdwa s[12:13], v11, s4 src0_sel:BYTE_0 src1_sel:DWORD
	s_mov_b64 s[4:5], -1
                                        ; implicit-def: $sgpr10
	s_and_saveexec_b64 s[8:9], s[12:13]
; %bb.3982:
	s_mov_b32 s10, 0x7f800001
	s_xor_b64 s[4:5], exec, -1
; %bb.3983:
	s_or_b64 exec, exec, s[8:9]
	s_and_b64 s[4:5], s[4:5], exec
	s_or_saveexec_b64 s[6:7], s[6:7]
	v_mov_b32_e32 v12, s10
	s_xor_b64 exec, exec, s[6:7]
	s_cbranch_execz .LBB11_1934
.LBB11_3984:
	v_mov_b32_e32 v12, 0
	v_cmp_ne_u16_sdwa s[8:9], v11, v12 src0_sel:BYTE_0 src1_sel:DWORD
	s_andn2_b64 s[4:5], s[4:5], exec
	s_and_b64 s[8:9], s[8:9], exec
	s_or_b64 s[4:5], s[4:5], s[8:9]
	s_or_b64 exec, exec, s[6:7]
	s_and_saveexec_b64 s[6:7], s[4:5]
	s_cbranch_execnz .LBB11_1935
	s_branch .LBB11_1936
.LBB11_3985:
	s_movk_i32 s4, 0x80
	v_cmp_eq_u16_e32 vcc, s4, v11
	s_mov_b64 s[4:5], -1
                                        ; implicit-def: $sgpr10
	s_and_saveexec_b64 s[8:9], vcc
; %bb.3986:
	s_mov_b32 s10, 0x7f800001
	s_xor_b64 s[4:5], exec, -1
; %bb.3987:
	s_or_b64 exec, exec, s[8:9]
	s_and_b64 s[4:5], s[4:5], exec
                                        ; implicit-def: $vgpr11
	s_or_saveexec_b64 s[6:7], s[6:7]
	v_mov_b32_e32 v10, s10
	s_xor_b64 exec, exec, s[6:7]
	s_cbranch_execz .LBB11_1938
.LBB11_3988:
	v_cmp_ne_u16_e32 vcc, 0, v11
	s_andn2_b64 s[4:5], s[4:5], exec
	s_and_b64 s[8:9], vcc, exec
	v_mov_b32_e32 v10, 0
	s_or_b64 s[4:5], s[4:5], s[8:9]
	s_or_b64 exec, exec, s[6:7]
	s_and_saveexec_b64 s[6:7], s[4:5]
	s_cbranch_execnz .LBB11_1939
	s_branch .LBB11_1940
.LBB11_3989:
	s_movk_i32 s4, 0x80
	v_cmp_eq_u16_e32 vcc, s4, v11
	s_mov_b64 s[4:5], -1
                                        ; implicit-def: $sgpr10
	s_and_saveexec_b64 s[8:9], vcc
; %bb.3990:
	s_mov_b32 s10, 0x7f800001
	s_xor_b64 s[4:5], exec, -1
; %bb.3991:
	s_or_b64 exec, exec, s[8:9]
	s_and_b64 s[4:5], s[4:5], exec
                                        ; implicit-def: $vgpr11
	s_or_saveexec_b64 s[6:7], s[6:7]
	v_mov_b32_e32 v12, s10
	s_xor_b64 exec, exec, s[6:7]
	s_cbranch_execz .LBB11_1942
.LBB11_3992:
	v_cmp_ne_u16_e32 vcc, 0, v11
	s_andn2_b64 s[4:5], s[4:5], exec
	s_and_b64 s[8:9], vcc, exec
	v_mov_b32_e32 v12, 0
	s_or_b64 s[4:5], s[4:5], s[8:9]
	s_or_b64 exec, exec, s[6:7]
	s_and_saveexec_b64 s[6:7], s[4:5]
	s_cbranch_execnz .LBB11_1943
	s_branch .LBB11_1944
.LBB11_3993:
	s_movk_i32 s4, 0x80
	v_cmp_eq_u16_sdwa s[12:13], v6, s4 src0_sel:BYTE_3 src1_sel:DWORD
	s_mov_b64 s[4:5], -1
                                        ; implicit-def: $sgpr10
	s_and_saveexec_b64 s[8:9], s[12:13]
; %bb.3994:
	s_mov_b32 s10, 0x7f800001
	s_xor_b64 s[4:5], exec, -1
; %bb.3995:
	s_or_b64 exec, exec, s[8:9]
	s_and_b64 s[4:5], s[4:5], exec
	s_or_saveexec_b64 s[6:7], s[6:7]
	v_mov_b32_e32 v10, s10
	s_xor_b64 exec, exec, s[6:7]
	s_cbranch_execz .LBB11_1946
.LBB11_3996:
	v_mov_b32_e32 v10, 0
	v_cmp_ne_u16_sdwa s[8:9], v6, v10 src0_sel:BYTE_3 src1_sel:DWORD
	s_andn2_b64 s[4:5], s[4:5], exec
	s_and_b64 s[8:9], s[8:9], exec
	s_or_b64 s[4:5], s[4:5], s[8:9]
	s_or_b64 exec, exec, s[6:7]
	s_and_saveexec_b64 s[6:7], s[4:5]
	s_cbranch_execnz .LBB11_1947
	s_branch .LBB11_1948
.LBB11_3997:
	s_movk_i32 s4, 0x80
	v_cmp_eq_u16_sdwa s[12:13], v2, s4 src0_sel:BYTE_3 src1_sel:DWORD
	s_mov_b64 s[4:5], -1
                                        ; implicit-def: $sgpr10
	s_and_saveexec_b64 s[8:9], s[12:13]
; %bb.3998:
	s_mov_b32 s10, 0x7f800001
	s_xor_b64 s[4:5], exec, -1
; %bb.3999:
	s_or_b64 exec, exec, s[8:9]
	s_and_b64 s[4:5], s[4:5], exec
	s_or_saveexec_b64 s[6:7], s[6:7]
	v_mov_b32_e32 v6, s10
	s_xor_b64 exec, exec, s[6:7]
	s_cbranch_execz .LBB11_1950
.LBB11_4000:
	v_mov_b32_e32 v6, 0
	v_cmp_ne_u16_sdwa s[8:9], v2, v6 src0_sel:BYTE_3 src1_sel:DWORD
	s_andn2_b64 s[4:5], s[4:5], exec
	s_and_b64 s[8:9], s[8:9], exec
	s_or_b64 s[4:5], s[4:5], s[8:9]
	s_or_b64 exec, exec, s[6:7]
	s_and_saveexec_b64 s[6:7], s[4:5]
	s_cbranch_execnz .LBB11_1951
	s_branch .LBB11_1952
.LBB11_4001:
	s_movk_i32 s4, 0x80
	v_cmp_eq_u16_sdwa s[12:13], v7, s4 src0_sel:BYTE_0 src1_sel:DWORD
	s_mov_b64 s[4:5], -1
                                        ; implicit-def: $sgpr10
	s_and_saveexec_b64 s[8:9], s[12:13]
; %bb.4002:
	s_mov_b32 s10, 0x7f800001
	s_xor_b64 s[4:5], exec, -1
; %bb.4003:
	s_or_b64 exec, exec, s[8:9]
	s_and_b64 s[4:5], s[4:5], exec
	s_or_saveexec_b64 s[6:7], s[6:7]
	v_mov_b32_e32 v2, s10
	s_xor_b64 exec, exec, s[6:7]
	s_cbranch_execz .LBB11_1954
.LBB11_4004:
	v_mov_b32_e32 v2, 0
	v_cmp_ne_u16_sdwa s[8:9], v7, v2 src0_sel:BYTE_0 src1_sel:DWORD
	s_andn2_b64 s[4:5], s[4:5], exec
	s_and_b64 s[8:9], s[8:9], exec
	s_or_b64 s[4:5], s[4:5], s[8:9]
	s_or_b64 exec, exec, s[6:7]
	s_and_saveexec_b64 s[6:7], s[4:5]
	s_cbranch_execnz .LBB11_1955
	s_branch .LBB11_1956
.LBB11_4005:
	s_movk_i32 s4, 0x80
	v_cmp_eq_u16_sdwa s[12:13], v3, s4 src0_sel:BYTE_0 src1_sel:DWORD
	s_mov_b64 s[4:5], -1
                                        ; implicit-def: $sgpr10
	s_and_saveexec_b64 s[8:9], s[12:13]
; %bb.4006:
	s_mov_b32 s10, 0x7f800001
	s_xor_b64 s[4:5], exec, -1
; %bb.4007:
	s_or_b64 exec, exec, s[8:9]
	s_and_b64 s[4:5], s[4:5], exec
	s_or_saveexec_b64 s[6:7], s[6:7]
	v_mov_b32_e32 v6, s10
	s_xor_b64 exec, exec, s[6:7]
	s_cbranch_execz .LBB11_1958
.LBB11_4008:
	v_mov_b32_e32 v6, 0
	v_cmp_ne_u16_sdwa s[8:9], v3, v6 src0_sel:BYTE_0 src1_sel:DWORD
	s_andn2_b64 s[4:5], s[4:5], exec
	s_and_b64 s[8:9], s[8:9], exec
	s_or_b64 s[4:5], s[4:5], s[8:9]
	s_or_b64 exec, exec, s[6:7]
	s_and_saveexec_b64 s[6:7], s[4:5]
	s_cbranch_execnz .LBB11_1959
	s_branch .LBB11_1960
.LBB11_4009:
	s_movk_i32 s4, 0x80
	v_cmp_eq_u16_sdwa s[12:13], v6, s4 src0_sel:BYTE_0 src1_sel:DWORD
	s_mov_b64 s[4:5], -1
                                        ; implicit-def: $sgpr10
	s_and_saveexec_b64 s[8:9], s[12:13]
; %bb.4010:
	s_mov_b32 s10, 0x7f800001
	s_xor_b64 s[4:5], exec, -1
; %bb.4011:
	s_or_b64 exec, exec, s[8:9]
	s_and_b64 s[4:5], s[4:5], exec
	s_or_saveexec_b64 s[6:7], s[6:7]
	v_mov_b32_e32 v2, s10
	s_xor_b64 exec, exec, s[6:7]
	s_cbranch_execz .LBB11_1962
.LBB11_4012:
	v_mov_b32_e32 v2, 0
	v_cmp_ne_u16_sdwa s[8:9], v6, v2 src0_sel:BYTE_0 src1_sel:DWORD
	s_andn2_b64 s[4:5], s[4:5], exec
	s_and_b64 s[8:9], s[8:9], exec
	s_or_b64 s[4:5], s[4:5], s[8:9]
	s_or_b64 exec, exec, s[6:7]
	s_and_saveexec_b64 s[6:7], s[4:5]
	s_cbranch_execnz .LBB11_1963
	s_branch .LBB11_1964
.LBB11_4013:
	s_movk_i32 s4, 0x80
	v_cmp_eq_u16_sdwa s[12:13], v6, s4 src0_sel:BYTE_0 src1_sel:DWORD
	s_mov_b64 s[4:5], -1
                                        ; implicit-def: $sgpr10
	s_and_saveexec_b64 s[8:9], s[12:13]
; %bb.4014:
	s_mov_b32 s10, 0x7f800001
	s_xor_b64 s[4:5], exec, -1
; %bb.4015:
	s_or_b64 exec, exec, s[8:9]
	s_and_b64 s[4:5], s[4:5], exec
	s_or_saveexec_b64 s[6:7], s[6:7]
	v_mov_b32_e32 v10, s10
	s_xor_b64 exec, exec, s[6:7]
	s_cbranch_execz .LBB11_1966
.LBB11_4016:
	v_mov_b32_e32 v10, 0
	v_cmp_ne_u16_sdwa s[8:9], v6, v10 src0_sel:BYTE_0 src1_sel:DWORD
	s_andn2_b64 s[4:5], s[4:5], exec
	s_and_b64 s[8:9], s[8:9], exec
	s_or_b64 s[4:5], s[4:5], s[8:9]
	s_or_b64 exec, exec, s[6:7]
	s_and_saveexec_b64 s[6:7], s[4:5]
	s_cbranch_execnz .LBB11_1967
	s_branch .LBB11_1968
.LBB11_4017:
	s_movk_i32 s4, 0x80
	v_cmp_eq_u16_e32 vcc, s4, v6
	s_mov_b64 s[4:5], -1
                                        ; implicit-def: $sgpr10
	s_and_saveexec_b64 s[8:9], vcc
; %bb.4018:
	s_mov_b32 s10, 0x7f800001
	s_xor_b64 s[4:5], exec, -1
; %bb.4019:
	s_or_b64 exec, exec, s[8:9]
	s_and_b64 s[4:5], s[4:5], exec
                                        ; implicit-def: $vgpr6
	s_or_saveexec_b64 s[6:7], s[6:7]
	v_mov_b32_e32 v2, s10
	s_xor_b64 exec, exec, s[6:7]
	s_cbranch_execz .LBB11_1970
.LBB11_4020:
	v_cmp_ne_u16_e32 vcc, 0, v6
	s_andn2_b64 s[4:5], s[4:5], exec
	s_and_b64 s[8:9], vcc, exec
	v_mov_b32_e32 v2, 0
	s_or_b64 s[4:5], s[4:5], s[8:9]
	s_or_b64 exec, exec, s[6:7]
	s_and_saveexec_b64 s[6:7], s[4:5]
	s_cbranch_execnz .LBB11_1971
	s_branch .LBB11_1972
.LBB11_4021:
	s_movk_i32 s4, 0x80
	v_cmp_eq_u16_e32 vcc, s4, v6
	s_mov_b64 s[4:5], -1
                                        ; implicit-def: $sgpr10
	s_and_saveexec_b64 s[8:9], vcc
; %bb.4022:
	s_mov_b32 s10, 0x7f800001
	s_xor_b64 s[4:5], exec, -1
; %bb.4023:
	s_or_b64 exec, exec, s[8:9]
	s_and_b64 s[4:5], s[4:5], exec
                                        ; implicit-def: $vgpr6
	s_or_saveexec_b64 s[6:7], s[6:7]
	v_mov_b32_e32 v10, s10
	s_xor_b64 exec, exec, s[6:7]
	s_cbranch_execz .LBB11_1974
.LBB11_4024:
	v_cmp_ne_u16_e32 vcc, 0, v6
	s_andn2_b64 s[4:5], s[4:5], exec
	s_and_b64 s[8:9], vcc, exec
	v_mov_b32_e32 v10, 0
	s_or_b64 s[4:5], s[4:5], s[8:9]
	s_or_b64 exec, exec, s[6:7]
	s_and_saveexec_b64 s[6:7], s[4:5]
	s_cbranch_execnz .LBB11_1975
	s_branch .LBB11_1976
.LBB11_4025:
	s_movk_i32 s4, 0x80
	v_cmp_eq_u16_sdwa s[12:13], v7, s4 src0_sel:BYTE_3 src1_sel:DWORD
	s_mov_b64 s[4:5], -1
                                        ; implicit-def: $sgpr10
	s_and_saveexec_b64 s[8:9], s[12:13]
; %bb.4026:
	s_mov_b32 s10, 0x7f800001
	s_xor_b64 s[4:5], exec, -1
; %bb.4027:
	s_or_b64 exec, exec, s[8:9]
	s_and_b64 s[4:5], s[4:5], exec
	s_or_saveexec_b64 s[6:7], s[6:7]
	v_mov_b32_e32 v2, s10
	s_xor_b64 exec, exec, s[6:7]
	s_cbranch_execz .LBB11_1978
.LBB11_4028:
	v_mov_b32_e32 v2, 0
	v_cmp_ne_u16_sdwa s[8:9], v7, v2 src0_sel:BYTE_3 src1_sel:DWORD
	s_andn2_b64 s[4:5], s[4:5], exec
	s_and_b64 s[8:9], s[8:9], exec
	s_or_b64 s[4:5], s[4:5], s[8:9]
	s_or_b64 exec, exec, s[6:7]
	s_and_saveexec_b64 s[6:7], s[4:5]
	s_cbranch_execnz .LBB11_1979
	s_branch .LBB11_1980
.LBB11_4029:
	s_movk_i32 s4, 0x80
	v_cmp_eq_u16_sdwa s[12:13], v3, s4 src0_sel:BYTE_3 src1_sel:DWORD
	s_mov_b64 s[4:5], -1
                                        ; implicit-def: $sgpr10
	s_and_saveexec_b64 s[8:9], s[12:13]
; %bb.4030:
	s_mov_b32 s10, 0x7f800001
	s_xor_b64 s[4:5], exec, -1
; %bb.4031:
	s_or_b64 exec, exec, s[8:9]
	s_and_b64 s[4:5], s[4:5], exec
	s_or_saveexec_b64 s[6:7], s[6:7]
	v_mov_b32_e32 v6, s10
	s_xor_b64 exec, exec, s[6:7]
	s_cbranch_execz .LBB11_1982
.LBB11_4032:
	v_mov_b32_e32 v6, 0
	v_cmp_ne_u16_sdwa s[8:9], v3, v6 src0_sel:BYTE_3 src1_sel:DWORD
	s_andn2_b64 s[4:5], s[4:5], exec
	s_and_b64 s[8:9], s[8:9], exec
	s_or_b64 s[4:5], s[4:5], s[8:9]
	s_or_b64 exec, exec, s[6:7]
	s_and_saveexec_b64 s[6:7], s[4:5]
	s_cbranch_execnz .LBB11_1983
	s_branch .LBB11_1984
.LBB11_4033:
	s_movk_i32 s4, 0x80
	v_cmp_eq_u16_sdwa s[12:13], v8, s4 src0_sel:BYTE_0 src1_sel:DWORD
	s_mov_b64 s[4:5], -1
                                        ; implicit-def: $sgpr10
	s_and_saveexec_b64 s[8:9], s[12:13]
; %bb.4034:
	s_mov_b32 s10, 0x7f800001
	s_xor_b64 s[4:5], exec, -1
; %bb.4035:
	s_or_b64 exec, exec, s[8:9]
	s_and_b64 s[4:5], s[4:5], exec
	s_or_saveexec_b64 s[6:7], s[6:7]
	v_mov_b32_e32 v2, s10
	s_xor_b64 exec, exec, s[6:7]
	s_cbranch_execz .LBB11_1986
.LBB11_4036:
	v_mov_b32_e32 v2, 0
	v_cmp_ne_u16_sdwa s[8:9], v8, v2 src0_sel:BYTE_0 src1_sel:DWORD
	s_andn2_b64 s[4:5], s[4:5], exec
	s_and_b64 s[8:9], s[8:9], exec
	s_or_b64 s[4:5], s[4:5], s[8:9]
	s_or_b64 exec, exec, s[6:7]
	s_and_saveexec_b64 s[6:7], s[4:5]
	s_cbranch_execnz .LBB11_1987
	s_branch .LBB11_1988
.LBB11_4037:
	s_movk_i32 s4, 0x80
	v_cmp_eq_u16_sdwa s[12:13], v4, s4 src0_sel:BYTE_0 src1_sel:DWORD
	s_mov_b64 s[4:5], -1
                                        ; implicit-def: $sgpr10
	s_and_saveexec_b64 s[8:9], s[12:13]
; %bb.4038:
	s_mov_b32 s10, 0x7f800001
	s_xor_b64 s[4:5], exec, -1
; %bb.4039:
	s_or_b64 exec, exec, s[8:9]
	s_and_b64 s[4:5], s[4:5], exec
	s_or_saveexec_b64 s[6:7], s[6:7]
	v_mov_b32_e32 v3, s10
	s_xor_b64 exec, exec, s[6:7]
	s_cbranch_execz .LBB11_1990
.LBB11_4040:
	v_mov_b32_e32 v3, 0
	v_cmp_ne_u16_sdwa s[8:9], v4, v3 src0_sel:BYTE_0 src1_sel:DWORD
	s_andn2_b64 s[4:5], s[4:5], exec
	s_and_b64 s[8:9], s[8:9], exec
	s_or_b64 s[4:5], s[4:5], s[8:9]
	s_or_b64 exec, exec, s[6:7]
	s_and_saveexec_b64 s[6:7], s[4:5]
	s_cbranch_execnz .LBB11_1991
	s_branch .LBB11_1992
.LBB11_4041:
	s_movk_i32 s4, 0x80
	v_cmp_eq_u16_sdwa s[12:13], v3, s4 src0_sel:BYTE_0 src1_sel:DWORD
	s_mov_b64 s[4:5], -1
                                        ; implicit-def: $sgpr10
	s_and_saveexec_b64 s[8:9], s[12:13]
; %bb.4042:
	s_mov_b32 s10, 0x7f800001
	s_xor_b64 s[4:5], exec, -1
; %bb.4043:
	s_or_b64 exec, exec, s[8:9]
	s_and_b64 s[4:5], s[4:5], exec
	s_or_saveexec_b64 s[6:7], s[6:7]
	v_mov_b32_e32 v2, s10
	s_xor_b64 exec, exec, s[6:7]
	s_cbranch_execz .LBB11_1994
.LBB11_4044:
	v_mov_b32_e32 v2, 0
	v_cmp_ne_u16_sdwa s[8:9], v3, v2 src0_sel:BYTE_0 src1_sel:DWORD
	s_andn2_b64 s[4:5], s[4:5], exec
	s_and_b64 s[8:9], s[8:9], exec
	s_or_b64 s[4:5], s[4:5], s[8:9]
	s_or_b64 exec, exec, s[6:7]
	s_and_saveexec_b64 s[6:7], s[4:5]
	s_cbranch_execnz .LBB11_1995
	s_branch .LBB11_1996
.LBB11_4045:
	s_movk_i32 s4, 0x80
	v_cmp_eq_u16_sdwa s[12:13], v3, s4 src0_sel:BYTE_0 src1_sel:DWORD
	s_mov_b64 s[4:5], -1
                                        ; implicit-def: $sgpr10
	s_and_saveexec_b64 s[8:9], s[12:13]
; %bb.4046:
	s_mov_b32 s10, 0x7f800001
	s_xor_b64 s[4:5], exec, -1
; %bb.4047:
	s_or_b64 exec, exec, s[8:9]
	s_and_b64 s[4:5], s[4:5], exec
	s_or_saveexec_b64 s[6:7], s[6:7]
	v_mov_b32_e32 v6, s10
	s_xor_b64 exec, exec, s[6:7]
	s_cbranch_execz .LBB11_1998
.LBB11_4048:
	v_mov_b32_e32 v6, 0
	v_cmp_ne_u16_sdwa s[8:9], v3, v6 src0_sel:BYTE_0 src1_sel:DWORD
	s_andn2_b64 s[4:5], s[4:5], exec
	s_and_b64 s[8:9], s[8:9], exec
	s_or_b64 s[4:5], s[4:5], s[8:9]
	s_or_b64 exec, exec, s[6:7]
	s_and_saveexec_b64 s[6:7], s[4:5]
	s_cbranch_execnz .LBB11_1999
	s_branch .LBB11_2000
.LBB11_4049:
	s_movk_i32 s4, 0x80
	v_cmp_eq_u16_e32 vcc, s4, v3
	s_mov_b64 s[4:5], -1
                                        ; implicit-def: $sgpr10
	s_and_saveexec_b64 s[8:9], vcc
; %bb.4050:
	s_mov_b32 s10, 0x7f800001
	s_xor_b64 s[4:5], exec, -1
; %bb.4051:
	s_or_b64 exec, exec, s[8:9]
	s_and_b64 s[4:5], s[4:5], exec
                                        ; implicit-def: $vgpr3
	s_or_saveexec_b64 s[6:7], s[6:7]
	v_mov_b32_e32 v2, s10
	s_xor_b64 exec, exec, s[6:7]
	s_cbranch_execz .LBB11_2002
.LBB11_4052:
	v_cmp_ne_u16_e32 vcc, 0, v3
	s_andn2_b64 s[4:5], s[4:5], exec
	s_and_b64 s[8:9], vcc, exec
	v_mov_b32_e32 v2, 0
	s_or_b64 s[4:5], s[4:5], s[8:9]
	s_or_b64 exec, exec, s[6:7]
	s_and_saveexec_b64 s[6:7], s[4:5]
	s_cbranch_execnz .LBB11_2003
	s_branch .LBB11_2004
.LBB11_4053:
	s_movk_i32 s4, 0x80
	v_cmp_eq_u16_e32 vcc, s4, v3
	s_mov_b64 s[4:5], -1
                                        ; implicit-def: $sgpr10
	s_and_saveexec_b64 s[8:9], vcc
; %bb.4054:
	s_mov_b32 s10, 0x7f800001
	s_xor_b64 s[4:5], exec, -1
; %bb.4055:
	s_or_b64 exec, exec, s[8:9]
	s_and_b64 s[4:5], s[4:5], exec
                                        ; implicit-def: $vgpr3
	s_or_saveexec_b64 s[6:7], s[6:7]
	v_mov_b32_e32 v6, s10
	s_xor_b64 exec, exec, s[6:7]
	s_cbranch_execz .LBB11_2006
.LBB11_4056:
	v_cmp_ne_u16_e32 vcc, 0, v3
	s_andn2_b64 s[4:5], s[4:5], exec
	s_and_b64 s[8:9], vcc, exec
	v_mov_b32_e32 v6, 0
	s_or_b64 s[4:5], s[4:5], s[8:9]
	s_or_b64 exec, exec, s[6:7]
	s_and_saveexec_b64 s[6:7], s[4:5]
	s_cbranch_execnz .LBB11_2007
	s_branch .LBB11_2008
.LBB11_4057:
	s_movk_i32 s4, 0x80
	v_cmp_eq_u16_sdwa s[12:13], v8, s4 src0_sel:BYTE_3 src1_sel:DWORD
	s_mov_b64 s[4:5], -1
                                        ; implicit-def: $sgpr10
	s_and_saveexec_b64 s[8:9], s[12:13]
; %bb.4058:
	s_mov_b32 s10, 0x7f800001
	s_xor_b64 s[4:5], exec, -1
; %bb.4059:
	s_or_b64 exec, exec, s[8:9]
	s_and_b64 s[4:5], s[4:5], exec
	s_or_saveexec_b64 s[6:7], s[6:7]
	v_mov_b32_e32 v2, s10
	s_xor_b64 exec, exec, s[6:7]
	s_cbranch_execz .LBB11_2010
.LBB11_4060:
	v_mov_b32_e32 v2, 0
	v_cmp_ne_u16_sdwa s[8:9], v8, v2 src0_sel:BYTE_3 src1_sel:DWORD
	s_andn2_b64 s[4:5], s[4:5], exec
	s_and_b64 s[8:9], s[8:9], exec
	s_or_b64 s[4:5], s[4:5], s[8:9]
	s_or_b64 exec, exec, s[6:7]
	s_and_saveexec_b64 s[6:7], s[4:5]
	s_cbranch_execnz .LBB11_2011
	s_branch .LBB11_2012
.LBB11_4061:
	s_movk_i32 s4, 0x80
	v_cmp_eq_u16_sdwa s[12:13], v4, s4 src0_sel:BYTE_3 src1_sel:DWORD
	s_mov_b64 s[4:5], -1
                                        ; implicit-def: $sgpr10
	s_and_saveexec_b64 s[8:9], s[12:13]
; %bb.4062:
	s_mov_b32 s10, 0x7f800001
	s_xor_b64 s[4:5], exec, -1
; %bb.4063:
	s_or_b64 exec, exec, s[8:9]
	s_and_b64 s[4:5], s[4:5], exec
	s_or_saveexec_b64 s[6:7], s[6:7]
	v_mov_b32_e32 v3, s10
	s_xor_b64 exec, exec, s[6:7]
	s_cbranch_execz .LBB11_2014
.LBB11_4064:
	v_mov_b32_e32 v3, 0
	v_cmp_ne_u16_sdwa s[8:9], v4, v3 src0_sel:BYTE_3 src1_sel:DWORD
	s_andn2_b64 s[4:5], s[4:5], exec
	s_and_b64 s[8:9], s[8:9], exec
	s_or_b64 s[4:5], s[4:5], s[8:9]
	s_or_b64 exec, exec, s[6:7]
	s_and_saveexec_b64 s[6:7], s[4:5]
	s_cbranch_execnz .LBB11_2015
	s_branch .LBB11_2016
.LBB11_4065:
	s_movk_i32 s4, 0x80
	v_cmp_eq_u16_sdwa s[12:13], v9, s4 src0_sel:BYTE_0 src1_sel:DWORD
	s_mov_b64 s[4:5], -1
                                        ; implicit-def: $sgpr10
	s_and_saveexec_b64 s[8:9], s[12:13]
; %bb.4066:
	s_mov_b32 s10, 0x7f800001
	s_xor_b64 s[4:5], exec, -1
; %bb.4067:
	s_or_b64 exec, exec, s[8:9]
	s_and_b64 s[4:5], s[4:5], exec
	s_or_saveexec_b64 s[6:7], s[6:7]
	v_mov_b32_e32 v2, s10
	s_xor_b64 exec, exec, s[6:7]
	s_cbranch_execz .LBB11_2018
.LBB11_4068:
	v_mov_b32_e32 v2, 0
	v_cmp_ne_u16_sdwa s[8:9], v9, v2 src0_sel:BYTE_0 src1_sel:DWORD
	s_andn2_b64 s[4:5], s[4:5], exec
	s_and_b64 s[8:9], s[8:9], exec
	s_or_b64 s[4:5], s[4:5], s[8:9]
	s_or_b64 exec, exec, s[6:7]
	s_and_saveexec_b64 s[6:7], s[4:5]
	s_cbranch_execnz .LBB11_2019
	s_branch .LBB11_2020
.LBB11_4069:
	s_movk_i32 s4, 0x80
	v_cmp_eq_u16_sdwa s[12:13], v5, s4 src0_sel:BYTE_0 src1_sel:DWORD
	s_mov_b64 s[4:5], -1
                                        ; implicit-def: $sgpr10
	s_and_saveexec_b64 s[8:9], s[12:13]
; %bb.4070:
	s_mov_b32 s10, 0x7f800001
	s_xor_b64 s[4:5], exec, -1
; %bb.4071:
	s_or_b64 exec, exec, s[8:9]
	s_and_b64 s[4:5], s[4:5], exec
	s_or_saveexec_b64 s[6:7], s[6:7]
	v_mov_b32_e32 v3, s10
	s_xor_b64 exec, exec, s[6:7]
	s_cbranch_execz .LBB11_2022
.LBB11_4072:
	v_mov_b32_e32 v3, 0
	v_cmp_ne_u16_sdwa s[8:9], v5, v3 src0_sel:BYTE_0 src1_sel:DWORD
	s_andn2_b64 s[4:5], s[4:5], exec
	s_and_b64 s[8:9], s[8:9], exec
	s_or_b64 s[4:5], s[4:5], s[8:9]
	s_or_b64 exec, exec, s[6:7]
	s_and_saveexec_b64 s[6:7], s[4:5]
	s_cbranch_execnz .LBB11_2023
	s_branch .LBB11_2024
.LBB11_4073:
	s_movk_i32 s4, 0x80
	v_cmp_eq_u16_sdwa s[12:13], v3, s4 src0_sel:BYTE_0 src1_sel:DWORD
	s_mov_b64 s[4:5], -1
                                        ; implicit-def: $sgpr10
	s_and_saveexec_b64 s[8:9], s[12:13]
; %bb.4074:
	s_mov_b32 s10, 0x7f800001
	s_xor_b64 s[4:5], exec, -1
; %bb.4075:
	s_or_b64 exec, exec, s[8:9]
	s_and_b64 s[4:5], s[4:5], exec
	s_or_saveexec_b64 s[6:7], s[6:7]
	v_mov_b32_e32 v2, s10
	s_xor_b64 exec, exec, s[6:7]
	s_cbranch_execz .LBB11_2026
.LBB11_4076:
	v_mov_b32_e32 v2, 0
	v_cmp_ne_u16_sdwa s[8:9], v3, v2 src0_sel:BYTE_0 src1_sel:DWORD
	s_andn2_b64 s[4:5], s[4:5], exec
	s_and_b64 s[8:9], s[8:9], exec
	s_or_b64 s[4:5], s[4:5], s[8:9]
	s_or_b64 exec, exec, s[6:7]
	s_and_saveexec_b64 s[6:7], s[4:5]
	s_cbranch_execnz .LBB11_2027
	s_branch .LBB11_2028
.LBB11_4077:
	s_movk_i32 s4, 0x80
	v_cmp_eq_u16_sdwa s[12:13], v3, s4 src0_sel:BYTE_0 src1_sel:DWORD
	s_mov_b64 s[4:5], -1
                                        ; implicit-def: $sgpr10
	s_and_saveexec_b64 s[8:9], s[12:13]
; %bb.4078:
	s_mov_b32 s10, 0x7f800001
	s_xor_b64 s[4:5], exec, -1
; %bb.4079:
	s_or_b64 exec, exec, s[8:9]
	s_and_b64 s[4:5], s[4:5], exec
	s_or_saveexec_b64 s[6:7], s[6:7]
	v_mov_b32_e32 v4, s10
	s_xor_b64 exec, exec, s[6:7]
	s_cbranch_execz .LBB11_2030
.LBB11_4080:
	v_mov_b32_e32 v4, 0
	v_cmp_ne_u16_sdwa s[8:9], v3, v4 src0_sel:BYTE_0 src1_sel:DWORD
	s_andn2_b64 s[4:5], s[4:5], exec
	s_and_b64 s[8:9], s[8:9], exec
	s_or_b64 s[4:5], s[4:5], s[8:9]
	s_or_b64 exec, exec, s[6:7]
	s_and_saveexec_b64 s[6:7], s[4:5]
	s_cbranch_execnz .LBB11_2031
	s_branch .LBB11_2032
.LBB11_4081:
	s_movk_i32 s4, 0x80
	v_cmp_eq_u16_e32 vcc, s4, v3
	s_mov_b64 s[4:5], -1
                                        ; implicit-def: $sgpr10
	s_and_saveexec_b64 s[8:9], vcc
; %bb.4082:
	s_mov_b32 s10, 0x7f800001
	s_xor_b64 s[4:5], exec, -1
; %bb.4083:
	s_or_b64 exec, exec, s[8:9]
	s_and_b64 s[4:5], s[4:5], exec
                                        ; implicit-def: $vgpr3
	s_or_saveexec_b64 s[6:7], s[6:7]
	v_mov_b32_e32 v2, s10
	s_xor_b64 exec, exec, s[6:7]
	s_cbranch_execz .LBB11_2034
.LBB11_4084:
	v_cmp_ne_u16_e32 vcc, 0, v3
	s_andn2_b64 s[4:5], s[4:5], exec
	s_and_b64 s[8:9], vcc, exec
	v_mov_b32_e32 v2, 0
	s_or_b64 s[4:5], s[4:5], s[8:9]
	s_or_b64 exec, exec, s[6:7]
	s_and_saveexec_b64 s[6:7], s[4:5]
	s_cbranch_execnz .LBB11_2035
	s_branch .LBB11_2036
.LBB11_4085:
	s_movk_i32 s4, 0x80
	v_cmp_eq_u16_e32 vcc, s4, v3
	s_mov_b64 s[4:5], -1
                                        ; implicit-def: $sgpr10
	s_and_saveexec_b64 s[8:9], vcc
; %bb.4086:
	s_mov_b32 s10, 0x7f800001
	s_xor_b64 s[4:5], exec, -1
; %bb.4087:
	s_or_b64 exec, exec, s[8:9]
	s_and_b64 s[4:5], s[4:5], exec
                                        ; implicit-def: $vgpr3
	s_or_saveexec_b64 s[6:7], s[6:7]
	v_mov_b32_e32 v4, s10
	s_xor_b64 exec, exec, s[6:7]
	s_cbranch_execz .LBB11_2038
.LBB11_4088:
	v_cmp_ne_u16_e32 vcc, 0, v3
	s_andn2_b64 s[4:5], s[4:5], exec
	s_and_b64 s[8:9], vcc, exec
	v_mov_b32_e32 v4, 0
	s_or_b64 s[4:5], s[4:5], s[8:9]
	s_or_b64 exec, exec, s[6:7]
	s_and_saveexec_b64 s[6:7], s[4:5]
	s_cbranch_execnz .LBB11_2039
	s_branch .LBB11_2040
.LBB11_4089:
	s_movk_i32 s4, 0x80
	v_cmp_eq_u16_sdwa s[12:13], v9, s4 src0_sel:BYTE_3 src1_sel:DWORD
	s_mov_b64 s[4:5], -1
                                        ; implicit-def: $sgpr10
	s_and_saveexec_b64 s[8:9], s[12:13]
; %bb.4090:
	s_mov_b32 s10, 0x7f800001
	s_xor_b64 s[4:5], exec, -1
; %bb.4091:
	s_or_b64 exec, exec, s[8:9]
	s_and_b64 s[4:5], s[4:5], exec
	s_or_saveexec_b64 s[6:7], s[6:7]
	v_mov_b32_e32 v2, s10
	s_xor_b64 exec, exec, s[6:7]
	s_cbranch_execz .LBB11_2042
.LBB11_4092:
	v_mov_b32_e32 v2, 0
	v_cmp_ne_u16_sdwa s[8:9], v9, v2 src0_sel:BYTE_3 src1_sel:DWORD
	s_andn2_b64 s[4:5], s[4:5], exec
	s_and_b64 s[8:9], s[8:9], exec
	s_or_b64 s[4:5], s[4:5], s[8:9]
	s_or_b64 exec, exec, s[6:7]
	s_and_saveexec_b64 s[6:7], s[4:5]
	s_cbranch_execnz .LBB11_2043
	s_branch .LBB11_2044
.LBB11_4093:
	s_movk_i32 s4, 0x80
	v_cmp_eq_u16_sdwa s[12:13], v5, s4 src0_sel:BYTE_3 src1_sel:DWORD
	s_mov_b64 s[4:5], -1
                                        ; implicit-def: $sgpr10
	s_and_saveexec_b64 s[8:9], s[12:13]
; %bb.4094:
	s_mov_b32 s10, 0x7f800001
	s_xor_b64 s[4:5], exec, -1
; %bb.4095:
	s_or_b64 exec, exec, s[8:9]
	s_and_b64 s[4:5], s[4:5], exec
	s_or_saveexec_b64 s[6:7], s[6:7]
	v_mov_b32_e32 v3, s10
	s_xor_b64 exec, exec, s[6:7]
	s_cbranch_execz .LBB11_2046
.LBB11_4096:
	v_mov_b32_e32 v3, 0
	v_cmp_ne_u16_sdwa s[8:9], v5, v3 src0_sel:BYTE_3 src1_sel:DWORD
	s_andn2_b64 s[4:5], s[4:5], exec
	s_and_b64 s[8:9], s[8:9], exec
	s_or_b64 s[4:5], s[4:5], s[8:9]
	s_or_b64 exec, exec, s[6:7]
	s_and_saveexec_b64 s[6:7], s[4:5]
	s_cbranch_execnz .LBB11_2047
	s_branch .LBB11_2048
.Lfunc_end11:
	.size	_ZNK2ck6detail7applierIiJLi0ELi1ELi2ELi3ELi4ELi5ELi6ELi7ELi8ELi9ELi10ELi11ELi12ELi13ELi14ELi15EEEclIZNKS_11static_fordINS_8SequenceIJLi4ELi4EEEENS5_IJLi0ELi1EEEEEclIZZZZNKS_31BlockwiseGemmXdlops_pipeline_v2ILNS_26BlockGemmPipelineSchedulerE1ELi256ENS_9f8_fnuz_tENS_7pk_i4_tESC_fNS_16TensorDescriptorINS_5TupleIJNS_5EmbedINSF_IJNS_17integral_constantIiLi8EEENSH_IiLi128EEENSH_IiLi16EEEEEENSF_IJSK_SJ_NSH_IiLi1EEEEEELb0EEENS_3XorINSF_IJSJ_SI_EEELb1EEENS_11PassThroughISK_EENS_7UnMergeINSF_IJSI_SM_EEELb0EEENSS_ISJ_EEST_NSS_ISI_EENS_21Merge_v3_division_modINSF_IJSJ_SM_EEEEEST_EEENSF_IJNS5_IJLi0EEEENS5_IJLi2ELi1EEEENS5_IJLi3EEEENS5_IJLi5EEEENS5_IJLi4EEEENS5_IJLi6EEEENS5_IJLi7EEEENS5_IJLi9ELi8EEEENS5_IJLi10EEEEEEENSF_IJNS5_IJLi1ELi2ELi3EEEENS5_IJLi4ELi5EEEES18_NS5_IJLi7ELi8EEEENS5_IJLi9EEEES1B_NS5_IJLi11EEEENS5_IJLi12EEEENS5_IJLi13EEEEEEENS5_IJLi11ELi12ELi13EEEENSH_IlLl16384EEEEENSE_INSF_IJNSG_INSF_IJSK_NSH_IiLi64EEESK_EEENSF_IJSK_NSH_IiLi256EEESM_EEELb0EEENSP_INSF_IJS1O_SK_EEELb1EEEST_NSU_INSF_IJSI_NSH_IiLi2EEEEEELb0EEENSS_IS1O_EEST_SY_NSZ_INSF_IJS1O_S1V_EEEEEST_EEES1C_S1K_S1L_S1M_EENSE_INSF_IJSO_SR_ST_SW_SX_ST_SY_S11_ST_NSZ_INSF_IJSI_SK_EEEEENSU_INSF_IJNSH_IiLi4EEES1V_SK_EEELb0EEEEEENSF_IJS13_S14_S15_S16_S17_S18_S19_S1A_S1B_NS5_IJLi11ELi13EEEES1I_EEENSF_IJS1D_S1E_S18_S1F_S1G_S1B_S1H_S1I_S1J_NS5_IJLi14EEEENS5_IJLi15ELi16ELi17EEEEEEENS5_IJLi15ELi16ELi17ELi14EEEES1M_EENSE_INSF_IJS1S_S1U_ST_S1X_S1Y_ST_SY_S20_ST_S24_S27_EEES2A_S2D_S2E_S1M_EELi16ELi16ELi128ELi128ELi128ELi16ELi16ELi4ELi4ELi16ELb0EE3RunILb1ELNS_10TailNumberE10ENSE_INSF_IJNSG_INSF_IJiiEEENSF_IJiSM_EEELb0EEENSU_IS2L_Lb0EEENSS_IiEEEEENSF_IJS13_NS5_IJLi2EEEENS5_IJLi1EEEEEEENSF_IJNS5_IJLi1ELi2EEEENS5_IJLi3ELi4EEEES16_EEENS5_IJLi3ELi5ELi4EEEElEES1N_NS_35ThreadGroupTensorSliceTransfer_v4r1INS_15ThisThreadBlockILi256EEENS_16tensor_operation12element_wise11PassThroughES34_LNS_25InMemoryDataOperationEnumE0ENS5_IJLi8ELi128ELi16EEEENS5_IJLi8ELi32ELi1EEEENS5_IJLi1ELi0ELi2EEEESC_SC_RKS2Y_KS1N_S38_NS5_IJLi0ELi1ELi2EEEELi2ELi2ELi16ELi16ELi1ELi1ELb0ELb1ELi2EiEENS_13DynamicBufferILNS_16AddressSpaceEnumE1EKSC_lLb1ELNS_22AmdBufferCoherenceEnumE0EiEENS3E_ILS3F_2ESC_S1M_Lb1ELS3H_0EiEENSF_IJiiiEEENSE_INSF_IJNSU_INSF_IJiiiiEEELb0EEENS_23Merge_v2_magic_divisionIS2L_EENSS_INSF_IJiEEEEES2P_EEENSF_IJS13_NS5_IJLi1ELi3EEEES2R_S17_EEENSF_IJNS5_IJLi1ELi2ELi3ELi4EEEES16_S18_S19_EEENS5_IJLi5ELi6ELi7EEEElEES22_NS2Z_IS31_S34_S34_LS35_0ES36_NS5_IJLi4ELi64ELi1EEEES38_SD_SD_RKS3X_KS22_S38_S3C_Li2ELi2ELi16ELi16ELi1ELi1ELb0ELb1ELi2EiEENS3E_ILS3F_1EKSD_lLb1ELS3H_0EiEENS3E_ILS3F_2ESD_S1M_Lb1ELS3H_0EiEES3K_NS_25StaticBufferTupleOfVectorILS3F_4EfLi16ELi4ELb1ELb0EEEEEvRKT1_RKT2_RT3_RKT4_RT5_RKT6_RKT7_RKT8_RT9_RKT10_RT11_RKT12_RT13_iENKUlT_E0_clISM_EEDaS56_ENKUlS56_E_clINSH_IiLi0EEEEEDaS56_ENKUlS56_E1_clISK_EEDaS56_EUlS56_E_EEvS56_EUlS56_E_EEvS56_, .Lfunc_end11-_ZNK2ck6detail7applierIiJLi0ELi1ELi2ELi3ELi4ELi5ELi6ELi7ELi8ELi9ELi10ELi11ELi12ELi13ELi14ELi15EEEclIZNKS_11static_fordINS_8SequenceIJLi4ELi4EEEENS5_IJLi0ELi1EEEEEclIZZZZNKS_31BlockwiseGemmXdlops_pipeline_v2ILNS_26BlockGemmPipelineSchedulerE1ELi256ENS_9f8_fnuz_tENS_7pk_i4_tESC_fNS_16TensorDescriptorINS_5TupleIJNS_5EmbedINSF_IJNS_17integral_constantIiLi8EEENSH_IiLi128EEENSH_IiLi16EEEEEENSF_IJSK_SJ_NSH_IiLi1EEEEEELb0EEENS_3XorINSF_IJSJ_SI_EEELb1EEENS_11PassThroughISK_EENS_7UnMergeINSF_IJSI_SM_EEELb0EEENSS_ISJ_EEST_NSS_ISI_EENS_21Merge_v3_division_modINSF_IJSJ_SM_EEEEEST_EEENSF_IJNS5_IJLi0EEEENS5_IJLi2ELi1EEEENS5_IJLi3EEEENS5_IJLi5EEEENS5_IJLi4EEEENS5_IJLi6EEEENS5_IJLi7EEEENS5_IJLi9ELi8EEEENS5_IJLi10EEEEEEENSF_IJNS5_IJLi1ELi2ELi3EEEENS5_IJLi4ELi5EEEES18_NS5_IJLi7ELi8EEEENS5_IJLi9EEEES1B_NS5_IJLi11EEEENS5_IJLi12EEEENS5_IJLi13EEEEEEENS5_IJLi11ELi12ELi13EEEENSH_IlLl16384EEEEENSE_INSF_IJNSG_INSF_IJSK_NSH_IiLi64EEESK_EEENSF_IJSK_NSH_IiLi256EEESM_EEELb0EEENSP_INSF_IJS1O_SK_EEELb1EEEST_NSU_INSF_IJSI_NSH_IiLi2EEEEEELb0EEENSS_IS1O_EEST_SY_NSZ_INSF_IJS1O_S1V_EEEEEST_EEES1C_S1K_S1L_S1M_EENSE_INSF_IJSO_SR_ST_SW_SX_ST_SY_S11_ST_NSZ_INSF_IJSI_SK_EEEEENSU_INSF_IJNSH_IiLi4EEES1V_SK_EEELb0EEEEEENSF_IJS13_S14_S15_S16_S17_S18_S19_S1A_S1B_NS5_IJLi11ELi13EEEES1I_EEENSF_IJS1D_S1E_S18_S1F_S1G_S1B_S1H_S1I_S1J_NS5_IJLi14EEEENS5_IJLi15ELi16ELi17EEEEEEENS5_IJLi15ELi16ELi17ELi14EEEES1M_EENSE_INSF_IJS1S_S1U_ST_S1X_S1Y_ST_SY_S20_ST_S24_S27_EEES2A_S2D_S2E_S1M_EELi16ELi16ELi128ELi128ELi128ELi16ELi16ELi4ELi4ELi16ELb0EE3RunILb1ELNS_10TailNumberE10ENSE_INSF_IJNSG_INSF_IJiiEEENSF_IJiSM_EEELb0EEENSU_IS2L_Lb0EEENSS_IiEEEEENSF_IJS13_NS5_IJLi2EEEENS5_IJLi1EEEEEEENSF_IJNS5_IJLi1ELi2EEEENS5_IJLi3ELi4EEEES16_EEENS5_IJLi3ELi5ELi4EEEElEES1N_NS_35ThreadGroupTensorSliceTransfer_v4r1INS_15ThisThreadBlockILi256EEENS_16tensor_operation12element_wise11PassThroughES34_LNS_25InMemoryDataOperationEnumE0ENS5_IJLi8ELi128ELi16EEEENS5_IJLi8ELi32ELi1EEEENS5_IJLi1ELi0ELi2EEEESC_SC_RKS2Y_KS1N_S38_NS5_IJLi0ELi1ELi2EEEELi2ELi2ELi16ELi16ELi1ELi1ELb0ELb1ELi2EiEENS_13DynamicBufferILNS_16AddressSpaceEnumE1EKSC_lLb1ELNS_22AmdBufferCoherenceEnumE0EiEENS3E_ILS3F_2ESC_S1M_Lb1ELS3H_0EiEENSF_IJiiiEEENSE_INSF_IJNSU_INSF_IJiiiiEEELb0EEENS_23Merge_v2_magic_divisionIS2L_EENSS_INSF_IJiEEEEES2P_EEENSF_IJS13_NS5_IJLi1ELi3EEEES2R_S17_EEENSF_IJNS5_IJLi1ELi2ELi3ELi4EEEES16_S18_S19_EEENS5_IJLi5ELi6ELi7EEEElEES22_NS2Z_IS31_S34_S34_LS35_0ES36_NS5_IJLi4ELi64ELi1EEEES38_SD_SD_RKS3X_KS22_S38_S3C_Li2ELi2ELi16ELi16ELi1ELi1ELb0ELb1ELi2EiEENS3E_ILS3F_1EKSD_lLb1ELS3H_0EiEENS3E_ILS3F_2ESD_S1M_Lb1ELS3H_0EiEES3K_NS_25StaticBufferTupleOfVectorILS3F_4EfLi16ELi4ELb1ELb0EEEEEvRKT1_RKT2_RT3_RKT4_RT5_RKT6_RKT7_RKT8_RT9_RKT10_RT11_RKT12_RT13_iENKUlT_E0_clISM_EEDaS56_ENKUlS56_E_clINSH_IiLi0EEEEEDaS56_ENKUlS56_E1_clISK_EEDaS56_EUlS56_E_EEvS56_EUlS56_E_EEvS56_
                                        ; -- End function
	.section	.AMDGPU.csdata,"",@progbits
; Function info:
; codeLenInByte = 134352
; NumSgprs: 36
; NumVgprs: 18
; NumAgprs: 4
; TotalNumVgprs: 24
; ScratchSize: 0
; MemoryBound: 1
	.text
	.p2align	2                               ; -- Begin function _ZNK2ck6detail7applierIiJLi0ELi1ELi2ELi3ELi4ELi5ELi6ELi7ELi8ELi9ELi10ELi11ELi12ELi13ELi14ELi15EEEclIZNKS_11static_fordINS_8SequenceIJLi4ELi4EEEENS5_IJLi0ELi1EEEEEclIZZZZZNKS_31BlockwiseGemmXdlops_pipeline_v2ILNS_26BlockGemmPipelineSchedulerE1ELi256ENS_9f8_fnuz_tENS_7pk_i4_tESC_fNS_16TensorDescriptorINS_5TupleIJNS_5EmbedINSF_IJNS_17integral_constantIiLi8EEENSH_IiLi128EEENSH_IiLi16EEEEEENSF_IJSK_SJ_NSH_IiLi1EEEEEELb0EEENS_3XorINSF_IJSJ_SI_EEELb1EEENS_11PassThroughISK_EENS_7UnMergeINSF_IJSI_SM_EEELb0EEENSS_ISJ_EEST_NSS_ISI_EENS_21Merge_v3_division_modINSF_IJSJ_SM_EEEEEST_EEENSF_IJNS5_IJLi0EEEENS5_IJLi2ELi1EEEENS5_IJLi3EEEENS5_IJLi5EEEENS5_IJLi4EEEENS5_IJLi6EEEENS5_IJLi7EEEENS5_IJLi9ELi8EEEENS5_IJLi10EEEEEEENSF_IJNS5_IJLi1ELi2ELi3EEEENS5_IJLi4ELi5EEEES18_NS5_IJLi7ELi8EEEENS5_IJLi9EEEES1B_NS5_IJLi11EEEENS5_IJLi12EEEENS5_IJLi13EEEEEEENS5_IJLi11ELi12ELi13EEEENSH_IlLl16384EEEEENSE_INSF_IJNSG_INSF_IJSK_NSH_IiLi64EEESK_EEENSF_IJSK_NSH_IiLi256EEESM_EEELb0EEENSP_INSF_IJS1O_SK_EEELb1EEEST_NSU_INSF_IJSI_NSH_IiLi2EEEEEELb0EEENSS_IS1O_EEST_SY_NSZ_INSF_IJS1O_S1V_EEEEEST_EEES1C_S1K_S1L_S1M_EENSE_INSF_IJSO_SR_ST_SW_SX_ST_SY_S11_ST_NSZ_INSF_IJSI_SK_EEEEENSU_INSF_IJNSH_IiLi4EEES1V_SK_EEELb0EEEEEENSF_IJS13_S14_S15_S16_S17_S18_S19_S1A_S1B_NS5_IJLi11ELi13EEEES1I_EEENSF_IJS1D_S1E_S18_S1F_S1G_S1B_S1H_S1I_S1J_NS5_IJLi14EEEENS5_IJLi15ELi16ELi17EEEEEEENS5_IJLi15ELi16ELi17ELi14EEEES1M_EENSE_INSF_IJS1S_S1U_ST_S1X_S1Y_ST_SY_S20_ST_S24_S27_EEES2A_S2D_S2E_S1M_EELi16ELi16ELi128ELi128ELi128ELi16ELi16ELi4ELi4ELi16ELb0EE3RunILb1ELNS_10TailNumberE10ENSE_INSF_IJNSG_INSF_IJiiEEENSF_IJiSM_EEELb0EEENSU_IS2L_Lb0EEENSS_IiEEEEENSF_IJS13_NS5_IJLi2EEEENS5_IJLi1EEEEEEENSF_IJNS5_IJLi1ELi2EEEENS5_IJLi3ELi4EEEES16_EEENS5_IJLi3ELi5ELi4EEEElEES1N_NS_35ThreadGroupTensorSliceTransfer_v4r1INS_15ThisThreadBlockILi256EEENS_16tensor_operation12element_wise11PassThroughES34_LNS_25InMemoryDataOperationEnumE0ENS5_IJLi8ELi128ELi16EEEENS5_IJLi8ELi32ELi1EEEENS5_IJLi1ELi0ELi2EEEESC_SC_RKS2Y_KS1N_S38_NS5_IJLi0ELi1ELi2EEEELi2ELi2ELi16ELi16ELi1ELi1ELb0ELb1ELi2EiEENS_13DynamicBufferILNS_16AddressSpaceEnumE1EKSC_lLb1ELNS_22AmdBufferCoherenceEnumE0EiEENS3E_ILS3F_2ESC_S1M_Lb1ELS3H_0EiEENSF_IJiiiEEENSE_INSF_IJNSU_INSF_IJiiiiEEELb0EEENS_23Merge_v2_magic_divisionIS2L_EENSS_INSF_IJiEEEEES2P_EEENSF_IJS13_NS5_IJLi1ELi3EEEES2R_S17_EEENSF_IJNS5_IJLi1ELi2ELi3ELi4EEEES16_S18_S19_EEENS5_IJLi5ELi6ELi7EEEElEES22_NS2Z_IS31_S34_S34_LS35_0ES36_NS5_IJLi4ELi64ELi1EEEES38_SD_SD_RKS3X_KS22_S38_S3C_Li2ELi2ELi16ELi16ELi1ELi1ELb0ELb1ELi2EiEENS3E_ILS3F_1EKSD_lLb1ELS3H_0EiEENS3E_ILS3F_2ESD_S1M_Lb1ELS3H_0EiEES3K_NS_25StaticBufferTupleOfVectorILS3F_4EfLi16ELi4ELb1ELb0EEEEEvRKT1_RKT2_RT3_RKT4_RT5_RKT6_RKT7_RKT8_RT9_RKT10_RT11_RKT12_RT13_iENKUlT_E1_clIS1V_EEDaS56_ENKUlS56_E_clISM_EEDaS56_ENKUlS56_E_clINSH_IiLi0EEEEEDaS56_ENKUlS56_E1_clIS5D_EEDaS56_EUlS56_E_EEvS56_EUlS56_E_EEvS56_
	.type	_ZNK2ck6detail7applierIiJLi0ELi1ELi2ELi3ELi4ELi5ELi6ELi7ELi8ELi9ELi10ELi11ELi12ELi13ELi14ELi15EEEclIZNKS_11static_fordINS_8SequenceIJLi4ELi4EEEENS5_IJLi0ELi1EEEEEclIZZZZZNKS_31BlockwiseGemmXdlops_pipeline_v2ILNS_26BlockGemmPipelineSchedulerE1ELi256ENS_9f8_fnuz_tENS_7pk_i4_tESC_fNS_16TensorDescriptorINS_5TupleIJNS_5EmbedINSF_IJNS_17integral_constantIiLi8EEENSH_IiLi128EEENSH_IiLi16EEEEEENSF_IJSK_SJ_NSH_IiLi1EEEEEELb0EEENS_3XorINSF_IJSJ_SI_EEELb1EEENS_11PassThroughISK_EENS_7UnMergeINSF_IJSI_SM_EEELb0EEENSS_ISJ_EEST_NSS_ISI_EENS_21Merge_v3_division_modINSF_IJSJ_SM_EEEEEST_EEENSF_IJNS5_IJLi0EEEENS5_IJLi2ELi1EEEENS5_IJLi3EEEENS5_IJLi5EEEENS5_IJLi4EEEENS5_IJLi6EEEENS5_IJLi7EEEENS5_IJLi9ELi8EEEENS5_IJLi10EEEEEEENSF_IJNS5_IJLi1ELi2ELi3EEEENS5_IJLi4ELi5EEEES18_NS5_IJLi7ELi8EEEENS5_IJLi9EEEES1B_NS5_IJLi11EEEENS5_IJLi12EEEENS5_IJLi13EEEEEEENS5_IJLi11ELi12ELi13EEEENSH_IlLl16384EEEEENSE_INSF_IJNSG_INSF_IJSK_NSH_IiLi64EEESK_EEENSF_IJSK_NSH_IiLi256EEESM_EEELb0EEENSP_INSF_IJS1O_SK_EEELb1EEEST_NSU_INSF_IJSI_NSH_IiLi2EEEEEELb0EEENSS_IS1O_EEST_SY_NSZ_INSF_IJS1O_S1V_EEEEEST_EEES1C_S1K_S1L_S1M_EENSE_INSF_IJSO_SR_ST_SW_SX_ST_SY_S11_ST_NSZ_INSF_IJSI_SK_EEEEENSU_INSF_IJNSH_IiLi4EEES1V_SK_EEELb0EEEEEENSF_IJS13_S14_S15_S16_S17_S18_S19_S1A_S1B_NS5_IJLi11ELi13EEEES1I_EEENSF_IJS1D_S1E_S18_S1F_S1G_S1B_S1H_S1I_S1J_NS5_IJLi14EEEENS5_IJLi15ELi16ELi17EEEEEEENS5_IJLi15ELi16ELi17ELi14EEEES1M_EENSE_INSF_IJS1S_S1U_ST_S1X_S1Y_ST_SY_S20_ST_S24_S27_EEES2A_S2D_S2E_S1M_EELi16ELi16ELi128ELi128ELi128ELi16ELi16ELi4ELi4ELi16ELb0EE3RunILb1ELNS_10TailNumberE10ENSE_INSF_IJNSG_INSF_IJiiEEENSF_IJiSM_EEELb0EEENSU_IS2L_Lb0EEENSS_IiEEEEENSF_IJS13_NS5_IJLi2EEEENS5_IJLi1EEEEEEENSF_IJNS5_IJLi1ELi2EEEENS5_IJLi3ELi4EEEES16_EEENS5_IJLi3ELi5ELi4EEEElEES1N_NS_35ThreadGroupTensorSliceTransfer_v4r1INS_15ThisThreadBlockILi256EEENS_16tensor_operation12element_wise11PassThroughES34_LNS_25InMemoryDataOperationEnumE0ENS5_IJLi8ELi128ELi16EEEENS5_IJLi8ELi32ELi1EEEENS5_IJLi1ELi0ELi2EEEESC_SC_RKS2Y_KS1N_S38_NS5_IJLi0ELi1ELi2EEEELi2ELi2ELi16ELi16ELi1ELi1ELb0ELb1ELi2EiEENS_13DynamicBufferILNS_16AddressSpaceEnumE1EKSC_lLb1ELNS_22AmdBufferCoherenceEnumE0EiEENS3E_ILS3F_2ESC_S1M_Lb1ELS3H_0EiEENSF_IJiiiEEENSE_INSF_IJNSU_INSF_IJiiiiEEELb0EEENS_23Merge_v2_magic_divisionIS2L_EENSS_INSF_IJiEEEEES2P_EEENSF_IJS13_NS5_IJLi1ELi3EEEES2R_S17_EEENSF_IJNS5_IJLi1ELi2ELi3ELi4EEEES16_S18_S19_EEENS5_IJLi5ELi6ELi7EEEElEES22_NS2Z_IS31_S34_S34_LS35_0ES36_NS5_IJLi4ELi64ELi1EEEES38_SD_SD_RKS3X_KS22_S38_S3C_Li2ELi2ELi16ELi16ELi1ELi1ELb0ELb1ELi2EiEENS3E_ILS3F_1EKSD_lLb1ELS3H_0EiEENS3E_ILS3F_2ESD_S1M_Lb1ELS3H_0EiEES3K_NS_25StaticBufferTupleOfVectorILS3F_4EfLi16ELi4ELb1ELb0EEEEEvRKT1_RKT2_RT3_RKT4_RT5_RKT6_RKT7_RKT8_RT9_RKT10_RT11_RKT12_RT13_iENKUlT_E1_clIS1V_EEDaS56_ENKUlS56_E_clISM_EEDaS56_ENKUlS56_E_clINSH_IiLi0EEEEEDaS56_ENKUlS56_E1_clIS5D_EEDaS56_EUlS56_E_EEvS56_EUlS56_E_EEvS56_,@function
_ZNK2ck6detail7applierIiJLi0ELi1ELi2ELi3ELi4ELi5ELi6ELi7ELi8ELi9ELi10ELi11ELi12ELi13ELi14ELi15EEEclIZNKS_11static_fordINS_8SequenceIJLi4ELi4EEEENS5_IJLi0ELi1EEEEEclIZZZZZNKS_31BlockwiseGemmXdlops_pipeline_v2ILNS_26BlockGemmPipelineSchedulerE1ELi256ENS_9f8_fnuz_tENS_7pk_i4_tESC_fNS_16TensorDescriptorINS_5TupleIJNS_5EmbedINSF_IJNS_17integral_constantIiLi8EEENSH_IiLi128EEENSH_IiLi16EEEEEENSF_IJSK_SJ_NSH_IiLi1EEEEEELb0EEENS_3XorINSF_IJSJ_SI_EEELb1EEENS_11PassThroughISK_EENS_7UnMergeINSF_IJSI_SM_EEELb0EEENSS_ISJ_EEST_NSS_ISI_EENS_21Merge_v3_division_modINSF_IJSJ_SM_EEEEEST_EEENSF_IJNS5_IJLi0EEEENS5_IJLi2ELi1EEEENS5_IJLi3EEEENS5_IJLi5EEEENS5_IJLi4EEEENS5_IJLi6EEEENS5_IJLi7EEEENS5_IJLi9ELi8EEEENS5_IJLi10EEEEEEENSF_IJNS5_IJLi1ELi2ELi3EEEENS5_IJLi4ELi5EEEES18_NS5_IJLi7ELi8EEEENS5_IJLi9EEEES1B_NS5_IJLi11EEEENS5_IJLi12EEEENS5_IJLi13EEEEEEENS5_IJLi11ELi12ELi13EEEENSH_IlLl16384EEEEENSE_INSF_IJNSG_INSF_IJSK_NSH_IiLi64EEESK_EEENSF_IJSK_NSH_IiLi256EEESM_EEELb0EEENSP_INSF_IJS1O_SK_EEELb1EEEST_NSU_INSF_IJSI_NSH_IiLi2EEEEEELb0EEENSS_IS1O_EEST_SY_NSZ_INSF_IJS1O_S1V_EEEEEST_EEES1C_S1K_S1L_S1M_EENSE_INSF_IJSO_SR_ST_SW_SX_ST_SY_S11_ST_NSZ_INSF_IJSI_SK_EEEEENSU_INSF_IJNSH_IiLi4EEES1V_SK_EEELb0EEEEEENSF_IJS13_S14_S15_S16_S17_S18_S19_S1A_S1B_NS5_IJLi11ELi13EEEES1I_EEENSF_IJS1D_S1E_S18_S1F_S1G_S1B_S1H_S1I_S1J_NS5_IJLi14EEEENS5_IJLi15ELi16ELi17EEEEEEENS5_IJLi15ELi16ELi17ELi14EEEES1M_EENSE_INSF_IJS1S_S1U_ST_S1X_S1Y_ST_SY_S20_ST_S24_S27_EEES2A_S2D_S2E_S1M_EELi16ELi16ELi128ELi128ELi128ELi16ELi16ELi4ELi4ELi16ELb0EE3RunILb1ELNS_10TailNumberE10ENSE_INSF_IJNSG_INSF_IJiiEEENSF_IJiSM_EEELb0EEENSU_IS2L_Lb0EEENSS_IiEEEEENSF_IJS13_NS5_IJLi2EEEENS5_IJLi1EEEEEEENSF_IJNS5_IJLi1ELi2EEEENS5_IJLi3ELi4EEEES16_EEENS5_IJLi3ELi5ELi4EEEElEES1N_NS_35ThreadGroupTensorSliceTransfer_v4r1INS_15ThisThreadBlockILi256EEENS_16tensor_operation12element_wise11PassThroughES34_LNS_25InMemoryDataOperationEnumE0ENS5_IJLi8ELi128ELi16EEEENS5_IJLi8ELi32ELi1EEEENS5_IJLi1ELi0ELi2EEEESC_SC_RKS2Y_KS1N_S38_NS5_IJLi0ELi1ELi2EEEELi2ELi2ELi16ELi16ELi1ELi1ELb0ELb1ELi2EiEENS_13DynamicBufferILNS_16AddressSpaceEnumE1EKSC_lLb1ELNS_22AmdBufferCoherenceEnumE0EiEENS3E_ILS3F_2ESC_S1M_Lb1ELS3H_0EiEENSF_IJiiiEEENSE_INSF_IJNSU_INSF_IJiiiiEEELb0EEENS_23Merge_v2_magic_divisionIS2L_EENSS_INSF_IJiEEEEES2P_EEENSF_IJS13_NS5_IJLi1ELi3EEEES2R_S17_EEENSF_IJNS5_IJLi1ELi2ELi3ELi4EEEES16_S18_S19_EEENS5_IJLi5ELi6ELi7EEEElEES22_NS2Z_IS31_S34_S34_LS35_0ES36_NS5_IJLi4ELi64ELi1EEEES38_SD_SD_RKS3X_KS22_S38_S3C_Li2ELi2ELi16ELi16ELi1ELi1ELb0ELb1ELi2EiEENS3E_ILS3F_1EKSD_lLb1ELS3H_0EiEENS3E_ILS3F_2ESD_S1M_Lb1ELS3H_0EiEES3K_NS_25StaticBufferTupleOfVectorILS3F_4EfLi16ELi4ELb1ELb0EEEEEvRKT1_RKT2_RT3_RKT4_RT5_RKT6_RKT7_RKT8_RT9_RKT10_RT11_RKT12_RT13_iENKUlT_E1_clIS1V_EEDaS56_ENKUlS56_E_clISM_EEDaS56_ENKUlS56_E_clINSH_IiLi0EEEEEDaS56_ENKUlS56_E1_clIS5D_EEDaS56_EUlS56_E_EEvS56_EUlS56_E_EEvS56_: ; @_ZNK2ck6detail7applierIiJLi0ELi1ELi2ELi3ELi4ELi5ELi6ELi7ELi8ELi9ELi10ELi11ELi12ELi13ELi14ELi15EEEclIZNKS_11static_fordINS_8SequenceIJLi4ELi4EEEENS5_IJLi0ELi1EEEEEclIZZZZZNKS_31BlockwiseGemmXdlops_pipeline_v2ILNS_26BlockGemmPipelineSchedulerE1ELi256ENS_9f8_fnuz_tENS_7pk_i4_tESC_fNS_16TensorDescriptorINS_5TupleIJNS_5EmbedINSF_IJNS_17integral_constantIiLi8EEENSH_IiLi128EEENSH_IiLi16EEEEEENSF_IJSK_SJ_NSH_IiLi1EEEEEELb0EEENS_3XorINSF_IJSJ_SI_EEELb1EEENS_11PassThroughISK_EENS_7UnMergeINSF_IJSI_SM_EEELb0EEENSS_ISJ_EEST_NSS_ISI_EENS_21Merge_v3_division_modINSF_IJSJ_SM_EEEEEST_EEENSF_IJNS5_IJLi0EEEENS5_IJLi2ELi1EEEENS5_IJLi3EEEENS5_IJLi5EEEENS5_IJLi4EEEENS5_IJLi6EEEENS5_IJLi7EEEENS5_IJLi9ELi8EEEENS5_IJLi10EEEEEEENSF_IJNS5_IJLi1ELi2ELi3EEEENS5_IJLi4ELi5EEEES18_NS5_IJLi7ELi8EEEENS5_IJLi9EEEES1B_NS5_IJLi11EEEENS5_IJLi12EEEENS5_IJLi13EEEEEEENS5_IJLi11ELi12ELi13EEEENSH_IlLl16384EEEEENSE_INSF_IJNSG_INSF_IJSK_NSH_IiLi64EEESK_EEENSF_IJSK_NSH_IiLi256EEESM_EEELb0EEENSP_INSF_IJS1O_SK_EEELb1EEEST_NSU_INSF_IJSI_NSH_IiLi2EEEEEELb0EEENSS_IS1O_EEST_SY_NSZ_INSF_IJS1O_S1V_EEEEEST_EEES1C_S1K_S1L_S1M_EENSE_INSF_IJSO_SR_ST_SW_SX_ST_SY_S11_ST_NSZ_INSF_IJSI_SK_EEEEENSU_INSF_IJNSH_IiLi4EEES1V_SK_EEELb0EEEEEENSF_IJS13_S14_S15_S16_S17_S18_S19_S1A_S1B_NS5_IJLi11ELi13EEEES1I_EEENSF_IJS1D_S1E_S18_S1F_S1G_S1B_S1H_S1I_S1J_NS5_IJLi14EEEENS5_IJLi15ELi16ELi17EEEEEEENS5_IJLi15ELi16ELi17ELi14EEEES1M_EENSE_INSF_IJS1S_S1U_ST_S1X_S1Y_ST_SY_S20_ST_S24_S27_EEES2A_S2D_S2E_S1M_EELi16ELi16ELi128ELi128ELi128ELi16ELi16ELi4ELi4ELi16ELb0EE3RunILb1ELNS_10TailNumberE10ENSE_INSF_IJNSG_INSF_IJiiEEENSF_IJiSM_EEELb0EEENSU_IS2L_Lb0EEENSS_IiEEEEENSF_IJS13_NS5_IJLi2EEEENS5_IJLi1EEEEEEENSF_IJNS5_IJLi1ELi2EEEENS5_IJLi3ELi4EEEES16_EEENS5_IJLi3ELi5ELi4EEEElEES1N_NS_35ThreadGroupTensorSliceTransfer_v4r1INS_15ThisThreadBlockILi256EEENS_16tensor_operation12element_wise11PassThroughES34_LNS_25InMemoryDataOperationEnumE0ENS5_IJLi8ELi128ELi16EEEENS5_IJLi8ELi32ELi1EEEENS5_IJLi1ELi0ELi2EEEESC_SC_RKS2Y_KS1N_S38_NS5_IJLi0ELi1ELi2EEEELi2ELi2ELi16ELi16ELi1ELi1ELb0ELb1ELi2EiEENS_13DynamicBufferILNS_16AddressSpaceEnumE1EKSC_lLb1ELNS_22AmdBufferCoherenceEnumE0EiEENS3E_ILS3F_2ESC_S1M_Lb1ELS3H_0EiEENSF_IJiiiEEENSE_INSF_IJNSU_INSF_IJiiiiEEELb0EEENS_23Merge_v2_magic_divisionIS2L_EENSS_INSF_IJiEEEEES2P_EEENSF_IJS13_NS5_IJLi1ELi3EEEES2R_S17_EEENSF_IJNS5_IJLi1ELi2ELi3ELi4EEEES16_S18_S19_EEENS5_IJLi5ELi6ELi7EEEElEES22_NS2Z_IS31_S34_S34_LS35_0ES36_NS5_IJLi4ELi64ELi1EEEES38_SD_SD_RKS3X_KS22_S38_S3C_Li2ELi2ELi16ELi16ELi1ELi1ELb0ELb1ELi2EiEENS3E_ILS3F_1EKSD_lLb1ELS3H_0EiEENS3E_ILS3F_2ESD_S1M_Lb1ELS3H_0EiEES3K_NS_25StaticBufferTupleOfVectorILS3F_4EfLi16ELi4ELb1ELb0EEEEEvRKT1_RKT2_RT3_RKT4_RT5_RKT6_RKT7_RKT8_RT9_RKT10_RT11_RKT12_RT13_iENKUlT_E1_clIS1V_EEDaS56_ENKUlS56_E_clISM_EEDaS56_ENKUlS56_E_clINSH_IiLi0EEEEEDaS56_ENKUlS56_E1_clIS5D_EEDaS56_EUlS56_E_EEvS56_EUlS56_E_EEvS56_
; %bb.0:
	s_waitcnt vmcnt(0) expcnt(0) lgkmcnt(0)
	flat_load_dwordx4 v[12:15], v[0:1] offset:8
	flat_load_dwordx2 v[10:11], v[0:1] offset:32
	s_movk_i32 s4, 0x7f
                                        ; implicit-def: $sgpr10
	s_waitcnt vmcnt(0) lgkmcnt(0)
	flat_load_dwordx4 v[6:9], v[12:13]
	flat_load_dwordx4 v[2:5], v[14:15]
	s_waitcnt vmcnt(0) lgkmcnt(0)
	v_cmp_gt_i16_sdwa s[6:7], v6, s4 src0_sel:BYTE_0 src1_sel:DWORD
	s_mov_b64 s[4:5], 0
	s_and_saveexec_b64 s[8:9], s[6:7]
	s_xor_b64 s[6:7], exec, s[8:9]
	s_cbranch_execnz .LBB12_2049
; %bb.1:
	s_or_saveexec_b64 s[6:7], s[6:7]
	v_mov_b32_e32 v12, s10
	s_xor_b64 exec, exec, s[6:7]
	s_cbranch_execnz .LBB12_2052
.LBB12_2:
	s_or_b64 exec, exec, s[6:7]
	s_and_saveexec_b64 s[6:7], s[4:5]
	s_cbranch_execz .LBB12_4
.LBB12_3:
	v_and_b32_e32 v12, 7, v6
	v_ffbh_u32_e32 v14, v12
	v_min_u32_e32 v14, 32, v14
	v_lshrrev_b16_e32 v13, 3, v6
	v_subrev_u32_e32 v15, 28, v14
	v_and_b32_e32 v13, 15, v13
	v_lshlrev_b32_e32 v15, v15, v6
	v_sub_u32_e32 v14, 29, v14
	v_and_b32_e32 v15, 7, v15
	v_cmp_eq_u16_e32 vcc, 0, v13
	v_cndmask_b32_e32 v12, v12, v15, vcc
	v_cndmask_b32_e32 v13, v13, v14, vcc
	v_lshlrev_b32_e32 v14, 24, v6
	v_mov_b32_e32 v15, 0x3b800000
	v_lshlrev_b32_e32 v12, 20, v12
	v_and_b32_e32 v14, 0x80000000, v14
	v_lshl_add_u32 v13, v13, 23, v15
	v_or3_b32 v12, v14, v13, v12
.LBB12_4:
	s_or_b64 exec, exec, s[6:7]
	s_movk_i32 s4, 0x7f
	v_cmp_gt_i16_sdwa s[6:7], v2, s4 src0_sel:BYTE_0 src1_sel:DWORD
	s_mov_b64 s[4:5], 0
                                        ; implicit-def: $sgpr10
	s_and_saveexec_b64 s[8:9], s[6:7]
	s_xor_b64 s[6:7], exec, s[8:9]
	s_cbranch_execnz .LBB12_2053
; %bb.5:
	s_or_saveexec_b64 s[6:7], s[6:7]
	v_mov_b32_e32 v13, s10
	s_xor_b64 exec, exec, s[6:7]
	s_cbranch_execnz .LBB12_2056
.LBB12_6:
	s_or_b64 exec, exec, s[6:7]
	s_and_saveexec_b64 s[6:7], s[4:5]
	s_cbranch_execz .LBB12_8
.LBB12_7:
	v_and_b32_e32 v13, 7, v2
	v_ffbh_u32_e32 v15, v13
	v_min_u32_e32 v15, 32, v15
	v_lshrrev_b16_e32 v14, 3, v2
	v_subrev_u32_e32 v16, 28, v15
	v_and_b32_e32 v14, 15, v14
	v_lshlrev_b32_e32 v16, v16, v2
	v_sub_u32_e32 v15, 29, v15
	v_and_b32_e32 v16, 7, v16
	v_cmp_eq_u16_e32 vcc, 0, v14
	v_cndmask_b32_e32 v13, v13, v16, vcc
	v_cndmask_b32_e32 v14, v14, v15, vcc
	v_lshlrev_b32_e32 v15, 24, v2
	v_mov_b32_e32 v16, 0x3b800000
	v_lshlrev_b32_e32 v13, 20, v13
	v_and_b32_e32 v15, 0x80000000, v15
	v_lshl_add_u32 v14, v14, 23, v16
	v_or3_b32 v13, v15, v14, v13
.LBB12_8:
	s_or_b64 exec, exec, s[6:7]
	flat_load_dwordx4 a[0:3], v[10:11]
	s_movk_i32 s4, 0x7f
                                        ; implicit-def: $sgpr10
	s_waitcnt vmcnt(0) lgkmcnt(0)
	v_mfma_f32_16x16x4f32 a[0:3], v12, v13, a[0:3]
	v_lshrrev_b32_e32 v13, 8, v6
	v_cmp_gt_i16_sdwa s[6:7], v13, s4 src0_sel:BYTE_0 src1_sel:DWORD
	s_mov_b64 s[4:5], 0
	s_and_saveexec_b64 s[8:9], s[6:7]
	s_xor_b64 s[6:7], exec, s[8:9]
	s_cbranch_execnz .LBB12_2057
; %bb.9:
	s_or_saveexec_b64 s[6:7], s[6:7]
	v_mov_b32_e32 v12, s10
	s_xor_b64 exec, exec, s[6:7]
	s_cbranch_execnz .LBB12_2060
.LBB12_10:
	s_or_b64 exec, exec, s[6:7]
	s_and_saveexec_b64 s[6:7], s[4:5]
	s_cbranch_execz .LBB12_12
.LBB12_11:
	v_bfe_u32 v12, v6, 8, 3
	v_ffbh_u32_e32 v15, v12
	v_min_u32_e32 v15, 32, v15
	v_lshrrev_b16_e32 v14, 3, v13
	v_subrev_u32_e32 v16, 28, v15
	v_and_b32_e32 v14, 15, v14
	v_lshlrev_b32_e32 v13, v16, v13
	v_sub_u32_e32 v15, 29, v15
	v_and_b32_e32 v13, 7, v13
	v_cmp_eq_u16_e32 vcc, 0, v14
	v_cndmask_b32_e32 v12, v12, v13, vcc
	v_cndmask_b32_e32 v13, v14, v15, vcc
	v_lshlrev_b32_e32 v14, 16, v6
	v_mov_b32_e32 v15, 0x3b800000
	v_lshlrev_b32_e32 v12, 20, v12
	v_and_b32_e32 v14, 0x80000000, v14
	v_lshl_add_u32 v13, v13, 23, v15
	v_or3_b32 v12, v14, v13, v12
.LBB12_12:
	s_or_b64 exec, exec, s[6:7]
	v_lshrrev_b32_e32 v13, 8, v2
	s_movk_i32 s4, 0x7f
	v_cmp_gt_i16_sdwa s[6:7], v13, s4 src0_sel:BYTE_0 src1_sel:DWORD
	s_mov_b64 s[4:5], 0
                                        ; implicit-def: $sgpr10
	s_and_saveexec_b64 s[8:9], s[6:7]
	s_xor_b64 s[6:7], exec, s[8:9]
	s_cbranch_execnz .LBB12_2061
; %bb.13:
	s_or_saveexec_b64 s[6:7], s[6:7]
	v_mov_b32_e32 v14, s10
	s_xor_b64 exec, exec, s[6:7]
	s_cbranch_execnz .LBB12_2064
.LBB12_14:
	s_or_b64 exec, exec, s[6:7]
	s_and_saveexec_b64 s[6:7], s[4:5]
	s_cbranch_execz .LBB12_16
.LBB12_15:
	v_bfe_u32 v14, v2, 8, 3
	v_ffbh_u32_e32 v16, v14
	v_min_u32_e32 v16, 32, v16
	v_lshrrev_b16_e32 v15, 3, v13
	v_subrev_u32_e32 v17, 28, v16
	v_and_b32_e32 v15, 15, v15
	v_lshlrev_b32_e32 v13, v17, v13
	v_sub_u32_e32 v16, 29, v16
	v_and_b32_e32 v13, 7, v13
	v_cmp_eq_u16_e32 vcc, 0, v15
	v_cndmask_b32_e32 v13, v14, v13, vcc
	v_cndmask_b32_e32 v14, v15, v16, vcc
	v_lshlrev_b32_e32 v15, 16, v2
	v_mov_b32_e32 v16, 0x3b800000
	v_lshlrev_b32_e32 v13, 20, v13
	v_and_b32_e32 v15, 0x80000000, v15
	v_lshl_add_u32 v14, v14, 23, v16
	v_or3_b32 v14, v15, v14, v13
.LBB12_16:
	s_or_b64 exec, exec, s[6:7]
	s_nop 0
	v_mfma_f32_16x16x4f32 a[0:3], v12, v14, a[0:3]
	s_movk_i32 s4, 0xff
	v_and_b32_sdwa v13, v6, s4 dst_sel:DWORD dst_unused:UNUSED_PAD src0_sel:WORD_1 src1_sel:DWORD
	s_movk_i32 s4, 0x7f
	v_cmp_lt_i16_e32 vcc, s4, v13
	s_mov_b64 s[4:5], 0
                                        ; implicit-def: $sgpr10
	s_and_saveexec_b64 s[6:7], vcc
	s_xor_b64 s[6:7], exec, s[6:7]
	s_cbranch_execnz .LBB12_2065
; %bb.17:
	s_or_saveexec_b64 s[6:7], s[6:7]
	v_mov_b32_e32 v12, s10
	s_xor_b64 exec, exec, s[6:7]
	s_cbranch_execnz .LBB12_2068
.LBB12_18:
	s_or_b64 exec, exec, s[6:7]
	s_and_saveexec_b64 s[6:7], s[4:5]
	s_cbranch_execz .LBB12_20
.LBB12_19:
	v_bfe_u32 v12, v6, 16, 3
	v_ffbh_u32_e32 v15, v12
	v_min_u32_e32 v15, 32, v15
	v_lshrrev_b32_e32 v13, 19, v6
	v_subrev_u32_e32 v16, 28, v15
	v_and_b32_e32 v13, 15, v13
	v_lshlrev_b32_sdwa v16, v16, v6 dst_sel:DWORD dst_unused:UNUSED_PAD src0_sel:DWORD src1_sel:WORD_1
	v_bfe_u32 v14, v6, 19, 4
	v_sub_u32_e32 v15, 29, v15
	v_and_b32_e32 v16, 7, v16
	v_cmp_eq_u16_e32 vcc, 0, v13
	v_cndmask_b32_e32 v12, v12, v16, vcc
	v_cndmask_b32_e32 v13, v14, v15, vcc
	v_lshlrev_b32_e32 v14, 8, v6
	v_mov_b32_e32 v15, 0x3b800000
	v_lshlrev_b32_e32 v12, 20, v12
	v_and_b32_e32 v14, 0x80000000, v14
	v_lshl_add_u32 v13, v13, 23, v15
	v_or3_b32 v12, v14, v13, v12
.LBB12_20:
	s_or_b64 exec, exec, s[6:7]
	s_movk_i32 s4, 0xff
	v_and_b32_sdwa v13, v2, s4 dst_sel:DWORD dst_unused:UNUSED_PAD src0_sel:WORD_1 src1_sel:DWORD
	s_movk_i32 s4, 0x7f
	v_cmp_lt_i16_e32 vcc, s4, v13
	s_mov_b64 s[4:5], 0
                                        ; implicit-def: $sgpr10
	s_and_saveexec_b64 s[6:7], vcc
	s_xor_b64 s[6:7], exec, s[6:7]
	s_cbranch_execnz .LBB12_2069
; %bb.21:
	s_or_saveexec_b64 s[6:7], s[6:7]
	v_mov_b32_e32 v14, s10
	s_xor_b64 exec, exec, s[6:7]
	s_cbranch_execnz .LBB12_2072
.LBB12_22:
	s_or_b64 exec, exec, s[6:7]
	s_and_saveexec_b64 s[6:7], s[4:5]
	s_cbranch_execz .LBB12_24
.LBB12_23:
	v_bfe_u32 v13, v2, 16, 3
	v_ffbh_u32_e32 v16, v13
	v_min_u32_e32 v16, 32, v16
	v_lshrrev_b32_e32 v14, 19, v2
	v_subrev_u32_e32 v17, 28, v16
	v_and_b32_e32 v14, 15, v14
	v_lshlrev_b32_sdwa v17, v17, v2 dst_sel:DWORD dst_unused:UNUSED_PAD src0_sel:DWORD src1_sel:WORD_1
	v_bfe_u32 v15, v2, 19, 4
	v_sub_u32_e32 v16, 29, v16
	v_and_b32_e32 v17, 7, v17
	v_cmp_eq_u16_e32 vcc, 0, v14
	v_cndmask_b32_e32 v13, v13, v17, vcc
	v_cndmask_b32_e32 v14, v15, v16, vcc
	v_lshlrev_b32_e32 v15, 8, v2
	v_mov_b32_e32 v16, 0x3b800000
	v_lshlrev_b32_e32 v13, 20, v13
	v_and_b32_e32 v15, 0x80000000, v15
	v_lshl_add_u32 v14, v14, 23, v16
	v_or3_b32 v14, v15, v14, v13
.LBB12_24:
	s_or_b64 exec, exec, s[6:7]
	s_nop 0
	v_mfma_f32_16x16x4f32 a[0:3], v12, v14, a[0:3]
	s_movk_i32 s4, 0x7f
	v_cmp_gt_i16_sdwa s[6:7], v6, s4 src0_sel:BYTE_3 src1_sel:DWORD
	s_mov_b64 s[4:5], 0
                                        ; implicit-def: $sgpr10
	s_and_saveexec_b64 s[8:9], s[6:7]
	s_xor_b64 s[6:7], exec, s[8:9]
	s_cbranch_execnz .LBB12_2073
; %bb.25:
	s_or_saveexec_b64 s[6:7], s[6:7]
	v_mov_b32_e32 v12, s10
	s_xor_b64 exec, exec, s[6:7]
	s_cbranch_execnz .LBB12_2076
.LBB12_26:
	s_or_b64 exec, exec, s[6:7]
	s_and_saveexec_b64 s[6:7], s[4:5]
	s_cbranch_execz .LBB12_28
.LBB12_27:
	v_bfe_u32 v12, v6, 24, 3
	v_ffbh_u32_e32 v16, v12
	v_min_u32_e32 v16, 32, v16
	v_lshrrev_b32_e32 v14, 27, v6
	v_subrev_u32_e32 v17, 28, v16
	v_and_b32_e32 v13, 0x80000000, v6
	v_and_b32_e32 v14, 15, v14
	v_bfe_u32 v15, v6, 27, 4
	v_lshlrev_b32_sdwa v6, v17, v6 dst_sel:DWORD dst_unused:UNUSED_PAD src0_sel:DWORD src1_sel:BYTE_3
	v_sub_u32_e32 v16, 29, v16
	v_and_b32_e32 v6, 7, v6
	v_cmp_eq_u16_e32 vcc, 0, v14
	v_cndmask_b32_e32 v6, v12, v6, vcc
	v_cndmask_b32_e32 v12, v15, v16, vcc
	v_mov_b32_e32 v14, 0x3b800000
	v_lshlrev_b32_e32 v6, 20, v6
	v_lshl_add_u32 v12, v12, 23, v14
	v_or3_b32 v12, v13, v12, v6
.LBB12_28:
	s_or_b64 exec, exec, s[6:7]
	s_movk_i32 s4, 0x7f
	v_cmp_gt_i16_sdwa s[6:7], v2, s4 src0_sel:BYTE_3 src1_sel:DWORD
	s_mov_b64 s[4:5], 0
                                        ; implicit-def: $sgpr10
	s_and_saveexec_b64 s[8:9], s[6:7]
	s_xor_b64 s[6:7], exec, s[8:9]
	s_cbranch_execnz .LBB12_2077
; %bb.29:
	s_or_saveexec_b64 s[6:7], s[6:7]
	v_mov_b32_e32 v6, s10
	s_xor_b64 exec, exec, s[6:7]
	s_cbranch_execnz .LBB12_2080
.LBB12_30:
	s_or_b64 exec, exec, s[6:7]
	s_and_saveexec_b64 s[6:7], s[4:5]
	s_cbranch_execz .LBB12_32
.LBB12_31:
	v_bfe_u32 v6, v2, 24, 3
	v_ffbh_u32_e32 v16, v6
	v_min_u32_e32 v16, 32, v16
	v_lshrrev_b32_e32 v14, 27, v2
	v_subrev_u32_e32 v17, 28, v16
	v_and_b32_e32 v13, 0x80000000, v2
	v_and_b32_e32 v14, 15, v14
	v_bfe_u32 v15, v2, 27, 4
	v_lshlrev_b32_sdwa v2, v17, v2 dst_sel:DWORD dst_unused:UNUSED_PAD src0_sel:DWORD src1_sel:BYTE_3
	v_sub_u32_e32 v16, 29, v16
	v_and_b32_e32 v2, 7, v2
	v_cmp_eq_u16_e32 vcc, 0, v14
	v_cndmask_b32_e32 v2, v6, v2, vcc
	v_cndmask_b32_e32 v6, v15, v16, vcc
	v_mov_b32_e32 v14, 0x3b800000
	v_lshlrev_b32_e32 v2, 20, v2
	v_lshl_add_u32 v6, v6, 23, v14
	v_or3_b32 v6, v13, v6, v2
.LBB12_32:
	s_or_b64 exec, exec, s[6:7]
	s_nop 0
	v_mfma_f32_16x16x4f32 a[0:3], v12, v6, a[0:3]
	s_movk_i32 s4, 0x7f
	v_cmp_gt_i16_sdwa s[6:7], v7, s4 src0_sel:BYTE_0 src1_sel:DWORD
	s_mov_b64 s[4:5], 0
                                        ; implicit-def: $sgpr10
	s_and_saveexec_b64 s[8:9], s[6:7]
	s_xor_b64 s[6:7], exec, s[8:9]
	s_cbranch_execnz .LBB12_2081
; %bb.33:
	s_or_saveexec_b64 s[6:7], s[6:7]
	v_mov_b32_e32 v2, s10
	s_xor_b64 exec, exec, s[6:7]
	s_cbranch_execnz .LBB12_2084
.LBB12_34:
	s_or_b64 exec, exec, s[6:7]
	s_and_saveexec_b64 s[6:7], s[4:5]
	s_cbranch_execz .LBB12_36
.LBB12_35:
	v_and_b32_e32 v2, 7, v7
	v_ffbh_u32_e32 v12, v2
	v_min_u32_e32 v12, 32, v12
	v_lshrrev_b16_e32 v6, 3, v7
	v_subrev_u32_e32 v13, 28, v12
	v_and_b32_e32 v6, 15, v6
	v_lshlrev_b32_e32 v13, v13, v7
	v_sub_u32_e32 v12, 29, v12
	v_and_b32_e32 v13, 7, v13
	v_cmp_eq_u16_e32 vcc, 0, v6
	v_cndmask_b32_e32 v2, v2, v13, vcc
	v_cndmask_b32_e32 v6, v6, v12, vcc
	v_lshlrev_b32_e32 v12, 24, v7
	v_mov_b32_e32 v13, 0x3b800000
	v_lshlrev_b32_e32 v2, 20, v2
	v_and_b32_e32 v12, 0x80000000, v12
	v_lshl_add_u32 v6, v6, 23, v13
	v_or3_b32 v2, v12, v6, v2
.LBB12_36:
	s_or_b64 exec, exec, s[6:7]
	s_movk_i32 s4, 0x7f
	v_cmp_gt_i16_sdwa s[6:7], v3, s4 src0_sel:BYTE_0 src1_sel:DWORD
	s_mov_b64 s[4:5], 0
                                        ; implicit-def: $sgpr10
	s_and_saveexec_b64 s[8:9], s[6:7]
	s_xor_b64 s[6:7], exec, s[8:9]
	s_cbranch_execnz .LBB12_2085
; %bb.37:
	s_or_saveexec_b64 s[6:7], s[6:7]
	v_mov_b32_e32 v6, s10
	s_xor_b64 exec, exec, s[6:7]
	s_cbranch_execnz .LBB12_2088
.LBB12_38:
	s_or_b64 exec, exec, s[6:7]
	s_and_saveexec_b64 s[6:7], s[4:5]
	s_cbranch_execz .LBB12_40
.LBB12_39:
	v_and_b32_e32 v6, 7, v3
	v_ffbh_u32_e32 v13, v6
	v_min_u32_e32 v13, 32, v13
	v_lshrrev_b16_e32 v12, 3, v3
	v_subrev_u32_e32 v14, 28, v13
	v_and_b32_e32 v12, 15, v12
	v_lshlrev_b32_e32 v14, v14, v3
	v_sub_u32_e32 v13, 29, v13
	v_and_b32_e32 v14, 7, v14
	v_cmp_eq_u16_e32 vcc, 0, v12
	v_cndmask_b32_e32 v6, v6, v14, vcc
	v_cndmask_b32_e32 v12, v12, v13, vcc
	v_lshlrev_b32_e32 v13, 24, v3
	v_mov_b32_e32 v14, 0x3b800000
	v_lshlrev_b32_e32 v6, 20, v6
	v_and_b32_e32 v13, 0x80000000, v13
	v_lshl_add_u32 v12, v12, 23, v14
	v_or3_b32 v6, v13, v12, v6
.LBB12_40:
	s_or_b64 exec, exec, s[6:7]
	s_nop 0
	v_mfma_f32_16x16x4f32 a[0:3], v2, v6, a[0:3]
	v_lshrrev_b32_e32 v6, 8, v7
	s_movk_i32 s4, 0x7f
	v_cmp_gt_i16_sdwa s[6:7], v6, s4 src0_sel:BYTE_0 src1_sel:DWORD
	s_mov_b64 s[4:5], 0
                                        ; implicit-def: $sgpr10
	s_and_saveexec_b64 s[8:9], s[6:7]
	s_xor_b64 s[6:7], exec, s[8:9]
	s_cbranch_execnz .LBB12_2089
; %bb.41:
	s_or_saveexec_b64 s[6:7], s[6:7]
	v_mov_b32_e32 v2, s10
	s_xor_b64 exec, exec, s[6:7]
	s_cbranch_execnz .LBB12_2092
.LBB12_42:
	s_or_b64 exec, exec, s[6:7]
	s_and_saveexec_b64 s[6:7], s[4:5]
	s_cbranch_execz .LBB12_44
.LBB12_43:
	v_bfe_u32 v2, v7, 8, 3
	v_ffbh_u32_e32 v13, v2
	v_min_u32_e32 v13, 32, v13
	v_lshrrev_b16_e32 v12, 3, v6
	v_subrev_u32_e32 v14, 28, v13
	v_and_b32_e32 v12, 15, v12
	v_lshlrev_b32_e32 v6, v14, v6
	v_sub_u32_e32 v13, 29, v13
	v_and_b32_e32 v6, 7, v6
	v_cmp_eq_u16_e32 vcc, 0, v12
	v_cndmask_b32_e32 v2, v2, v6, vcc
	v_cndmask_b32_e32 v6, v12, v13, vcc
	v_lshlrev_b32_e32 v12, 16, v7
	v_mov_b32_e32 v13, 0x3b800000
	v_lshlrev_b32_e32 v2, 20, v2
	v_and_b32_e32 v12, 0x80000000, v12
	v_lshl_add_u32 v6, v6, 23, v13
	v_or3_b32 v2, v12, v6, v2
.LBB12_44:
	s_or_b64 exec, exec, s[6:7]
	v_lshrrev_b32_e32 v6, 8, v3
	s_movk_i32 s4, 0x7f
	v_cmp_gt_i16_sdwa s[6:7], v6, s4 src0_sel:BYTE_0 src1_sel:DWORD
	s_mov_b64 s[4:5], 0
                                        ; implicit-def: $sgpr10
	s_and_saveexec_b64 s[8:9], s[6:7]
	s_xor_b64 s[6:7], exec, s[8:9]
	s_cbranch_execnz .LBB12_2093
; %bb.45:
	s_or_saveexec_b64 s[6:7], s[6:7]
	v_mov_b32_e32 v12, s10
	s_xor_b64 exec, exec, s[6:7]
	s_cbranch_execnz .LBB12_2096
.LBB12_46:
	s_or_b64 exec, exec, s[6:7]
	s_and_saveexec_b64 s[6:7], s[4:5]
	s_cbranch_execz .LBB12_48
.LBB12_47:
	v_bfe_u32 v12, v3, 8, 3
	v_ffbh_u32_e32 v14, v12
	v_min_u32_e32 v14, 32, v14
	v_lshrrev_b16_e32 v13, 3, v6
	v_subrev_u32_e32 v15, 28, v14
	v_and_b32_e32 v13, 15, v13
	v_lshlrev_b32_e32 v6, v15, v6
	v_sub_u32_e32 v14, 29, v14
	v_and_b32_e32 v6, 7, v6
	v_cmp_eq_u16_e32 vcc, 0, v13
	v_cndmask_b32_e32 v6, v12, v6, vcc
	v_cndmask_b32_e32 v12, v13, v14, vcc
	v_lshlrev_b32_e32 v13, 16, v3
	v_mov_b32_e32 v14, 0x3b800000
	v_lshlrev_b32_e32 v6, 20, v6
	v_and_b32_e32 v13, 0x80000000, v13
	v_lshl_add_u32 v12, v12, 23, v14
	v_or3_b32 v12, v13, v12, v6
.LBB12_48:
	s_or_b64 exec, exec, s[6:7]
	s_nop 0
	v_mfma_f32_16x16x4f32 a[0:3], v2, v12, a[0:3]
	s_movk_i32 s4, 0xff
	v_and_b32_sdwa v6, v7, s4 dst_sel:DWORD dst_unused:UNUSED_PAD src0_sel:WORD_1 src1_sel:DWORD
	s_movk_i32 s4, 0x7f
	v_cmp_lt_i16_e32 vcc, s4, v6
	s_mov_b64 s[4:5], 0
                                        ; implicit-def: $sgpr10
	s_and_saveexec_b64 s[6:7], vcc
	s_xor_b64 s[6:7], exec, s[6:7]
	s_cbranch_execnz .LBB12_2097
; %bb.49:
	s_or_saveexec_b64 s[6:7], s[6:7]
	v_mov_b32_e32 v2, s10
	s_xor_b64 exec, exec, s[6:7]
	s_cbranch_execnz .LBB12_2100
.LBB12_50:
	s_or_b64 exec, exec, s[6:7]
	s_and_saveexec_b64 s[6:7], s[4:5]
	s_cbranch_execz .LBB12_52
.LBB12_51:
	v_bfe_u32 v2, v7, 16, 3
	v_ffbh_u32_e32 v13, v2
	v_min_u32_e32 v13, 32, v13
	v_lshrrev_b32_e32 v6, 19, v7
	v_subrev_u32_e32 v14, 28, v13
	v_and_b32_e32 v6, 15, v6
	v_lshlrev_b32_sdwa v14, v14, v7 dst_sel:DWORD dst_unused:UNUSED_PAD src0_sel:DWORD src1_sel:WORD_1
	v_bfe_u32 v12, v7, 19, 4
	v_sub_u32_e32 v13, 29, v13
	v_and_b32_e32 v14, 7, v14
	v_cmp_eq_u16_e32 vcc, 0, v6
	v_cndmask_b32_e32 v2, v2, v14, vcc
	v_cndmask_b32_e32 v6, v12, v13, vcc
	v_lshlrev_b32_e32 v12, 8, v7
	v_mov_b32_e32 v13, 0x3b800000
	v_lshlrev_b32_e32 v2, 20, v2
	v_and_b32_e32 v12, 0x80000000, v12
	v_lshl_add_u32 v6, v6, 23, v13
	v_or3_b32 v2, v12, v6, v2
.LBB12_52:
	s_or_b64 exec, exec, s[6:7]
	s_movk_i32 s4, 0xff
	v_and_b32_sdwa v6, v3, s4 dst_sel:DWORD dst_unused:UNUSED_PAD src0_sel:WORD_1 src1_sel:DWORD
	s_movk_i32 s4, 0x7f
	v_cmp_lt_i16_e32 vcc, s4, v6
	s_mov_b64 s[4:5], 0
                                        ; implicit-def: $sgpr10
	s_and_saveexec_b64 s[6:7], vcc
	s_xor_b64 s[6:7], exec, s[6:7]
	s_cbranch_execnz .LBB12_2101
; %bb.53:
	s_or_saveexec_b64 s[6:7], s[6:7]
	v_mov_b32_e32 v12, s10
	s_xor_b64 exec, exec, s[6:7]
	s_cbranch_execnz .LBB12_2104
.LBB12_54:
	s_or_b64 exec, exec, s[6:7]
	s_and_saveexec_b64 s[6:7], s[4:5]
	s_cbranch_execz .LBB12_56
.LBB12_55:
	v_bfe_u32 v6, v3, 16, 3
	v_ffbh_u32_e32 v14, v6
	v_min_u32_e32 v14, 32, v14
	v_lshrrev_b32_e32 v12, 19, v3
	v_subrev_u32_e32 v15, 28, v14
	v_and_b32_e32 v12, 15, v12
	v_lshlrev_b32_sdwa v15, v15, v3 dst_sel:DWORD dst_unused:UNUSED_PAD src0_sel:DWORD src1_sel:WORD_1
	v_bfe_u32 v13, v3, 19, 4
	v_sub_u32_e32 v14, 29, v14
	v_and_b32_e32 v15, 7, v15
	v_cmp_eq_u16_e32 vcc, 0, v12
	v_cndmask_b32_e32 v6, v6, v15, vcc
	v_cndmask_b32_e32 v12, v13, v14, vcc
	v_lshlrev_b32_e32 v13, 8, v3
	v_mov_b32_e32 v14, 0x3b800000
	v_lshlrev_b32_e32 v6, 20, v6
	v_and_b32_e32 v13, 0x80000000, v13
	v_lshl_add_u32 v12, v12, 23, v14
	v_or3_b32 v12, v13, v12, v6
.LBB12_56:
	s_or_b64 exec, exec, s[6:7]
	s_nop 0
	v_mfma_f32_16x16x4f32 a[0:3], v2, v12, a[0:3]
	s_movk_i32 s4, 0x7f
	v_cmp_gt_i16_sdwa s[6:7], v7, s4 src0_sel:BYTE_3 src1_sel:DWORD
	s_mov_b64 s[4:5], 0
                                        ; implicit-def: $sgpr10
	s_and_saveexec_b64 s[8:9], s[6:7]
	s_xor_b64 s[6:7], exec, s[8:9]
	s_cbranch_execnz .LBB12_2105
; %bb.57:
	s_or_saveexec_b64 s[6:7], s[6:7]
	v_mov_b32_e32 v2, s10
	s_xor_b64 exec, exec, s[6:7]
	s_cbranch_execnz .LBB12_2108
.LBB12_58:
	s_or_b64 exec, exec, s[6:7]
	s_and_saveexec_b64 s[6:7], s[4:5]
	s_cbranch_execz .LBB12_60
.LBB12_59:
	v_bfe_u32 v2, v7, 24, 3
	v_ffbh_u32_e32 v14, v2
	v_min_u32_e32 v14, 32, v14
	v_lshrrev_b32_e32 v12, 27, v7
	v_subrev_u32_e32 v15, 28, v14
	v_and_b32_e32 v6, 0x80000000, v7
	v_and_b32_e32 v12, 15, v12
	v_bfe_u32 v13, v7, 27, 4
	v_lshlrev_b32_sdwa v7, v15, v7 dst_sel:DWORD dst_unused:UNUSED_PAD src0_sel:DWORD src1_sel:BYTE_3
	v_sub_u32_e32 v14, 29, v14
	v_and_b32_e32 v7, 7, v7
	v_cmp_eq_u16_e32 vcc, 0, v12
	v_cndmask_b32_e32 v2, v2, v7, vcc
	v_cndmask_b32_e32 v7, v13, v14, vcc
	v_mov_b32_e32 v12, 0x3b800000
	v_lshlrev_b32_e32 v2, 20, v2
	v_lshl_add_u32 v7, v7, 23, v12
	v_or3_b32 v2, v6, v7, v2
.LBB12_60:
	s_or_b64 exec, exec, s[6:7]
	s_movk_i32 s4, 0x7f
	v_cmp_gt_i16_sdwa s[6:7], v3, s4 src0_sel:BYTE_3 src1_sel:DWORD
	s_mov_b64 s[4:5], 0
                                        ; implicit-def: $sgpr10
	s_and_saveexec_b64 s[8:9], s[6:7]
	s_xor_b64 s[6:7], exec, s[8:9]
	s_cbranch_execnz .LBB12_2109
; %bb.61:
	s_or_saveexec_b64 s[6:7], s[6:7]
	v_mov_b32_e32 v6, s10
	s_xor_b64 exec, exec, s[6:7]
	s_cbranch_execnz .LBB12_2112
.LBB12_62:
	s_or_b64 exec, exec, s[6:7]
	s_and_saveexec_b64 s[6:7], s[4:5]
	s_cbranch_execz .LBB12_64
.LBB12_63:
	v_bfe_u32 v6, v3, 24, 3
	v_ffbh_u32_e32 v14, v6
	v_min_u32_e32 v14, 32, v14
	v_lshrrev_b32_e32 v12, 27, v3
	v_subrev_u32_e32 v15, 28, v14
	v_and_b32_e32 v7, 0x80000000, v3
	v_and_b32_e32 v12, 15, v12
	v_bfe_u32 v13, v3, 27, 4
	v_lshlrev_b32_sdwa v3, v15, v3 dst_sel:DWORD dst_unused:UNUSED_PAD src0_sel:DWORD src1_sel:BYTE_3
	v_sub_u32_e32 v14, 29, v14
	v_and_b32_e32 v3, 7, v3
	v_cmp_eq_u16_e32 vcc, 0, v12
	v_cndmask_b32_e32 v3, v6, v3, vcc
	v_cndmask_b32_e32 v6, v13, v14, vcc
	v_mov_b32_e32 v12, 0x3b800000
	v_lshlrev_b32_e32 v3, 20, v3
	v_lshl_add_u32 v6, v6, 23, v12
	v_or3_b32 v6, v7, v6, v3
.LBB12_64:
	s_or_b64 exec, exec, s[6:7]
	s_nop 0
	v_mfma_f32_16x16x4f32 a[0:3], v2, v6, a[0:3]
	s_movk_i32 s4, 0x7f
	v_cmp_gt_i16_sdwa s[6:7], v8, s4 src0_sel:BYTE_0 src1_sel:DWORD
	s_mov_b64 s[4:5], 0
                                        ; implicit-def: $sgpr10
	s_and_saveexec_b64 s[8:9], s[6:7]
	s_xor_b64 s[6:7], exec, s[8:9]
	s_cbranch_execnz .LBB12_2113
; %bb.65:
	s_or_saveexec_b64 s[6:7], s[6:7]
	v_mov_b32_e32 v2, s10
	s_xor_b64 exec, exec, s[6:7]
	s_cbranch_execnz .LBB12_2116
.LBB12_66:
	s_or_b64 exec, exec, s[6:7]
	s_and_saveexec_b64 s[6:7], s[4:5]
	s_cbranch_execz .LBB12_68
.LBB12_67:
	v_and_b32_e32 v2, 7, v8
	v_ffbh_u32_e32 v6, v2
	v_min_u32_e32 v6, 32, v6
	v_lshrrev_b16_e32 v3, 3, v8
	v_subrev_u32_e32 v7, 28, v6
	v_and_b32_e32 v3, 15, v3
	v_lshlrev_b32_e32 v7, v7, v8
	v_sub_u32_e32 v6, 29, v6
	v_and_b32_e32 v7, 7, v7
	v_cmp_eq_u16_e32 vcc, 0, v3
	v_cndmask_b32_e32 v2, v2, v7, vcc
	v_cndmask_b32_e32 v3, v3, v6, vcc
	v_lshlrev_b32_e32 v6, 24, v8
	v_mov_b32_e32 v7, 0x3b800000
	v_lshlrev_b32_e32 v2, 20, v2
	v_and_b32_e32 v6, 0x80000000, v6
	v_lshl_add_u32 v3, v3, 23, v7
	v_or3_b32 v2, v6, v3, v2
.LBB12_68:
	s_or_b64 exec, exec, s[6:7]
	s_movk_i32 s4, 0x7f
	v_cmp_gt_i16_sdwa s[6:7], v4, s4 src0_sel:BYTE_0 src1_sel:DWORD
	s_mov_b64 s[4:5], 0
                                        ; implicit-def: $sgpr10
	s_and_saveexec_b64 s[8:9], s[6:7]
	s_xor_b64 s[6:7], exec, s[8:9]
	s_cbranch_execnz .LBB12_2117
; %bb.69:
	s_or_saveexec_b64 s[6:7], s[6:7]
	v_mov_b32_e32 v3, s10
	s_xor_b64 exec, exec, s[6:7]
	s_cbranch_execnz .LBB12_2120
.LBB12_70:
	s_or_b64 exec, exec, s[6:7]
	s_and_saveexec_b64 s[6:7], s[4:5]
	s_cbranch_execz .LBB12_72
.LBB12_71:
	v_and_b32_e32 v3, 7, v4
	v_ffbh_u32_e32 v7, v3
	v_min_u32_e32 v7, 32, v7
	v_lshrrev_b16_e32 v6, 3, v4
	v_subrev_u32_e32 v12, 28, v7
	v_and_b32_e32 v6, 15, v6
	v_lshlrev_b32_e32 v12, v12, v4
	v_sub_u32_e32 v7, 29, v7
	v_and_b32_e32 v12, 7, v12
	v_cmp_eq_u16_e32 vcc, 0, v6
	v_cndmask_b32_e32 v3, v3, v12, vcc
	v_cndmask_b32_e32 v6, v6, v7, vcc
	v_lshlrev_b32_e32 v7, 24, v4
	v_mov_b32_e32 v12, 0x3b800000
	v_lshlrev_b32_e32 v3, 20, v3
	v_and_b32_e32 v7, 0x80000000, v7
	v_lshl_add_u32 v6, v6, 23, v12
	v_or3_b32 v3, v7, v6, v3
.LBB12_72:
	s_or_b64 exec, exec, s[6:7]
	s_nop 0
	v_mfma_f32_16x16x4f32 a[0:3], v2, v3, a[0:3]
	v_lshrrev_b32_e32 v3, 8, v8
	s_movk_i32 s4, 0x7f
	v_cmp_gt_i16_sdwa s[6:7], v3, s4 src0_sel:BYTE_0 src1_sel:DWORD
	s_mov_b64 s[4:5], 0
                                        ; implicit-def: $sgpr10
	s_and_saveexec_b64 s[8:9], s[6:7]
	s_xor_b64 s[6:7], exec, s[8:9]
	s_cbranch_execnz .LBB12_2121
; %bb.73:
	s_or_saveexec_b64 s[6:7], s[6:7]
	v_mov_b32_e32 v2, s10
	s_xor_b64 exec, exec, s[6:7]
	s_cbranch_execnz .LBB12_2124
.LBB12_74:
	s_or_b64 exec, exec, s[6:7]
	s_and_saveexec_b64 s[6:7], s[4:5]
	s_cbranch_execz .LBB12_76
.LBB12_75:
	v_bfe_u32 v2, v8, 8, 3
	v_ffbh_u32_e32 v7, v2
	v_min_u32_e32 v7, 32, v7
	v_lshrrev_b16_e32 v6, 3, v3
	v_subrev_u32_e32 v12, 28, v7
	v_and_b32_e32 v6, 15, v6
	v_lshlrev_b32_e32 v3, v12, v3
	v_sub_u32_e32 v7, 29, v7
	v_and_b32_e32 v3, 7, v3
	v_cmp_eq_u16_e32 vcc, 0, v6
	v_cndmask_b32_e32 v2, v2, v3, vcc
	v_cndmask_b32_e32 v3, v6, v7, vcc
	v_lshlrev_b32_e32 v6, 16, v8
	v_mov_b32_e32 v7, 0x3b800000
	v_lshlrev_b32_e32 v2, 20, v2
	v_and_b32_e32 v6, 0x80000000, v6
	v_lshl_add_u32 v3, v3, 23, v7
	v_or3_b32 v2, v6, v3, v2
.LBB12_76:
	s_or_b64 exec, exec, s[6:7]
	v_lshrrev_b32_e32 v3, 8, v4
	s_movk_i32 s4, 0x7f
	v_cmp_gt_i16_sdwa s[6:7], v3, s4 src0_sel:BYTE_0 src1_sel:DWORD
	s_mov_b64 s[4:5], 0
                                        ; implicit-def: $sgpr10
	s_and_saveexec_b64 s[8:9], s[6:7]
	s_xor_b64 s[6:7], exec, s[8:9]
	s_cbranch_execnz .LBB12_2125
; %bb.77:
	s_or_saveexec_b64 s[6:7], s[6:7]
	v_mov_b32_e32 v6, s10
	s_xor_b64 exec, exec, s[6:7]
	s_cbranch_execnz .LBB12_2128
.LBB12_78:
	s_or_b64 exec, exec, s[6:7]
	s_and_saveexec_b64 s[6:7], s[4:5]
	s_cbranch_execz .LBB12_80
.LBB12_79:
	v_bfe_u32 v6, v4, 8, 3
	v_ffbh_u32_e32 v12, v6
	v_min_u32_e32 v12, 32, v12
	v_lshrrev_b16_e32 v7, 3, v3
	v_subrev_u32_e32 v13, 28, v12
	v_and_b32_e32 v7, 15, v7
	v_lshlrev_b32_e32 v3, v13, v3
	v_sub_u32_e32 v12, 29, v12
	v_and_b32_e32 v3, 7, v3
	v_cmp_eq_u16_e32 vcc, 0, v7
	v_cndmask_b32_e32 v3, v6, v3, vcc
	v_cndmask_b32_e32 v6, v7, v12, vcc
	v_lshlrev_b32_e32 v7, 16, v4
	v_mov_b32_e32 v12, 0x3b800000
	v_lshlrev_b32_e32 v3, 20, v3
	v_and_b32_e32 v7, 0x80000000, v7
	v_lshl_add_u32 v6, v6, 23, v12
	v_or3_b32 v6, v7, v6, v3
.LBB12_80:
	s_or_b64 exec, exec, s[6:7]
	s_nop 0
	v_mfma_f32_16x16x4f32 a[0:3], v2, v6, a[0:3]
	s_movk_i32 s4, 0xff
	v_and_b32_sdwa v3, v8, s4 dst_sel:DWORD dst_unused:UNUSED_PAD src0_sel:WORD_1 src1_sel:DWORD
	s_movk_i32 s4, 0x7f
	v_cmp_lt_i16_e32 vcc, s4, v3
	s_mov_b64 s[4:5], 0
                                        ; implicit-def: $sgpr10
	s_and_saveexec_b64 s[6:7], vcc
	s_xor_b64 s[6:7], exec, s[6:7]
	s_cbranch_execnz .LBB12_2129
; %bb.81:
	s_or_saveexec_b64 s[6:7], s[6:7]
	v_mov_b32_e32 v2, s10
	s_xor_b64 exec, exec, s[6:7]
	s_cbranch_execnz .LBB12_2132
.LBB12_82:
	s_or_b64 exec, exec, s[6:7]
	s_and_saveexec_b64 s[6:7], s[4:5]
	s_cbranch_execz .LBB12_84
.LBB12_83:
	v_bfe_u32 v2, v8, 16, 3
	v_ffbh_u32_e32 v7, v2
	v_min_u32_e32 v7, 32, v7
	v_lshrrev_b32_e32 v3, 19, v8
	v_subrev_u32_e32 v12, 28, v7
	v_and_b32_e32 v3, 15, v3
	v_lshlrev_b32_sdwa v12, v12, v8 dst_sel:DWORD dst_unused:UNUSED_PAD src0_sel:DWORD src1_sel:WORD_1
	v_bfe_u32 v6, v8, 19, 4
	v_sub_u32_e32 v7, 29, v7
	v_and_b32_e32 v12, 7, v12
	v_cmp_eq_u16_e32 vcc, 0, v3
	v_cndmask_b32_e32 v2, v2, v12, vcc
	v_cndmask_b32_e32 v3, v6, v7, vcc
	v_lshlrev_b32_e32 v6, 8, v8
	v_mov_b32_e32 v7, 0x3b800000
	v_lshlrev_b32_e32 v2, 20, v2
	v_and_b32_e32 v6, 0x80000000, v6
	v_lshl_add_u32 v3, v3, 23, v7
	v_or3_b32 v2, v6, v3, v2
.LBB12_84:
	s_or_b64 exec, exec, s[6:7]
	s_movk_i32 s4, 0xff
	v_and_b32_sdwa v3, v4, s4 dst_sel:DWORD dst_unused:UNUSED_PAD src0_sel:WORD_1 src1_sel:DWORD
	s_movk_i32 s4, 0x7f
	v_cmp_lt_i16_e32 vcc, s4, v3
	s_mov_b64 s[4:5], 0
                                        ; implicit-def: $sgpr10
	s_and_saveexec_b64 s[6:7], vcc
	s_xor_b64 s[6:7], exec, s[6:7]
	s_cbranch_execnz .LBB12_2133
; %bb.85:
	s_or_saveexec_b64 s[6:7], s[6:7]
	v_mov_b32_e32 v6, s10
	s_xor_b64 exec, exec, s[6:7]
	s_cbranch_execnz .LBB12_2136
.LBB12_86:
	s_or_b64 exec, exec, s[6:7]
	s_and_saveexec_b64 s[6:7], s[4:5]
	s_cbranch_execz .LBB12_88
.LBB12_87:
	v_bfe_u32 v3, v4, 16, 3
	v_ffbh_u32_e32 v12, v3
	v_min_u32_e32 v12, 32, v12
	v_lshrrev_b32_e32 v6, 19, v4
	v_subrev_u32_e32 v13, 28, v12
	v_and_b32_e32 v6, 15, v6
	v_lshlrev_b32_sdwa v13, v13, v4 dst_sel:DWORD dst_unused:UNUSED_PAD src0_sel:DWORD src1_sel:WORD_1
	v_bfe_u32 v7, v4, 19, 4
	v_sub_u32_e32 v12, 29, v12
	v_and_b32_e32 v13, 7, v13
	v_cmp_eq_u16_e32 vcc, 0, v6
	v_cndmask_b32_e32 v3, v3, v13, vcc
	v_cndmask_b32_e32 v6, v7, v12, vcc
	v_lshlrev_b32_e32 v7, 8, v4
	v_mov_b32_e32 v12, 0x3b800000
	v_lshlrev_b32_e32 v3, 20, v3
	v_and_b32_e32 v7, 0x80000000, v7
	v_lshl_add_u32 v6, v6, 23, v12
	v_or3_b32 v6, v7, v6, v3
.LBB12_88:
	s_or_b64 exec, exec, s[6:7]
	s_nop 0
	v_mfma_f32_16x16x4f32 a[0:3], v2, v6, a[0:3]
	s_movk_i32 s4, 0x7f
	v_cmp_gt_i16_sdwa s[6:7], v8, s4 src0_sel:BYTE_3 src1_sel:DWORD
	s_mov_b64 s[4:5], 0
                                        ; implicit-def: $sgpr10
	s_and_saveexec_b64 s[8:9], s[6:7]
	s_xor_b64 s[6:7], exec, s[8:9]
	s_cbranch_execnz .LBB12_2137
; %bb.89:
	s_or_saveexec_b64 s[6:7], s[6:7]
	v_mov_b32_e32 v2, s10
	s_xor_b64 exec, exec, s[6:7]
	s_cbranch_execnz .LBB12_2140
.LBB12_90:
	s_or_b64 exec, exec, s[6:7]
	s_and_saveexec_b64 s[6:7], s[4:5]
	s_cbranch_execz .LBB12_92
.LBB12_91:
	v_bfe_u32 v2, v8, 24, 3
	v_ffbh_u32_e32 v12, v2
	v_min_u32_e32 v12, 32, v12
	v_lshrrev_b32_e32 v6, 27, v8
	v_subrev_u32_e32 v13, 28, v12
	v_and_b32_e32 v3, 0x80000000, v8
	v_and_b32_e32 v6, 15, v6
	v_bfe_u32 v7, v8, 27, 4
	v_lshlrev_b32_sdwa v8, v13, v8 dst_sel:DWORD dst_unused:UNUSED_PAD src0_sel:DWORD src1_sel:BYTE_3
	v_sub_u32_e32 v12, 29, v12
	v_and_b32_e32 v8, 7, v8
	v_cmp_eq_u16_e32 vcc, 0, v6
	v_cndmask_b32_e32 v2, v2, v8, vcc
	v_cndmask_b32_e32 v6, v7, v12, vcc
	v_mov_b32_e32 v7, 0x3b800000
	v_lshlrev_b32_e32 v2, 20, v2
	v_lshl_add_u32 v6, v6, 23, v7
	v_or3_b32 v2, v3, v6, v2
.LBB12_92:
	s_or_b64 exec, exec, s[6:7]
	s_movk_i32 s4, 0x7f
	v_cmp_gt_i16_sdwa s[6:7], v4, s4 src0_sel:BYTE_3 src1_sel:DWORD
	s_mov_b64 s[4:5], 0
                                        ; implicit-def: $sgpr10
	s_and_saveexec_b64 s[8:9], s[6:7]
	s_xor_b64 s[6:7], exec, s[8:9]
	s_cbranch_execnz .LBB12_2141
; %bb.93:
	s_or_saveexec_b64 s[6:7], s[6:7]
	v_mov_b32_e32 v3, s10
	s_xor_b64 exec, exec, s[6:7]
	s_cbranch_execnz .LBB12_2144
.LBB12_94:
	s_or_b64 exec, exec, s[6:7]
	s_and_saveexec_b64 s[6:7], s[4:5]
	s_cbranch_execz .LBB12_96
.LBB12_95:
	v_bfe_u32 v3, v4, 24, 3
	v_ffbh_u32_e32 v12, v3
	v_min_u32_e32 v12, 32, v12
	v_lshrrev_b32_e32 v7, 27, v4
	v_subrev_u32_e32 v13, 28, v12
	v_and_b32_e32 v6, 0x80000000, v4
	v_and_b32_e32 v7, 15, v7
	v_bfe_u32 v8, v4, 27, 4
	v_lshlrev_b32_sdwa v4, v13, v4 dst_sel:DWORD dst_unused:UNUSED_PAD src0_sel:DWORD src1_sel:BYTE_3
	v_sub_u32_e32 v12, 29, v12
	v_and_b32_e32 v4, 7, v4
	v_cmp_eq_u16_e32 vcc, 0, v7
	v_cndmask_b32_e32 v3, v3, v4, vcc
	v_cndmask_b32_e32 v4, v8, v12, vcc
	v_mov_b32_e32 v7, 0x3b800000
	v_lshlrev_b32_e32 v3, 20, v3
	v_lshl_add_u32 v4, v4, 23, v7
	v_or3_b32 v3, v6, v4, v3
.LBB12_96:
	s_or_b64 exec, exec, s[6:7]
	s_nop 0
	v_mfma_f32_16x16x4f32 a[0:3], v2, v3, a[0:3]
	s_movk_i32 s4, 0x7f
	v_cmp_gt_i16_sdwa s[6:7], v9, s4 src0_sel:BYTE_0 src1_sel:DWORD
	s_mov_b64 s[4:5], 0
                                        ; implicit-def: $sgpr10
	s_and_saveexec_b64 s[8:9], s[6:7]
	s_xor_b64 s[6:7], exec, s[8:9]
	s_cbranch_execnz .LBB12_2145
; %bb.97:
	s_or_saveexec_b64 s[6:7], s[6:7]
	v_mov_b32_e32 v2, s10
	s_xor_b64 exec, exec, s[6:7]
	s_cbranch_execnz .LBB12_2148
.LBB12_98:
	s_or_b64 exec, exec, s[6:7]
	s_and_saveexec_b64 s[6:7], s[4:5]
	s_cbranch_execz .LBB12_100
.LBB12_99:
	v_mov_b32_e32 v2, 8
	v_and_b32_e32 v3, 7, v9
	v_lshrrev_b32_sdwa v2, v2, v9 dst_sel:BYTE_1 dst_unused:UNUSED_PAD src0_sel:DWORD src1_sel:DWORD
	v_ffbh_u32_e32 v4, v3
	v_or_b32_sdwa v2, v9, v2 dst_sel:DWORD dst_unused:UNUSED_PAD src0_sel:BYTE_0 src1_sel:DWORD
	v_min_u32_e32 v4, 32, v4
	v_lshrrev_b16_e32 v2, 3, v2
	v_subrev_u32_e32 v6, 28, v4
	v_and_b32_e32 v2, 15, v2
	v_lshlrev_b32_e32 v6, v6, v9
	v_sub_u32_e32 v4, 29, v4
	v_and_b32_e32 v6, 7, v6
	v_cmp_eq_u16_e32 vcc, 0, v2
	v_cndmask_b32_e32 v3, v3, v6, vcc
	v_cndmask_b32_e32 v2, v2, v4, vcc
	v_lshlrev_b32_e32 v4, 24, v9
	v_mov_b32_e32 v6, 0x3b800000
	v_lshlrev_b32_e32 v3, 20, v3
	v_and_b32_e32 v4, 0x80000000, v4
	v_lshl_add_u32 v2, v2, 23, v6
	v_or3_b32 v2, v4, v2, v3
.LBB12_100:
	s_or_b64 exec, exec, s[6:7]
	s_movk_i32 s4, 0x7f
	v_cmp_gt_i16_sdwa s[6:7], v5, s4 src0_sel:BYTE_0 src1_sel:DWORD
	s_mov_b64 s[4:5], 0
                                        ; implicit-def: $sgpr10
	s_and_saveexec_b64 s[8:9], s[6:7]
	s_xor_b64 s[6:7], exec, s[8:9]
	s_cbranch_execnz .LBB12_2149
; %bb.101:
	s_or_saveexec_b64 s[6:7], s[6:7]
	v_mov_b32_e32 v3, s10
	s_xor_b64 exec, exec, s[6:7]
	s_cbranch_execnz .LBB12_2152
.LBB12_102:
	s_or_b64 exec, exec, s[6:7]
	s_and_saveexec_b64 s[6:7], s[4:5]
	s_cbranch_execz .LBB12_104
.LBB12_103:
	v_mov_b32_e32 v3, 8
	v_and_b32_e32 v4, 7, v5
	v_lshrrev_b32_sdwa v3, v3, v5 dst_sel:BYTE_1 dst_unused:UNUSED_PAD src0_sel:DWORD src1_sel:DWORD
	v_ffbh_u32_e32 v6, v4
	v_or_b32_sdwa v3, v5, v3 dst_sel:DWORD dst_unused:UNUSED_PAD src0_sel:BYTE_0 src1_sel:DWORD
	v_min_u32_e32 v6, 32, v6
	v_lshrrev_b16_e32 v3, 3, v3
	v_subrev_u32_e32 v7, 28, v6
	v_and_b32_e32 v3, 15, v3
	v_lshlrev_b32_e32 v7, v7, v5
	v_sub_u32_e32 v6, 29, v6
	v_and_b32_e32 v7, 7, v7
	v_cmp_eq_u16_e32 vcc, 0, v3
	v_cndmask_b32_e32 v4, v4, v7, vcc
	v_cndmask_b32_e32 v3, v3, v6, vcc
	v_lshlrev_b32_e32 v6, 24, v5
	v_mov_b32_e32 v7, 0x3b800000
	v_lshlrev_b32_e32 v4, 20, v4
	v_and_b32_e32 v6, 0x80000000, v6
	v_lshl_add_u32 v3, v3, 23, v7
	v_or3_b32 v3, v6, v3, v4
.LBB12_104:
	s_or_b64 exec, exec, s[6:7]
	s_nop 0
	v_mfma_f32_16x16x4f32 a[0:3], v2, v3, a[0:3]
	v_lshrrev_b32_e32 v3, 8, v9
	s_movk_i32 s4, 0x7f
	v_cmp_gt_i16_sdwa s[6:7], v3, s4 src0_sel:BYTE_0 src1_sel:DWORD
	s_mov_b64 s[4:5], 0
                                        ; implicit-def: $sgpr10
	s_and_saveexec_b64 s[8:9], s[6:7]
	s_xor_b64 s[6:7], exec, s[8:9]
	s_cbranch_execnz .LBB12_2153
; %bb.105:
	s_or_saveexec_b64 s[6:7], s[6:7]
	v_mov_b32_e32 v2, s10
	s_xor_b64 exec, exec, s[6:7]
	s_cbranch_execnz .LBB12_2156
.LBB12_106:
	s_or_b64 exec, exec, s[6:7]
	s_and_saveexec_b64 s[6:7], s[4:5]
	s_cbranch_execz .LBB12_108
.LBB12_107:
	v_bfe_u32 v2, v9, 8, 3
	v_ffbh_u32_e32 v6, v2
	v_min_u32_e32 v6, 32, v6
	v_lshrrev_b16_e32 v4, 3, v3
	v_subrev_u32_e32 v7, 28, v6
	v_and_b32_e32 v4, 15, v4
	v_lshlrev_b32_e32 v3, v7, v3
	v_sub_u32_e32 v6, 29, v6
	v_and_b32_e32 v3, 7, v3
	v_cmp_eq_u16_e32 vcc, 0, v4
	v_cndmask_b32_e32 v2, v2, v3, vcc
	v_cndmask_b32_e32 v3, v4, v6, vcc
	v_lshlrev_b32_e32 v4, 16, v9
	v_mov_b32_e32 v6, 0x3b800000
	v_lshlrev_b32_e32 v2, 20, v2
	v_and_b32_e32 v4, 0x80000000, v4
	v_lshl_add_u32 v3, v3, 23, v6
	v_or3_b32 v2, v4, v3, v2
.LBB12_108:
	s_or_b64 exec, exec, s[6:7]
	v_lshrrev_b32_e32 v3, 8, v5
	s_movk_i32 s4, 0x7f
	v_cmp_gt_i16_sdwa s[6:7], v3, s4 src0_sel:BYTE_0 src1_sel:DWORD
	s_mov_b64 s[4:5], 0
                                        ; implicit-def: $sgpr10
	s_and_saveexec_b64 s[8:9], s[6:7]
	s_xor_b64 s[6:7], exec, s[8:9]
	s_cbranch_execnz .LBB12_2157
; %bb.109:
	s_or_saveexec_b64 s[6:7], s[6:7]
	v_mov_b32_e32 v4, s10
	s_xor_b64 exec, exec, s[6:7]
	s_cbranch_execnz .LBB12_2160
.LBB12_110:
	s_or_b64 exec, exec, s[6:7]
	s_and_saveexec_b64 s[6:7], s[4:5]
	s_cbranch_execz .LBB12_112
.LBB12_111:
	v_bfe_u32 v4, v5, 8, 3
	v_ffbh_u32_e32 v7, v4
	v_min_u32_e32 v7, 32, v7
	v_lshrrev_b16_e32 v6, 3, v3
	v_subrev_u32_e32 v8, 28, v7
	v_and_b32_e32 v6, 15, v6
	v_lshlrev_b32_e32 v3, v8, v3
	v_sub_u32_e32 v7, 29, v7
	v_and_b32_e32 v3, 7, v3
	v_cmp_eq_u16_e32 vcc, 0, v6
	v_cndmask_b32_e32 v3, v4, v3, vcc
	v_cndmask_b32_e32 v4, v6, v7, vcc
	v_lshlrev_b32_e32 v6, 16, v5
	v_mov_b32_e32 v7, 0x3b800000
	v_lshlrev_b32_e32 v3, 20, v3
	v_and_b32_e32 v6, 0x80000000, v6
	v_lshl_add_u32 v4, v4, 23, v7
	v_or3_b32 v4, v6, v4, v3
.LBB12_112:
	s_or_b64 exec, exec, s[6:7]
	s_nop 0
	v_mfma_f32_16x16x4f32 a[0:3], v2, v4, a[0:3]
	s_movk_i32 s4, 0xff
	v_and_b32_sdwa v3, v9, s4 dst_sel:DWORD dst_unused:UNUSED_PAD src0_sel:WORD_1 src1_sel:DWORD
	s_movk_i32 s4, 0x7f
	v_cmp_lt_i16_e32 vcc, s4, v3
	s_mov_b64 s[4:5], 0
                                        ; implicit-def: $sgpr10
	s_and_saveexec_b64 s[6:7], vcc
	s_xor_b64 s[6:7], exec, s[6:7]
	s_cbranch_execnz .LBB12_2161
; %bb.113:
	s_or_saveexec_b64 s[6:7], s[6:7]
	v_mov_b32_e32 v2, s10
	s_xor_b64 exec, exec, s[6:7]
	s_cbranch_execnz .LBB12_2164
.LBB12_114:
	s_or_b64 exec, exec, s[6:7]
	s_and_saveexec_b64 s[6:7], s[4:5]
	s_cbranch_execz .LBB12_116
.LBB12_115:
	v_bfe_u32 v2, v9, 16, 3
	v_ffbh_u32_e32 v6, v2
	v_min_u32_e32 v6, 32, v6
	v_lshrrev_b32_e32 v3, 19, v9
	v_subrev_u32_e32 v7, 28, v6
	v_and_b32_e32 v3, 15, v3
	v_lshlrev_b32_sdwa v7, v7, v9 dst_sel:DWORD dst_unused:UNUSED_PAD src0_sel:DWORD src1_sel:WORD_1
	v_bfe_u32 v4, v9, 19, 4
	v_sub_u32_e32 v6, 29, v6
	v_and_b32_e32 v7, 7, v7
	v_cmp_eq_u16_e32 vcc, 0, v3
	v_cndmask_b32_e32 v2, v2, v7, vcc
	v_cndmask_b32_e32 v3, v4, v6, vcc
	v_lshlrev_b32_e32 v4, 8, v9
	v_mov_b32_e32 v6, 0x3b800000
	v_lshlrev_b32_e32 v2, 20, v2
	v_and_b32_e32 v4, 0x80000000, v4
	v_lshl_add_u32 v3, v3, 23, v6
	v_or3_b32 v2, v4, v3, v2
.LBB12_116:
	s_or_b64 exec, exec, s[6:7]
	s_movk_i32 s4, 0xff
	v_and_b32_sdwa v3, v5, s4 dst_sel:DWORD dst_unused:UNUSED_PAD src0_sel:WORD_1 src1_sel:DWORD
	s_movk_i32 s4, 0x7f
	v_cmp_lt_i16_e32 vcc, s4, v3
	s_mov_b64 s[4:5], 0
                                        ; implicit-def: $sgpr10
	s_and_saveexec_b64 s[6:7], vcc
	s_xor_b64 s[6:7], exec, s[6:7]
	s_cbranch_execnz .LBB12_2165
; %bb.117:
	s_or_saveexec_b64 s[6:7], s[6:7]
	v_mov_b32_e32 v4, s10
	s_xor_b64 exec, exec, s[6:7]
	s_cbranch_execnz .LBB12_2168
.LBB12_118:
	s_or_b64 exec, exec, s[6:7]
	s_and_saveexec_b64 s[6:7], s[4:5]
	s_cbranch_execz .LBB12_120
.LBB12_119:
	v_bfe_u32 v3, v5, 16, 3
	v_ffbh_u32_e32 v7, v3
	v_min_u32_e32 v7, 32, v7
	v_lshrrev_b32_e32 v4, 19, v5
	v_subrev_u32_e32 v8, 28, v7
	v_and_b32_e32 v4, 15, v4
	v_lshlrev_b32_sdwa v8, v8, v5 dst_sel:DWORD dst_unused:UNUSED_PAD src0_sel:DWORD src1_sel:WORD_1
	v_bfe_u32 v6, v5, 19, 4
	v_sub_u32_e32 v7, 29, v7
	v_and_b32_e32 v8, 7, v8
	v_cmp_eq_u16_e32 vcc, 0, v4
	v_cndmask_b32_e32 v3, v3, v8, vcc
	v_cndmask_b32_e32 v4, v6, v7, vcc
	v_lshlrev_b32_e32 v6, 8, v5
	v_mov_b32_e32 v7, 0x3b800000
	v_lshlrev_b32_e32 v3, 20, v3
	v_and_b32_e32 v6, 0x80000000, v6
	v_lshl_add_u32 v4, v4, 23, v7
	v_or3_b32 v4, v6, v4, v3
.LBB12_120:
	s_or_b64 exec, exec, s[6:7]
	s_nop 0
	v_mfma_f32_16x16x4f32 a[0:3], v2, v4, a[0:3]
	s_movk_i32 s4, 0x7f
	v_cmp_gt_i16_sdwa s[6:7], v9, s4 src0_sel:BYTE_3 src1_sel:DWORD
	s_mov_b64 s[4:5], 0
                                        ; implicit-def: $sgpr10
	s_and_saveexec_b64 s[8:9], s[6:7]
	s_xor_b64 s[6:7], exec, s[8:9]
	s_cbranch_execnz .LBB12_2169
; %bb.121:
	s_or_saveexec_b64 s[6:7], s[6:7]
	v_mov_b32_e32 v2, s10
	s_xor_b64 exec, exec, s[6:7]
	s_cbranch_execnz .LBB12_2172
.LBB12_122:
	s_or_b64 exec, exec, s[6:7]
	s_and_saveexec_b64 s[6:7], s[4:5]
	s_cbranch_execz .LBB12_124
.LBB12_123:
	v_bfe_u32 v2, v9, 24, 3
	v_ffbh_u32_e32 v7, v2
	v_min_u32_e32 v7, 32, v7
	v_lshrrev_b32_e32 v4, 27, v9
	v_subrev_u32_e32 v8, 28, v7
	v_and_b32_e32 v4, 15, v4
	v_lshlrev_b32_sdwa v8, v8, v9 dst_sel:DWORD dst_unused:UNUSED_PAD src0_sel:DWORD src1_sel:BYTE_3
	v_bfe_u32 v6, v9, 27, 4
	v_sub_u32_e32 v7, 29, v7
	v_and_b32_e32 v8, 7, v8
	v_cmp_eq_u16_e32 vcc, 0, v4
	v_cndmask_b32_e32 v2, v2, v8, vcc
	v_cndmask_b32_e32 v4, v6, v7, vcc
	v_mov_b32_e32 v6, 0x3b800000
	v_and_b32_e32 v3, 0x80000000, v9
	v_lshlrev_b32_e32 v2, 20, v2
	v_lshl_add_u32 v4, v4, 23, v6
	v_or3_b32 v2, v3, v4, v2
.LBB12_124:
	s_or_b64 exec, exec, s[6:7]
	s_movk_i32 s4, 0x7f
	v_cmp_gt_i16_sdwa s[6:7], v5, s4 src0_sel:BYTE_3 src1_sel:DWORD
	s_mov_b64 s[4:5], 0
                                        ; implicit-def: $sgpr10
	s_and_saveexec_b64 s[8:9], s[6:7]
	s_xor_b64 s[6:7], exec, s[8:9]
	s_cbranch_execnz .LBB12_2173
; %bb.125:
	s_or_saveexec_b64 s[6:7], s[6:7]
	v_mov_b32_e32 v3, s10
	s_xor_b64 exec, exec, s[6:7]
	s_cbranch_execnz .LBB12_2176
.LBB12_126:
	s_or_b64 exec, exec, s[6:7]
	s_and_saveexec_b64 s[6:7], s[4:5]
	s_cbranch_execz .LBB12_128
.LBB12_127:
	v_bfe_u32 v3, v5, 24, 3
	v_ffbh_u32_e32 v8, v3
	v_min_u32_e32 v8, 32, v8
	v_lshrrev_b32_e32 v6, 27, v5
	v_subrev_u32_e32 v9, 28, v8
	v_and_b32_e32 v4, 0x80000000, v5
	v_and_b32_e32 v6, 15, v6
	v_bfe_u32 v7, v5, 27, 4
	v_lshlrev_b32_sdwa v5, v9, v5 dst_sel:DWORD dst_unused:UNUSED_PAD src0_sel:DWORD src1_sel:BYTE_3
	v_sub_u32_e32 v8, 29, v8
	v_and_b32_e32 v5, 7, v5
	v_cmp_eq_u16_e32 vcc, 0, v6
	v_cndmask_b32_e32 v3, v3, v5, vcc
	v_cndmask_b32_e32 v5, v7, v8, vcc
	v_mov_b32_e32 v6, 0x3b800000
	v_lshlrev_b32_e32 v3, 20, v3
	v_lshl_add_u32 v5, v5, 23, v6
	v_or3_b32 v3, v4, v5, v3
.LBB12_128:
	s_or_b64 exec, exec, s[6:7]
	s_nop 0
	v_mfma_f32_16x16x4f32 a[0:3], v2, v3, a[0:3]
	s_nop 7
	s_nop 2
	flat_store_dwordx4 v[10:11], a[0:3]
	; sched_barrier mask(0x00000000)
	s_setprio 1
	; sched_barrier mask(0x00000000)
	flat_load_dwordx4 v[12:15], v[0:1] offset:8
	flat_load_dwordx2 v[10:11], v[0:1] offset:32
	s_movk_i32 s4, 0x7f
                                        ; implicit-def: $sgpr10
	s_waitcnt vmcnt(0) lgkmcnt(0)
	flat_load_dwordx4 v[6:9], v[12:13]
	flat_load_dwordx4 v[2:5], v[14:15] offset:32
	s_waitcnt vmcnt(0) lgkmcnt(0)
	v_cmp_gt_i16_sdwa s[6:7], v6, s4 src0_sel:BYTE_0 src1_sel:DWORD
	s_mov_b64 s[4:5], 0
	s_and_saveexec_b64 s[8:9], s[6:7]
	s_xor_b64 s[6:7], exec, s[8:9]
	s_cbranch_execnz .LBB12_2177
; %bb.129:
	s_or_saveexec_b64 s[6:7], s[6:7]
	v_mov_b32_e32 v12, s10
	s_xor_b64 exec, exec, s[6:7]
	s_cbranch_execnz .LBB12_2180
.LBB12_130:
	s_or_b64 exec, exec, s[6:7]
	s_and_saveexec_b64 s[6:7], s[4:5]
	s_cbranch_execz .LBB12_132
.LBB12_131:
	v_and_b32_e32 v12, 7, v6
	v_ffbh_u32_e32 v14, v12
	v_min_u32_e32 v14, 32, v14
	v_lshrrev_b16_e32 v13, 3, v6
	v_subrev_u32_e32 v15, 28, v14
	v_and_b32_e32 v13, 15, v13
	v_lshlrev_b32_e32 v15, v15, v6
	v_sub_u32_e32 v14, 29, v14
	v_and_b32_e32 v15, 7, v15
	v_cmp_eq_u16_e32 vcc, 0, v13
	v_cndmask_b32_e32 v12, v12, v15, vcc
	v_cndmask_b32_e32 v13, v13, v14, vcc
	v_lshlrev_b32_e32 v14, 24, v6
	v_mov_b32_e32 v15, 0x3b800000
	v_lshlrev_b32_e32 v12, 20, v12
	v_and_b32_e32 v14, 0x80000000, v14
	v_lshl_add_u32 v13, v13, 23, v15
	v_or3_b32 v12, v14, v13, v12
.LBB12_132:
	s_or_b64 exec, exec, s[6:7]
	s_movk_i32 s4, 0x7f
	v_cmp_gt_i16_sdwa s[6:7], v2, s4 src0_sel:BYTE_0 src1_sel:DWORD
	s_mov_b64 s[4:5], 0
                                        ; implicit-def: $sgpr10
	s_and_saveexec_b64 s[8:9], s[6:7]
	s_xor_b64 s[6:7], exec, s[8:9]
	s_cbranch_execnz .LBB12_2181
; %bb.133:
	s_or_saveexec_b64 s[6:7], s[6:7]
	v_mov_b32_e32 v13, s10
	s_xor_b64 exec, exec, s[6:7]
	s_cbranch_execnz .LBB12_2184
.LBB12_134:
	s_or_b64 exec, exec, s[6:7]
	s_and_saveexec_b64 s[6:7], s[4:5]
	s_cbranch_execz .LBB12_136
.LBB12_135:
	v_and_b32_e32 v13, 7, v2
	v_ffbh_u32_e32 v15, v13
	v_min_u32_e32 v15, 32, v15
	v_lshrrev_b16_e32 v14, 3, v2
	v_subrev_u32_e32 v16, 28, v15
	v_and_b32_e32 v14, 15, v14
	v_lshlrev_b32_e32 v16, v16, v2
	v_sub_u32_e32 v15, 29, v15
	v_and_b32_e32 v16, 7, v16
	v_cmp_eq_u16_e32 vcc, 0, v14
	v_cndmask_b32_e32 v13, v13, v16, vcc
	v_cndmask_b32_e32 v14, v14, v15, vcc
	v_lshlrev_b32_e32 v15, 24, v2
	v_mov_b32_e32 v16, 0x3b800000
	v_lshlrev_b32_e32 v13, 20, v13
	v_and_b32_e32 v15, 0x80000000, v15
	v_lshl_add_u32 v14, v14, 23, v16
	v_or3_b32 v13, v15, v14, v13
.LBB12_136:
	s_or_b64 exec, exec, s[6:7]
	flat_load_dwordx4 a[0:3], v[10:11] offset:16
	s_movk_i32 s4, 0x7f
                                        ; implicit-def: $sgpr10
	s_waitcnt vmcnt(0) lgkmcnt(0)
	v_mfma_f32_16x16x4f32 a[0:3], v12, v13, a[0:3]
	v_lshrrev_b32_e32 v13, 8, v6
	v_cmp_gt_i16_sdwa s[6:7], v13, s4 src0_sel:BYTE_0 src1_sel:DWORD
	s_mov_b64 s[4:5], 0
	s_and_saveexec_b64 s[8:9], s[6:7]
	s_xor_b64 s[6:7], exec, s[8:9]
	s_cbranch_execnz .LBB12_2185
; %bb.137:
	s_or_saveexec_b64 s[6:7], s[6:7]
	v_mov_b32_e32 v12, s10
	s_xor_b64 exec, exec, s[6:7]
	s_cbranch_execnz .LBB12_2188
.LBB12_138:
	s_or_b64 exec, exec, s[6:7]
	s_and_saveexec_b64 s[6:7], s[4:5]
	s_cbranch_execz .LBB12_140
.LBB12_139:
	v_bfe_u32 v12, v6, 8, 3
	v_ffbh_u32_e32 v15, v12
	v_min_u32_e32 v15, 32, v15
	v_lshrrev_b16_e32 v14, 3, v13
	v_subrev_u32_e32 v16, 28, v15
	v_and_b32_e32 v14, 15, v14
	v_lshlrev_b32_e32 v13, v16, v13
	v_sub_u32_e32 v15, 29, v15
	v_and_b32_e32 v13, 7, v13
	v_cmp_eq_u16_e32 vcc, 0, v14
	v_cndmask_b32_e32 v12, v12, v13, vcc
	v_cndmask_b32_e32 v13, v14, v15, vcc
	v_lshlrev_b32_e32 v14, 16, v6
	v_mov_b32_e32 v15, 0x3b800000
	v_lshlrev_b32_e32 v12, 20, v12
	v_and_b32_e32 v14, 0x80000000, v14
	v_lshl_add_u32 v13, v13, 23, v15
	v_or3_b32 v12, v14, v13, v12
.LBB12_140:
	s_or_b64 exec, exec, s[6:7]
	v_lshrrev_b32_e32 v13, 8, v2
	s_movk_i32 s4, 0x7f
	v_cmp_gt_i16_sdwa s[6:7], v13, s4 src0_sel:BYTE_0 src1_sel:DWORD
	s_mov_b64 s[4:5], 0
                                        ; implicit-def: $sgpr10
	s_and_saveexec_b64 s[8:9], s[6:7]
	s_xor_b64 s[6:7], exec, s[8:9]
	s_cbranch_execnz .LBB12_2189
; %bb.141:
	s_or_saveexec_b64 s[6:7], s[6:7]
	v_mov_b32_e32 v14, s10
	s_xor_b64 exec, exec, s[6:7]
	s_cbranch_execnz .LBB12_2192
.LBB12_142:
	s_or_b64 exec, exec, s[6:7]
	s_and_saveexec_b64 s[6:7], s[4:5]
	s_cbranch_execz .LBB12_144
.LBB12_143:
	v_bfe_u32 v14, v2, 8, 3
	v_ffbh_u32_e32 v16, v14
	v_min_u32_e32 v16, 32, v16
	v_lshrrev_b16_e32 v15, 3, v13
	v_subrev_u32_e32 v17, 28, v16
	v_and_b32_e32 v15, 15, v15
	v_lshlrev_b32_e32 v13, v17, v13
	v_sub_u32_e32 v16, 29, v16
	v_and_b32_e32 v13, 7, v13
	v_cmp_eq_u16_e32 vcc, 0, v15
	v_cndmask_b32_e32 v13, v14, v13, vcc
	v_cndmask_b32_e32 v14, v15, v16, vcc
	v_lshlrev_b32_e32 v15, 16, v2
	v_mov_b32_e32 v16, 0x3b800000
	v_lshlrev_b32_e32 v13, 20, v13
	v_and_b32_e32 v15, 0x80000000, v15
	v_lshl_add_u32 v14, v14, 23, v16
	v_or3_b32 v14, v15, v14, v13
.LBB12_144:
	s_or_b64 exec, exec, s[6:7]
	s_nop 0
	v_mfma_f32_16x16x4f32 a[0:3], v12, v14, a[0:3]
	s_movk_i32 s4, 0xff
	v_and_b32_sdwa v13, v6, s4 dst_sel:DWORD dst_unused:UNUSED_PAD src0_sel:WORD_1 src1_sel:DWORD
	s_movk_i32 s4, 0x7f
	v_cmp_lt_i16_e32 vcc, s4, v13
	s_mov_b64 s[4:5], 0
                                        ; implicit-def: $sgpr10
	s_and_saveexec_b64 s[6:7], vcc
	s_xor_b64 s[6:7], exec, s[6:7]
	s_cbranch_execnz .LBB12_2193
; %bb.145:
	s_or_saveexec_b64 s[6:7], s[6:7]
	v_mov_b32_e32 v12, s10
	s_xor_b64 exec, exec, s[6:7]
	s_cbranch_execnz .LBB12_2196
.LBB12_146:
	s_or_b64 exec, exec, s[6:7]
	s_and_saveexec_b64 s[6:7], s[4:5]
	s_cbranch_execz .LBB12_148
.LBB12_147:
	v_bfe_u32 v12, v6, 16, 3
	v_ffbh_u32_e32 v15, v12
	v_min_u32_e32 v15, 32, v15
	v_lshrrev_b32_e32 v13, 19, v6
	v_subrev_u32_e32 v16, 28, v15
	v_and_b32_e32 v13, 15, v13
	v_lshlrev_b32_sdwa v16, v16, v6 dst_sel:DWORD dst_unused:UNUSED_PAD src0_sel:DWORD src1_sel:WORD_1
	v_bfe_u32 v14, v6, 19, 4
	v_sub_u32_e32 v15, 29, v15
	v_and_b32_e32 v16, 7, v16
	v_cmp_eq_u16_e32 vcc, 0, v13
	v_cndmask_b32_e32 v12, v12, v16, vcc
	v_cndmask_b32_e32 v13, v14, v15, vcc
	v_lshlrev_b32_e32 v14, 8, v6
	v_mov_b32_e32 v15, 0x3b800000
	v_lshlrev_b32_e32 v12, 20, v12
	v_and_b32_e32 v14, 0x80000000, v14
	v_lshl_add_u32 v13, v13, 23, v15
	v_or3_b32 v12, v14, v13, v12
.LBB12_148:
	s_or_b64 exec, exec, s[6:7]
	s_movk_i32 s4, 0xff
	v_and_b32_sdwa v13, v2, s4 dst_sel:DWORD dst_unused:UNUSED_PAD src0_sel:WORD_1 src1_sel:DWORD
	s_movk_i32 s4, 0x7f
	v_cmp_lt_i16_e32 vcc, s4, v13
	s_mov_b64 s[4:5], 0
                                        ; implicit-def: $sgpr10
	s_and_saveexec_b64 s[6:7], vcc
	s_xor_b64 s[6:7], exec, s[6:7]
	s_cbranch_execnz .LBB12_2197
; %bb.149:
	s_or_saveexec_b64 s[6:7], s[6:7]
	v_mov_b32_e32 v14, s10
	s_xor_b64 exec, exec, s[6:7]
	s_cbranch_execnz .LBB12_2200
.LBB12_150:
	s_or_b64 exec, exec, s[6:7]
	s_and_saveexec_b64 s[6:7], s[4:5]
	s_cbranch_execz .LBB12_152
.LBB12_151:
	v_bfe_u32 v13, v2, 16, 3
	v_ffbh_u32_e32 v16, v13
	v_min_u32_e32 v16, 32, v16
	v_lshrrev_b32_e32 v14, 19, v2
	v_subrev_u32_e32 v17, 28, v16
	v_and_b32_e32 v14, 15, v14
	v_lshlrev_b32_sdwa v17, v17, v2 dst_sel:DWORD dst_unused:UNUSED_PAD src0_sel:DWORD src1_sel:WORD_1
	v_bfe_u32 v15, v2, 19, 4
	v_sub_u32_e32 v16, 29, v16
	v_and_b32_e32 v17, 7, v17
	v_cmp_eq_u16_e32 vcc, 0, v14
	v_cndmask_b32_e32 v13, v13, v17, vcc
	v_cndmask_b32_e32 v14, v15, v16, vcc
	v_lshlrev_b32_e32 v15, 8, v2
	v_mov_b32_e32 v16, 0x3b800000
	v_lshlrev_b32_e32 v13, 20, v13
	v_and_b32_e32 v15, 0x80000000, v15
	v_lshl_add_u32 v14, v14, 23, v16
	v_or3_b32 v14, v15, v14, v13
.LBB12_152:
	s_or_b64 exec, exec, s[6:7]
	s_nop 0
	v_mfma_f32_16x16x4f32 a[0:3], v12, v14, a[0:3]
	s_movk_i32 s4, 0x7f
	v_cmp_gt_i16_sdwa s[6:7], v6, s4 src0_sel:BYTE_3 src1_sel:DWORD
	s_mov_b64 s[4:5], 0
                                        ; implicit-def: $sgpr10
	s_and_saveexec_b64 s[8:9], s[6:7]
	s_xor_b64 s[6:7], exec, s[8:9]
	s_cbranch_execnz .LBB12_2201
; %bb.153:
	s_or_saveexec_b64 s[6:7], s[6:7]
	v_mov_b32_e32 v12, s10
	s_xor_b64 exec, exec, s[6:7]
	s_cbranch_execnz .LBB12_2204
.LBB12_154:
	s_or_b64 exec, exec, s[6:7]
	s_and_saveexec_b64 s[6:7], s[4:5]
	s_cbranch_execz .LBB12_156
.LBB12_155:
	v_bfe_u32 v12, v6, 24, 3
	v_ffbh_u32_e32 v16, v12
	v_min_u32_e32 v16, 32, v16
	v_lshrrev_b32_e32 v14, 27, v6
	v_subrev_u32_e32 v17, 28, v16
	v_and_b32_e32 v13, 0x80000000, v6
	v_and_b32_e32 v14, 15, v14
	v_bfe_u32 v15, v6, 27, 4
	v_lshlrev_b32_sdwa v6, v17, v6 dst_sel:DWORD dst_unused:UNUSED_PAD src0_sel:DWORD src1_sel:BYTE_3
	v_sub_u32_e32 v16, 29, v16
	v_and_b32_e32 v6, 7, v6
	v_cmp_eq_u16_e32 vcc, 0, v14
	v_cndmask_b32_e32 v6, v12, v6, vcc
	v_cndmask_b32_e32 v12, v15, v16, vcc
	v_mov_b32_e32 v14, 0x3b800000
	v_lshlrev_b32_e32 v6, 20, v6
	v_lshl_add_u32 v12, v12, 23, v14
	v_or3_b32 v12, v13, v12, v6
.LBB12_156:
	s_or_b64 exec, exec, s[6:7]
	s_movk_i32 s4, 0x7f
	v_cmp_gt_i16_sdwa s[6:7], v2, s4 src0_sel:BYTE_3 src1_sel:DWORD
	s_mov_b64 s[4:5], 0
                                        ; implicit-def: $sgpr10
	s_and_saveexec_b64 s[8:9], s[6:7]
	s_xor_b64 s[6:7], exec, s[8:9]
	s_cbranch_execnz .LBB12_2205
; %bb.157:
	s_or_saveexec_b64 s[6:7], s[6:7]
	v_mov_b32_e32 v6, s10
	s_xor_b64 exec, exec, s[6:7]
	s_cbranch_execnz .LBB12_2208
.LBB12_158:
	s_or_b64 exec, exec, s[6:7]
	s_and_saveexec_b64 s[6:7], s[4:5]
	s_cbranch_execz .LBB12_160
.LBB12_159:
	v_bfe_u32 v6, v2, 24, 3
	v_ffbh_u32_e32 v16, v6
	v_min_u32_e32 v16, 32, v16
	v_lshrrev_b32_e32 v14, 27, v2
	v_subrev_u32_e32 v17, 28, v16
	v_and_b32_e32 v13, 0x80000000, v2
	v_and_b32_e32 v14, 15, v14
	v_bfe_u32 v15, v2, 27, 4
	v_lshlrev_b32_sdwa v2, v17, v2 dst_sel:DWORD dst_unused:UNUSED_PAD src0_sel:DWORD src1_sel:BYTE_3
	v_sub_u32_e32 v16, 29, v16
	v_and_b32_e32 v2, 7, v2
	v_cmp_eq_u16_e32 vcc, 0, v14
	v_cndmask_b32_e32 v2, v6, v2, vcc
	v_cndmask_b32_e32 v6, v15, v16, vcc
	v_mov_b32_e32 v14, 0x3b800000
	v_lshlrev_b32_e32 v2, 20, v2
	v_lshl_add_u32 v6, v6, 23, v14
	v_or3_b32 v6, v13, v6, v2
.LBB12_160:
	s_or_b64 exec, exec, s[6:7]
	s_nop 0
	v_mfma_f32_16x16x4f32 a[0:3], v12, v6, a[0:3]
	s_movk_i32 s4, 0x7f
	v_cmp_gt_i16_sdwa s[6:7], v7, s4 src0_sel:BYTE_0 src1_sel:DWORD
	s_mov_b64 s[4:5], 0
                                        ; implicit-def: $sgpr10
	s_and_saveexec_b64 s[8:9], s[6:7]
	s_xor_b64 s[6:7], exec, s[8:9]
	s_cbranch_execnz .LBB12_2209
; %bb.161:
	s_or_saveexec_b64 s[6:7], s[6:7]
	v_mov_b32_e32 v2, s10
	s_xor_b64 exec, exec, s[6:7]
	s_cbranch_execnz .LBB12_2212
.LBB12_162:
	s_or_b64 exec, exec, s[6:7]
	s_and_saveexec_b64 s[6:7], s[4:5]
	s_cbranch_execz .LBB12_164
.LBB12_163:
	v_and_b32_e32 v2, 7, v7
	v_ffbh_u32_e32 v12, v2
	v_min_u32_e32 v12, 32, v12
	v_lshrrev_b16_e32 v6, 3, v7
	v_subrev_u32_e32 v13, 28, v12
	v_and_b32_e32 v6, 15, v6
	v_lshlrev_b32_e32 v13, v13, v7
	v_sub_u32_e32 v12, 29, v12
	v_and_b32_e32 v13, 7, v13
	v_cmp_eq_u16_e32 vcc, 0, v6
	v_cndmask_b32_e32 v2, v2, v13, vcc
	v_cndmask_b32_e32 v6, v6, v12, vcc
	v_lshlrev_b32_e32 v12, 24, v7
	v_mov_b32_e32 v13, 0x3b800000
	v_lshlrev_b32_e32 v2, 20, v2
	v_and_b32_e32 v12, 0x80000000, v12
	v_lshl_add_u32 v6, v6, 23, v13
	v_or3_b32 v2, v12, v6, v2
.LBB12_164:
	s_or_b64 exec, exec, s[6:7]
	s_movk_i32 s4, 0x7f
	v_cmp_gt_i16_sdwa s[6:7], v3, s4 src0_sel:BYTE_0 src1_sel:DWORD
	s_mov_b64 s[4:5], 0
                                        ; implicit-def: $sgpr10
	s_and_saveexec_b64 s[8:9], s[6:7]
	s_xor_b64 s[6:7], exec, s[8:9]
	s_cbranch_execnz .LBB12_2213
; %bb.165:
	s_or_saveexec_b64 s[6:7], s[6:7]
	v_mov_b32_e32 v6, s10
	s_xor_b64 exec, exec, s[6:7]
	s_cbranch_execnz .LBB12_2216
.LBB12_166:
	s_or_b64 exec, exec, s[6:7]
	s_and_saveexec_b64 s[6:7], s[4:5]
	s_cbranch_execz .LBB12_168
.LBB12_167:
	v_and_b32_e32 v6, 7, v3
	v_ffbh_u32_e32 v13, v6
	v_min_u32_e32 v13, 32, v13
	v_lshrrev_b16_e32 v12, 3, v3
	v_subrev_u32_e32 v14, 28, v13
	v_and_b32_e32 v12, 15, v12
	v_lshlrev_b32_e32 v14, v14, v3
	v_sub_u32_e32 v13, 29, v13
	v_and_b32_e32 v14, 7, v14
	v_cmp_eq_u16_e32 vcc, 0, v12
	v_cndmask_b32_e32 v6, v6, v14, vcc
	v_cndmask_b32_e32 v12, v12, v13, vcc
	v_lshlrev_b32_e32 v13, 24, v3
	v_mov_b32_e32 v14, 0x3b800000
	v_lshlrev_b32_e32 v6, 20, v6
	v_and_b32_e32 v13, 0x80000000, v13
	v_lshl_add_u32 v12, v12, 23, v14
	v_or3_b32 v6, v13, v12, v6
.LBB12_168:
	s_or_b64 exec, exec, s[6:7]
	s_nop 0
	v_mfma_f32_16x16x4f32 a[0:3], v2, v6, a[0:3]
	v_lshrrev_b32_e32 v6, 8, v7
	s_movk_i32 s4, 0x7f
	v_cmp_gt_i16_sdwa s[6:7], v6, s4 src0_sel:BYTE_0 src1_sel:DWORD
	s_mov_b64 s[4:5], 0
                                        ; implicit-def: $sgpr10
	s_and_saveexec_b64 s[8:9], s[6:7]
	s_xor_b64 s[6:7], exec, s[8:9]
	s_cbranch_execnz .LBB12_2217
; %bb.169:
	s_or_saveexec_b64 s[6:7], s[6:7]
	v_mov_b32_e32 v2, s10
	s_xor_b64 exec, exec, s[6:7]
	s_cbranch_execnz .LBB12_2220
.LBB12_170:
	s_or_b64 exec, exec, s[6:7]
	s_and_saveexec_b64 s[6:7], s[4:5]
	s_cbranch_execz .LBB12_172
.LBB12_171:
	v_bfe_u32 v2, v7, 8, 3
	v_ffbh_u32_e32 v13, v2
	v_min_u32_e32 v13, 32, v13
	v_lshrrev_b16_e32 v12, 3, v6
	v_subrev_u32_e32 v14, 28, v13
	v_and_b32_e32 v12, 15, v12
	v_lshlrev_b32_e32 v6, v14, v6
	v_sub_u32_e32 v13, 29, v13
	v_and_b32_e32 v6, 7, v6
	v_cmp_eq_u16_e32 vcc, 0, v12
	v_cndmask_b32_e32 v2, v2, v6, vcc
	v_cndmask_b32_e32 v6, v12, v13, vcc
	v_lshlrev_b32_e32 v12, 16, v7
	v_mov_b32_e32 v13, 0x3b800000
	v_lshlrev_b32_e32 v2, 20, v2
	v_and_b32_e32 v12, 0x80000000, v12
	v_lshl_add_u32 v6, v6, 23, v13
	v_or3_b32 v2, v12, v6, v2
.LBB12_172:
	s_or_b64 exec, exec, s[6:7]
	v_lshrrev_b32_e32 v6, 8, v3
	s_movk_i32 s4, 0x7f
	v_cmp_gt_i16_sdwa s[6:7], v6, s4 src0_sel:BYTE_0 src1_sel:DWORD
	s_mov_b64 s[4:5], 0
                                        ; implicit-def: $sgpr10
	s_and_saveexec_b64 s[8:9], s[6:7]
	s_xor_b64 s[6:7], exec, s[8:9]
	s_cbranch_execnz .LBB12_2221
; %bb.173:
	s_or_saveexec_b64 s[6:7], s[6:7]
	v_mov_b32_e32 v12, s10
	s_xor_b64 exec, exec, s[6:7]
	s_cbranch_execnz .LBB12_2224
.LBB12_174:
	s_or_b64 exec, exec, s[6:7]
	s_and_saveexec_b64 s[6:7], s[4:5]
	s_cbranch_execz .LBB12_176
.LBB12_175:
	v_bfe_u32 v12, v3, 8, 3
	v_ffbh_u32_e32 v14, v12
	v_min_u32_e32 v14, 32, v14
	v_lshrrev_b16_e32 v13, 3, v6
	v_subrev_u32_e32 v15, 28, v14
	v_and_b32_e32 v13, 15, v13
	v_lshlrev_b32_e32 v6, v15, v6
	v_sub_u32_e32 v14, 29, v14
	v_and_b32_e32 v6, 7, v6
	v_cmp_eq_u16_e32 vcc, 0, v13
	v_cndmask_b32_e32 v6, v12, v6, vcc
	v_cndmask_b32_e32 v12, v13, v14, vcc
	v_lshlrev_b32_e32 v13, 16, v3
	v_mov_b32_e32 v14, 0x3b800000
	v_lshlrev_b32_e32 v6, 20, v6
	v_and_b32_e32 v13, 0x80000000, v13
	v_lshl_add_u32 v12, v12, 23, v14
	v_or3_b32 v12, v13, v12, v6
.LBB12_176:
	s_or_b64 exec, exec, s[6:7]
	s_nop 0
	v_mfma_f32_16x16x4f32 a[0:3], v2, v12, a[0:3]
	s_movk_i32 s4, 0xff
	v_and_b32_sdwa v6, v7, s4 dst_sel:DWORD dst_unused:UNUSED_PAD src0_sel:WORD_1 src1_sel:DWORD
	s_movk_i32 s4, 0x7f
	v_cmp_lt_i16_e32 vcc, s4, v6
	s_mov_b64 s[4:5], 0
                                        ; implicit-def: $sgpr10
	s_and_saveexec_b64 s[6:7], vcc
	s_xor_b64 s[6:7], exec, s[6:7]
	s_cbranch_execnz .LBB12_2225
; %bb.177:
	s_or_saveexec_b64 s[6:7], s[6:7]
	v_mov_b32_e32 v2, s10
	s_xor_b64 exec, exec, s[6:7]
	s_cbranch_execnz .LBB12_2228
.LBB12_178:
	s_or_b64 exec, exec, s[6:7]
	s_and_saveexec_b64 s[6:7], s[4:5]
	s_cbranch_execz .LBB12_180
.LBB12_179:
	v_bfe_u32 v2, v7, 16, 3
	v_ffbh_u32_e32 v13, v2
	v_min_u32_e32 v13, 32, v13
	v_lshrrev_b32_e32 v6, 19, v7
	v_subrev_u32_e32 v14, 28, v13
	v_and_b32_e32 v6, 15, v6
	v_lshlrev_b32_sdwa v14, v14, v7 dst_sel:DWORD dst_unused:UNUSED_PAD src0_sel:DWORD src1_sel:WORD_1
	v_bfe_u32 v12, v7, 19, 4
	v_sub_u32_e32 v13, 29, v13
	v_and_b32_e32 v14, 7, v14
	v_cmp_eq_u16_e32 vcc, 0, v6
	v_cndmask_b32_e32 v2, v2, v14, vcc
	v_cndmask_b32_e32 v6, v12, v13, vcc
	v_lshlrev_b32_e32 v12, 8, v7
	v_mov_b32_e32 v13, 0x3b800000
	v_lshlrev_b32_e32 v2, 20, v2
	v_and_b32_e32 v12, 0x80000000, v12
	v_lshl_add_u32 v6, v6, 23, v13
	v_or3_b32 v2, v12, v6, v2
.LBB12_180:
	s_or_b64 exec, exec, s[6:7]
	s_movk_i32 s4, 0xff
	v_and_b32_sdwa v6, v3, s4 dst_sel:DWORD dst_unused:UNUSED_PAD src0_sel:WORD_1 src1_sel:DWORD
	s_movk_i32 s4, 0x7f
	v_cmp_lt_i16_e32 vcc, s4, v6
	s_mov_b64 s[4:5], 0
                                        ; implicit-def: $sgpr10
	s_and_saveexec_b64 s[6:7], vcc
	s_xor_b64 s[6:7], exec, s[6:7]
	s_cbranch_execnz .LBB12_2229
; %bb.181:
	s_or_saveexec_b64 s[6:7], s[6:7]
	v_mov_b32_e32 v12, s10
	s_xor_b64 exec, exec, s[6:7]
	s_cbranch_execnz .LBB12_2232
.LBB12_182:
	s_or_b64 exec, exec, s[6:7]
	s_and_saveexec_b64 s[6:7], s[4:5]
	s_cbranch_execz .LBB12_184
.LBB12_183:
	v_bfe_u32 v6, v3, 16, 3
	v_ffbh_u32_e32 v14, v6
	v_min_u32_e32 v14, 32, v14
	v_lshrrev_b32_e32 v12, 19, v3
	v_subrev_u32_e32 v15, 28, v14
	v_and_b32_e32 v12, 15, v12
	v_lshlrev_b32_sdwa v15, v15, v3 dst_sel:DWORD dst_unused:UNUSED_PAD src0_sel:DWORD src1_sel:WORD_1
	v_bfe_u32 v13, v3, 19, 4
	v_sub_u32_e32 v14, 29, v14
	v_and_b32_e32 v15, 7, v15
	v_cmp_eq_u16_e32 vcc, 0, v12
	v_cndmask_b32_e32 v6, v6, v15, vcc
	v_cndmask_b32_e32 v12, v13, v14, vcc
	v_lshlrev_b32_e32 v13, 8, v3
	v_mov_b32_e32 v14, 0x3b800000
	v_lshlrev_b32_e32 v6, 20, v6
	v_and_b32_e32 v13, 0x80000000, v13
	v_lshl_add_u32 v12, v12, 23, v14
	v_or3_b32 v12, v13, v12, v6
.LBB12_184:
	s_or_b64 exec, exec, s[6:7]
	s_nop 0
	v_mfma_f32_16x16x4f32 a[0:3], v2, v12, a[0:3]
	s_movk_i32 s4, 0x7f
	v_cmp_gt_i16_sdwa s[6:7], v7, s4 src0_sel:BYTE_3 src1_sel:DWORD
	s_mov_b64 s[4:5], 0
                                        ; implicit-def: $sgpr10
	s_and_saveexec_b64 s[8:9], s[6:7]
	s_xor_b64 s[6:7], exec, s[8:9]
	s_cbranch_execnz .LBB12_2233
; %bb.185:
	s_or_saveexec_b64 s[6:7], s[6:7]
	v_mov_b32_e32 v2, s10
	s_xor_b64 exec, exec, s[6:7]
	s_cbranch_execnz .LBB12_2236
.LBB12_186:
	s_or_b64 exec, exec, s[6:7]
	s_and_saveexec_b64 s[6:7], s[4:5]
	s_cbranch_execz .LBB12_188
.LBB12_187:
	v_bfe_u32 v2, v7, 24, 3
	v_ffbh_u32_e32 v14, v2
	v_min_u32_e32 v14, 32, v14
	v_lshrrev_b32_e32 v12, 27, v7
	v_subrev_u32_e32 v15, 28, v14
	v_and_b32_e32 v6, 0x80000000, v7
	v_and_b32_e32 v12, 15, v12
	v_bfe_u32 v13, v7, 27, 4
	v_lshlrev_b32_sdwa v7, v15, v7 dst_sel:DWORD dst_unused:UNUSED_PAD src0_sel:DWORD src1_sel:BYTE_3
	v_sub_u32_e32 v14, 29, v14
	v_and_b32_e32 v7, 7, v7
	v_cmp_eq_u16_e32 vcc, 0, v12
	v_cndmask_b32_e32 v2, v2, v7, vcc
	v_cndmask_b32_e32 v7, v13, v14, vcc
	v_mov_b32_e32 v12, 0x3b800000
	v_lshlrev_b32_e32 v2, 20, v2
	v_lshl_add_u32 v7, v7, 23, v12
	v_or3_b32 v2, v6, v7, v2
.LBB12_188:
	s_or_b64 exec, exec, s[6:7]
	s_movk_i32 s4, 0x7f
	v_cmp_gt_i16_sdwa s[6:7], v3, s4 src0_sel:BYTE_3 src1_sel:DWORD
	s_mov_b64 s[4:5], 0
                                        ; implicit-def: $sgpr10
	s_and_saveexec_b64 s[8:9], s[6:7]
	s_xor_b64 s[6:7], exec, s[8:9]
	s_cbranch_execnz .LBB12_2237
; %bb.189:
	s_or_saveexec_b64 s[6:7], s[6:7]
	v_mov_b32_e32 v6, s10
	s_xor_b64 exec, exec, s[6:7]
	s_cbranch_execnz .LBB12_2240
.LBB12_190:
	s_or_b64 exec, exec, s[6:7]
	s_and_saveexec_b64 s[6:7], s[4:5]
	s_cbranch_execz .LBB12_192
.LBB12_191:
	v_bfe_u32 v6, v3, 24, 3
	v_ffbh_u32_e32 v14, v6
	v_min_u32_e32 v14, 32, v14
	v_lshrrev_b32_e32 v12, 27, v3
	v_subrev_u32_e32 v15, 28, v14
	v_and_b32_e32 v7, 0x80000000, v3
	v_and_b32_e32 v12, 15, v12
	v_bfe_u32 v13, v3, 27, 4
	v_lshlrev_b32_sdwa v3, v15, v3 dst_sel:DWORD dst_unused:UNUSED_PAD src0_sel:DWORD src1_sel:BYTE_3
	v_sub_u32_e32 v14, 29, v14
	v_and_b32_e32 v3, 7, v3
	v_cmp_eq_u16_e32 vcc, 0, v12
	v_cndmask_b32_e32 v3, v6, v3, vcc
	v_cndmask_b32_e32 v6, v13, v14, vcc
	v_mov_b32_e32 v12, 0x3b800000
	v_lshlrev_b32_e32 v3, 20, v3
	v_lshl_add_u32 v6, v6, 23, v12
	v_or3_b32 v6, v7, v6, v3
.LBB12_192:
	s_or_b64 exec, exec, s[6:7]
	s_nop 0
	v_mfma_f32_16x16x4f32 a[0:3], v2, v6, a[0:3]
	s_movk_i32 s4, 0x7f
	v_cmp_gt_i16_sdwa s[6:7], v8, s4 src0_sel:BYTE_0 src1_sel:DWORD
	s_mov_b64 s[4:5], 0
                                        ; implicit-def: $sgpr10
	s_and_saveexec_b64 s[8:9], s[6:7]
	s_xor_b64 s[6:7], exec, s[8:9]
	s_cbranch_execnz .LBB12_2241
; %bb.193:
	s_or_saveexec_b64 s[6:7], s[6:7]
	v_mov_b32_e32 v2, s10
	s_xor_b64 exec, exec, s[6:7]
	s_cbranch_execnz .LBB12_2244
.LBB12_194:
	s_or_b64 exec, exec, s[6:7]
	s_and_saveexec_b64 s[6:7], s[4:5]
	s_cbranch_execz .LBB12_196
.LBB12_195:
	v_and_b32_e32 v2, 7, v8
	v_ffbh_u32_e32 v6, v2
	v_min_u32_e32 v6, 32, v6
	v_lshrrev_b16_e32 v3, 3, v8
	v_subrev_u32_e32 v7, 28, v6
	v_and_b32_e32 v3, 15, v3
	v_lshlrev_b32_e32 v7, v7, v8
	v_sub_u32_e32 v6, 29, v6
	v_and_b32_e32 v7, 7, v7
	v_cmp_eq_u16_e32 vcc, 0, v3
	v_cndmask_b32_e32 v2, v2, v7, vcc
	v_cndmask_b32_e32 v3, v3, v6, vcc
	v_lshlrev_b32_e32 v6, 24, v8
	v_mov_b32_e32 v7, 0x3b800000
	v_lshlrev_b32_e32 v2, 20, v2
	v_and_b32_e32 v6, 0x80000000, v6
	v_lshl_add_u32 v3, v3, 23, v7
	v_or3_b32 v2, v6, v3, v2
.LBB12_196:
	s_or_b64 exec, exec, s[6:7]
	s_movk_i32 s4, 0x7f
	v_cmp_gt_i16_sdwa s[6:7], v4, s4 src0_sel:BYTE_0 src1_sel:DWORD
	s_mov_b64 s[4:5], 0
                                        ; implicit-def: $sgpr10
	s_and_saveexec_b64 s[8:9], s[6:7]
	s_xor_b64 s[6:7], exec, s[8:9]
	s_cbranch_execnz .LBB12_2245
; %bb.197:
	s_or_saveexec_b64 s[6:7], s[6:7]
	v_mov_b32_e32 v3, s10
	s_xor_b64 exec, exec, s[6:7]
	s_cbranch_execnz .LBB12_2248
.LBB12_198:
	s_or_b64 exec, exec, s[6:7]
	s_and_saveexec_b64 s[6:7], s[4:5]
	s_cbranch_execz .LBB12_200
.LBB12_199:
	v_and_b32_e32 v3, 7, v4
	v_ffbh_u32_e32 v7, v3
	v_min_u32_e32 v7, 32, v7
	v_lshrrev_b16_e32 v6, 3, v4
	v_subrev_u32_e32 v12, 28, v7
	v_and_b32_e32 v6, 15, v6
	v_lshlrev_b32_e32 v12, v12, v4
	v_sub_u32_e32 v7, 29, v7
	v_and_b32_e32 v12, 7, v12
	v_cmp_eq_u16_e32 vcc, 0, v6
	v_cndmask_b32_e32 v3, v3, v12, vcc
	v_cndmask_b32_e32 v6, v6, v7, vcc
	v_lshlrev_b32_e32 v7, 24, v4
	v_mov_b32_e32 v12, 0x3b800000
	v_lshlrev_b32_e32 v3, 20, v3
	v_and_b32_e32 v7, 0x80000000, v7
	v_lshl_add_u32 v6, v6, 23, v12
	v_or3_b32 v3, v7, v6, v3
.LBB12_200:
	s_or_b64 exec, exec, s[6:7]
	s_nop 0
	v_mfma_f32_16x16x4f32 a[0:3], v2, v3, a[0:3]
	v_lshrrev_b32_e32 v3, 8, v8
	s_movk_i32 s4, 0x7f
	v_cmp_gt_i16_sdwa s[6:7], v3, s4 src0_sel:BYTE_0 src1_sel:DWORD
	s_mov_b64 s[4:5], 0
                                        ; implicit-def: $sgpr10
	s_and_saveexec_b64 s[8:9], s[6:7]
	s_xor_b64 s[6:7], exec, s[8:9]
	s_cbranch_execnz .LBB12_2249
; %bb.201:
	s_or_saveexec_b64 s[6:7], s[6:7]
	v_mov_b32_e32 v2, s10
	s_xor_b64 exec, exec, s[6:7]
	s_cbranch_execnz .LBB12_2252
.LBB12_202:
	s_or_b64 exec, exec, s[6:7]
	s_and_saveexec_b64 s[6:7], s[4:5]
	s_cbranch_execz .LBB12_204
.LBB12_203:
	v_bfe_u32 v2, v8, 8, 3
	v_ffbh_u32_e32 v7, v2
	v_min_u32_e32 v7, 32, v7
	v_lshrrev_b16_e32 v6, 3, v3
	v_subrev_u32_e32 v12, 28, v7
	v_and_b32_e32 v6, 15, v6
	v_lshlrev_b32_e32 v3, v12, v3
	v_sub_u32_e32 v7, 29, v7
	v_and_b32_e32 v3, 7, v3
	v_cmp_eq_u16_e32 vcc, 0, v6
	v_cndmask_b32_e32 v2, v2, v3, vcc
	v_cndmask_b32_e32 v3, v6, v7, vcc
	v_lshlrev_b32_e32 v6, 16, v8
	v_mov_b32_e32 v7, 0x3b800000
	v_lshlrev_b32_e32 v2, 20, v2
	v_and_b32_e32 v6, 0x80000000, v6
	v_lshl_add_u32 v3, v3, 23, v7
	v_or3_b32 v2, v6, v3, v2
.LBB12_204:
	s_or_b64 exec, exec, s[6:7]
	v_lshrrev_b32_e32 v3, 8, v4
	s_movk_i32 s4, 0x7f
	v_cmp_gt_i16_sdwa s[6:7], v3, s4 src0_sel:BYTE_0 src1_sel:DWORD
	s_mov_b64 s[4:5], 0
                                        ; implicit-def: $sgpr10
	s_and_saveexec_b64 s[8:9], s[6:7]
	s_xor_b64 s[6:7], exec, s[8:9]
	s_cbranch_execnz .LBB12_2253
; %bb.205:
	s_or_saveexec_b64 s[6:7], s[6:7]
	v_mov_b32_e32 v6, s10
	s_xor_b64 exec, exec, s[6:7]
	s_cbranch_execnz .LBB12_2256
.LBB12_206:
	s_or_b64 exec, exec, s[6:7]
	s_and_saveexec_b64 s[6:7], s[4:5]
	s_cbranch_execz .LBB12_208
.LBB12_207:
	v_bfe_u32 v6, v4, 8, 3
	v_ffbh_u32_e32 v12, v6
	v_min_u32_e32 v12, 32, v12
	v_lshrrev_b16_e32 v7, 3, v3
	v_subrev_u32_e32 v13, 28, v12
	v_and_b32_e32 v7, 15, v7
	v_lshlrev_b32_e32 v3, v13, v3
	v_sub_u32_e32 v12, 29, v12
	v_and_b32_e32 v3, 7, v3
	v_cmp_eq_u16_e32 vcc, 0, v7
	v_cndmask_b32_e32 v3, v6, v3, vcc
	v_cndmask_b32_e32 v6, v7, v12, vcc
	v_lshlrev_b32_e32 v7, 16, v4
	v_mov_b32_e32 v12, 0x3b800000
	v_lshlrev_b32_e32 v3, 20, v3
	v_and_b32_e32 v7, 0x80000000, v7
	v_lshl_add_u32 v6, v6, 23, v12
	v_or3_b32 v6, v7, v6, v3
.LBB12_208:
	s_or_b64 exec, exec, s[6:7]
	s_nop 0
	v_mfma_f32_16x16x4f32 a[0:3], v2, v6, a[0:3]
	s_movk_i32 s4, 0xff
	v_and_b32_sdwa v3, v8, s4 dst_sel:DWORD dst_unused:UNUSED_PAD src0_sel:WORD_1 src1_sel:DWORD
	s_movk_i32 s4, 0x7f
	v_cmp_lt_i16_e32 vcc, s4, v3
	s_mov_b64 s[4:5], 0
                                        ; implicit-def: $sgpr10
	s_and_saveexec_b64 s[6:7], vcc
	s_xor_b64 s[6:7], exec, s[6:7]
	s_cbranch_execnz .LBB12_2257
; %bb.209:
	s_or_saveexec_b64 s[6:7], s[6:7]
	v_mov_b32_e32 v2, s10
	s_xor_b64 exec, exec, s[6:7]
	s_cbranch_execnz .LBB12_2260
.LBB12_210:
	s_or_b64 exec, exec, s[6:7]
	s_and_saveexec_b64 s[6:7], s[4:5]
	s_cbranch_execz .LBB12_212
.LBB12_211:
	v_bfe_u32 v2, v8, 16, 3
	v_ffbh_u32_e32 v7, v2
	v_min_u32_e32 v7, 32, v7
	v_lshrrev_b32_e32 v3, 19, v8
	v_subrev_u32_e32 v12, 28, v7
	v_and_b32_e32 v3, 15, v3
	v_lshlrev_b32_sdwa v12, v12, v8 dst_sel:DWORD dst_unused:UNUSED_PAD src0_sel:DWORD src1_sel:WORD_1
	v_bfe_u32 v6, v8, 19, 4
	v_sub_u32_e32 v7, 29, v7
	v_and_b32_e32 v12, 7, v12
	v_cmp_eq_u16_e32 vcc, 0, v3
	v_cndmask_b32_e32 v2, v2, v12, vcc
	v_cndmask_b32_e32 v3, v6, v7, vcc
	v_lshlrev_b32_e32 v6, 8, v8
	v_mov_b32_e32 v7, 0x3b800000
	v_lshlrev_b32_e32 v2, 20, v2
	v_and_b32_e32 v6, 0x80000000, v6
	v_lshl_add_u32 v3, v3, 23, v7
	v_or3_b32 v2, v6, v3, v2
.LBB12_212:
	s_or_b64 exec, exec, s[6:7]
	s_movk_i32 s4, 0xff
	v_and_b32_sdwa v3, v4, s4 dst_sel:DWORD dst_unused:UNUSED_PAD src0_sel:WORD_1 src1_sel:DWORD
	s_movk_i32 s4, 0x7f
	v_cmp_lt_i16_e32 vcc, s4, v3
	s_mov_b64 s[4:5], 0
                                        ; implicit-def: $sgpr10
	s_and_saveexec_b64 s[6:7], vcc
	s_xor_b64 s[6:7], exec, s[6:7]
	s_cbranch_execnz .LBB12_2261
; %bb.213:
	s_or_saveexec_b64 s[6:7], s[6:7]
	v_mov_b32_e32 v6, s10
	s_xor_b64 exec, exec, s[6:7]
	s_cbranch_execnz .LBB12_2264
.LBB12_214:
	s_or_b64 exec, exec, s[6:7]
	s_and_saveexec_b64 s[6:7], s[4:5]
	s_cbranch_execz .LBB12_216
.LBB12_215:
	v_bfe_u32 v3, v4, 16, 3
	v_ffbh_u32_e32 v12, v3
	v_min_u32_e32 v12, 32, v12
	v_lshrrev_b32_e32 v6, 19, v4
	v_subrev_u32_e32 v13, 28, v12
	v_and_b32_e32 v6, 15, v6
	v_lshlrev_b32_sdwa v13, v13, v4 dst_sel:DWORD dst_unused:UNUSED_PAD src0_sel:DWORD src1_sel:WORD_1
	v_bfe_u32 v7, v4, 19, 4
	v_sub_u32_e32 v12, 29, v12
	v_and_b32_e32 v13, 7, v13
	v_cmp_eq_u16_e32 vcc, 0, v6
	v_cndmask_b32_e32 v3, v3, v13, vcc
	v_cndmask_b32_e32 v6, v7, v12, vcc
	v_lshlrev_b32_e32 v7, 8, v4
	v_mov_b32_e32 v12, 0x3b800000
	v_lshlrev_b32_e32 v3, 20, v3
	v_and_b32_e32 v7, 0x80000000, v7
	v_lshl_add_u32 v6, v6, 23, v12
	v_or3_b32 v6, v7, v6, v3
.LBB12_216:
	s_or_b64 exec, exec, s[6:7]
	s_nop 0
	v_mfma_f32_16x16x4f32 a[0:3], v2, v6, a[0:3]
	s_movk_i32 s4, 0x7f
	v_cmp_gt_i16_sdwa s[6:7], v8, s4 src0_sel:BYTE_3 src1_sel:DWORD
	s_mov_b64 s[4:5], 0
                                        ; implicit-def: $sgpr10
	s_and_saveexec_b64 s[8:9], s[6:7]
	s_xor_b64 s[6:7], exec, s[8:9]
	s_cbranch_execnz .LBB12_2265
; %bb.217:
	s_or_saveexec_b64 s[6:7], s[6:7]
	v_mov_b32_e32 v2, s10
	s_xor_b64 exec, exec, s[6:7]
	s_cbranch_execnz .LBB12_2268
.LBB12_218:
	s_or_b64 exec, exec, s[6:7]
	s_and_saveexec_b64 s[6:7], s[4:5]
	s_cbranch_execz .LBB12_220
.LBB12_219:
	v_bfe_u32 v2, v8, 24, 3
	v_ffbh_u32_e32 v12, v2
	v_min_u32_e32 v12, 32, v12
	v_lshrrev_b32_e32 v6, 27, v8
	v_subrev_u32_e32 v13, 28, v12
	v_and_b32_e32 v3, 0x80000000, v8
	v_and_b32_e32 v6, 15, v6
	v_bfe_u32 v7, v8, 27, 4
	v_lshlrev_b32_sdwa v8, v13, v8 dst_sel:DWORD dst_unused:UNUSED_PAD src0_sel:DWORD src1_sel:BYTE_3
	v_sub_u32_e32 v12, 29, v12
	v_and_b32_e32 v8, 7, v8
	v_cmp_eq_u16_e32 vcc, 0, v6
	v_cndmask_b32_e32 v2, v2, v8, vcc
	v_cndmask_b32_e32 v6, v7, v12, vcc
	v_mov_b32_e32 v7, 0x3b800000
	v_lshlrev_b32_e32 v2, 20, v2
	v_lshl_add_u32 v6, v6, 23, v7
	v_or3_b32 v2, v3, v6, v2
.LBB12_220:
	s_or_b64 exec, exec, s[6:7]
	s_movk_i32 s4, 0x7f
	v_cmp_gt_i16_sdwa s[6:7], v4, s4 src0_sel:BYTE_3 src1_sel:DWORD
	s_mov_b64 s[4:5], 0
                                        ; implicit-def: $sgpr10
	s_and_saveexec_b64 s[8:9], s[6:7]
	s_xor_b64 s[6:7], exec, s[8:9]
	s_cbranch_execnz .LBB12_2269
; %bb.221:
	s_or_saveexec_b64 s[6:7], s[6:7]
	v_mov_b32_e32 v3, s10
	s_xor_b64 exec, exec, s[6:7]
	s_cbranch_execnz .LBB12_2272
.LBB12_222:
	s_or_b64 exec, exec, s[6:7]
	s_and_saveexec_b64 s[6:7], s[4:5]
	s_cbranch_execz .LBB12_224
.LBB12_223:
	v_bfe_u32 v3, v4, 24, 3
	v_ffbh_u32_e32 v12, v3
	v_min_u32_e32 v12, 32, v12
	v_lshrrev_b32_e32 v7, 27, v4
	v_subrev_u32_e32 v13, 28, v12
	v_and_b32_e32 v6, 0x80000000, v4
	v_and_b32_e32 v7, 15, v7
	v_bfe_u32 v8, v4, 27, 4
	v_lshlrev_b32_sdwa v4, v13, v4 dst_sel:DWORD dst_unused:UNUSED_PAD src0_sel:DWORD src1_sel:BYTE_3
	v_sub_u32_e32 v12, 29, v12
	v_and_b32_e32 v4, 7, v4
	v_cmp_eq_u16_e32 vcc, 0, v7
	v_cndmask_b32_e32 v3, v3, v4, vcc
	v_cndmask_b32_e32 v4, v8, v12, vcc
	v_mov_b32_e32 v7, 0x3b800000
	v_lshlrev_b32_e32 v3, 20, v3
	v_lshl_add_u32 v4, v4, 23, v7
	v_or3_b32 v3, v6, v4, v3
.LBB12_224:
	s_or_b64 exec, exec, s[6:7]
	s_nop 0
	v_mfma_f32_16x16x4f32 a[0:3], v2, v3, a[0:3]
	s_movk_i32 s4, 0x7f
	v_cmp_gt_i16_sdwa s[6:7], v9, s4 src0_sel:BYTE_0 src1_sel:DWORD
	s_mov_b64 s[4:5], 0
                                        ; implicit-def: $sgpr10
	s_and_saveexec_b64 s[8:9], s[6:7]
	s_xor_b64 s[6:7], exec, s[8:9]
	s_cbranch_execnz .LBB12_2273
; %bb.225:
	s_or_saveexec_b64 s[6:7], s[6:7]
	v_mov_b32_e32 v2, s10
	s_xor_b64 exec, exec, s[6:7]
	s_cbranch_execnz .LBB12_2276
.LBB12_226:
	s_or_b64 exec, exec, s[6:7]
	s_and_saveexec_b64 s[6:7], s[4:5]
	s_cbranch_execz .LBB12_228
.LBB12_227:
	v_mov_b32_e32 v2, 8
	v_and_b32_e32 v3, 7, v9
	v_lshrrev_b32_sdwa v2, v2, v9 dst_sel:BYTE_1 dst_unused:UNUSED_PAD src0_sel:DWORD src1_sel:DWORD
	v_ffbh_u32_e32 v4, v3
	v_or_b32_sdwa v2, v9, v2 dst_sel:DWORD dst_unused:UNUSED_PAD src0_sel:BYTE_0 src1_sel:DWORD
	v_min_u32_e32 v4, 32, v4
	v_lshrrev_b16_e32 v2, 3, v2
	v_subrev_u32_e32 v6, 28, v4
	v_and_b32_e32 v2, 15, v2
	v_lshlrev_b32_e32 v6, v6, v9
	v_sub_u32_e32 v4, 29, v4
	v_and_b32_e32 v6, 7, v6
	v_cmp_eq_u16_e32 vcc, 0, v2
	v_cndmask_b32_e32 v3, v3, v6, vcc
	v_cndmask_b32_e32 v2, v2, v4, vcc
	v_lshlrev_b32_e32 v4, 24, v9
	v_mov_b32_e32 v6, 0x3b800000
	v_lshlrev_b32_e32 v3, 20, v3
	v_and_b32_e32 v4, 0x80000000, v4
	v_lshl_add_u32 v2, v2, 23, v6
	v_or3_b32 v2, v4, v2, v3
.LBB12_228:
	s_or_b64 exec, exec, s[6:7]
	s_movk_i32 s4, 0x7f
	v_cmp_gt_i16_sdwa s[6:7], v5, s4 src0_sel:BYTE_0 src1_sel:DWORD
	s_mov_b64 s[4:5], 0
                                        ; implicit-def: $sgpr10
	s_and_saveexec_b64 s[8:9], s[6:7]
	s_xor_b64 s[6:7], exec, s[8:9]
	s_cbranch_execnz .LBB12_2277
; %bb.229:
	s_or_saveexec_b64 s[6:7], s[6:7]
	v_mov_b32_e32 v3, s10
	s_xor_b64 exec, exec, s[6:7]
	s_cbranch_execnz .LBB12_2280
.LBB12_230:
	s_or_b64 exec, exec, s[6:7]
	s_and_saveexec_b64 s[6:7], s[4:5]
	s_cbranch_execz .LBB12_232
.LBB12_231:
	v_mov_b32_e32 v3, 8
	v_and_b32_e32 v4, 7, v5
	v_lshrrev_b32_sdwa v3, v3, v5 dst_sel:BYTE_1 dst_unused:UNUSED_PAD src0_sel:DWORD src1_sel:DWORD
	v_ffbh_u32_e32 v6, v4
	v_or_b32_sdwa v3, v5, v3 dst_sel:DWORD dst_unused:UNUSED_PAD src0_sel:BYTE_0 src1_sel:DWORD
	v_min_u32_e32 v6, 32, v6
	v_lshrrev_b16_e32 v3, 3, v3
	v_subrev_u32_e32 v7, 28, v6
	v_and_b32_e32 v3, 15, v3
	v_lshlrev_b32_e32 v7, v7, v5
	v_sub_u32_e32 v6, 29, v6
	v_and_b32_e32 v7, 7, v7
	v_cmp_eq_u16_e32 vcc, 0, v3
	v_cndmask_b32_e32 v4, v4, v7, vcc
	v_cndmask_b32_e32 v3, v3, v6, vcc
	v_lshlrev_b32_e32 v6, 24, v5
	v_mov_b32_e32 v7, 0x3b800000
	v_lshlrev_b32_e32 v4, 20, v4
	v_and_b32_e32 v6, 0x80000000, v6
	v_lshl_add_u32 v3, v3, 23, v7
	v_or3_b32 v3, v6, v3, v4
.LBB12_232:
	s_or_b64 exec, exec, s[6:7]
	s_nop 0
	v_mfma_f32_16x16x4f32 a[0:3], v2, v3, a[0:3]
	v_lshrrev_b32_e32 v3, 8, v9
	s_movk_i32 s4, 0x7f
	v_cmp_gt_i16_sdwa s[6:7], v3, s4 src0_sel:BYTE_0 src1_sel:DWORD
	s_mov_b64 s[4:5], 0
                                        ; implicit-def: $sgpr10
	s_and_saveexec_b64 s[8:9], s[6:7]
	s_xor_b64 s[6:7], exec, s[8:9]
	s_cbranch_execnz .LBB12_2281
; %bb.233:
	s_or_saveexec_b64 s[6:7], s[6:7]
	v_mov_b32_e32 v2, s10
	s_xor_b64 exec, exec, s[6:7]
	s_cbranch_execnz .LBB12_2284
.LBB12_234:
	s_or_b64 exec, exec, s[6:7]
	s_and_saveexec_b64 s[6:7], s[4:5]
	s_cbranch_execz .LBB12_236
.LBB12_235:
	v_bfe_u32 v2, v9, 8, 3
	v_ffbh_u32_e32 v6, v2
	v_min_u32_e32 v6, 32, v6
	v_lshrrev_b16_e32 v4, 3, v3
	v_subrev_u32_e32 v7, 28, v6
	v_and_b32_e32 v4, 15, v4
	v_lshlrev_b32_e32 v3, v7, v3
	v_sub_u32_e32 v6, 29, v6
	v_and_b32_e32 v3, 7, v3
	v_cmp_eq_u16_e32 vcc, 0, v4
	v_cndmask_b32_e32 v2, v2, v3, vcc
	v_cndmask_b32_e32 v3, v4, v6, vcc
	v_lshlrev_b32_e32 v4, 16, v9
	v_mov_b32_e32 v6, 0x3b800000
	v_lshlrev_b32_e32 v2, 20, v2
	v_and_b32_e32 v4, 0x80000000, v4
	v_lshl_add_u32 v3, v3, 23, v6
	v_or3_b32 v2, v4, v3, v2
.LBB12_236:
	s_or_b64 exec, exec, s[6:7]
	v_lshrrev_b32_e32 v3, 8, v5
	s_movk_i32 s4, 0x7f
	v_cmp_gt_i16_sdwa s[6:7], v3, s4 src0_sel:BYTE_0 src1_sel:DWORD
	s_mov_b64 s[4:5], 0
                                        ; implicit-def: $sgpr10
	s_and_saveexec_b64 s[8:9], s[6:7]
	s_xor_b64 s[6:7], exec, s[8:9]
	s_cbranch_execnz .LBB12_2285
; %bb.237:
	s_or_saveexec_b64 s[6:7], s[6:7]
	v_mov_b32_e32 v4, s10
	s_xor_b64 exec, exec, s[6:7]
	s_cbranch_execnz .LBB12_2288
.LBB12_238:
	s_or_b64 exec, exec, s[6:7]
	s_and_saveexec_b64 s[6:7], s[4:5]
	s_cbranch_execz .LBB12_240
.LBB12_239:
	v_bfe_u32 v4, v5, 8, 3
	v_ffbh_u32_e32 v7, v4
	v_min_u32_e32 v7, 32, v7
	v_lshrrev_b16_e32 v6, 3, v3
	v_subrev_u32_e32 v8, 28, v7
	v_and_b32_e32 v6, 15, v6
	v_lshlrev_b32_e32 v3, v8, v3
	v_sub_u32_e32 v7, 29, v7
	v_and_b32_e32 v3, 7, v3
	v_cmp_eq_u16_e32 vcc, 0, v6
	v_cndmask_b32_e32 v3, v4, v3, vcc
	v_cndmask_b32_e32 v4, v6, v7, vcc
	v_lshlrev_b32_e32 v6, 16, v5
	v_mov_b32_e32 v7, 0x3b800000
	v_lshlrev_b32_e32 v3, 20, v3
	v_and_b32_e32 v6, 0x80000000, v6
	v_lshl_add_u32 v4, v4, 23, v7
	v_or3_b32 v4, v6, v4, v3
.LBB12_240:
	s_or_b64 exec, exec, s[6:7]
	s_nop 0
	v_mfma_f32_16x16x4f32 a[0:3], v2, v4, a[0:3]
	s_movk_i32 s4, 0xff
	v_and_b32_sdwa v3, v9, s4 dst_sel:DWORD dst_unused:UNUSED_PAD src0_sel:WORD_1 src1_sel:DWORD
	s_movk_i32 s4, 0x7f
	v_cmp_lt_i16_e32 vcc, s4, v3
	s_mov_b64 s[4:5], 0
                                        ; implicit-def: $sgpr10
	s_and_saveexec_b64 s[6:7], vcc
	s_xor_b64 s[6:7], exec, s[6:7]
	s_cbranch_execnz .LBB12_2289
; %bb.241:
	s_or_saveexec_b64 s[6:7], s[6:7]
	v_mov_b32_e32 v2, s10
	s_xor_b64 exec, exec, s[6:7]
	s_cbranch_execnz .LBB12_2292
.LBB12_242:
	s_or_b64 exec, exec, s[6:7]
	s_and_saveexec_b64 s[6:7], s[4:5]
	s_cbranch_execz .LBB12_244
.LBB12_243:
	v_bfe_u32 v2, v9, 16, 3
	v_ffbh_u32_e32 v6, v2
	v_min_u32_e32 v6, 32, v6
	v_lshrrev_b32_e32 v3, 19, v9
	v_subrev_u32_e32 v7, 28, v6
	v_and_b32_e32 v3, 15, v3
	v_lshlrev_b32_sdwa v7, v7, v9 dst_sel:DWORD dst_unused:UNUSED_PAD src0_sel:DWORD src1_sel:WORD_1
	v_bfe_u32 v4, v9, 19, 4
	v_sub_u32_e32 v6, 29, v6
	v_and_b32_e32 v7, 7, v7
	v_cmp_eq_u16_e32 vcc, 0, v3
	v_cndmask_b32_e32 v2, v2, v7, vcc
	v_cndmask_b32_e32 v3, v4, v6, vcc
	v_lshlrev_b32_e32 v4, 8, v9
	v_mov_b32_e32 v6, 0x3b800000
	v_lshlrev_b32_e32 v2, 20, v2
	v_and_b32_e32 v4, 0x80000000, v4
	v_lshl_add_u32 v3, v3, 23, v6
	v_or3_b32 v2, v4, v3, v2
.LBB12_244:
	s_or_b64 exec, exec, s[6:7]
	s_movk_i32 s4, 0xff
	v_and_b32_sdwa v3, v5, s4 dst_sel:DWORD dst_unused:UNUSED_PAD src0_sel:WORD_1 src1_sel:DWORD
	s_movk_i32 s4, 0x7f
	v_cmp_lt_i16_e32 vcc, s4, v3
	s_mov_b64 s[4:5], 0
                                        ; implicit-def: $sgpr10
	s_and_saveexec_b64 s[6:7], vcc
	s_xor_b64 s[6:7], exec, s[6:7]
	s_cbranch_execnz .LBB12_2293
; %bb.245:
	s_or_saveexec_b64 s[6:7], s[6:7]
	v_mov_b32_e32 v4, s10
	s_xor_b64 exec, exec, s[6:7]
	s_cbranch_execnz .LBB12_2296
.LBB12_246:
	s_or_b64 exec, exec, s[6:7]
	s_and_saveexec_b64 s[6:7], s[4:5]
	s_cbranch_execz .LBB12_248
.LBB12_247:
	v_bfe_u32 v3, v5, 16, 3
	v_ffbh_u32_e32 v7, v3
	v_min_u32_e32 v7, 32, v7
	v_lshrrev_b32_e32 v4, 19, v5
	v_subrev_u32_e32 v8, 28, v7
	v_and_b32_e32 v4, 15, v4
	v_lshlrev_b32_sdwa v8, v8, v5 dst_sel:DWORD dst_unused:UNUSED_PAD src0_sel:DWORD src1_sel:WORD_1
	v_bfe_u32 v6, v5, 19, 4
	v_sub_u32_e32 v7, 29, v7
	v_and_b32_e32 v8, 7, v8
	v_cmp_eq_u16_e32 vcc, 0, v4
	v_cndmask_b32_e32 v3, v3, v8, vcc
	v_cndmask_b32_e32 v4, v6, v7, vcc
	v_lshlrev_b32_e32 v6, 8, v5
	v_mov_b32_e32 v7, 0x3b800000
	v_lshlrev_b32_e32 v3, 20, v3
	v_and_b32_e32 v6, 0x80000000, v6
	v_lshl_add_u32 v4, v4, 23, v7
	v_or3_b32 v4, v6, v4, v3
.LBB12_248:
	s_or_b64 exec, exec, s[6:7]
	s_nop 0
	v_mfma_f32_16x16x4f32 a[0:3], v2, v4, a[0:3]
	s_movk_i32 s4, 0x7f
	v_cmp_gt_i16_sdwa s[6:7], v9, s4 src0_sel:BYTE_3 src1_sel:DWORD
	s_mov_b64 s[4:5], 0
                                        ; implicit-def: $sgpr10
	s_and_saveexec_b64 s[8:9], s[6:7]
	s_xor_b64 s[6:7], exec, s[8:9]
	s_cbranch_execnz .LBB12_2297
; %bb.249:
	s_or_saveexec_b64 s[6:7], s[6:7]
	v_mov_b32_e32 v2, s10
	s_xor_b64 exec, exec, s[6:7]
	s_cbranch_execnz .LBB12_2300
.LBB12_250:
	s_or_b64 exec, exec, s[6:7]
	s_and_saveexec_b64 s[6:7], s[4:5]
	s_cbranch_execz .LBB12_252
.LBB12_251:
	v_bfe_u32 v2, v9, 24, 3
	v_ffbh_u32_e32 v7, v2
	v_min_u32_e32 v7, 32, v7
	v_lshrrev_b32_e32 v4, 27, v9
	v_subrev_u32_e32 v8, 28, v7
	v_and_b32_e32 v4, 15, v4
	v_lshlrev_b32_sdwa v8, v8, v9 dst_sel:DWORD dst_unused:UNUSED_PAD src0_sel:DWORD src1_sel:BYTE_3
	v_bfe_u32 v6, v9, 27, 4
	v_sub_u32_e32 v7, 29, v7
	v_and_b32_e32 v8, 7, v8
	v_cmp_eq_u16_e32 vcc, 0, v4
	v_cndmask_b32_e32 v2, v2, v8, vcc
	v_cndmask_b32_e32 v4, v6, v7, vcc
	v_mov_b32_e32 v6, 0x3b800000
	v_and_b32_e32 v3, 0x80000000, v9
	v_lshlrev_b32_e32 v2, 20, v2
	v_lshl_add_u32 v4, v4, 23, v6
	v_or3_b32 v2, v3, v4, v2
.LBB12_252:
	s_or_b64 exec, exec, s[6:7]
	s_movk_i32 s4, 0x7f
	v_cmp_gt_i16_sdwa s[6:7], v5, s4 src0_sel:BYTE_3 src1_sel:DWORD
	s_mov_b64 s[4:5], 0
                                        ; implicit-def: $sgpr10
	s_and_saveexec_b64 s[8:9], s[6:7]
	s_xor_b64 s[6:7], exec, s[8:9]
	s_cbranch_execnz .LBB12_2301
; %bb.253:
	s_or_saveexec_b64 s[6:7], s[6:7]
	v_mov_b32_e32 v3, s10
	s_xor_b64 exec, exec, s[6:7]
	s_cbranch_execnz .LBB12_2304
.LBB12_254:
	s_or_b64 exec, exec, s[6:7]
	s_and_saveexec_b64 s[6:7], s[4:5]
	s_cbranch_execz .LBB12_256
.LBB12_255:
	v_bfe_u32 v3, v5, 24, 3
	v_ffbh_u32_e32 v8, v3
	v_min_u32_e32 v8, 32, v8
	v_lshrrev_b32_e32 v6, 27, v5
	v_subrev_u32_e32 v9, 28, v8
	v_and_b32_e32 v4, 0x80000000, v5
	v_and_b32_e32 v6, 15, v6
	v_bfe_u32 v7, v5, 27, 4
	v_lshlrev_b32_sdwa v5, v9, v5 dst_sel:DWORD dst_unused:UNUSED_PAD src0_sel:DWORD src1_sel:BYTE_3
	v_sub_u32_e32 v8, 29, v8
	v_and_b32_e32 v5, 7, v5
	v_cmp_eq_u16_e32 vcc, 0, v6
	v_cndmask_b32_e32 v3, v3, v5, vcc
	v_cndmask_b32_e32 v5, v7, v8, vcc
	v_mov_b32_e32 v6, 0x3b800000
	v_lshlrev_b32_e32 v3, 20, v3
	v_lshl_add_u32 v5, v5, 23, v6
	v_or3_b32 v3, v4, v5, v3
.LBB12_256:
	s_or_b64 exec, exec, s[6:7]
	s_nop 0
	v_mfma_f32_16x16x4f32 a[0:3], v2, v3, a[0:3]
	s_movk_i32 s4, 0x7f
                                        ; implicit-def: $sgpr10
	s_nop 7
	s_nop 1
	flat_store_dwordx4 v[10:11], a[0:3] offset:16
	flat_load_dwordx4 v[12:15], v[0:1] offset:8
	s_nop 0
	flat_load_dwordx2 v[10:11], v[0:1] offset:32
	s_waitcnt vmcnt(0) lgkmcnt(0)
	flat_load_dwordx4 v[6:9], v[12:13]
	flat_load_dwordx4 v[2:5], v[14:15] offset:64
	s_waitcnt vmcnt(0) lgkmcnt(0)
	v_cmp_gt_i16_sdwa s[6:7], v6, s4 src0_sel:BYTE_0 src1_sel:DWORD
	s_mov_b64 s[4:5], 0
	s_and_saveexec_b64 s[8:9], s[6:7]
	s_xor_b64 s[6:7], exec, s[8:9]
	s_cbranch_execnz .LBB12_2305
; %bb.257:
	s_or_saveexec_b64 s[6:7], s[6:7]
	v_mov_b32_e32 v12, s10
	s_xor_b64 exec, exec, s[6:7]
	s_cbranch_execnz .LBB12_2308
.LBB12_258:
	s_or_b64 exec, exec, s[6:7]
	s_and_saveexec_b64 s[6:7], s[4:5]
	s_cbranch_execz .LBB12_260
.LBB12_259:
	v_and_b32_e32 v12, 7, v6
	v_ffbh_u32_e32 v14, v12
	v_min_u32_e32 v14, 32, v14
	v_lshrrev_b16_e32 v13, 3, v6
	v_subrev_u32_e32 v15, 28, v14
	v_and_b32_e32 v13, 15, v13
	v_lshlrev_b32_e32 v15, v15, v6
	v_sub_u32_e32 v14, 29, v14
	v_and_b32_e32 v15, 7, v15
	v_cmp_eq_u16_e32 vcc, 0, v13
	v_cndmask_b32_e32 v12, v12, v15, vcc
	v_cndmask_b32_e32 v13, v13, v14, vcc
	v_lshlrev_b32_e32 v14, 24, v6
	v_mov_b32_e32 v15, 0x3b800000
	v_lshlrev_b32_e32 v12, 20, v12
	v_and_b32_e32 v14, 0x80000000, v14
	v_lshl_add_u32 v13, v13, 23, v15
	v_or3_b32 v12, v14, v13, v12
.LBB12_260:
	s_or_b64 exec, exec, s[6:7]
	s_movk_i32 s4, 0x7f
	v_cmp_gt_i16_sdwa s[6:7], v2, s4 src0_sel:BYTE_0 src1_sel:DWORD
	s_mov_b64 s[4:5], 0
                                        ; implicit-def: $sgpr10
	s_and_saveexec_b64 s[8:9], s[6:7]
	s_xor_b64 s[6:7], exec, s[8:9]
	s_cbranch_execnz .LBB12_2309
; %bb.261:
	s_or_saveexec_b64 s[6:7], s[6:7]
	v_mov_b32_e32 v13, s10
	s_xor_b64 exec, exec, s[6:7]
	s_cbranch_execnz .LBB12_2312
.LBB12_262:
	s_or_b64 exec, exec, s[6:7]
	s_and_saveexec_b64 s[6:7], s[4:5]
	s_cbranch_execz .LBB12_264
.LBB12_263:
	v_and_b32_e32 v13, 7, v2
	v_ffbh_u32_e32 v15, v13
	v_min_u32_e32 v15, 32, v15
	v_lshrrev_b16_e32 v14, 3, v2
	v_subrev_u32_e32 v16, 28, v15
	v_and_b32_e32 v14, 15, v14
	v_lshlrev_b32_e32 v16, v16, v2
	v_sub_u32_e32 v15, 29, v15
	v_and_b32_e32 v16, 7, v16
	v_cmp_eq_u16_e32 vcc, 0, v14
	v_cndmask_b32_e32 v13, v13, v16, vcc
	v_cndmask_b32_e32 v14, v14, v15, vcc
	v_lshlrev_b32_e32 v15, 24, v2
	v_mov_b32_e32 v16, 0x3b800000
	v_lshlrev_b32_e32 v13, 20, v13
	v_and_b32_e32 v15, 0x80000000, v15
	v_lshl_add_u32 v14, v14, 23, v16
	v_or3_b32 v13, v15, v14, v13
.LBB12_264:
	s_or_b64 exec, exec, s[6:7]
	flat_load_dwordx4 a[0:3], v[10:11] offset:32
	s_movk_i32 s4, 0x7f
                                        ; implicit-def: $sgpr10
	s_waitcnt vmcnt(0) lgkmcnt(0)
	v_mfma_f32_16x16x4f32 a[0:3], v12, v13, a[0:3]
	v_lshrrev_b32_e32 v13, 8, v6
	v_cmp_gt_i16_sdwa s[6:7], v13, s4 src0_sel:BYTE_0 src1_sel:DWORD
	s_mov_b64 s[4:5], 0
	s_and_saveexec_b64 s[8:9], s[6:7]
	s_xor_b64 s[6:7], exec, s[8:9]
	s_cbranch_execnz .LBB12_2313
; %bb.265:
	s_or_saveexec_b64 s[6:7], s[6:7]
	v_mov_b32_e32 v12, s10
	s_xor_b64 exec, exec, s[6:7]
	s_cbranch_execnz .LBB12_2316
.LBB12_266:
	s_or_b64 exec, exec, s[6:7]
	s_and_saveexec_b64 s[6:7], s[4:5]
	s_cbranch_execz .LBB12_268
.LBB12_267:
	v_bfe_u32 v12, v6, 8, 3
	v_ffbh_u32_e32 v15, v12
	v_min_u32_e32 v15, 32, v15
	v_lshrrev_b16_e32 v14, 3, v13
	v_subrev_u32_e32 v16, 28, v15
	v_and_b32_e32 v14, 15, v14
	v_lshlrev_b32_e32 v13, v16, v13
	v_sub_u32_e32 v15, 29, v15
	v_and_b32_e32 v13, 7, v13
	v_cmp_eq_u16_e32 vcc, 0, v14
	v_cndmask_b32_e32 v12, v12, v13, vcc
	v_cndmask_b32_e32 v13, v14, v15, vcc
	v_lshlrev_b32_e32 v14, 16, v6
	v_mov_b32_e32 v15, 0x3b800000
	v_lshlrev_b32_e32 v12, 20, v12
	v_and_b32_e32 v14, 0x80000000, v14
	v_lshl_add_u32 v13, v13, 23, v15
	v_or3_b32 v12, v14, v13, v12
.LBB12_268:
	s_or_b64 exec, exec, s[6:7]
	v_lshrrev_b32_e32 v13, 8, v2
	s_movk_i32 s4, 0x7f
	v_cmp_gt_i16_sdwa s[6:7], v13, s4 src0_sel:BYTE_0 src1_sel:DWORD
	s_mov_b64 s[4:5], 0
                                        ; implicit-def: $sgpr10
	s_and_saveexec_b64 s[8:9], s[6:7]
	s_xor_b64 s[6:7], exec, s[8:9]
	s_cbranch_execnz .LBB12_2317
; %bb.269:
	s_or_saveexec_b64 s[6:7], s[6:7]
	v_mov_b32_e32 v14, s10
	s_xor_b64 exec, exec, s[6:7]
	s_cbranch_execnz .LBB12_2320
.LBB12_270:
	s_or_b64 exec, exec, s[6:7]
	s_and_saveexec_b64 s[6:7], s[4:5]
	s_cbranch_execz .LBB12_272
.LBB12_271:
	v_bfe_u32 v14, v2, 8, 3
	v_ffbh_u32_e32 v16, v14
	v_min_u32_e32 v16, 32, v16
	v_lshrrev_b16_e32 v15, 3, v13
	v_subrev_u32_e32 v17, 28, v16
	v_and_b32_e32 v15, 15, v15
	v_lshlrev_b32_e32 v13, v17, v13
	v_sub_u32_e32 v16, 29, v16
	v_and_b32_e32 v13, 7, v13
	v_cmp_eq_u16_e32 vcc, 0, v15
	v_cndmask_b32_e32 v13, v14, v13, vcc
	v_cndmask_b32_e32 v14, v15, v16, vcc
	v_lshlrev_b32_e32 v15, 16, v2
	v_mov_b32_e32 v16, 0x3b800000
	v_lshlrev_b32_e32 v13, 20, v13
	v_and_b32_e32 v15, 0x80000000, v15
	v_lshl_add_u32 v14, v14, 23, v16
	v_or3_b32 v14, v15, v14, v13
.LBB12_272:
	s_or_b64 exec, exec, s[6:7]
	s_nop 0
	v_mfma_f32_16x16x4f32 a[0:3], v12, v14, a[0:3]
	s_movk_i32 s4, 0xff
	v_and_b32_sdwa v13, v6, s4 dst_sel:DWORD dst_unused:UNUSED_PAD src0_sel:WORD_1 src1_sel:DWORD
	s_movk_i32 s4, 0x7f
	v_cmp_lt_i16_e32 vcc, s4, v13
	s_mov_b64 s[4:5], 0
                                        ; implicit-def: $sgpr10
	s_and_saveexec_b64 s[6:7], vcc
	s_xor_b64 s[6:7], exec, s[6:7]
	s_cbranch_execnz .LBB12_2321
; %bb.273:
	s_or_saveexec_b64 s[6:7], s[6:7]
	v_mov_b32_e32 v12, s10
	s_xor_b64 exec, exec, s[6:7]
	s_cbranch_execnz .LBB12_2324
.LBB12_274:
	s_or_b64 exec, exec, s[6:7]
	s_and_saveexec_b64 s[6:7], s[4:5]
	s_cbranch_execz .LBB12_276
.LBB12_275:
	v_bfe_u32 v12, v6, 16, 3
	v_ffbh_u32_e32 v15, v12
	v_min_u32_e32 v15, 32, v15
	v_lshrrev_b32_e32 v13, 19, v6
	v_subrev_u32_e32 v16, 28, v15
	v_and_b32_e32 v13, 15, v13
	v_lshlrev_b32_sdwa v16, v16, v6 dst_sel:DWORD dst_unused:UNUSED_PAD src0_sel:DWORD src1_sel:WORD_1
	v_bfe_u32 v14, v6, 19, 4
	v_sub_u32_e32 v15, 29, v15
	v_and_b32_e32 v16, 7, v16
	v_cmp_eq_u16_e32 vcc, 0, v13
	v_cndmask_b32_e32 v12, v12, v16, vcc
	v_cndmask_b32_e32 v13, v14, v15, vcc
	v_lshlrev_b32_e32 v14, 8, v6
	v_mov_b32_e32 v15, 0x3b800000
	v_lshlrev_b32_e32 v12, 20, v12
	v_and_b32_e32 v14, 0x80000000, v14
	v_lshl_add_u32 v13, v13, 23, v15
	v_or3_b32 v12, v14, v13, v12
.LBB12_276:
	s_or_b64 exec, exec, s[6:7]
	s_movk_i32 s4, 0xff
	v_and_b32_sdwa v13, v2, s4 dst_sel:DWORD dst_unused:UNUSED_PAD src0_sel:WORD_1 src1_sel:DWORD
	s_movk_i32 s4, 0x7f
	v_cmp_lt_i16_e32 vcc, s4, v13
	s_mov_b64 s[4:5], 0
                                        ; implicit-def: $sgpr10
	s_and_saveexec_b64 s[6:7], vcc
	s_xor_b64 s[6:7], exec, s[6:7]
	s_cbranch_execnz .LBB12_2325
; %bb.277:
	s_or_saveexec_b64 s[6:7], s[6:7]
	v_mov_b32_e32 v14, s10
	s_xor_b64 exec, exec, s[6:7]
	s_cbranch_execnz .LBB12_2328
.LBB12_278:
	s_or_b64 exec, exec, s[6:7]
	s_and_saveexec_b64 s[6:7], s[4:5]
	s_cbranch_execz .LBB12_280
.LBB12_279:
	v_bfe_u32 v13, v2, 16, 3
	v_ffbh_u32_e32 v16, v13
	v_min_u32_e32 v16, 32, v16
	v_lshrrev_b32_e32 v14, 19, v2
	v_subrev_u32_e32 v17, 28, v16
	v_and_b32_e32 v14, 15, v14
	v_lshlrev_b32_sdwa v17, v17, v2 dst_sel:DWORD dst_unused:UNUSED_PAD src0_sel:DWORD src1_sel:WORD_1
	v_bfe_u32 v15, v2, 19, 4
	v_sub_u32_e32 v16, 29, v16
	v_and_b32_e32 v17, 7, v17
	v_cmp_eq_u16_e32 vcc, 0, v14
	v_cndmask_b32_e32 v13, v13, v17, vcc
	v_cndmask_b32_e32 v14, v15, v16, vcc
	v_lshlrev_b32_e32 v15, 8, v2
	v_mov_b32_e32 v16, 0x3b800000
	v_lshlrev_b32_e32 v13, 20, v13
	v_and_b32_e32 v15, 0x80000000, v15
	v_lshl_add_u32 v14, v14, 23, v16
	v_or3_b32 v14, v15, v14, v13
.LBB12_280:
	s_or_b64 exec, exec, s[6:7]
	s_nop 0
	v_mfma_f32_16x16x4f32 a[0:3], v12, v14, a[0:3]
	s_movk_i32 s4, 0x7f
	v_cmp_gt_i16_sdwa s[6:7], v6, s4 src0_sel:BYTE_3 src1_sel:DWORD
	s_mov_b64 s[4:5], 0
                                        ; implicit-def: $sgpr10
	s_and_saveexec_b64 s[8:9], s[6:7]
	s_xor_b64 s[6:7], exec, s[8:9]
	s_cbranch_execnz .LBB12_2329
; %bb.281:
	s_or_saveexec_b64 s[6:7], s[6:7]
	v_mov_b32_e32 v12, s10
	s_xor_b64 exec, exec, s[6:7]
	s_cbranch_execnz .LBB12_2332
.LBB12_282:
	s_or_b64 exec, exec, s[6:7]
	s_and_saveexec_b64 s[6:7], s[4:5]
	s_cbranch_execz .LBB12_284
.LBB12_283:
	v_bfe_u32 v12, v6, 24, 3
	v_ffbh_u32_e32 v16, v12
	v_min_u32_e32 v16, 32, v16
	v_lshrrev_b32_e32 v14, 27, v6
	v_subrev_u32_e32 v17, 28, v16
	v_and_b32_e32 v13, 0x80000000, v6
	v_and_b32_e32 v14, 15, v14
	v_bfe_u32 v15, v6, 27, 4
	v_lshlrev_b32_sdwa v6, v17, v6 dst_sel:DWORD dst_unused:UNUSED_PAD src0_sel:DWORD src1_sel:BYTE_3
	v_sub_u32_e32 v16, 29, v16
	v_and_b32_e32 v6, 7, v6
	v_cmp_eq_u16_e32 vcc, 0, v14
	v_cndmask_b32_e32 v6, v12, v6, vcc
	v_cndmask_b32_e32 v12, v15, v16, vcc
	v_mov_b32_e32 v14, 0x3b800000
	v_lshlrev_b32_e32 v6, 20, v6
	v_lshl_add_u32 v12, v12, 23, v14
	v_or3_b32 v12, v13, v12, v6
.LBB12_284:
	s_or_b64 exec, exec, s[6:7]
	s_movk_i32 s4, 0x7f
	v_cmp_gt_i16_sdwa s[6:7], v2, s4 src0_sel:BYTE_3 src1_sel:DWORD
	s_mov_b64 s[4:5], 0
                                        ; implicit-def: $sgpr10
	s_and_saveexec_b64 s[8:9], s[6:7]
	s_xor_b64 s[6:7], exec, s[8:9]
	s_cbranch_execnz .LBB12_2333
; %bb.285:
	s_or_saveexec_b64 s[6:7], s[6:7]
	v_mov_b32_e32 v6, s10
	s_xor_b64 exec, exec, s[6:7]
	s_cbranch_execnz .LBB12_2336
.LBB12_286:
	s_or_b64 exec, exec, s[6:7]
	s_and_saveexec_b64 s[6:7], s[4:5]
	s_cbranch_execz .LBB12_288
.LBB12_287:
	v_bfe_u32 v6, v2, 24, 3
	v_ffbh_u32_e32 v16, v6
	v_min_u32_e32 v16, 32, v16
	v_lshrrev_b32_e32 v14, 27, v2
	v_subrev_u32_e32 v17, 28, v16
	v_and_b32_e32 v13, 0x80000000, v2
	v_and_b32_e32 v14, 15, v14
	v_bfe_u32 v15, v2, 27, 4
	v_lshlrev_b32_sdwa v2, v17, v2 dst_sel:DWORD dst_unused:UNUSED_PAD src0_sel:DWORD src1_sel:BYTE_3
	v_sub_u32_e32 v16, 29, v16
	v_and_b32_e32 v2, 7, v2
	v_cmp_eq_u16_e32 vcc, 0, v14
	v_cndmask_b32_e32 v2, v6, v2, vcc
	v_cndmask_b32_e32 v6, v15, v16, vcc
	v_mov_b32_e32 v14, 0x3b800000
	v_lshlrev_b32_e32 v2, 20, v2
	v_lshl_add_u32 v6, v6, 23, v14
	v_or3_b32 v6, v13, v6, v2
.LBB12_288:
	s_or_b64 exec, exec, s[6:7]
	s_nop 0
	v_mfma_f32_16x16x4f32 a[0:3], v12, v6, a[0:3]
	s_movk_i32 s4, 0x7f
	v_cmp_gt_i16_sdwa s[6:7], v7, s4 src0_sel:BYTE_0 src1_sel:DWORD
	s_mov_b64 s[4:5], 0
                                        ; implicit-def: $sgpr10
	s_and_saveexec_b64 s[8:9], s[6:7]
	s_xor_b64 s[6:7], exec, s[8:9]
	s_cbranch_execnz .LBB12_2337
; %bb.289:
	s_or_saveexec_b64 s[6:7], s[6:7]
	v_mov_b32_e32 v2, s10
	s_xor_b64 exec, exec, s[6:7]
	s_cbranch_execnz .LBB12_2340
.LBB12_290:
	s_or_b64 exec, exec, s[6:7]
	s_and_saveexec_b64 s[6:7], s[4:5]
	s_cbranch_execz .LBB12_292
.LBB12_291:
	v_and_b32_e32 v2, 7, v7
	v_ffbh_u32_e32 v12, v2
	v_min_u32_e32 v12, 32, v12
	v_lshrrev_b16_e32 v6, 3, v7
	v_subrev_u32_e32 v13, 28, v12
	v_and_b32_e32 v6, 15, v6
	v_lshlrev_b32_e32 v13, v13, v7
	v_sub_u32_e32 v12, 29, v12
	v_and_b32_e32 v13, 7, v13
	v_cmp_eq_u16_e32 vcc, 0, v6
	v_cndmask_b32_e32 v2, v2, v13, vcc
	v_cndmask_b32_e32 v6, v6, v12, vcc
	v_lshlrev_b32_e32 v12, 24, v7
	v_mov_b32_e32 v13, 0x3b800000
	v_lshlrev_b32_e32 v2, 20, v2
	v_and_b32_e32 v12, 0x80000000, v12
	v_lshl_add_u32 v6, v6, 23, v13
	v_or3_b32 v2, v12, v6, v2
.LBB12_292:
	s_or_b64 exec, exec, s[6:7]
	s_movk_i32 s4, 0x7f
	v_cmp_gt_i16_sdwa s[6:7], v3, s4 src0_sel:BYTE_0 src1_sel:DWORD
	s_mov_b64 s[4:5], 0
                                        ; implicit-def: $sgpr10
	s_and_saveexec_b64 s[8:9], s[6:7]
	s_xor_b64 s[6:7], exec, s[8:9]
	s_cbranch_execnz .LBB12_2341
; %bb.293:
	s_or_saveexec_b64 s[6:7], s[6:7]
	v_mov_b32_e32 v6, s10
	s_xor_b64 exec, exec, s[6:7]
	s_cbranch_execnz .LBB12_2344
.LBB12_294:
	s_or_b64 exec, exec, s[6:7]
	s_and_saveexec_b64 s[6:7], s[4:5]
	s_cbranch_execz .LBB12_296
.LBB12_295:
	v_and_b32_e32 v6, 7, v3
	v_ffbh_u32_e32 v13, v6
	v_min_u32_e32 v13, 32, v13
	v_lshrrev_b16_e32 v12, 3, v3
	v_subrev_u32_e32 v14, 28, v13
	v_and_b32_e32 v12, 15, v12
	v_lshlrev_b32_e32 v14, v14, v3
	v_sub_u32_e32 v13, 29, v13
	v_and_b32_e32 v14, 7, v14
	v_cmp_eq_u16_e32 vcc, 0, v12
	v_cndmask_b32_e32 v6, v6, v14, vcc
	v_cndmask_b32_e32 v12, v12, v13, vcc
	v_lshlrev_b32_e32 v13, 24, v3
	v_mov_b32_e32 v14, 0x3b800000
	v_lshlrev_b32_e32 v6, 20, v6
	v_and_b32_e32 v13, 0x80000000, v13
	v_lshl_add_u32 v12, v12, 23, v14
	v_or3_b32 v6, v13, v12, v6
.LBB12_296:
	s_or_b64 exec, exec, s[6:7]
	s_nop 0
	v_mfma_f32_16x16x4f32 a[0:3], v2, v6, a[0:3]
	v_lshrrev_b32_e32 v6, 8, v7
	s_movk_i32 s4, 0x7f
	v_cmp_gt_i16_sdwa s[6:7], v6, s4 src0_sel:BYTE_0 src1_sel:DWORD
	s_mov_b64 s[4:5], 0
                                        ; implicit-def: $sgpr10
	s_and_saveexec_b64 s[8:9], s[6:7]
	s_xor_b64 s[6:7], exec, s[8:9]
	s_cbranch_execnz .LBB12_2345
; %bb.297:
	s_or_saveexec_b64 s[6:7], s[6:7]
	v_mov_b32_e32 v2, s10
	s_xor_b64 exec, exec, s[6:7]
	s_cbranch_execnz .LBB12_2348
.LBB12_298:
	s_or_b64 exec, exec, s[6:7]
	s_and_saveexec_b64 s[6:7], s[4:5]
	s_cbranch_execz .LBB12_300
.LBB12_299:
	v_bfe_u32 v2, v7, 8, 3
	v_ffbh_u32_e32 v13, v2
	v_min_u32_e32 v13, 32, v13
	v_lshrrev_b16_e32 v12, 3, v6
	v_subrev_u32_e32 v14, 28, v13
	v_and_b32_e32 v12, 15, v12
	v_lshlrev_b32_e32 v6, v14, v6
	v_sub_u32_e32 v13, 29, v13
	v_and_b32_e32 v6, 7, v6
	v_cmp_eq_u16_e32 vcc, 0, v12
	v_cndmask_b32_e32 v2, v2, v6, vcc
	v_cndmask_b32_e32 v6, v12, v13, vcc
	v_lshlrev_b32_e32 v12, 16, v7
	v_mov_b32_e32 v13, 0x3b800000
	v_lshlrev_b32_e32 v2, 20, v2
	v_and_b32_e32 v12, 0x80000000, v12
	v_lshl_add_u32 v6, v6, 23, v13
	v_or3_b32 v2, v12, v6, v2
.LBB12_300:
	s_or_b64 exec, exec, s[6:7]
	v_lshrrev_b32_e32 v6, 8, v3
	s_movk_i32 s4, 0x7f
	v_cmp_gt_i16_sdwa s[6:7], v6, s4 src0_sel:BYTE_0 src1_sel:DWORD
	s_mov_b64 s[4:5], 0
                                        ; implicit-def: $sgpr10
	s_and_saveexec_b64 s[8:9], s[6:7]
	s_xor_b64 s[6:7], exec, s[8:9]
	s_cbranch_execnz .LBB12_2349
; %bb.301:
	s_or_saveexec_b64 s[6:7], s[6:7]
	v_mov_b32_e32 v12, s10
	s_xor_b64 exec, exec, s[6:7]
	s_cbranch_execnz .LBB12_2352
.LBB12_302:
	s_or_b64 exec, exec, s[6:7]
	s_and_saveexec_b64 s[6:7], s[4:5]
	s_cbranch_execz .LBB12_304
.LBB12_303:
	v_bfe_u32 v12, v3, 8, 3
	v_ffbh_u32_e32 v14, v12
	v_min_u32_e32 v14, 32, v14
	v_lshrrev_b16_e32 v13, 3, v6
	v_subrev_u32_e32 v15, 28, v14
	v_and_b32_e32 v13, 15, v13
	v_lshlrev_b32_e32 v6, v15, v6
	v_sub_u32_e32 v14, 29, v14
	v_and_b32_e32 v6, 7, v6
	v_cmp_eq_u16_e32 vcc, 0, v13
	v_cndmask_b32_e32 v6, v12, v6, vcc
	v_cndmask_b32_e32 v12, v13, v14, vcc
	v_lshlrev_b32_e32 v13, 16, v3
	v_mov_b32_e32 v14, 0x3b800000
	v_lshlrev_b32_e32 v6, 20, v6
	v_and_b32_e32 v13, 0x80000000, v13
	v_lshl_add_u32 v12, v12, 23, v14
	v_or3_b32 v12, v13, v12, v6
.LBB12_304:
	s_or_b64 exec, exec, s[6:7]
	s_nop 0
	v_mfma_f32_16x16x4f32 a[0:3], v2, v12, a[0:3]
	s_movk_i32 s4, 0xff
	v_and_b32_sdwa v6, v7, s4 dst_sel:DWORD dst_unused:UNUSED_PAD src0_sel:WORD_1 src1_sel:DWORD
	s_movk_i32 s4, 0x7f
	v_cmp_lt_i16_e32 vcc, s4, v6
	s_mov_b64 s[4:5], 0
                                        ; implicit-def: $sgpr10
	s_and_saveexec_b64 s[6:7], vcc
	s_xor_b64 s[6:7], exec, s[6:7]
	s_cbranch_execnz .LBB12_2353
; %bb.305:
	s_or_saveexec_b64 s[6:7], s[6:7]
	v_mov_b32_e32 v2, s10
	s_xor_b64 exec, exec, s[6:7]
	s_cbranch_execnz .LBB12_2356
.LBB12_306:
	s_or_b64 exec, exec, s[6:7]
	s_and_saveexec_b64 s[6:7], s[4:5]
	s_cbranch_execz .LBB12_308
.LBB12_307:
	v_bfe_u32 v2, v7, 16, 3
	v_ffbh_u32_e32 v13, v2
	v_min_u32_e32 v13, 32, v13
	v_lshrrev_b32_e32 v6, 19, v7
	v_subrev_u32_e32 v14, 28, v13
	v_and_b32_e32 v6, 15, v6
	v_lshlrev_b32_sdwa v14, v14, v7 dst_sel:DWORD dst_unused:UNUSED_PAD src0_sel:DWORD src1_sel:WORD_1
	v_bfe_u32 v12, v7, 19, 4
	v_sub_u32_e32 v13, 29, v13
	v_and_b32_e32 v14, 7, v14
	v_cmp_eq_u16_e32 vcc, 0, v6
	v_cndmask_b32_e32 v2, v2, v14, vcc
	v_cndmask_b32_e32 v6, v12, v13, vcc
	v_lshlrev_b32_e32 v12, 8, v7
	v_mov_b32_e32 v13, 0x3b800000
	v_lshlrev_b32_e32 v2, 20, v2
	v_and_b32_e32 v12, 0x80000000, v12
	v_lshl_add_u32 v6, v6, 23, v13
	v_or3_b32 v2, v12, v6, v2
.LBB12_308:
	s_or_b64 exec, exec, s[6:7]
	s_movk_i32 s4, 0xff
	v_and_b32_sdwa v6, v3, s4 dst_sel:DWORD dst_unused:UNUSED_PAD src0_sel:WORD_1 src1_sel:DWORD
	s_movk_i32 s4, 0x7f
	v_cmp_lt_i16_e32 vcc, s4, v6
	s_mov_b64 s[4:5], 0
                                        ; implicit-def: $sgpr10
	s_and_saveexec_b64 s[6:7], vcc
	s_xor_b64 s[6:7], exec, s[6:7]
	s_cbranch_execnz .LBB12_2357
; %bb.309:
	s_or_saveexec_b64 s[6:7], s[6:7]
	v_mov_b32_e32 v12, s10
	s_xor_b64 exec, exec, s[6:7]
	s_cbranch_execnz .LBB12_2360
.LBB12_310:
	s_or_b64 exec, exec, s[6:7]
	s_and_saveexec_b64 s[6:7], s[4:5]
	s_cbranch_execz .LBB12_312
.LBB12_311:
	v_bfe_u32 v6, v3, 16, 3
	v_ffbh_u32_e32 v14, v6
	v_min_u32_e32 v14, 32, v14
	v_lshrrev_b32_e32 v12, 19, v3
	v_subrev_u32_e32 v15, 28, v14
	v_and_b32_e32 v12, 15, v12
	v_lshlrev_b32_sdwa v15, v15, v3 dst_sel:DWORD dst_unused:UNUSED_PAD src0_sel:DWORD src1_sel:WORD_1
	v_bfe_u32 v13, v3, 19, 4
	v_sub_u32_e32 v14, 29, v14
	v_and_b32_e32 v15, 7, v15
	v_cmp_eq_u16_e32 vcc, 0, v12
	v_cndmask_b32_e32 v6, v6, v15, vcc
	v_cndmask_b32_e32 v12, v13, v14, vcc
	v_lshlrev_b32_e32 v13, 8, v3
	v_mov_b32_e32 v14, 0x3b800000
	v_lshlrev_b32_e32 v6, 20, v6
	v_and_b32_e32 v13, 0x80000000, v13
	v_lshl_add_u32 v12, v12, 23, v14
	v_or3_b32 v12, v13, v12, v6
.LBB12_312:
	s_or_b64 exec, exec, s[6:7]
	s_nop 0
	v_mfma_f32_16x16x4f32 a[0:3], v2, v12, a[0:3]
	s_movk_i32 s4, 0x7f
	v_cmp_gt_i16_sdwa s[6:7], v7, s4 src0_sel:BYTE_3 src1_sel:DWORD
	s_mov_b64 s[4:5], 0
                                        ; implicit-def: $sgpr10
	s_and_saveexec_b64 s[8:9], s[6:7]
	s_xor_b64 s[6:7], exec, s[8:9]
	s_cbranch_execnz .LBB12_2361
; %bb.313:
	s_or_saveexec_b64 s[6:7], s[6:7]
	v_mov_b32_e32 v2, s10
	s_xor_b64 exec, exec, s[6:7]
	s_cbranch_execnz .LBB12_2364
.LBB12_314:
	s_or_b64 exec, exec, s[6:7]
	s_and_saveexec_b64 s[6:7], s[4:5]
	s_cbranch_execz .LBB12_316
.LBB12_315:
	v_bfe_u32 v2, v7, 24, 3
	v_ffbh_u32_e32 v14, v2
	v_min_u32_e32 v14, 32, v14
	v_lshrrev_b32_e32 v12, 27, v7
	v_subrev_u32_e32 v15, 28, v14
	v_and_b32_e32 v6, 0x80000000, v7
	v_and_b32_e32 v12, 15, v12
	v_bfe_u32 v13, v7, 27, 4
	v_lshlrev_b32_sdwa v7, v15, v7 dst_sel:DWORD dst_unused:UNUSED_PAD src0_sel:DWORD src1_sel:BYTE_3
	v_sub_u32_e32 v14, 29, v14
	v_and_b32_e32 v7, 7, v7
	v_cmp_eq_u16_e32 vcc, 0, v12
	v_cndmask_b32_e32 v2, v2, v7, vcc
	v_cndmask_b32_e32 v7, v13, v14, vcc
	v_mov_b32_e32 v12, 0x3b800000
	v_lshlrev_b32_e32 v2, 20, v2
	v_lshl_add_u32 v7, v7, 23, v12
	v_or3_b32 v2, v6, v7, v2
.LBB12_316:
	s_or_b64 exec, exec, s[6:7]
	s_movk_i32 s4, 0x7f
	v_cmp_gt_i16_sdwa s[6:7], v3, s4 src0_sel:BYTE_3 src1_sel:DWORD
	s_mov_b64 s[4:5], 0
                                        ; implicit-def: $sgpr10
	s_and_saveexec_b64 s[8:9], s[6:7]
	s_xor_b64 s[6:7], exec, s[8:9]
	s_cbranch_execnz .LBB12_2365
; %bb.317:
	s_or_saveexec_b64 s[6:7], s[6:7]
	v_mov_b32_e32 v6, s10
	s_xor_b64 exec, exec, s[6:7]
	s_cbranch_execnz .LBB12_2368
.LBB12_318:
	s_or_b64 exec, exec, s[6:7]
	s_and_saveexec_b64 s[6:7], s[4:5]
	s_cbranch_execz .LBB12_320
.LBB12_319:
	v_bfe_u32 v6, v3, 24, 3
	v_ffbh_u32_e32 v14, v6
	v_min_u32_e32 v14, 32, v14
	v_lshrrev_b32_e32 v12, 27, v3
	v_subrev_u32_e32 v15, 28, v14
	v_and_b32_e32 v7, 0x80000000, v3
	v_and_b32_e32 v12, 15, v12
	v_bfe_u32 v13, v3, 27, 4
	v_lshlrev_b32_sdwa v3, v15, v3 dst_sel:DWORD dst_unused:UNUSED_PAD src0_sel:DWORD src1_sel:BYTE_3
	v_sub_u32_e32 v14, 29, v14
	v_and_b32_e32 v3, 7, v3
	v_cmp_eq_u16_e32 vcc, 0, v12
	v_cndmask_b32_e32 v3, v6, v3, vcc
	v_cndmask_b32_e32 v6, v13, v14, vcc
	v_mov_b32_e32 v12, 0x3b800000
	v_lshlrev_b32_e32 v3, 20, v3
	v_lshl_add_u32 v6, v6, 23, v12
	v_or3_b32 v6, v7, v6, v3
.LBB12_320:
	s_or_b64 exec, exec, s[6:7]
	s_nop 0
	v_mfma_f32_16x16x4f32 a[0:3], v2, v6, a[0:3]
	s_movk_i32 s4, 0x7f
	v_cmp_gt_i16_sdwa s[6:7], v8, s4 src0_sel:BYTE_0 src1_sel:DWORD
	s_mov_b64 s[4:5], 0
                                        ; implicit-def: $sgpr10
	s_and_saveexec_b64 s[8:9], s[6:7]
	s_xor_b64 s[6:7], exec, s[8:9]
	s_cbranch_execnz .LBB12_2369
; %bb.321:
	s_or_saveexec_b64 s[6:7], s[6:7]
	v_mov_b32_e32 v2, s10
	s_xor_b64 exec, exec, s[6:7]
	s_cbranch_execnz .LBB12_2372
.LBB12_322:
	s_or_b64 exec, exec, s[6:7]
	s_and_saveexec_b64 s[6:7], s[4:5]
	s_cbranch_execz .LBB12_324
.LBB12_323:
	v_and_b32_e32 v2, 7, v8
	v_ffbh_u32_e32 v6, v2
	v_min_u32_e32 v6, 32, v6
	v_lshrrev_b16_e32 v3, 3, v8
	v_subrev_u32_e32 v7, 28, v6
	v_and_b32_e32 v3, 15, v3
	v_lshlrev_b32_e32 v7, v7, v8
	v_sub_u32_e32 v6, 29, v6
	v_and_b32_e32 v7, 7, v7
	v_cmp_eq_u16_e32 vcc, 0, v3
	v_cndmask_b32_e32 v2, v2, v7, vcc
	v_cndmask_b32_e32 v3, v3, v6, vcc
	v_lshlrev_b32_e32 v6, 24, v8
	v_mov_b32_e32 v7, 0x3b800000
	v_lshlrev_b32_e32 v2, 20, v2
	v_and_b32_e32 v6, 0x80000000, v6
	v_lshl_add_u32 v3, v3, 23, v7
	v_or3_b32 v2, v6, v3, v2
.LBB12_324:
	s_or_b64 exec, exec, s[6:7]
	s_movk_i32 s4, 0x7f
	v_cmp_gt_i16_sdwa s[6:7], v4, s4 src0_sel:BYTE_0 src1_sel:DWORD
	s_mov_b64 s[4:5], 0
                                        ; implicit-def: $sgpr10
	s_and_saveexec_b64 s[8:9], s[6:7]
	s_xor_b64 s[6:7], exec, s[8:9]
	s_cbranch_execnz .LBB12_2373
; %bb.325:
	s_or_saveexec_b64 s[6:7], s[6:7]
	v_mov_b32_e32 v3, s10
	s_xor_b64 exec, exec, s[6:7]
	s_cbranch_execnz .LBB12_2376
.LBB12_326:
	s_or_b64 exec, exec, s[6:7]
	s_and_saveexec_b64 s[6:7], s[4:5]
	s_cbranch_execz .LBB12_328
.LBB12_327:
	v_and_b32_e32 v3, 7, v4
	v_ffbh_u32_e32 v7, v3
	v_min_u32_e32 v7, 32, v7
	v_lshrrev_b16_e32 v6, 3, v4
	v_subrev_u32_e32 v12, 28, v7
	v_and_b32_e32 v6, 15, v6
	v_lshlrev_b32_e32 v12, v12, v4
	v_sub_u32_e32 v7, 29, v7
	v_and_b32_e32 v12, 7, v12
	v_cmp_eq_u16_e32 vcc, 0, v6
	v_cndmask_b32_e32 v3, v3, v12, vcc
	v_cndmask_b32_e32 v6, v6, v7, vcc
	v_lshlrev_b32_e32 v7, 24, v4
	v_mov_b32_e32 v12, 0x3b800000
	v_lshlrev_b32_e32 v3, 20, v3
	v_and_b32_e32 v7, 0x80000000, v7
	v_lshl_add_u32 v6, v6, 23, v12
	v_or3_b32 v3, v7, v6, v3
.LBB12_328:
	s_or_b64 exec, exec, s[6:7]
	s_nop 0
	v_mfma_f32_16x16x4f32 a[0:3], v2, v3, a[0:3]
	v_lshrrev_b32_e32 v3, 8, v8
	s_movk_i32 s4, 0x7f
	v_cmp_gt_i16_sdwa s[6:7], v3, s4 src0_sel:BYTE_0 src1_sel:DWORD
	s_mov_b64 s[4:5], 0
                                        ; implicit-def: $sgpr10
	s_and_saveexec_b64 s[8:9], s[6:7]
	s_xor_b64 s[6:7], exec, s[8:9]
	s_cbranch_execnz .LBB12_2377
; %bb.329:
	s_or_saveexec_b64 s[6:7], s[6:7]
	v_mov_b32_e32 v2, s10
	s_xor_b64 exec, exec, s[6:7]
	s_cbranch_execnz .LBB12_2380
.LBB12_330:
	s_or_b64 exec, exec, s[6:7]
	s_and_saveexec_b64 s[6:7], s[4:5]
	s_cbranch_execz .LBB12_332
.LBB12_331:
	v_bfe_u32 v2, v8, 8, 3
	v_ffbh_u32_e32 v7, v2
	v_min_u32_e32 v7, 32, v7
	v_lshrrev_b16_e32 v6, 3, v3
	v_subrev_u32_e32 v12, 28, v7
	v_and_b32_e32 v6, 15, v6
	v_lshlrev_b32_e32 v3, v12, v3
	v_sub_u32_e32 v7, 29, v7
	v_and_b32_e32 v3, 7, v3
	v_cmp_eq_u16_e32 vcc, 0, v6
	v_cndmask_b32_e32 v2, v2, v3, vcc
	v_cndmask_b32_e32 v3, v6, v7, vcc
	v_lshlrev_b32_e32 v6, 16, v8
	v_mov_b32_e32 v7, 0x3b800000
	v_lshlrev_b32_e32 v2, 20, v2
	v_and_b32_e32 v6, 0x80000000, v6
	v_lshl_add_u32 v3, v3, 23, v7
	v_or3_b32 v2, v6, v3, v2
.LBB12_332:
	s_or_b64 exec, exec, s[6:7]
	v_lshrrev_b32_e32 v3, 8, v4
	s_movk_i32 s4, 0x7f
	v_cmp_gt_i16_sdwa s[6:7], v3, s4 src0_sel:BYTE_0 src1_sel:DWORD
	s_mov_b64 s[4:5], 0
                                        ; implicit-def: $sgpr10
	s_and_saveexec_b64 s[8:9], s[6:7]
	s_xor_b64 s[6:7], exec, s[8:9]
	s_cbranch_execnz .LBB12_2381
; %bb.333:
	s_or_saveexec_b64 s[6:7], s[6:7]
	v_mov_b32_e32 v6, s10
	s_xor_b64 exec, exec, s[6:7]
	s_cbranch_execnz .LBB12_2384
.LBB12_334:
	s_or_b64 exec, exec, s[6:7]
	s_and_saveexec_b64 s[6:7], s[4:5]
	s_cbranch_execz .LBB12_336
.LBB12_335:
	v_bfe_u32 v6, v4, 8, 3
	v_ffbh_u32_e32 v12, v6
	v_min_u32_e32 v12, 32, v12
	v_lshrrev_b16_e32 v7, 3, v3
	v_subrev_u32_e32 v13, 28, v12
	v_and_b32_e32 v7, 15, v7
	v_lshlrev_b32_e32 v3, v13, v3
	v_sub_u32_e32 v12, 29, v12
	v_and_b32_e32 v3, 7, v3
	v_cmp_eq_u16_e32 vcc, 0, v7
	v_cndmask_b32_e32 v3, v6, v3, vcc
	v_cndmask_b32_e32 v6, v7, v12, vcc
	v_lshlrev_b32_e32 v7, 16, v4
	v_mov_b32_e32 v12, 0x3b800000
	v_lshlrev_b32_e32 v3, 20, v3
	v_and_b32_e32 v7, 0x80000000, v7
	v_lshl_add_u32 v6, v6, 23, v12
	v_or3_b32 v6, v7, v6, v3
.LBB12_336:
	s_or_b64 exec, exec, s[6:7]
	s_nop 0
	v_mfma_f32_16x16x4f32 a[0:3], v2, v6, a[0:3]
	s_movk_i32 s4, 0xff
	v_and_b32_sdwa v3, v8, s4 dst_sel:DWORD dst_unused:UNUSED_PAD src0_sel:WORD_1 src1_sel:DWORD
	s_movk_i32 s4, 0x7f
	v_cmp_lt_i16_e32 vcc, s4, v3
	s_mov_b64 s[4:5], 0
                                        ; implicit-def: $sgpr10
	s_and_saveexec_b64 s[6:7], vcc
	s_xor_b64 s[6:7], exec, s[6:7]
	s_cbranch_execnz .LBB12_2385
; %bb.337:
	s_or_saveexec_b64 s[6:7], s[6:7]
	v_mov_b32_e32 v2, s10
	s_xor_b64 exec, exec, s[6:7]
	s_cbranch_execnz .LBB12_2388
.LBB12_338:
	s_or_b64 exec, exec, s[6:7]
	s_and_saveexec_b64 s[6:7], s[4:5]
	s_cbranch_execz .LBB12_340
.LBB12_339:
	v_bfe_u32 v2, v8, 16, 3
	v_ffbh_u32_e32 v7, v2
	v_min_u32_e32 v7, 32, v7
	v_lshrrev_b32_e32 v3, 19, v8
	v_subrev_u32_e32 v12, 28, v7
	v_and_b32_e32 v3, 15, v3
	v_lshlrev_b32_sdwa v12, v12, v8 dst_sel:DWORD dst_unused:UNUSED_PAD src0_sel:DWORD src1_sel:WORD_1
	v_bfe_u32 v6, v8, 19, 4
	v_sub_u32_e32 v7, 29, v7
	v_and_b32_e32 v12, 7, v12
	v_cmp_eq_u16_e32 vcc, 0, v3
	v_cndmask_b32_e32 v2, v2, v12, vcc
	v_cndmask_b32_e32 v3, v6, v7, vcc
	v_lshlrev_b32_e32 v6, 8, v8
	v_mov_b32_e32 v7, 0x3b800000
	v_lshlrev_b32_e32 v2, 20, v2
	v_and_b32_e32 v6, 0x80000000, v6
	v_lshl_add_u32 v3, v3, 23, v7
	v_or3_b32 v2, v6, v3, v2
.LBB12_340:
	s_or_b64 exec, exec, s[6:7]
	s_movk_i32 s4, 0xff
	v_and_b32_sdwa v3, v4, s4 dst_sel:DWORD dst_unused:UNUSED_PAD src0_sel:WORD_1 src1_sel:DWORD
	s_movk_i32 s4, 0x7f
	v_cmp_lt_i16_e32 vcc, s4, v3
	s_mov_b64 s[4:5], 0
                                        ; implicit-def: $sgpr10
	s_and_saveexec_b64 s[6:7], vcc
	s_xor_b64 s[6:7], exec, s[6:7]
	s_cbranch_execnz .LBB12_2389
; %bb.341:
	s_or_saveexec_b64 s[6:7], s[6:7]
	v_mov_b32_e32 v6, s10
	s_xor_b64 exec, exec, s[6:7]
	s_cbranch_execnz .LBB12_2392
.LBB12_342:
	s_or_b64 exec, exec, s[6:7]
	s_and_saveexec_b64 s[6:7], s[4:5]
	s_cbranch_execz .LBB12_344
.LBB12_343:
	v_bfe_u32 v3, v4, 16, 3
	v_ffbh_u32_e32 v12, v3
	v_min_u32_e32 v12, 32, v12
	v_lshrrev_b32_e32 v6, 19, v4
	v_subrev_u32_e32 v13, 28, v12
	v_and_b32_e32 v6, 15, v6
	v_lshlrev_b32_sdwa v13, v13, v4 dst_sel:DWORD dst_unused:UNUSED_PAD src0_sel:DWORD src1_sel:WORD_1
	v_bfe_u32 v7, v4, 19, 4
	v_sub_u32_e32 v12, 29, v12
	v_and_b32_e32 v13, 7, v13
	v_cmp_eq_u16_e32 vcc, 0, v6
	v_cndmask_b32_e32 v3, v3, v13, vcc
	v_cndmask_b32_e32 v6, v7, v12, vcc
	v_lshlrev_b32_e32 v7, 8, v4
	v_mov_b32_e32 v12, 0x3b800000
	v_lshlrev_b32_e32 v3, 20, v3
	v_and_b32_e32 v7, 0x80000000, v7
	v_lshl_add_u32 v6, v6, 23, v12
	v_or3_b32 v6, v7, v6, v3
.LBB12_344:
	s_or_b64 exec, exec, s[6:7]
	s_nop 0
	v_mfma_f32_16x16x4f32 a[0:3], v2, v6, a[0:3]
	s_movk_i32 s4, 0x7f
	v_cmp_gt_i16_sdwa s[6:7], v8, s4 src0_sel:BYTE_3 src1_sel:DWORD
	s_mov_b64 s[4:5], 0
                                        ; implicit-def: $sgpr10
	s_and_saveexec_b64 s[8:9], s[6:7]
	s_xor_b64 s[6:7], exec, s[8:9]
	s_cbranch_execnz .LBB12_2393
; %bb.345:
	s_or_saveexec_b64 s[6:7], s[6:7]
	v_mov_b32_e32 v2, s10
	s_xor_b64 exec, exec, s[6:7]
	s_cbranch_execnz .LBB12_2396
.LBB12_346:
	s_or_b64 exec, exec, s[6:7]
	s_and_saveexec_b64 s[6:7], s[4:5]
	s_cbranch_execz .LBB12_348
.LBB12_347:
	v_bfe_u32 v2, v8, 24, 3
	v_ffbh_u32_e32 v12, v2
	v_min_u32_e32 v12, 32, v12
	v_lshrrev_b32_e32 v6, 27, v8
	v_subrev_u32_e32 v13, 28, v12
	v_and_b32_e32 v3, 0x80000000, v8
	v_and_b32_e32 v6, 15, v6
	v_bfe_u32 v7, v8, 27, 4
	v_lshlrev_b32_sdwa v8, v13, v8 dst_sel:DWORD dst_unused:UNUSED_PAD src0_sel:DWORD src1_sel:BYTE_3
	v_sub_u32_e32 v12, 29, v12
	v_and_b32_e32 v8, 7, v8
	v_cmp_eq_u16_e32 vcc, 0, v6
	v_cndmask_b32_e32 v2, v2, v8, vcc
	v_cndmask_b32_e32 v6, v7, v12, vcc
	v_mov_b32_e32 v7, 0x3b800000
	v_lshlrev_b32_e32 v2, 20, v2
	v_lshl_add_u32 v6, v6, 23, v7
	v_or3_b32 v2, v3, v6, v2
.LBB12_348:
	s_or_b64 exec, exec, s[6:7]
	s_movk_i32 s4, 0x7f
	v_cmp_gt_i16_sdwa s[6:7], v4, s4 src0_sel:BYTE_3 src1_sel:DWORD
	s_mov_b64 s[4:5], 0
                                        ; implicit-def: $sgpr10
	s_and_saveexec_b64 s[8:9], s[6:7]
	s_xor_b64 s[6:7], exec, s[8:9]
	s_cbranch_execnz .LBB12_2397
; %bb.349:
	s_or_saveexec_b64 s[6:7], s[6:7]
	v_mov_b32_e32 v3, s10
	s_xor_b64 exec, exec, s[6:7]
	s_cbranch_execnz .LBB12_2400
.LBB12_350:
	s_or_b64 exec, exec, s[6:7]
	s_and_saveexec_b64 s[6:7], s[4:5]
	s_cbranch_execz .LBB12_352
.LBB12_351:
	v_bfe_u32 v3, v4, 24, 3
	v_ffbh_u32_e32 v12, v3
	v_min_u32_e32 v12, 32, v12
	v_lshrrev_b32_e32 v7, 27, v4
	v_subrev_u32_e32 v13, 28, v12
	v_and_b32_e32 v6, 0x80000000, v4
	v_and_b32_e32 v7, 15, v7
	v_bfe_u32 v8, v4, 27, 4
	v_lshlrev_b32_sdwa v4, v13, v4 dst_sel:DWORD dst_unused:UNUSED_PAD src0_sel:DWORD src1_sel:BYTE_3
	v_sub_u32_e32 v12, 29, v12
	v_and_b32_e32 v4, 7, v4
	v_cmp_eq_u16_e32 vcc, 0, v7
	v_cndmask_b32_e32 v3, v3, v4, vcc
	v_cndmask_b32_e32 v4, v8, v12, vcc
	v_mov_b32_e32 v7, 0x3b800000
	v_lshlrev_b32_e32 v3, 20, v3
	v_lshl_add_u32 v4, v4, 23, v7
	v_or3_b32 v3, v6, v4, v3
.LBB12_352:
	s_or_b64 exec, exec, s[6:7]
	s_nop 0
	v_mfma_f32_16x16x4f32 a[0:3], v2, v3, a[0:3]
	s_movk_i32 s4, 0x7f
	v_cmp_gt_i16_sdwa s[6:7], v9, s4 src0_sel:BYTE_0 src1_sel:DWORD
	s_mov_b64 s[4:5], 0
                                        ; implicit-def: $sgpr10
	s_and_saveexec_b64 s[8:9], s[6:7]
	s_xor_b64 s[6:7], exec, s[8:9]
	s_cbranch_execnz .LBB12_2401
; %bb.353:
	s_or_saveexec_b64 s[6:7], s[6:7]
	v_mov_b32_e32 v2, s10
	s_xor_b64 exec, exec, s[6:7]
	s_cbranch_execnz .LBB12_2404
.LBB12_354:
	s_or_b64 exec, exec, s[6:7]
	s_and_saveexec_b64 s[6:7], s[4:5]
	s_cbranch_execz .LBB12_356
.LBB12_355:
	v_mov_b32_e32 v2, 8
	v_and_b32_e32 v3, 7, v9
	v_lshrrev_b32_sdwa v2, v2, v9 dst_sel:BYTE_1 dst_unused:UNUSED_PAD src0_sel:DWORD src1_sel:DWORD
	v_ffbh_u32_e32 v4, v3
	v_or_b32_sdwa v2, v9, v2 dst_sel:DWORD dst_unused:UNUSED_PAD src0_sel:BYTE_0 src1_sel:DWORD
	v_min_u32_e32 v4, 32, v4
	v_lshrrev_b16_e32 v2, 3, v2
	v_subrev_u32_e32 v6, 28, v4
	v_and_b32_e32 v2, 15, v2
	v_lshlrev_b32_e32 v6, v6, v9
	v_sub_u32_e32 v4, 29, v4
	v_and_b32_e32 v6, 7, v6
	v_cmp_eq_u16_e32 vcc, 0, v2
	v_cndmask_b32_e32 v3, v3, v6, vcc
	v_cndmask_b32_e32 v2, v2, v4, vcc
	v_lshlrev_b32_e32 v4, 24, v9
	v_mov_b32_e32 v6, 0x3b800000
	v_lshlrev_b32_e32 v3, 20, v3
	v_and_b32_e32 v4, 0x80000000, v4
	v_lshl_add_u32 v2, v2, 23, v6
	v_or3_b32 v2, v4, v2, v3
.LBB12_356:
	s_or_b64 exec, exec, s[6:7]
	s_movk_i32 s4, 0x7f
	v_cmp_gt_i16_sdwa s[6:7], v5, s4 src0_sel:BYTE_0 src1_sel:DWORD
	s_mov_b64 s[4:5], 0
                                        ; implicit-def: $sgpr10
	s_and_saveexec_b64 s[8:9], s[6:7]
	s_xor_b64 s[6:7], exec, s[8:9]
	s_cbranch_execnz .LBB12_2405
; %bb.357:
	s_or_saveexec_b64 s[6:7], s[6:7]
	v_mov_b32_e32 v3, s10
	s_xor_b64 exec, exec, s[6:7]
	s_cbranch_execnz .LBB12_2408
.LBB12_358:
	s_or_b64 exec, exec, s[6:7]
	s_and_saveexec_b64 s[6:7], s[4:5]
	s_cbranch_execz .LBB12_360
.LBB12_359:
	v_mov_b32_e32 v3, 8
	v_and_b32_e32 v4, 7, v5
	v_lshrrev_b32_sdwa v3, v3, v5 dst_sel:BYTE_1 dst_unused:UNUSED_PAD src0_sel:DWORD src1_sel:DWORD
	v_ffbh_u32_e32 v6, v4
	v_or_b32_sdwa v3, v5, v3 dst_sel:DWORD dst_unused:UNUSED_PAD src0_sel:BYTE_0 src1_sel:DWORD
	v_min_u32_e32 v6, 32, v6
	v_lshrrev_b16_e32 v3, 3, v3
	v_subrev_u32_e32 v7, 28, v6
	v_and_b32_e32 v3, 15, v3
	v_lshlrev_b32_e32 v7, v7, v5
	v_sub_u32_e32 v6, 29, v6
	v_and_b32_e32 v7, 7, v7
	v_cmp_eq_u16_e32 vcc, 0, v3
	v_cndmask_b32_e32 v4, v4, v7, vcc
	v_cndmask_b32_e32 v3, v3, v6, vcc
	v_lshlrev_b32_e32 v6, 24, v5
	v_mov_b32_e32 v7, 0x3b800000
	v_lshlrev_b32_e32 v4, 20, v4
	v_and_b32_e32 v6, 0x80000000, v6
	v_lshl_add_u32 v3, v3, 23, v7
	v_or3_b32 v3, v6, v3, v4
.LBB12_360:
	s_or_b64 exec, exec, s[6:7]
	s_nop 0
	v_mfma_f32_16x16x4f32 a[0:3], v2, v3, a[0:3]
	v_lshrrev_b32_e32 v3, 8, v9
	s_movk_i32 s4, 0x7f
	v_cmp_gt_i16_sdwa s[6:7], v3, s4 src0_sel:BYTE_0 src1_sel:DWORD
	s_mov_b64 s[4:5], 0
                                        ; implicit-def: $sgpr10
	s_and_saveexec_b64 s[8:9], s[6:7]
	s_xor_b64 s[6:7], exec, s[8:9]
	s_cbranch_execnz .LBB12_2409
; %bb.361:
	s_or_saveexec_b64 s[6:7], s[6:7]
	v_mov_b32_e32 v2, s10
	s_xor_b64 exec, exec, s[6:7]
	s_cbranch_execnz .LBB12_2412
.LBB12_362:
	s_or_b64 exec, exec, s[6:7]
	s_and_saveexec_b64 s[6:7], s[4:5]
	s_cbranch_execz .LBB12_364
.LBB12_363:
	v_bfe_u32 v2, v9, 8, 3
	v_ffbh_u32_e32 v6, v2
	v_min_u32_e32 v6, 32, v6
	v_lshrrev_b16_e32 v4, 3, v3
	v_subrev_u32_e32 v7, 28, v6
	v_and_b32_e32 v4, 15, v4
	v_lshlrev_b32_e32 v3, v7, v3
	v_sub_u32_e32 v6, 29, v6
	v_and_b32_e32 v3, 7, v3
	v_cmp_eq_u16_e32 vcc, 0, v4
	v_cndmask_b32_e32 v2, v2, v3, vcc
	v_cndmask_b32_e32 v3, v4, v6, vcc
	v_lshlrev_b32_e32 v4, 16, v9
	v_mov_b32_e32 v6, 0x3b800000
	v_lshlrev_b32_e32 v2, 20, v2
	v_and_b32_e32 v4, 0x80000000, v4
	v_lshl_add_u32 v3, v3, 23, v6
	v_or3_b32 v2, v4, v3, v2
.LBB12_364:
	s_or_b64 exec, exec, s[6:7]
	v_lshrrev_b32_e32 v3, 8, v5
	s_movk_i32 s4, 0x7f
	v_cmp_gt_i16_sdwa s[6:7], v3, s4 src0_sel:BYTE_0 src1_sel:DWORD
	s_mov_b64 s[4:5], 0
                                        ; implicit-def: $sgpr10
	s_and_saveexec_b64 s[8:9], s[6:7]
	s_xor_b64 s[6:7], exec, s[8:9]
	s_cbranch_execnz .LBB12_2413
; %bb.365:
	s_or_saveexec_b64 s[6:7], s[6:7]
	v_mov_b32_e32 v4, s10
	s_xor_b64 exec, exec, s[6:7]
	s_cbranch_execnz .LBB12_2416
.LBB12_366:
	s_or_b64 exec, exec, s[6:7]
	s_and_saveexec_b64 s[6:7], s[4:5]
	s_cbranch_execz .LBB12_368
.LBB12_367:
	v_bfe_u32 v4, v5, 8, 3
	v_ffbh_u32_e32 v7, v4
	v_min_u32_e32 v7, 32, v7
	v_lshrrev_b16_e32 v6, 3, v3
	v_subrev_u32_e32 v8, 28, v7
	v_and_b32_e32 v6, 15, v6
	v_lshlrev_b32_e32 v3, v8, v3
	v_sub_u32_e32 v7, 29, v7
	v_and_b32_e32 v3, 7, v3
	v_cmp_eq_u16_e32 vcc, 0, v6
	v_cndmask_b32_e32 v3, v4, v3, vcc
	v_cndmask_b32_e32 v4, v6, v7, vcc
	v_lshlrev_b32_e32 v6, 16, v5
	v_mov_b32_e32 v7, 0x3b800000
	v_lshlrev_b32_e32 v3, 20, v3
	v_and_b32_e32 v6, 0x80000000, v6
	v_lshl_add_u32 v4, v4, 23, v7
	v_or3_b32 v4, v6, v4, v3
.LBB12_368:
	s_or_b64 exec, exec, s[6:7]
	s_nop 0
	v_mfma_f32_16x16x4f32 a[0:3], v2, v4, a[0:3]
	s_movk_i32 s4, 0xff
	v_and_b32_sdwa v3, v9, s4 dst_sel:DWORD dst_unused:UNUSED_PAD src0_sel:WORD_1 src1_sel:DWORD
	s_movk_i32 s4, 0x7f
	v_cmp_lt_i16_e32 vcc, s4, v3
	s_mov_b64 s[4:5], 0
                                        ; implicit-def: $sgpr10
	s_and_saveexec_b64 s[6:7], vcc
	s_xor_b64 s[6:7], exec, s[6:7]
	s_cbranch_execnz .LBB12_2417
; %bb.369:
	s_or_saveexec_b64 s[6:7], s[6:7]
	v_mov_b32_e32 v2, s10
	s_xor_b64 exec, exec, s[6:7]
	s_cbranch_execnz .LBB12_2420
.LBB12_370:
	s_or_b64 exec, exec, s[6:7]
	s_and_saveexec_b64 s[6:7], s[4:5]
	s_cbranch_execz .LBB12_372
.LBB12_371:
	v_bfe_u32 v2, v9, 16, 3
	v_ffbh_u32_e32 v6, v2
	v_min_u32_e32 v6, 32, v6
	v_lshrrev_b32_e32 v3, 19, v9
	v_subrev_u32_e32 v7, 28, v6
	v_and_b32_e32 v3, 15, v3
	v_lshlrev_b32_sdwa v7, v7, v9 dst_sel:DWORD dst_unused:UNUSED_PAD src0_sel:DWORD src1_sel:WORD_1
	v_bfe_u32 v4, v9, 19, 4
	v_sub_u32_e32 v6, 29, v6
	v_and_b32_e32 v7, 7, v7
	v_cmp_eq_u16_e32 vcc, 0, v3
	v_cndmask_b32_e32 v2, v2, v7, vcc
	v_cndmask_b32_e32 v3, v4, v6, vcc
	v_lshlrev_b32_e32 v4, 8, v9
	v_mov_b32_e32 v6, 0x3b800000
	v_lshlrev_b32_e32 v2, 20, v2
	v_and_b32_e32 v4, 0x80000000, v4
	v_lshl_add_u32 v3, v3, 23, v6
	v_or3_b32 v2, v4, v3, v2
.LBB12_372:
	s_or_b64 exec, exec, s[6:7]
	s_movk_i32 s4, 0xff
	v_and_b32_sdwa v3, v5, s4 dst_sel:DWORD dst_unused:UNUSED_PAD src0_sel:WORD_1 src1_sel:DWORD
	s_movk_i32 s4, 0x7f
	v_cmp_lt_i16_e32 vcc, s4, v3
	s_mov_b64 s[4:5], 0
                                        ; implicit-def: $sgpr10
	s_and_saveexec_b64 s[6:7], vcc
	s_xor_b64 s[6:7], exec, s[6:7]
	s_cbranch_execnz .LBB12_2421
; %bb.373:
	s_or_saveexec_b64 s[6:7], s[6:7]
	v_mov_b32_e32 v4, s10
	s_xor_b64 exec, exec, s[6:7]
	s_cbranch_execnz .LBB12_2424
.LBB12_374:
	s_or_b64 exec, exec, s[6:7]
	s_and_saveexec_b64 s[6:7], s[4:5]
	s_cbranch_execz .LBB12_376
.LBB12_375:
	v_bfe_u32 v3, v5, 16, 3
	v_ffbh_u32_e32 v7, v3
	v_min_u32_e32 v7, 32, v7
	v_lshrrev_b32_e32 v4, 19, v5
	v_subrev_u32_e32 v8, 28, v7
	v_and_b32_e32 v4, 15, v4
	v_lshlrev_b32_sdwa v8, v8, v5 dst_sel:DWORD dst_unused:UNUSED_PAD src0_sel:DWORD src1_sel:WORD_1
	v_bfe_u32 v6, v5, 19, 4
	v_sub_u32_e32 v7, 29, v7
	v_and_b32_e32 v8, 7, v8
	v_cmp_eq_u16_e32 vcc, 0, v4
	v_cndmask_b32_e32 v3, v3, v8, vcc
	v_cndmask_b32_e32 v4, v6, v7, vcc
	v_lshlrev_b32_e32 v6, 8, v5
	v_mov_b32_e32 v7, 0x3b800000
	v_lshlrev_b32_e32 v3, 20, v3
	v_and_b32_e32 v6, 0x80000000, v6
	v_lshl_add_u32 v4, v4, 23, v7
	v_or3_b32 v4, v6, v4, v3
.LBB12_376:
	s_or_b64 exec, exec, s[6:7]
	s_nop 0
	v_mfma_f32_16x16x4f32 a[0:3], v2, v4, a[0:3]
	s_movk_i32 s4, 0x7f
	v_cmp_gt_i16_sdwa s[6:7], v9, s4 src0_sel:BYTE_3 src1_sel:DWORD
	s_mov_b64 s[4:5], 0
                                        ; implicit-def: $sgpr10
	s_and_saveexec_b64 s[8:9], s[6:7]
	s_xor_b64 s[6:7], exec, s[8:9]
	s_cbranch_execnz .LBB12_2425
; %bb.377:
	s_or_saveexec_b64 s[6:7], s[6:7]
	v_mov_b32_e32 v2, s10
	s_xor_b64 exec, exec, s[6:7]
	s_cbranch_execnz .LBB12_2428
.LBB12_378:
	s_or_b64 exec, exec, s[6:7]
	s_and_saveexec_b64 s[6:7], s[4:5]
	s_cbranch_execz .LBB12_380
.LBB12_379:
	v_bfe_u32 v2, v9, 24, 3
	v_ffbh_u32_e32 v7, v2
	v_min_u32_e32 v7, 32, v7
	v_lshrrev_b32_e32 v4, 27, v9
	v_subrev_u32_e32 v8, 28, v7
	v_and_b32_e32 v4, 15, v4
	v_lshlrev_b32_sdwa v8, v8, v9 dst_sel:DWORD dst_unused:UNUSED_PAD src0_sel:DWORD src1_sel:BYTE_3
	v_bfe_u32 v6, v9, 27, 4
	v_sub_u32_e32 v7, 29, v7
	v_and_b32_e32 v8, 7, v8
	v_cmp_eq_u16_e32 vcc, 0, v4
	v_cndmask_b32_e32 v2, v2, v8, vcc
	v_cndmask_b32_e32 v4, v6, v7, vcc
	v_mov_b32_e32 v6, 0x3b800000
	v_and_b32_e32 v3, 0x80000000, v9
	v_lshlrev_b32_e32 v2, 20, v2
	v_lshl_add_u32 v4, v4, 23, v6
	v_or3_b32 v2, v3, v4, v2
.LBB12_380:
	s_or_b64 exec, exec, s[6:7]
	s_movk_i32 s4, 0x7f
	v_cmp_gt_i16_sdwa s[6:7], v5, s4 src0_sel:BYTE_3 src1_sel:DWORD
	s_mov_b64 s[4:5], 0
                                        ; implicit-def: $sgpr10
	s_and_saveexec_b64 s[8:9], s[6:7]
	s_xor_b64 s[6:7], exec, s[8:9]
	s_cbranch_execnz .LBB12_2429
; %bb.381:
	s_or_saveexec_b64 s[6:7], s[6:7]
	v_mov_b32_e32 v3, s10
	s_xor_b64 exec, exec, s[6:7]
	s_cbranch_execnz .LBB12_2432
.LBB12_382:
	s_or_b64 exec, exec, s[6:7]
	s_and_saveexec_b64 s[6:7], s[4:5]
	s_cbranch_execz .LBB12_384
.LBB12_383:
	v_bfe_u32 v3, v5, 24, 3
	v_ffbh_u32_e32 v8, v3
	v_min_u32_e32 v8, 32, v8
	v_lshrrev_b32_e32 v6, 27, v5
	v_subrev_u32_e32 v9, 28, v8
	v_and_b32_e32 v4, 0x80000000, v5
	v_and_b32_e32 v6, 15, v6
	v_bfe_u32 v7, v5, 27, 4
	v_lshlrev_b32_sdwa v5, v9, v5 dst_sel:DWORD dst_unused:UNUSED_PAD src0_sel:DWORD src1_sel:BYTE_3
	v_sub_u32_e32 v8, 29, v8
	v_and_b32_e32 v5, 7, v5
	v_cmp_eq_u16_e32 vcc, 0, v6
	v_cndmask_b32_e32 v3, v3, v5, vcc
	v_cndmask_b32_e32 v5, v7, v8, vcc
	v_mov_b32_e32 v6, 0x3b800000
	v_lshlrev_b32_e32 v3, 20, v3
	v_lshl_add_u32 v5, v5, 23, v6
	v_or3_b32 v3, v4, v5, v3
.LBB12_384:
	s_or_b64 exec, exec, s[6:7]
	s_nop 0
	v_mfma_f32_16x16x4f32 a[0:3], v2, v3, a[0:3]
	s_movk_i32 s4, 0x7f
                                        ; implicit-def: $sgpr10
	s_nop 7
	s_nop 1
	flat_store_dwordx4 v[10:11], a[0:3] offset:32
	flat_load_dwordx4 v[12:15], v[0:1] offset:8
	s_nop 0
	flat_load_dwordx2 v[10:11], v[0:1] offset:32
	s_waitcnt vmcnt(0) lgkmcnt(0)
	flat_load_dwordx4 v[6:9], v[12:13]
	flat_load_dwordx4 v[2:5], v[14:15] offset:96
	s_waitcnt vmcnt(0) lgkmcnt(0)
	v_cmp_gt_i16_sdwa s[6:7], v6, s4 src0_sel:BYTE_0 src1_sel:DWORD
	s_mov_b64 s[4:5], 0
	s_and_saveexec_b64 s[8:9], s[6:7]
	s_xor_b64 s[6:7], exec, s[8:9]
	s_cbranch_execnz .LBB12_2433
; %bb.385:
	s_or_saveexec_b64 s[6:7], s[6:7]
	v_mov_b32_e32 v12, s10
	s_xor_b64 exec, exec, s[6:7]
	s_cbranch_execnz .LBB12_2436
.LBB12_386:
	s_or_b64 exec, exec, s[6:7]
	s_and_saveexec_b64 s[6:7], s[4:5]
	s_cbranch_execz .LBB12_388
.LBB12_387:
	v_and_b32_e32 v12, 7, v6
	v_ffbh_u32_e32 v14, v12
	v_min_u32_e32 v14, 32, v14
	v_lshrrev_b16_e32 v13, 3, v6
	v_subrev_u32_e32 v15, 28, v14
	v_and_b32_e32 v13, 15, v13
	v_lshlrev_b32_e32 v15, v15, v6
	v_sub_u32_e32 v14, 29, v14
	v_and_b32_e32 v15, 7, v15
	v_cmp_eq_u16_e32 vcc, 0, v13
	v_cndmask_b32_e32 v12, v12, v15, vcc
	v_cndmask_b32_e32 v13, v13, v14, vcc
	v_lshlrev_b32_e32 v14, 24, v6
	v_mov_b32_e32 v15, 0x3b800000
	v_lshlrev_b32_e32 v12, 20, v12
	v_and_b32_e32 v14, 0x80000000, v14
	v_lshl_add_u32 v13, v13, 23, v15
	v_or3_b32 v12, v14, v13, v12
.LBB12_388:
	s_or_b64 exec, exec, s[6:7]
	s_movk_i32 s4, 0x7f
	v_cmp_gt_i16_sdwa s[6:7], v2, s4 src0_sel:BYTE_0 src1_sel:DWORD
	s_mov_b64 s[4:5], 0
                                        ; implicit-def: $sgpr10
	s_and_saveexec_b64 s[8:9], s[6:7]
	s_xor_b64 s[6:7], exec, s[8:9]
	s_cbranch_execnz .LBB12_2437
; %bb.389:
	s_or_saveexec_b64 s[6:7], s[6:7]
	v_mov_b32_e32 v13, s10
	s_xor_b64 exec, exec, s[6:7]
	s_cbranch_execnz .LBB12_2440
.LBB12_390:
	s_or_b64 exec, exec, s[6:7]
	s_and_saveexec_b64 s[6:7], s[4:5]
	s_cbranch_execz .LBB12_392
.LBB12_391:
	v_and_b32_e32 v13, 7, v2
	v_ffbh_u32_e32 v15, v13
	v_min_u32_e32 v15, 32, v15
	v_lshrrev_b16_e32 v14, 3, v2
	v_subrev_u32_e32 v16, 28, v15
	v_and_b32_e32 v14, 15, v14
	v_lshlrev_b32_e32 v16, v16, v2
	v_sub_u32_e32 v15, 29, v15
	v_and_b32_e32 v16, 7, v16
	v_cmp_eq_u16_e32 vcc, 0, v14
	v_cndmask_b32_e32 v13, v13, v16, vcc
	v_cndmask_b32_e32 v14, v14, v15, vcc
	v_lshlrev_b32_e32 v15, 24, v2
	v_mov_b32_e32 v16, 0x3b800000
	v_lshlrev_b32_e32 v13, 20, v13
	v_and_b32_e32 v15, 0x80000000, v15
	v_lshl_add_u32 v14, v14, 23, v16
	v_or3_b32 v13, v15, v14, v13
.LBB12_392:
	s_or_b64 exec, exec, s[6:7]
	flat_load_dwordx4 a[0:3], v[10:11] offset:48
	s_movk_i32 s4, 0x7f
                                        ; implicit-def: $sgpr10
	s_waitcnt vmcnt(0) lgkmcnt(0)
	v_mfma_f32_16x16x4f32 a[0:3], v12, v13, a[0:3]
	v_lshrrev_b32_e32 v13, 8, v6
	v_cmp_gt_i16_sdwa s[6:7], v13, s4 src0_sel:BYTE_0 src1_sel:DWORD
	s_mov_b64 s[4:5], 0
	s_and_saveexec_b64 s[8:9], s[6:7]
	s_xor_b64 s[6:7], exec, s[8:9]
	s_cbranch_execnz .LBB12_2441
; %bb.393:
	s_or_saveexec_b64 s[6:7], s[6:7]
	v_mov_b32_e32 v12, s10
	s_xor_b64 exec, exec, s[6:7]
	s_cbranch_execnz .LBB12_2444
.LBB12_394:
	s_or_b64 exec, exec, s[6:7]
	s_and_saveexec_b64 s[6:7], s[4:5]
	s_cbranch_execz .LBB12_396
.LBB12_395:
	v_bfe_u32 v12, v6, 8, 3
	v_ffbh_u32_e32 v15, v12
	v_min_u32_e32 v15, 32, v15
	v_lshrrev_b16_e32 v14, 3, v13
	v_subrev_u32_e32 v16, 28, v15
	v_and_b32_e32 v14, 15, v14
	v_lshlrev_b32_e32 v13, v16, v13
	v_sub_u32_e32 v15, 29, v15
	v_and_b32_e32 v13, 7, v13
	v_cmp_eq_u16_e32 vcc, 0, v14
	v_cndmask_b32_e32 v12, v12, v13, vcc
	v_cndmask_b32_e32 v13, v14, v15, vcc
	v_lshlrev_b32_e32 v14, 16, v6
	v_mov_b32_e32 v15, 0x3b800000
	v_lshlrev_b32_e32 v12, 20, v12
	v_and_b32_e32 v14, 0x80000000, v14
	v_lshl_add_u32 v13, v13, 23, v15
	v_or3_b32 v12, v14, v13, v12
.LBB12_396:
	s_or_b64 exec, exec, s[6:7]
	v_lshrrev_b32_e32 v13, 8, v2
	s_movk_i32 s4, 0x7f
	v_cmp_gt_i16_sdwa s[6:7], v13, s4 src0_sel:BYTE_0 src1_sel:DWORD
	s_mov_b64 s[4:5], 0
                                        ; implicit-def: $sgpr10
	s_and_saveexec_b64 s[8:9], s[6:7]
	s_xor_b64 s[6:7], exec, s[8:9]
	s_cbranch_execnz .LBB12_2445
; %bb.397:
	s_or_saveexec_b64 s[6:7], s[6:7]
	v_mov_b32_e32 v14, s10
	s_xor_b64 exec, exec, s[6:7]
	s_cbranch_execnz .LBB12_2448
.LBB12_398:
	s_or_b64 exec, exec, s[6:7]
	s_and_saveexec_b64 s[6:7], s[4:5]
	s_cbranch_execz .LBB12_400
.LBB12_399:
	v_bfe_u32 v14, v2, 8, 3
	v_ffbh_u32_e32 v16, v14
	v_min_u32_e32 v16, 32, v16
	v_lshrrev_b16_e32 v15, 3, v13
	v_subrev_u32_e32 v17, 28, v16
	v_and_b32_e32 v15, 15, v15
	v_lshlrev_b32_e32 v13, v17, v13
	v_sub_u32_e32 v16, 29, v16
	v_and_b32_e32 v13, 7, v13
	v_cmp_eq_u16_e32 vcc, 0, v15
	v_cndmask_b32_e32 v13, v14, v13, vcc
	v_cndmask_b32_e32 v14, v15, v16, vcc
	v_lshlrev_b32_e32 v15, 16, v2
	v_mov_b32_e32 v16, 0x3b800000
	v_lshlrev_b32_e32 v13, 20, v13
	v_and_b32_e32 v15, 0x80000000, v15
	v_lshl_add_u32 v14, v14, 23, v16
	v_or3_b32 v14, v15, v14, v13
.LBB12_400:
	s_or_b64 exec, exec, s[6:7]
	s_nop 0
	v_mfma_f32_16x16x4f32 a[0:3], v12, v14, a[0:3]
	s_movk_i32 s4, 0xff
	v_and_b32_sdwa v13, v6, s4 dst_sel:DWORD dst_unused:UNUSED_PAD src0_sel:WORD_1 src1_sel:DWORD
	s_movk_i32 s4, 0x7f
	v_cmp_lt_i16_e32 vcc, s4, v13
	s_mov_b64 s[4:5], 0
                                        ; implicit-def: $sgpr10
	s_and_saveexec_b64 s[6:7], vcc
	s_xor_b64 s[6:7], exec, s[6:7]
	s_cbranch_execnz .LBB12_2449
; %bb.401:
	s_or_saveexec_b64 s[6:7], s[6:7]
	v_mov_b32_e32 v12, s10
	s_xor_b64 exec, exec, s[6:7]
	s_cbranch_execnz .LBB12_2452
.LBB12_402:
	s_or_b64 exec, exec, s[6:7]
	s_and_saveexec_b64 s[6:7], s[4:5]
	s_cbranch_execz .LBB12_404
.LBB12_403:
	v_bfe_u32 v12, v6, 16, 3
	v_ffbh_u32_e32 v15, v12
	v_min_u32_e32 v15, 32, v15
	v_lshrrev_b32_e32 v13, 19, v6
	v_subrev_u32_e32 v16, 28, v15
	v_and_b32_e32 v13, 15, v13
	v_lshlrev_b32_sdwa v16, v16, v6 dst_sel:DWORD dst_unused:UNUSED_PAD src0_sel:DWORD src1_sel:WORD_1
	v_bfe_u32 v14, v6, 19, 4
	v_sub_u32_e32 v15, 29, v15
	v_and_b32_e32 v16, 7, v16
	v_cmp_eq_u16_e32 vcc, 0, v13
	v_cndmask_b32_e32 v12, v12, v16, vcc
	v_cndmask_b32_e32 v13, v14, v15, vcc
	v_lshlrev_b32_e32 v14, 8, v6
	v_mov_b32_e32 v15, 0x3b800000
	v_lshlrev_b32_e32 v12, 20, v12
	v_and_b32_e32 v14, 0x80000000, v14
	v_lshl_add_u32 v13, v13, 23, v15
	v_or3_b32 v12, v14, v13, v12
.LBB12_404:
	s_or_b64 exec, exec, s[6:7]
	s_movk_i32 s4, 0xff
	v_and_b32_sdwa v13, v2, s4 dst_sel:DWORD dst_unused:UNUSED_PAD src0_sel:WORD_1 src1_sel:DWORD
	s_movk_i32 s4, 0x7f
	v_cmp_lt_i16_e32 vcc, s4, v13
	s_mov_b64 s[4:5], 0
                                        ; implicit-def: $sgpr10
	s_and_saveexec_b64 s[6:7], vcc
	s_xor_b64 s[6:7], exec, s[6:7]
	s_cbranch_execnz .LBB12_2453
; %bb.405:
	s_or_saveexec_b64 s[6:7], s[6:7]
	v_mov_b32_e32 v14, s10
	s_xor_b64 exec, exec, s[6:7]
	s_cbranch_execnz .LBB12_2456
.LBB12_406:
	s_or_b64 exec, exec, s[6:7]
	s_and_saveexec_b64 s[6:7], s[4:5]
	s_cbranch_execz .LBB12_408
.LBB12_407:
	v_bfe_u32 v13, v2, 16, 3
	v_ffbh_u32_e32 v16, v13
	v_min_u32_e32 v16, 32, v16
	v_lshrrev_b32_e32 v14, 19, v2
	v_subrev_u32_e32 v17, 28, v16
	v_and_b32_e32 v14, 15, v14
	v_lshlrev_b32_sdwa v17, v17, v2 dst_sel:DWORD dst_unused:UNUSED_PAD src0_sel:DWORD src1_sel:WORD_1
	v_bfe_u32 v15, v2, 19, 4
	v_sub_u32_e32 v16, 29, v16
	v_and_b32_e32 v17, 7, v17
	v_cmp_eq_u16_e32 vcc, 0, v14
	v_cndmask_b32_e32 v13, v13, v17, vcc
	v_cndmask_b32_e32 v14, v15, v16, vcc
	v_lshlrev_b32_e32 v15, 8, v2
	v_mov_b32_e32 v16, 0x3b800000
	v_lshlrev_b32_e32 v13, 20, v13
	v_and_b32_e32 v15, 0x80000000, v15
	v_lshl_add_u32 v14, v14, 23, v16
	v_or3_b32 v14, v15, v14, v13
.LBB12_408:
	s_or_b64 exec, exec, s[6:7]
	s_nop 0
	v_mfma_f32_16x16x4f32 a[0:3], v12, v14, a[0:3]
	s_movk_i32 s4, 0x7f
	v_cmp_gt_i16_sdwa s[6:7], v6, s4 src0_sel:BYTE_3 src1_sel:DWORD
	s_mov_b64 s[4:5], 0
                                        ; implicit-def: $sgpr10
	s_and_saveexec_b64 s[8:9], s[6:7]
	s_xor_b64 s[6:7], exec, s[8:9]
	s_cbranch_execnz .LBB12_2457
; %bb.409:
	s_or_saveexec_b64 s[6:7], s[6:7]
	v_mov_b32_e32 v12, s10
	s_xor_b64 exec, exec, s[6:7]
	s_cbranch_execnz .LBB12_2460
.LBB12_410:
	s_or_b64 exec, exec, s[6:7]
	s_and_saveexec_b64 s[6:7], s[4:5]
	s_cbranch_execz .LBB12_412
.LBB12_411:
	v_bfe_u32 v12, v6, 24, 3
	v_ffbh_u32_e32 v16, v12
	v_min_u32_e32 v16, 32, v16
	v_lshrrev_b32_e32 v14, 27, v6
	v_subrev_u32_e32 v17, 28, v16
	v_and_b32_e32 v13, 0x80000000, v6
	v_and_b32_e32 v14, 15, v14
	v_bfe_u32 v15, v6, 27, 4
	v_lshlrev_b32_sdwa v6, v17, v6 dst_sel:DWORD dst_unused:UNUSED_PAD src0_sel:DWORD src1_sel:BYTE_3
	v_sub_u32_e32 v16, 29, v16
	v_and_b32_e32 v6, 7, v6
	v_cmp_eq_u16_e32 vcc, 0, v14
	v_cndmask_b32_e32 v6, v12, v6, vcc
	v_cndmask_b32_e32 v12, v15, v16, vcc
	v_mov_b32_e32 v14, 0x3b800000
	v_lshlrev_b32_e32 v6, 20, v6
	v_lshl_add_u32 v12, v12, 23, v14
	v_or3_b32 v12, v13, v12, v6
.LBB12_412:
	s_or_b64 exec, exec, s[6:7]
	s_movk_i32 s4, 0x7f
	v_cmp_gt_i16_sdwa s[6:7], v2, s4 src0_sel:BYTE_3 src1_sel:DWORD
	s_mov_b64 s[4:5], 0
                                        ; implicit-def: $sgpr10
	s_and_saveexec_b64 s[8:9], s[6:7]
	s_xor_b64 s[6:7], exec, s[8:9]
	s_cbranch_execnz .LBB12_2461
; %bb.413:
	s_or_saveexec_b64 s[6:7], s[6:7]
	v_mov_b32_e32 v6, s10
	s_xor_b64 exec, exec, s[6:7]
	s_cbranch_execnz .LBB12_2464
.LBB12_414:
	s_or_b64 exec, exec, s[6:7]
	s_and_saveexec_b64 s[6:7], s[4:5]
	s_cbranch_execz .LBB12_416
.LBB12_415:
	v_bfe_u32 v6, v2, 24, 3
	v_ffbh_u32_e32 v16, v6
	v_min_u32_e32 v16, 32, v16
	v_lshrrev_b32_e32 v14, 27, v2
	v_subrev_u32_e32 v17, 28, v16
	v_and_b32_e32 v13, 0x80000000, v2
	v_and_b32_e32 v14, 15, v14
	v_bfe_u32 v15, v2, 27, 4
	v_lshlrev_b32_sdwa v2, v17, v2 dst_sel:DWORD dst_unused:UNUSED_PAD src0_sel:DWORD src1_sel:BYTE_3
	v_sub_u32_e32 v16, 29, v16
	v_and_b32_e32 v2, 7, v2
	v_cmp_eq_u16_e32 vcc, 0, v14
	v_cndmask_b32_e32 v2, v6, v2, vcc
	v_cndmask_b32_e32 v6, v15, v16, vcc
	v_mov_b32_e32 v14, 0x3b800000
	v_lshlrev_b32_e32 v2, 20, v2
	v_lshl_add_u32 v6, v6, 23, v14
	v_or3_b32 v6, v13, v6, v2
.LBB12_416:
	s_or_b64 exec, exec, s[6:7]
	s_nop 0
	v_mfma_f32_16x16x4f32 a[0:3], v12, v6, a[0:3]
	s_movk_i32 s4, 0x7f
	v_cmp_gt_i16_sdwa s[6:7], v7, s4 src0_sel:BYTE_0 src1_sel:DWORD
	s_mov_b64 s[4:5], 0
                                        ; implicit-def: $sgpr10
	s_and_saveexec_b64 s[8:9], s[6:7]
	s_xor_b64 s[6:7], exec, s[8:9]
	s_cbranch_execnz .LBB12_2465
; %bb.417:
	s_or_saveexec_b64 s[6:7], s[6:7]
	v_mov_b32_e32 v2, s10
	s_xor_b64 exec, exec, s[6:7]
	s_cbranch_execnz .LBB12_2468
.LBB12_418:
	s_or_b64 exec, exec, s[6:7]
	s_and_saveexec_b64 s[6:7], s[4:5]
	s_cbranch_execz .LBB12_420
.LBB12_419:
	v_and_b32_e32 v2, 7, v7
	v_ffbh_u32_e32 v12, v2
	v_min_u32_e32 v12, 32, v12
	v_lshrrev_b16_e32 v6, 3, v7
	v_subrev_u32_e32 v13, 28, v12
	v_and_b32_e32 v6, 15, v6
	v_lshlrev_b32_e32 v13, v13, v7
	v_sub_u32_e32 v12, 29, v12
	v_and_b32_e32 v13, 7, v13
	v_cmp_eq_u16_e32 vcc, 0, v6
	v_cndmask_b32_e32 v2, v2, v13, vcc
	v_cndmask_b32_e32 v6, v6, v12, vcc
	v_lshlrev_b32_e32 v12, 24, v7
	v_mov_b32_e32 v13, 0x3b800000
	v_lshlrev_b32_e32 v2, 20, v2
	v_and_b32_e32 v12, 0x80000000, v12
	v_lshl_add_u32 v6, v6, 23, v13
	v_or3_b32 v2, v12, v6, v2
.LBB12_420:
	s_or_b64 exec, exec, s[6:7]
	s_movk_i32 s4, 0x7f
	v_cmp_gt_i16_sdwa s[6:7], v3, s4 src0_sel:BYTE_0 src1_sel:DWORD
	s_mov_b64 s[4:5], 0
                                        ; implicit-def: $sgpr10
	s_and_saveexec_b64 s[8:9], s[6:7]
	s_xor_b64 s[6:7], exec, s[8:9]
	s_cbranch_execnz .LBB12_2469
; %bb.421:
	s_or_saveexec_b64 s[6:7], s[6:7]
	v_mov_b32_e32 v6, s10
	s_xor_b64 exec, exec, s[6:7]
	s_cbranch_execnz .LBB12_2472
.LBB12_422:
	s_or_b64 exec, exec, s[6:7]
	s_and_saveexec_b64 s[6:7], s[4:5]
	s_cbranch_execz .LBB12_424
.LBB12_423:
	v_and_b32_e32 v6, 7, v3
	v_ffbh_u32_e32 v13, v6
	v_min_u32_e32 v13, 32, v13
	v_lshrrev_b16_e32 v12, 3, v3
	v_subrev_u32_e32 v14, 28, v13
	v_and_b32_e32 v12, 15, v12
	v_lshlrev_b32_e32 v14, v14, v3
	v_sub_u32_e32 v13, 29, v13
	v_and_b32_e32 v14, 7, v14
	v_cmp_eq_u16_e32 vcc, 0, v12
	v_cndmask_b32_e32 v6, v6, v14, vcc
	v_cndmask_b32_e32 v12, v12, v13, vcc
	v_lshlrev_b32_e32 v13, 24, v3
	v_mov_b32_e32 v14, 0x3b800000
	v_lshlrev_b32_e32 v6, 20, v6
	v_and_b32_e32 v13, 0x80000000, v13
	v_lshl_add_u32 v12, v12, 23, v14
	v_or3_b32 v6, v13, v12, v6
.LBB12_424:
	s_or_b64 exec, exec, s[6:7]
	s_nop 0
	v_mfma_f32_16x16x4f32 a[0:3], v2, v6, a[0:3]
	v_lshrrev_b32_e32 v6, 8, v7
	s_movk_i32 s4, 0x7f
	v_cmp_gt_i16_sdwa s[6:7], v6, s4 src0_sel:BYTE_0 src1_sel:DWORD
	s_mov_b64 s[4:5], 0
                                        ; implicit-def: $sgpr10
	s_and_saveexec_b64 s[8:9], s[6:7]
	s_xor_b64 s[6:7], exec, s[8:9]
	s_cbranch_execnz .LBB12_2473
; %bb.425:
	s_or_saveexec_b64 s[6:7], s[6:7]
	v_mov_b32_e32 v2, s10
	s_xor_b64 exec, exec, s[6:7]
	s_cbranch_execnz .LBB12_2476
.LBB12_426:
	s_or_b64 exec, exec, s[6:7]
	s_and_saveexec_b64 s[6:7], s[4:5]
	s_cbranch_execz .LBB12_428
.LBB12_427:
	v_bfe_u32 v2, v7, 8, 3
	v_ffbh_u32_e32 v13, v2
	v_min_u32_e32 v13, 32, v13
	v_lshrrev_b16_e32 v12, 3, v6
	v_subrev_u32_e32 v14, 28, v13
	v_and_b32_e32 v12, 15, v12
	v_lshlrev_b32_e32 v6, v14, v6
	v_sub_u32_e32 v13, 29, v13
	v_and_b32_e32 v6, 7, v6
	v_cmp_eq_u16_e32 vcc, 0, v12
	v_cndmask_b32_e32 v2, v2, v6, vcc
	v_cndmask_b32_e32 v6, v12, v13, vcc
	v_lshlrev_b32_e32 v12, 16, v7
	v_mov_b32_e32 v13, 0x3b800000
	v_lshlrev_b32_e32 v2, 20, v2
	v_and_b32_e32 v12, 0x80000000, v12
	v_lshl_add_u32 v6, v6, 23, v13
	v_or3_b32 v2, v12, v6, v2
.LBB12_428:
	s_or_b64 exec, exec, s[6:7]
	v_lshrrev_b32_e32 v6, 8, v3
	s_movk_i32 s4, 0x7f
	v_cmp_gt_i16_sdwa s[6:7], v6, s4 src0_sel:BYTE_0 src1_sel:DWORD
	s_mov_b64 s[4:5], 0
                                        ; implicit-def: $sgpr10
	s_and_saveexec_b64 s[8:9], s[6:7]
	s_xor_b64 s[6:7], exec, s[8:9]
	s_cbranch_execnz .LBB12_2477
; %bb.429:
	s_or_saveexec_b64 s[6:7], s[6:7]
	v_mov_b32_e32 v12, s10
	s_xor_b64 exec, exec, s[6:7]
	s_cbranch_execnz .LBB12_2480
.LBB12_430:
	s_or_b64 exec, exec, s[6:7]
	s_and_saveexec_b64 s[6:7], s[4:5]
	s_cbranch_execz .LBB12_432
.LBB12_431:
	v_bfe_u32 v12, v3, 8, 3
	v_ffbh_u32_e32 v14, v12
	v_min_u32_e32 v14, 32, v14
	v_lshrrev_b16_e32 v13, 3, v6
	v_subrev_u32_e32 v15, 28, v14
	v_and_b32_e32 v13, 15, v13
	v_lshlrev_b32_e32 v6, v15, v6
	v_sub_u32_e32 v14, 29, v14
	v_and_b32_e32 v6, 7, v6
	v_cmp_eq_u16_e32 vcc, 0, v13
	v_cndmask_b32_e32 v6, v12, v6, vcc
	v_cndmask_b32_e32 v12, v13, v14, vcc
	v_lshlrev_b32_e32 v13, 16, v3
	v_mov_b32_e32 v14, 0x3b800000
	v_lshlrev_b32_e32 v6, 20, v6
	v_and_b32_e32 v13, 0x80000000, v13
	v_lshl_add_u32 v12, v12, 23, v14
	v_or3_b32 v12, v13, v12, v6
.LBB12_432:
	s_or_b64 exec, exec, s[6:7]
	s_nop 0
	v_mfma_f32_16x16x4f32 a[0:3], v2, v12, a[0:3]
	s_movk_i32 s4, 0xff
	v_and_b32_sdwa v6, v7, s4 dst_sel:DWORD dst_unused:UNUSED_PAD src0_sel:WORD_1 src1_sel:DWORD
	s_movk_i32 s4, 0x7f
	v_cmp_lt_i16_e32 vcc, s4, v6
	s_mov_b64 s[4:5], 0
                                        ; implicit-def: $sgpr10
	s_and_saveexec_b64 s[6:7], vcc
	s_xor_b64 s[6:7], exec, s[6:7]
	s_cbranch_execnz .LBB12_2481
; %bb.433:
	s_or_saveexec_b64 s[6:7], s[6:7]
	v_mov_b32_e32 v2, s10
	s_xor_b64 exec, exec, s[6:7]
	s_cbranch_execnz .LBB12_2484
.LBB12_434:
	s_or_b64 exec, exec, s[6:7]
	s_and_saveexec_b64 s[6:7], s[4:5]
	s_cbranch_execz .LBB12_436
.LBB12_435:
	v_bfe_u32 v2, v7, 16, 3
	v_ffbh_u32_e32 v13, v2
	v_min_u32_e32 v13, 32, v13
	v_lshrrev_b32_e32 v6, 19, v7
	v_subrev_u32_e32 v14, 28, v13
	v_and_b32_e32 v6, 15, v6
	v_lshlrev_b32_sdwa v14, v14, v7 dst_sel:DWORD dst_unused:UNUSED_PAD src0_sel:DWORD src1_sel:WORD_1
	v_bfe_u32 v12, v7, 19, 4
	v_sub_u32_e32 v13, 29, v13
	v_and_b32_e32 v14, 7, v14
	v_cmp_eq_u16_e32 vcc, 0, v6
	v_cndmask_b32_e32 v2, v2, v14, vcc
	v_cndmask_b32_e32 v6, v12, v13, vcc
	v_lshlrev_b32_e32 v12, 8, v7
	v_mov_b32_e32 v13, 0x3b800000
	v_lshlrev_b32_e32 v2, 20, v2
	v_and_b32_e32 v12, 0x80000000, v12
	v_lshl_add_u32 v6, v6, 23, v13
	v_or3_b32 v2, v12, v6, v2
.LBB12_436:
	s_or_b64 exec, exec, s[6:7]
	s_movk_i32 s4, 0xff
	v_and_b32_sdwa v6, v3, s4 dst_sel:DWORD dst_unused:UNUSED_PAD src0_sel:WORD_1 src1_sel:DWORD
	s_movk_i32 s4, 0x7f
	v_cmp_lt_i16_e32 vcc, s4, v6
	s_mov_b64 s[4:5], 0
                                        ; implicit-def: $sgpr10
	s_and_saveexec_b64 s[6:7], vcc
	s_xor_b64 s[6:7], exec, s[6:7]
	s_cbranch_execnz .LBB12_2485
; %bb.437:
	s_or_saveexec_b64 s[6:7], s[6:7]
	v_mov_b32_e32 v12, s10
	s_xor_b64 exec, exec, s[6:7]
	s_cbranch_execnz .LBB12_2488
.LBB12_438:
	s_or_b64 exec, exec, s[6:7]
	s_and_saveexec_b64 s[6:7], s[4:5]
	s_cbranch_execz .LBB12_440
.LBB12_439:
	v_bfe_u32 v6, v3, 16, 3
	v_ffbh_u32_e32 v14, v6
	v_min_u32_e32 v14, 32, v14
	v_lshrrev_b32_e32 v12, 19, v3
	v_subrev_u32_e32 v15, 28, v14
	v_and_b32_e32 v12, 15, v12
	v_lshlrev_b32_sdwa v15, v15, v3 dst_sel:DWORD dst_unused:UNUSED_PAD src0_sel:DWORD src1_sel:WORD_1
	v_bfe_u32 v13, v3, 19, 4
	v_sub_u32_e32 v14, 29, v14
	v_and_b32_e32 v15, 7, v15
	v_cmp_eq_u16_e32 vcc, 0, v12
	v_cndmask_b32_e32 v6, v6, v15, vcc
	v_cndmask_b32_e32 v12, v13, v14, vcc
	v_lshlrev_b32_e32 v13, 8, v3
	v_mov_b32_e32 v14, 0x3b800000
	v_lshlrev_b32_e32 v6, 20, v6
	v_and_b32_e32 v13, 0x80000000, v13
	v_lshl_add_u32 v12, v12, 23, v14
	v_or3_b32 v12, v13, v12, v6
.LBB12_440:
	s_or_b64 exec, exec, s[6:7]
	s_nop 0
	v_mfma_f32_16x16x4f32 a[0:3], v2, v12, a[0:3]
	s_movk_i32 s4, 0x7f
	v_cmp_gt_i16_sdwa s[6:7], v7, s4 src0_sel:BYTE_3 src1_sel:DWORD
	s_mov_b64 s[4:5], 0
                                        ; implicit-def: $sgpr10
	s_and_saveexec_b64 s[8:9], s[6:7]
	s_xor_b64 s[6:7], exec, s[8:9]
	s_cbranch_execnz .LBB12_2489
; %bb.441:
	s_or_saveexec_b64 s[6:7], s[6:7]
	v_mov_b32_e32 v2, s10
	s_xor_b64 exec, exec, s[6:7]
	s_cbranch_execnz .LBB12_2492
.LBB12_442:
	s_or_b64 exec, exec, s[6:7]
	s_and_saveexec_b64 s[6:7], s[4:5]
	s_cbranch_execz .LBB12_444
.LBB12_443:
	v_bfe_u32 v2, v7, 24, 3
	v_ffbh_u32_e32 v14, v2
	v_min_u32_e32 v14, 32, v14
	v_lshrrev_b32_e32 v12, 27, v7
	v_subrev_u32_e32 v15, 28, v14
	v_and_b32_e32 v6, 0x80000000, v7
	v_and_b32_e32 v12, 15, v12
	v_bfe_u32 v13, v7, 27, 4
	v_lshlrev_b32_sdwa v7, v15, v7 dst_sel:DWORD dst_unused:UNUSED_PAD src0_sel:DWORD src1_sel:BYTE_3
	v_sub_u32_e32 v14, 29, v14
	v_and_b32_e32 v7, 7, v7
	v_cmp_eq_u16_e32 vcc, 0, v12
	v_cndmask_b32_e32 v2, v2, v7, vcc
	v_cndmask_b32_e32 v7, v13, v14, vcc
	v_mov_b32_e32 v12, 0x3b800000
	v_lshlrev_b32_e32 v2, 20, v2
	v_lshl_add_u32 v7, v7, 23, v12
	v_or3_b32 v2, v6, v7, v2
.LBB12_444:
	s_or_b64 exec, exec, s[6:7]
	s_movk_i32 s4, 0x7f
	v_cmp_gt_i16_sdwa s[6:7], v3, s4 src0_sel:BYTE_3 src1_sel:DWORD
	s_mov_b64 s[4:5], 0
                                        ; implicit-def: $sgpr10
	s_and_saveexec_b64 s[8:9], s[6:7]
	s_xor_b64 s[6:7], exec, s[8:9]
	s_cbranch_execnz .LBB12_2493
; %bb.445:
	s_or_saveexec_b64 s[6:7], s[6:7]
	v_mov_b32_e32 v6, s10
	s_xor_b64 exec, exec, s[6:7]
	s_cbranch_execnz .LBB12_2496
.LBB12_446:
	s_or_b64 exec, exec, s[6:7]
	s_and_saveexec_b64 s[6:7], s[4:5]
	s_cbranch_execz .LBB12_448
.LBB12_447:
	v_bfe_u32 v6, v3, 24, 3
	v_ffbh_u32_e32 v14, v6
	v_min_u32_e32 v14, 32, v14
	v_lshrrev_b32_e32 v12, 27, v3
	v_subrev_u32_e32 v15, 28, v14
	v_and_b32_e32 v7, 0x80000000, v3
	v_and_b32_e32 v12, 15, v12
	v_bfe_u32 v13, v3, 27, 4
	v_lshlrev_b32_sdwa v3, v15, v3 dst_sel:DWORD dst_unused:UNUSED_PAD src0_sel:DWORD src1_sel:BYTE_3
	v_sub_u32_e32 v14, 29, v14
	v_and_b32_e32 v3, 7, v3
	v_cmp_eq_u16_e32 vcc, 0, v12
	v_cndmask_b32_e32 v3, v6, v3, vcc
	v_cndmask_b32_e32 v6, v13, v14, vcc
	v_mov_b32_e32 v12, 0x3b800000
	v_lshlrev_b32_e32 v3, 20, v3
	v_lshl_add_u32 v6, v6, 23, v12
	v_or3_b32 v6, v7, v6, v3
.LBB12_448:
	s_or_b64 exec, exec, s[6:7]
	s_nop 0
	v_mfma_f32_16x16x4f32 a[0:3], v2, v6, a[0:3]
	s_movk_i32 s4, 0x7f
	v_cmp_gt_i16_sdwa s[6:7], v8, s4 src0_sel:BYTE_0 src1_sel:DWORD
	s_mov_b64 s[4:5], 0
                                        ; implicit-def: $sgpr10
	s_and_saveexec_b64 s[8:9], s[6:7]
	s_xor_b64 s[6:7], exec, s[8:9]
	s_cbranch_execnz .LBB12_2497
; %bb.449:
	s_or_saveexec_b64 s[6:7], s[6:7]
	v_mov_b32_e32 v2, s10
	s_xor_b64 exec, exec, s[6:7]
	s_cbranch_execnz .LBB12_2500
.LBB12_450:
	s_or_b64 exec, exec, s[6:7]
	s_and_saveexec_b64 s[6:7], s[4:5]
	s_cbranch_execz .LBB12_452
.LBB12_451:
	v_and_b32_e32 v2, 7, v8
	v_ffbh_u32_e32 v6, v2
	v_min_u32_e32 v6, 32, v6
	v_lshrrev_b16_e32 v3, 3, v8
	v_subrev_u32_e32 v7, 28, v6
	v_and_b32_e32 v3, 15, v3
	v_lshlrev_b32_e32 v7, v7, v8
	v_sub_u32_e32 v6, 29, v6
	v_and_b32_e32 v7, 7, v7
	v_cmp_eq_u16_e32 vcc, 0, v3
	v_cndmask_b32_e32 v2, v2, v7, vcc
	v_cndmask_b32_e32 v3, v3, v6, vcc
	v_lshlrev_b32_e32 v6, 24, v8
	v_mov_b32_e32 v7, 0x3b800000
	v_lshlrev_b32_e32 v2, 20, v2
	v_and_b32_e32 v6, 0x80000000, v6
	v_lshl_add_u32 v3, v3, 23, v7
	v_or3_b32 v2, v6, v3, v2
.LBB12_452:
	s_or_b64 exec, exec, s[6:7]
	s_movk_i32 s4, 0x7f
	v_cmp_gt_i16_sdwa s[6:7], v4, s4 src0_sel:BYTE_0 src1_sel:DWORD
	s_mov_b64 s[4:5], 0
                                        ; implicit-def: $sgpr10
	s_and_saveexec_b64 s[8:9], s[6:7]
	s_xor_b64 s[6:7], exec, s[8:9]
	s_cbranch_execnz .LBB12_2501
; %bb.453:
	s_or_saveexec_b64 s[6:7], s[6:7]
	v_mov_b32_e32 v3, s10
	s_xor_b64 exec, exec, s[6:7]
	s_cbranch_execnz .LBB12_2504
.LBB12_454:
	s_or_b64 exec, exec, s[6:7]
	s_and_saveexec_b64 s[6:7], s[4:5]
	s_cbranch_execz .LBB12_456
.LBB12_455:
	v_and_b32_e32 v3, 7, v4
	v_ffbh_u32_e32 v7, v3
	v_min_u32_e32 v7, 32, v7
	v_lshrrev_b16_e32 v6, 3, v4
	v_subrev_u32_e32 v12, 28, v7
	v_and_b32_e32 v6, 15, v6
	v_lshlrev_b32_e32 v12, v12, v4
	v_sub_u32_e32 v7, 29, v7
	v_and_b32_e32 v12, 7, v12
	v_cmp_eq_u16_e32 vcc, 0, v6
	v_cndmask_b32_e32 v3, v3, v12, vcc
	v_cndmask_b32_e32 v6, v6, v7, vcc
	v_lshlrev_b32_e32 v7, 24, v4
	v_mov_b32_e32 v12, 0x3b800000
	v_lshlrev_b32_e32 v3, 20, v3
	v_and_b32_e32 v7, 0x80000000, v7
	v_lshl_add_u32 v6, v6, 23, v12
	v_or3_b32 v3, v7, v6, v3
.LBB12_456:
	s_or_b64 exec, exec, s[6:7]
	s_nop 0
	v_mfma_f32_16x16x4f32 a[0:3], v2, v3, a[0:3]
	v_lshrrev_b32_e32 v3, 8, v8
	s_movk_i32 s4, 0x7f
	v_cmp_gt_i16_sdwa s[6:7], v3, s4 src0_sel:BYTE_0 src1_sel:DWORD
	s_mov_b64 s[4:5], 0
                                        ; implicit-def: $sgpr10
	s_and_saveexec_b64 s[8:9], s[6:7]
	s_xor_b64 s[6:7], exec, s[8:9]
	s_cbranch_execnz .LBB12_2505
; %bb.457:
	s_or_saveexec_b64 s[6:7], s[6:7]
	v_mov_b32_e32 v2, s10
	s_xor_b64 exec, exec, s[6:7]
	s_cbranch_execnz .LBB12_2508
.LBB12_458:
	s_or_b64 exec, exec, s[6:7]
	s_and_saveexec_b64 s[6:7], s[4:5]
	s_cbranch_execz .LBB12_460
.LBB12_459:
	v_bfe_u32 v2, v8, 8, 3
	v_ffbh_u32_e32 v7, v2
	v_min_u32_e32 v7, 32, v7
	v_lshrrev_b16_e32 v6, 3, v3
	v_subrev_u32_e32 v12, 28, v7
	v_and_b32_e32 v6, 15, v6
	v_lshlrev_b32_e32 v3, v12, v3
	v_sub_u32_e32 v7, 29, v7
	v_and_b32_e32 v3, 7, v3
	v_cmp_eq_u16_e32 vcc, 0, v6
	v_cndmask_b32_e32 v2, v2, v3, vcc
	v_cndmask_b32_e32 v3, v6, v7, vcc
	v_lshlrev_b32_e32 v6, 16, v8
	v_mov_b32_e32 v7, 0x3b800000
	v_lshlrev_b32_e32 v2, 20, v2
	v_and_b32_e32 v6, 0x80000000, v6
	v_lshl_add_u32 v3, v3, 23, v7
	v_or3_b32 v2, v6, v3, v2
.LBB12_460:
	s_or_b64 exec, exec, s[6:7]
	v_lshrrev_b32_e32 v3, 8, v4
	s_movk_i32 s4, 0x7f
	v_cmp_gt_i16_sdwa s[6:7], v3, s4 src0_sel:BYTE_0 src1_sel:DWORD
	s_mov_b64 s[4:5], 0
                                        ; implicit-def: $sgpr10
	s_and_saveexec_b64 s[8:9], s[6:7]
	s_xor_b64 s[6:7], exec, s[8:9]
	s_cbranch_execnz .LBB12_2509
; %bb.461:
	s_or_saveexec_b64 s[6:7], s[6:7]
	v_mov_b32_e32 v6, s10
	s_xor_b64 exec, exec, s[6:7]
	s_cbranch_execnz .LBB12_2512
.LBB12_462:
	s_or_b64 exec, exec, s[6:7]
	s_and_saveexec_b64 s[6:7], s[4:5]
	s_cbranch_execz .LBB12_464
.LBB12_463:
	v_bfe_u32 v6, v4, 8, 3
	v_ffbh_u32_e32 v12, v6
	v_min_u32_e32 v12, 32, v12
	v_lshrrev_b16_e32 v7, 3, v3
	v_subrev_u32_e32 v13, 28, v12
	v_and_b32_e32 v7, 15, v7
	v_lshlrev_b32_e32 v3, v13, v3
	v_sub_u32_e32 v12, 29, v12
	v_and_b32_e32 v3, 7, v3
	v_cmp_eq_u16_e32 vcc, 0, v7
	v_cndmask_b32_e32 v3, v6, v3, vcc
	v_cndmask_b32_e32 v6, v7, v12, vcc
	v_lshlrev_b32_e32 v7, 16, v4
	v_mov_b32_e32 v12, 0x3b800000
	v_lshlrev_b32_e32 v3, 20, v3
	v_and_b32_e32 v7, 0x80000000, v7
	v_lshl_add_u32 v6, v6, 23, v12
	v_or3_b32 v6, v7, v6, v3
.LBB12_464:
	s_or_b64 exec, exec, s[6:7]
	s_nop 0
	v_mfma_f32_16x16x4f32 a[0:3], v2, v6, a[0:3]
	s_movk_i32 s4, 0xff
	v_and_b32_sdwa v3, v8, s4 dst_sel:DWORD dst_unused:UNUSED_PAD src0_sel:WORD_1 src1_sel:DWORD
	s_movk_i32 s4, 0x7f
	v_cmp_lt_i16_e32 vcc, s4, v3
	s_mov_b64 s[4:5], 0
                                        ; implicit-def: $sgpr10
	s_and_saveexec_b64 s[6:7], vcc
	s_xor_b64 s[6:7], exec, s[6:7]
	s_cbranch_execnz .LBB12_2513
; %bb.465:
	s_or_saveexec_b64 s[6:7], s[6:7]
	v_mov_b32_e32 v2, s10
	s_xor_b64 exec, exec, s[6:7]
	s_cbranch_execnz .LBB12_2516
.LBB12_466:
	s_or_b64 exec, exec, s[6:7]
	s_and_saveexec_b64 s[6:7], s[4:5]
	s_cbranch_execz .LBB12_468
.LBB12_467:
	v_bfe_u32 v2, v8, 16, 3
	v_ffbh_u32_e32 v7, v2
	v_min_u32_e32 v7, 32, v7
	v_lshrrev_b32_e32 v3, 19, v8
	v_subrev_u32_e32 v12, 28, v7
	v_and_b32_e32 v3, 15, v3
	v_lshlrev_b32_sdwa v12, v12, v8 dst_sel:DWORD dst_unused:UNUSED_PAD src0_sel:DWORD src1_sel:WORD_1
	v_bfe_u32 v6, v8, 19, 4
	v_sub_u32_e32 v7, 29, v7
	v_and_b32_e32 v12, 7, v12
	v_cmp_eq_u16_e32 vcc, 0, v3
	v_cndmask_b32_e32 v2, v2, v12, vcc
	v_cndmask_b32_e32 v3, v6, v7, vcc
	v_lshlrev_b32_e32 v6, 8, v8
	v_mov_b32_e32 v7, 0x3b800000
	v_lshlrev_b32_e32 v2, 20, v2
	v_and_b32_e32 v6, 0x80000000, v6
	v_lshl_add_u32 v3, v3, 23, v7
	v_or3_b32 v2, v6, v3, v2
.LBB12_468:
	s_or_b64 exec, exec, s[6:7]
	s_movk_i32 s4, 0xff
	v_and_b32_sdwa v3, v4, s4 dst_sel:DWORD dst_unused:UNUSED_PAD src0_sel:WORD_1 src1_sel:DWORD
	s_movk_i32 s4, 0x7f
	v_cmp_lt_i16_e32 vcc, s4, v3
	s_mov_b64 s[4:5], 0
                                        ; implicit-def: $sgpr10
	s_and_saveexec_b64 s[6:7], vcc
	s_xor_b64 s[6:7], exec, s[6:7]
	s_cbranch_execnz .LBB12_2517
; %bb.469:
	s_or_saveexec_b64 s[6:7], s[6:7]
	v_mov_b32_e32 v6, s10
	s_xor_b64 exec, exec, s[6:7]
	s_cbranch_execnz .LBB12_2520
.LBB12_470:
	s_or_b64 exec, exec, s[6:7]
	s_and_saveexec_b64 s[6:7], s[4:5]
	s_cbranch_execz .LBB12_472
.LBB12_471:
	v_bfe_u32 v3, v4, 16, 3
	v_ffbh_u32_e32 v12, v3
	v_min_u32_e32 v12, 32, v12
	v_lshrrev_b32_e32 v6, 19, v4
	v_subrev_u32_e32 v13, 28, v12
	v_and_b32_e32 v6, 15, v6
	v_lshlrev_b32_sdwa v13, v13, v4 dst_sel:DWORD dst_unused:UNUSED_PAD src0_sel:DWORD src1_sel:WORD_1
	v_bfe_u32 v7, v4, 19, 4
	v_sub_u32_e32 v12, 29, v12
	v_and_b32_e32 v13, 7, v13
	v_cmp_eq_u16_e32 vcc, 0, v6
	v_cndmask_b32_e32 v3, v3, v13, vcc
	v_cndmask_b32_e32 v6, v7, v12, vcc
	v_lshlrev_b32_e32 v7, 8, v4
	v_mov_b32_e32 v12, 0x3b800000
	v_lshlrev_b32_e32 v3, 20, v3
	v_and_b32_e32 v7, 0x80000000, v7
	v_lshl_add_u32 v6, v6, 23, v12
	v_or3_b32 v6, v7, v6, v3
.LBB12_472:
	s_or_b64 exec, exec, s[6:7]
	s_nop 0
	v_mfma_f32_16x16x4f32 a[0:3], v2, v6, a[0:3]
	s_movk_i32 s4, 0x7f
	v_cmp_gt_i16_sdwa s[6:7], v8, s4 src0_sel:BYTE_3 src1_sel:DWORD
	s_mov_b64 s[4:5], 0
                                        ; implicit-def: $sgpr10
	s_and_saveexec_b64 s[8:9], s[6:7]
	s_xor_b64 s[6:7], exec, s[8:9]
	s_cbranch_execnz .LBB12_2521
; %bb.473:
	s_or_saveexec_b64 s[6:7], s[6:7]
	v_mov_b32_e32 v2, s10
	s_xor_b64 exec, exec, s[6:7]
	s_cbranch_execnz .LBB12_2524
.LBB12_474:
	s_or_b64 exec, exec, s[6:7]
	s_and_saveexec_b64 s[6:7], s[4:5]
	s_cbranch_execz .LBB12_476
.LBB12_475:
	v_bfe_u32 v2, v8, 24, 3
	v_ffbh_u32_e32 v12, v2
	v_min_u32_e32 v12, 32, v12
	v_lshrrev_b32_e32 v6, 27, v8
	v_subrev_u32_e32 v13, 28, v12
	v_and_b32_e32 v3, 0x80000000, v8
	v_and_b32_e32 v6, 15, v6
	v_bfe_u32 v7, v8, 27, 4
	v_lshlrev_b32_sdwa v8, v13, v8 dst_sel:DWORD dst_unused:UNUSED_PAD src0_sel:DWORD src1_sel:BYTE_3
	v_sub_u32_e32 v12, 29, v12
	v_and_b32_e32 v8, 7, v8
	v_cmp_eq_u16_e32 vcc, 0, v6
	v_cndmask_b32_e32 v2, v2, v8, vcc
	v_cndmask_b32_e32 v6, v7, v12, vcc
	v_mov_b32_e32 v7, 0x3b800000
	v_lshlrev_b32_e32 v2, 20, v2
	v_lshl_add_u32 v6, v6, 23, v7
	v_or3_b32 v2, v3, v6, v2
.LBB12_476:
	s_or_b64 exec, exec, s[6:7]
	s_movk_i32 s4, 0x7f
	v_cmp_gt_i16_sdwa s[6:7], v4, s4 src0_sel:BYTE_3 src1_sel:DWORD
	s_mov_b64 s[4:5], 0
                                        ; implicit-def: $sgpr10
	s_and_saveexec_b64 s[8:9], s[6:7]
	s_xor_b64 s[6:7], exec, s[8:9]
	s_cbranch_execnz .LBB12_2525
; %bb.477:
	s_or_saveexec_b64 s[6:7], s[6:7]
	v_mov_b32_e32 v3, s10
	s_xor_b64 exec, exec, s[6:7]
	s_cbranch_execnz .LBB12_2528
.LBB12_478:
	s_or_b64 exec, exec, s[6:7]
	s_and_saveexec_b64 s[6:7], s[4:5]
	s_cbranch_execz .LBB12_480
.LBB12_479:
	v_bfe_u32 v3, v4, 24, 3
	v_ffbh_u32_e32 v12, v3
	v_min_u32_e32 v12, 32, v12
	v_lshrrev_b32_e32 v7, 27, v4
	v_subrev_u32_e32 v13, 28, v12
	v_and_b32_e32 v6, 0x80000000, v4
	v_and_b32_e32 v7, 15, v7
	v_bfe_u32 v8, v4, 27, 4
	v_lshlrev_b32_sdwa v4, v13, v4 dst_sel:DWORD dst_unused:UNUSED_PAD src0_sel:DWORD src1_sel:BYTE_3
	v_sub_u32_e32 v12, 29, v12
	v_and_b32_e32 v4, 7, v4
	v_cmp_eq_u16_e32 vcc, 0, v7
	v_cndmask_b32_e32 v3, v3, v4, vcc
	v_cndmask_b32_e32 v4, v8, v12, vcc
	v_mov_b32_e32 v7, 0x3b800000
	v_lshlrev_b32_e32 v3, 20, v3
	v_lshl_add_u32 v4, v4, 23, v7
	v_or3_b32 v3, v6, v4, v3
.LBB12_480:
	s_or_b64 exec, exec, s[6:7]
	s_nop 0
	v_mfma_f32_16x16x4f32 a[0:3], v2, v3, a[0:3]
	s_movk_i32 s4, 0x7f
	v_cmp_gt_i16_sdwa s[6:7], v9, s4 src0_sel:BYTE_0 src1_sel:DWORD
	s_mov_b64 s[4:5], 0
                                        ; implicit-def: $sgpr10
	s_and_saveexec_b64 s[8:9], s[6:7]
	s_xor_b64 s[6:7], exec, s[8:9]
	s_cbranch_execnz .LBB12_2529
; %bb.481:
	s_or_saveexec_b64 s[6:7], s[6:7]
	v_mov_b32_e32 v2, s10
	s_xor_b64 exec, exec, s[6:7]
	s_cbranch_execnz .LBB12_2532
.LBB12_482:
	s_or_b64 exec, exec, s[6:7]
	s_and_saveexec_b64 s[6:7], s[4:5]
	s_cbranch_execz .LBB12_484
.LBB12_483:
	v_mov_b32_e32 v2, 8
	v_and_b32_e32 v3, 7, v9
	v_lshrrev_b32_sdwa v2, v2, v9 dst_sel:BYTE_1 dst_unused:UNUSED_PAD src0_sel:DWORD src1_sel:DWORD
	v_ffbh_u32_e32 v4, v3
	v_or_b32_sdwa v2, v9, v2 dst_sel:DWORD dst_unused:UNUSED_PAD src0_sel:BYTE_0 src1_sel:DWORD
	v_min_u32_e32 v4, 32, v4
	v_lshrrev_b16_e32 v2, 3, v2
	v_subrev_u32_e32 v6, 28, v4
	v_and_b32_e32 v2, 15, v2
	v_lshlrev_b32_e32 v6, v6, v9
	v_sub_u32_e32 v4, 29, v4
	v_and_b32_e32 v6, 7, v6
	v_cmp_eq_u16_e32 vcc, 0, v2
	v_cndmask_b32_e32 v3, v3, v6, vcc
	v_cndmask_b32_e32 v2, v2, v4, vcc
	v_lshlrev_b32_e32 v4, 24, v9
	v_mov_b32_e32 v6, 0x3b800000
	v_lshlrev_b32_e32 v3, 20, v3
	v_and_b32_e32 v4, 0x80000000, v4
	v_lshl_add_u32 v2, v2, 23, v6
	v_or3_b32 v2, v4, v2, v3
.LBB12_484:
	s_or_b64 exec, exec, s[6:7]
	s_movk_i32 s4, 0x7f
	v_cmp_gt_i16_sdwa s[6:7], v5, s4 src0_sel:BYTE_0 src1_sel:DWORD
	s_mov_b64 s[4:5], 0
                                        ; implicit-def: $sgpr10
	s_and_saveexec_b64 s[8:9], s[6:7]
	s_xor_b64 s[6:7], exec, s[8:9]
	s_cbranch_execnz .LBB12_2533
; %bb.485:
	s_or_saveexec_b64 s[6:7], s[6:7]
	v_mov_b32_e32 v3, s10
	s_xor_b64 exec, exec, s[6:7]
	s_cbranch_execnz .LBB12_2536
.LBB12_486:
	s_or_b64 exec, exec, s[6:7]
	s_and_saveexec_b64 s[6:7], s[4:5]
	s_cbranch_execz .LBB12_488
.LBB12_487:
	v_mov_b32_e32 v3, 8
	v_and_b32_e32 v4, 7, v5
	v_lshrrev_b32_sdwa v3, v3, v5 dst_sel:BYTE_1 dst_unused:UNUSED_PAD src0_sel:DWORD src1_sel:DWORD
	v_ffbh_u32_e32 v6, v4
	v_or_b32_sdwa v3, v5, v3 dst_sel:DWORD dst_unused:UNUSED_PAD src0_sel:BYTE_0 src1_sel:DWORD
	v_min_u32_e32 v6, 32, v6
	v_lshrrev_b16_e32 v3, 3, v3
	v_subrev_u32_e32 v7, 28, v6
	v_and_b32_e32 v3, 15, v3
	v_lshlrev_b32_e32 v7, v7, v5
	v_sub_u32_e32 v6, 29, v6
	v_and_b32_e32 v7, 7, v7
	v_cmp_eq_u16_e32 vcc, 0, v3
	v_cndmask_b32_e32 v4, v4, v7, vcc
	v_cndmask_b32_e32 v3, v3, v6, vcc
	v_lshlrev_b32_e32 v6, 24, v5
	v_mov_b32_e32 v7, 0x3b800000
	v_lshlrev_b32_e32 v4, 20, v4
	v_and_b32_e32 v6, 0x80000000, v6
	v_lshl_add_u32 v3, v3, 23, v7
	v_or3_b32 v3, v6, v3, v4
.LBB12_488:
	s_or_b64 exec, exec, s[6:7]
	s_nop 0
	v_mfma_f32_16x16x4f32 a[0:3], v2, v3, a[0:3]
	v_lshrrev_b32_e32 v3, 8, v9
	s_movk_i32 s4, 0x7f
	v_cmp_gt_i16_sdwa s[6:7], v3, s4 src0_sel:BYTE_0 src1_sel:DWORD
	s_mov_b64 s[4:5], 0
                                        ; implicit-def: $sgpr10
	s_and_saveexec_b64 s[8:9], s[6:7]
	s_xor_b64 s[6:7], exec, s[8:9]
	s_cbranch_execnz .LBB12_2537
; %bb.489:
	s_or_saveexec_b64 s[6:7], s[6:7]
	v_mov_b32_e32 v2, s10
	s_xor_b64 exec, exec, s[6:7]
	s_cbranch_execnz .LBB12_2540
.LBB12_490:
	s_or_b64 exec, exec, s[6:7]
	s_and_saveexec_b64 s[6:7], s[4:5]
	s_cbranch_execz .LBB12_492
.LBB12_491:
	v_bfe_u32 v2, v9, 8, 3
	v_ffbh_u32_e32 v6, v2
	v_min_u32_e32 v6, 32, v6
	v_lshrrev_b16_e32 v4, 3, v3
	v_subrev_u32_e32 v7, 28, v6
	v_and_b32_e32 v4, 15, v4
	v_lshlrev_b32_e32 v3, v7, v3
	v_sub_u32_e32 v6, 29, v6
	v_and_b32_e32 v3, 7, v3
	v_cmp_eq_u16_e32 vcc, 0, v4
	v_cndmask_b32_e32 v2, v2, v3, vcc
	v_cndmask_b32_e32 v3, v4, v6, vcc
	v_lshlrev_b32_e32 v4, 16, v9
	v_mov_b32_e32 v6, 0x3b800000
	v_lshlrev_b32_e32 v2, 20, v2
	v_and_b32_e32 v4, 0x80000000, v4
	v_lshl_add_u32 v3, v3, 23, v6
	v_or3_b32 v2, v4, v3, v2
.LBB12_492:
	s_or_b64 exec, exec, s[6:7]
	v_lshrrev_b32_e32 v3, 8, v5
	s_movk_i32 s4, 0x7f
	v_cmp_gt_i16_sdwa s[6:7], v3, s4 src0_sel:BYTE_0 src1_sel:DWORD
	s_mov_b64 s[4:5], 0
                                        ; implicit-def: $sgpr10
	s_and_saveexec_b64 s[8:9], s[6:7]
	s_xor_b64 s[6:7], exec, s[8:9]
	s_cbranch_execnz .LBB12_2541
; %bb.493:
	s_or_saveexec_b64 s[6:7], s[6:7]
	v_mov_b32_e32 v4, s10
	s_xor_b64 exec, exec, s[6:7]
	s_cbranch_execnz .LBB12_2544
.LBB12_494:
	s_or_b64 exec, exec, s[6:7]
	s_and_saveexec_b64 s[6:7], s[4:5]
	s_cbranch_execz .LBB12_496
.LBB12_495:
	v_bfe_u32 v4, v5, 8, 3
	v_ffbh_u32_e32 v7, v4
	v_min_u32_e32 v7, 32, v7
	v_lshrrev_b16_e32 v6, 3, v3
	v_subrev_u32_e32 v8, 28, v7
	v_and_b32_e32 v6, 15, v6
	v_lshlrev_b32_e32 v3, v8, v3
	v_sub_u32_e32 v7, 29, v7
	v_and_b32_e32 v3, 7, v3
	v_cmp_eq_u16_e32 vcc, 0, v6
	v_cndmask_b32_e32 v3, v4, v3, vcc
	v_cndmask_b32_e32 v4, v6, v7, vcc
	v_lshlrev_b32_e32 v6, 16, v5
	v_mov_b32_e32 v7, 0x3b800000
	v_lshlrev_b32_e32 v3, 20, v3
	v_and_b32_e32 v6, 0x80000000, v6
	v_lshl_add_u32 v4, v4, 23, v7
	v_or3_b32 v4, v6, v4, v3
.LBB12_496:
	s_or_b64 exec, exec, s[6:7]
	s_nop 0
	v_mfma_f32_16x16x4f32 a[0:3], v2, v4, a[0:3]
	s_movk_i32 s4, 0xff
	v_and_b32_sdwa v3, v9, s4 dst_sel:DWORD dst_unused:UNUSED_PAD src0_sel:WORD_1 src1_sel:DWORD
	s_movk_i32 s4, 0x7f
	v_cmp_lt_i16_e32 vcc, s4, v3
	s_mov_b64 s[4:5], 0
                                        ; implicit-def: $sgpr10
	s_and_saveexec_b64 s[6:7], vcc
	s_xor_b64 s[6:7], exec, s[6:7]
	s_cbranch_execnz .LBB12_2545
; %bb.497:
	s_or_saveexec_b64 s[6:7], s[6:7]
	v_mov_b32_e32 v2, s10
	s_xor_b64 exec, exec, s[6:7]
	s_cbranch_execnz .LBB12_2548
.LBB12_498:
	s_or_b64 exec, exec, s[6:7]
	s_and_saveexec_b64 s[6:7], s[4:5]
	s_cbranch_execz .LBB12_500
.LBB12_499:
	v_bfe_u32 v2, v9, 16, 3
	v_ffbh_u32_e32 v6, v2
	v_min_u32_e32 v6, 32, v6
	v_lshrrev_b32_e32 v3, 19, v9
	v_subrev_u32_e32 v7, 28, v6
	v_and_b32_e32 v3, 15, v3
	v_lshlrev_b32_sdwa v7, v7, v9 dst_sel:DWORD dst_unused:UNUSED_PAD src0_sel:DWORD src1_sel:WORD_1
	v_bfe_u32 v4, v9, 19, 4
	v_sub_u32_e32 v6, 29, v6
	v_and_b32_e32 v7, 7, v7
	v_cmp_eq_u16_e32 vcc, 0, v3
	v_cndmask_b32_e32 v2, v2, v7, vcc
	v_cndmask_b32_e32 v3, v4, v6, vcc
	v_lshlrev_b32_e32 v4, 8, v9
	v_mov_b32_e32 v6, 0x3b800000
	v_lshlrev_b32_e32 v2, 20, v2
	v_and_b32_e32 v4, 0x80000000, v4
	v_lshl_add_u32 v3, v3, 23, v6
	v_or3_b32 v2, v4, v3, v2
.LBB12_500:
	s_or_b64 exec, exec, s[6:7]
	s_movk_i32 s4, 0xff
	v_and_b32_sdwa v3, v5, s4 dst_sel:DWORD dst_unused:UNUSED_PAD src0_sel:WORD_1 src1_sel:DWORD
	s_movk_i32 s4, 0x7f
	v_cmp_lt_i16_e32 vcc, s4, v3
	s_mov_b64 s[4:5], 0
                                        ; implicit-def: $sgpr10
	s_and_saveexec_b64 s[6:7], vcc
	s_xor_b64 s[6:7], exec, s[6:7]
	s_cbranch_execnz .LBB12_2549
; %bb.501:
	s_or_saveexec_b64 s[6:7], s[6:7]
	v_mov_b32_e32 v4, s10
	s_xor_b64 exec, exec, s[6:7]
	s_cbranch_execnz .LBB12_2552
.LBB12_502:
	s_or_b64 exec, exec, s[6:7]
	s_and_saveexec_b64 s[6:7], s[4:5]
	s_cbranch_execz .LBB12_504
.LBB12_503:
	v_bfe_u32 v3, v5, 16, 3
	v_ffbh_u32_e32 v7, v3
	v_min_u32_e32 v7, 32, v7
	v_lshrrev_b32_e32 v4, 19, v5
	v_subrev_u32_e32 v8, 28, v7
	v_and_b32_e32 v4, 15, v4
	v_lshlrev_b32_sdwa v8, v8, v5 dst_sel:DWORD dst_unused:UNUSED_PAD src0_sel:DWORD src1_sel:WORD_1
	v_bfe_u32 v6, v5, 19, 4
	v_sub_u32_e32 v7, 29, v7
	v_and_b32_e32 v8, 7, v8
	v_cmp_eq_u16_e32 vcc, 0, v4
	v_cndmask_b32_e32 v3, v3, v8, vcc
	v_cndmask_b32_e32 v4, v6, v7, vcc
	v_lshlrev_b32_e32 v6, 8, v5
	v_mov_b32_e32 v7, 0x3b800000
	v_lshlrev_b32_e32 v3, 20, v3
	v_and_b32_e32 v6, 0x80000000, v6
	v_lshl_add_u32 v4, v4, 23, v7
	v_or3_b32 v4, v6, v4, v3
.LBB12_504:
	s_or_b64 exec, exec, s[6:7]
	s_nop 0
	v_mfma_f32_16x16x4f32 a[0:3], v2, v4, a[0:3]
	s_movk_i32 s4, 0x7f
	v_cmp_gt_i16_sdwa s[6:7], v9, s4 src0_sel:BYTE_3 src1_sel:DWORD
	s_mov_b64 s[4:5], 0
                                        ; implicit-def: $sgpr10
	s_and_saveexec_b64 s[8:9], s[6:7]
	s_xor_b64 s[6:7], exec, s[8:9]
	s_cbranch_execnz .LBB12_2553
; %bb.505:
	s_or_saveexec_b64 s[6:7], s[6:7]
	v_mov_b32_e32 v2, s10
	s_xor_b64 exec, exec, s[6:7]
	s_cbranch_execnz .LBB12_2556
.LBB12_506:
	s_or_b64 exec, exec, s[6:7]
	s_and_saveexec_b64 s[6:7], s[4:5]
	s_cbranch_execz .LBB12_508
.LBB12_507:
	v_bfe_u32 v2, v9, 24, 3
	v_ffbh_u32_e32 v7, v2
	v_min_u32_e32 v7, 32, v7
	v_lshrrev_b32_e32 v4, 27, v9
	v_subrev_u32_e32 v8, 28, v7
	v_and_b32_e32 v4, 15, v4
	v_lshlrev_b32_sdwa v8, v8, v9 dst_sel:DWORD dst_unused:UNUSED_PAD src0_sel:DWORD src1_sel:BYTE_3
	v_bfe_u32 v6, v9, 27, 4
	v_sub_u32_e32 v7, 29, v7
	v_and_b32_e32 v8, 7, v8
	v_cmp_eq_u16_e32 vcc, 0, v4
	v_cndmask_b32_e32 v2, v2, v8, vcc
	v_cndmask_b32_e32 v4, v6, v7, vcc
	v_mov_b32_e32 v6, 0x3b800000
	v_and_b32_e32 v3, 0x80000000, v9
	v_lshlrev_b32_e32 v2, 20, v2
	v_lshl_add_u32 v4, v4, 23, v6
	v_or3_b32 v2, v3, v4, v2
.LBB12_508:
	s_or_b64 exec, exec, s[6:7]
	s_movk_i32 s4, 0x7f
	v_cmp_gt_i16_sdwa s[6:7], v5, s4 src0_sel:BYTE_3 src1_sel:DWORD
	s_mov_b64 s[4:5], 0
                                        ; implicit-def: $sgpr10
	s_and_saveexec_b64 s[8:9], s[6:7]
	s_xor_b64 s[6:7], exec, s[8:9]
	s_cbranch_execnz .LBB12_2557
; %bb.509:
	s_or_saveexec_b64 s[6:7], s[6:7]
	v_mov_b32_e32 v3, s10
	s_xor_b64 exec, exec, s[6:7]
	s_cbranch_execnz .LBB12_2560
.LBB12_510:
	s_or_b64 exec, exec, s[6:7]
	s_and_saveexec_b64 s[6:7], s[4:5]
	s_cbranch_execz .LBB12_512
.LBB12_511:
	v_bfe_u32 v3, v5, 24, 3
	v_ffbh_u32_e32 v8, v3
	v_min_u32_e32 v8, 32, v8
	v_lshrrev_b32_e32 v6, 27, v5
	v_subrev_u32_e32 v9, 28, v8
	v_and_b32_e32 v4, 0x80000000, v5
	v_and_b32_e32 v6, 15, v6
	v_bfe_u32 v7, v5, 27, 4
	v_lshlrev_b32_sdwa v5, v9, v5 dst_sel:DWORD dst_unused:UNUSED_PAD src0_sel:DWORD src1_sel:BYTE_3
	v_sub_u32_e32 v8, 29, v8
	v_and_b32_e32 v5, 7, v5
	v_cmp_eq_u16_e32 vcc, 0, v6
	v_cndmask_b32_e32 v3, v3, v5, vcc
	v_cndmask_b32_e32 v5, v7, v8, vcc
	v_mov_b32_e32 v6, 0x3b800000
	v_lshlrev_b32_e32 v3, 20, v3
	v_lshl_add_u32 v5, v5, 23, v6
	v_or3_b32 v3, v4, v5, v3
.LBB12_512:
	s_or_b64 exec, exec, s[6:7]
	s_nop 0
	v_mfma_f32_16x16x4f32 a[0:3], v2, v3, a[0:3]
	s_movk_i32 s4, 0x7f
                                        ; implicit-def: $sgpr10
	s_nop 7
	s_nop 1
	flat_store_dwordx4 v[10:11], a[0:3] offset:48
	flat_load_dwordx4 v[12:15], v[0:1] offset:8
	s_nop 0
	flat_load_dwordx2 v[10:11], v[0:1] offset:32
	s_waitcnt vmcnt(0) lgkmcnt(0)
	flat_load_dwordx4 v[6:9], v[12:13] offset:32
	flat_load_dwordx4 v[2:5], v[14:15]
	s_waitcnt vmcnt(0) lgkmcnt(0)
	v_cmp_gt_i16_sdwa s[6:7], v6, s4 src0_sel:BYTE_0 src1_sel:DWORD
	s_mov_b64 s[4:5], 0
	s_and_saveexec_b64 s[8:9], s[6:7]
	s_xor_b64 s[6:7], exec, s[8:9]
	s_cbranch_execnz .LBB12_2561
; %bb.513:
	s_or_saveexec_b64 s[6:7], s[6:7]
	v_mov_b32_e32 v12, s10
	s_xor_b64 exec, exec, s[6:7]
	s_cbranch_execnz .LBB12_2564
.LBB12_514:
	s_or_b64 exec, exec, s[6:7]
	s_and_saveexec_b64 s[6:7], s[4:5]
	s_cbranch_execz .LBB12_516
.LBB12_515:
	v_and_b32_e32 v12, 7, v6
	v_ffbh_u32_e32 v14, v12
	v_min_u32_e32 v14, 32, v14
	v_lshrrev_b16_e32 v13, 3, v6
	v_subrev_u32_e32 v15, 28, v14
	v_and_b32_e32 v13, 15, v13
	v_lshlrev_b32_e32 v15, v15, v6
	v_sub_u32_e32 v14, 29, v14
	v_and_b32_e32 v15, 7, v15
	v_cmp_eq_u16_e32 vcc, 0, v13
	v_cndmask_b32_e32 v12, v12, v15, vcc
	v_cndmask_b32_e32 v13, v13, v14, vcc
	v_lshlrev_b32_e32 v14, 24, v6
	v_mov_b32_e32 v15, 0x3b800000
	v_lshlrev_b32_e32 v12, 20, v12
	v_and_b32_e32 v14, 0x80000000, v14
	v_lshl_add_u32 v13, v13, 23, v15
	v_or3_b32 v12, v14, v13, v12
.LBB12_516:
	s_or_b64 exec, exec, s[6:7]
	s_movk_i32 s4, 0x7f
	v_cmp_gt_i16_sdwa s[6:7], v2, s4 src0_sel:BYTE_0 src1_sel:DWORD
	s_mov_b64 s[4:5], 0
                                        ; implicit-def: $sgpr10
	s_and_saveexec_b64 s[8:9], s[6:7]
	s_xor_b64 s[6:7], exec, s[8:9]
	s_cbranch_execnz .LBB12_2565
; %bb.517:
	s_or_saveexec_b64 s[6:7], s[6:7]
	v_mov_b32_e32 v13, s10
	s_xor_b64 exec, exec, s[6:7]
	s_cbranch_execnz .LBB12_2568
.LBB12_518:
	s_or_b64 exec, exec, s[6:7]
	s_and_saveexec_b64 s[6:7], s[4:5]
	s_cbranch_execz .LBB12_520
.LBB12_519:
	v_and_b32_e32 v13, 7, v2
	v_ffbh_u32_e32 v15, v13
	v_min_u32_e32 v15, 32, v15
	v_lshrrev_b16_e32 v14, 3, v2
	v_subrev_u32_e32 v16, 28, v15
	v_and_b32_e32 v14, 15, v14
	v_lshlrev_b32_e32 v16, v16, v2
	v_sub_u32_e32 v15, 29, v15
	v_and_b32_e32 v16, 7, v16
	v_cmp_eq_u16_e32 vcc, 0, v14
	v_cndmask_b32_e32 v13, v13, v16, vcc
	v_cndmask_b32_e32 v14, v14, v15, vcc
	v_lshlrev_b32_e32 v15, 24, v2
	v_mov_b32_e32 v16, 0x3b800000
	v_lshlrev_b32_e32 v13, 20, v13
	v_and_b32_e32 v15, 0x80000000, v15
	v_lshl_add_u32 v14, v14, 23, v16
	v_or3_b32 v13, v15, v14, v13
.LBB12_520:
	s_or_b64 exec, exec, s[6:7]
	flat_load_dwordx4 a[0:3], v[10:11] offset:64
	s_movk_i32 s4, 0x7f
                                        ; implicit-def: $sgpr10
	s_waitcnt vmcnt(0) lgkmcnt(0)
	v_mfma_f32_16x16x4f32 a[0:3], v12, v13, a[0:3]
	v_lshrrev_b32_e32 v13, 8, v6
	v_cmp_gt_i16_sdwa s[6:7], v13, s4 src0_sel:BYTE_0 src1_sel:DWORD
	s_mov_b64 s[4:5], 0
	s_and_saveexec_b64 s[8:9], s[6:7]
	s_xor_b64 s[6:7], exec, s[8:9]
	s_cbranch_execnz .LBB12_2569
; %bb.521:
	s_or_saveexec_b64 s[6:7], s[6:7]
	v_mov_b32_e32 v12, s10
	s_xor_b64 exec, exec, s[6:7]
	s_cbranch_execnz .LBB12_2572
.LBB12_522:
	s_or_b64 exec, exec, s[6:7]
	s_and_saveexec_b64 s[6:7], s[4:5]
	s_cbranch_execz .LBB12_524
.LBB12_523:
	v_bfe_u32 v12, v6, 8, 3
	v_ffbh_u32_e32 v15, v12
	v_min_u32_e32 v15, 32, v15
	v_lshrrev_b16_e32 v14, 3, v13
	v_subrev_u32_e32 v16, 28, v15
	v_and_b32_e32 v14, 15, v14
	v_lshlrev_b32_e32 v13, v16, v13
	v_sub_u32_e32 v15, 29, v15
	v_and_b32_e32 v13, 7, v13
	v_cmp_eq_u16_e32 vcc, 0, v14
	v_cndmask_b32_e32 v12, v12, v13, vcc
	v_cndmask_b32_e32 v13, v14, v15, vcc
	v_lshlrev_b32_e32 v14, 16, v6
	v_mov_b32_e32 v15, 0x3b800000
	v_lshlrev_b32_e32 v12, 20, v12
	v_and_b32_e32 v14, 0x80000000, v14
	v_lshl_add_u32 v13, v13, 23, v15
	v_or3_b32 v12, v14, v13, v12
.LBB12_524:
	s_or_b64 exec, exec, s[6:7]
	v_lshrrev_b32_e32 v13, 8, v2
	s_movk_i32 s4, 0x7f
	v_cmp_gt_i16_sdwa s[6:7], v13, s4 src0_sel:BYTE_0 src1_sel:DWORD
	s_mov_b64 s[4:5], 0
                                        ; implicit-def: $sgpr10
	s_and_saveexec_b64 s[8:9], s[6:7]
	s_xor_b64 s[6:7], exec, s[8:9]
	s_cbranch_execnz .LBB12_2573
; %bb.525:
	s_or_saveexec_b64 s[6:7], s[6:7]
	v_mov_b32_e32 v14, s10
	s_xor_b64 exec, exec, s[6:7]
	s_cbranch_execnz .LBB12_2576
.LBB12_526:
	s_or_b64 exec, exec, s[6:7]
	s_and_saveexec_b64 s[6:7], s[4:5]
	s_cbranch_execz .LBB12_528
.LBB12_527:
	v_bfe_u32 v14, v2, 8, 3
	v_ffbh_u32_e32 v16, v14
	v_min_u32_e32 v16, 32, v16
	v_lshrrev_b16_e32 v15, 3, v13
	v_subrev_u32_e32 v17, 28, v16
	v_and_b32_e32 v15, 15, v15
	v_lshlrev_b32_e32 v13, v17, v13
	v_sub_u32_e32 v16, 29, v16
	v_and_b32_e32 v13, 7, v13
	v_cmp_eq_u16_e32 vcc, 0, v15
	v_cndmask_b32_e32 v13, v14, v13, vcc
	v_cndmask_b32_e32 v14, v15, v16, vcc
	v_lshlrev_b32_e32 v15, 16, v2
	v_mov_b32_e32 v16, 0x3b800000
	v_lshlrev_b32_e32 v13, 20, v13
	v_and_b32_e32 v15, 0x80000000, v15
	v_lshl_add_u32 v14, v14, 23, v16
	v_or3_b32 v14, v15, v14, v13
.LBB12_528:
	s_or_b64 exec, exec, s[6:7]
	s_nop 0
	v_mfma_f32_16x16x4f32 a[0:3], v12, v14, a[0:3]
	s_movk_i32 s4, 0xff
	v_and_b32_sdwa v13, v6, s4 dst_sel:DWORD dst_unused:UNUSED_PAD src0_sel:WORD_1 src1_sel:DWORD
	s_movk_i32 s4, 0x7f
	v_cmp_lt_i16_e32 vcc, s4, v13
	s_mov_b64 s[4:5], 0
                                        ; implicit-def: $sgpr10
	s_and_saveexec_b64 s[6:7], vcc
	s_xor_b64 s[6:7], exec, s[6:7]
	s_cbranch_execnz .LBB12_2577
; %bb.529:
	s_or_saveexec_b64 s[6:7], s[6:7]
	v_mov_b32_e32 v12, s10
	s_xor_b64 exec, exec, s[6:7]
	s_cbranch_execnz .LBB12_2580
.LBB12_530:
	s_or_b64 exec, exec, s[6:7]
	s_and_saveexec_b64 s[6:7], s[4:5]
	s_cbranch_execz .LBB12_532
.LBB12_531:
	v_bfe_u32 v12, v6, 16, 3
	v_ffbh_u32_e32 v15, v12
	v_min_u32_e32 v15, 32, v15
	v_lshrrev_b32_e32 v13, 19, v6
	v_subrev_u32_e32 v16, 28, v15
	v_and_b32_e32 v13, 15, v13
	v_lshlrev_b32_sdwa v16, v16, v6 dst_sel:DWORD dst_unused:UNUSED_PAD src0_sel:DWORD src1_sel:WORD_1
	v_bfe_u32 v14, v6, 19, 4
	v_sub_u32_e32 v15, 29, v15
	v_and_b32_e32 v16, 7, v16
	v_cmp_eq_u16_e32 vcc, 0, v13
	v_cndmask_b32_e32 v12, v12, v16, vcc
	v_cndmask_b32_e32 v13, v14, v15, vcc
	v_lshlrev_b32_e32 v14, 8, v6
	v_mov_b32_e32 v15, 0x3b800000
	v_lshlrev_b32_e32 v12, 20, v12
	v_and_b32_e32 v14, 0x80000000, v14
	v_lshl_add_u32 v13, v13, 23, v15
	v_or3_b32 v12, v14, v13, v12
.LBB12_532:
	s_or_b64 exec, exec, s[6:7]
	s_movk_i32 s4, 0xff
	v_and_b32_sdwa v13, v2, s4 dst_sel:DWORD dst_unused:UNUSED_PAD src0_sel:WORD_1 src1_sel:DWORD
	s_movk_i32 s4, 0x7f
	v_cmp_lt_i16_e32 vcc, s4, v13
	s_mov_b64 s[4:5], 0
                                        ; implicit-def: $sgpr10
	s_and_saveexec_b64 s[6:7], vcc
	s_xor_b64 s[6:7], exec, s[6:7]
	s_cbranch_execnz .LBB12_2581
; %bb.533:
	s_or_saveexec_b64 s[6:7], s[6:7]
	v_mov_b32_e32 v14, s10
	s_xor_b64 exec, exec, s[6:7]
	s_cbranch_execnz .LBB12_2584
.LBB12_534:
	s_or_b64 exec, exec, s[6:7]
	s_and_saveexec_b64 s[6:7], s[4:5]
	s_cbranch_execz .LBB12_536
.LBB12_535:
	v_bfe_u32 v13, v2, 16, 3
	v_ffbh_u32_e32 v16, v13
	v_min_u32_e32 v16, 32, v16
	v_lshrrev_b32_e32 v14, 19, v2
	v_subrev_u32_e32 v17, 28, v16
	v_and_b32_e32 v14, 15, v14
	v_lshlrev_b32_sdwa v17, v17, v2 dst_sel:DWORD dst_unused:UNUSED_PAD src0_sel:DWORD src1_sel:WORD_1
	v_bfe_u32 v15, v2, 19, 4
	v_sub_u32_e32 v16, 29, v16
	v_and_b32_e32 v17, 7, v17
	v_cmp_eq_u16_e32 vcc, 0, v14
	v_cndmask_b32_e32 v13, v13, v17, vcc
	v_cndmask_b32_e32 v14, v15, v16, vcc
	v_lshlrev_b32_e32 v15, 8, v2
	v_mov_b32_e32 v16, 0x3b800000
	v_lshlrev_b32_e32 v13, 20, v13
	v_and_b32_e32 v15, 0x80000000, v15
	v_lshl_add_u32 v14, v14, 23, v16
	v_or3_b32 v14, v15, v14, v13
.LBB12_536:
	s_or_b64 exec, exec, s[6:7]
	s_nop 0
	v_mfma_f32_16x16x4f32 a[0:3], v12, v14, a[0:3]
	s_movk_i32 s4, 0x7f
	v_cmp_gt_i16_sdwa s[6:7], v6, s4 src0_sel:BYTE_3 src1_sel:DWORD
	s_mov_b64 s[4:5], 0
                                        ; implicit-def: $sgpr10
	s_and_saveexec_b64 s[8:9], s[6:7]
	s_xor_b64 s[6:7], exec, s[8:9]
	s_cbranch_execnz .LBB12_2585
; %bb.537:
	s_or_saveexec_b64 s[6:7], s[6:7]
	v_mov_b32_e32 v12, s10
	s_xor_b64 exec, exec, s[6:7]
	s_cbranch_execnz .LBB12_2588
.LBB12_538:
	s_or_b64 exec, exec, s[6:7]
	s_and_saveexec_b64 s[6:7], s[4:5]
	s_cbranch_execz .LBB12_540
.LBB12_539:
	v_bfe_u32 v12, v6, 24, 3
	v_ffbh_u32_e32 v16, v12
	v_min_u32_e32 v16, 32, v16
	v_lshrrev_b32_e32 v14, 27, v6
	v_subrev_u32_e32 v17, 28, v16
	v_and_b32_e32 v13, 0x80000000, v6
	v_and_b32_e32 v14, 15, v14
	v_bfe_u32 v15, v6, 27, 4
	v_lshlrev_b32_sdwa v6, v17, v6 dst_sel:DWORD dst_unused:UNUSED_PAD src0_sel:DWORD src1_sel:BYTE_3
	v_sub_u32_e32 v16, 29, v16
	v_and_b32_e32 v6, 7, v6
	v_cmp_eq_u16_e32 vcc, 0, v14
	v_cndmask_b32_e32 v6, v12, v6, vcc
	v_cndmask_b32_e32 v12, v15, v16, vcc
	v_mov_b32_e32 v14, 0x3b800000
	v_lshlrev_b32_e32 v6, 20, v6
	v_lshl_add_u32 v12, v12, 23, v14
	v_or3_b32 v12, v13, v12, v6
.LBB12_540:
	s_or_b64 exec, exec, s[6:7]
	s_movk_i32 s4, 0x7f
	v_cmp_gt_i16_sdwa s[6:7], v2, s4 src0_sel:BYTE_3 src1_sel:DWORD
	s_mov_b64 s[4:5], 0
                                        ; implicit-def: $sgpr10
	s_and_saveexec_b64 s[8:9], s[6:7]
	s_xor_b64 s[6:7], exec, s[8:9]
	s_cbranch_execnz .LBB12_2589
; %bb.541:
	s_or_saveexec_b64 s[6:7], s[6:7]
	v_mov_b32_e32 v6, s10
	s_xor_b64 exec, exec, s[6:7]
	s_cbranch_execnz .LBB12_2592
.LBB12_542:
	s_or_b64 exec, exec, s[6:7]
	s_and_saveexec_b64 s[6:7], s[4:5]
	s_cbranch_execz .LBB12_544
.LBB12_543:
	v_bfe_u32 v6, v2, 24, 3
	v_ffbh_u32_e32 v16, v6
	v_min_u32_e32 v16, 32, v16
	v_lshrrev_b32_e32 v14, 27, v2
	v_subrev_u32_e32 v17, 28, v16
	v_and_b32_e32 v13, 0x80000000, v2
	v_and_b32_e32 v14, 15, v14
	v_bfe_u32 v15, v2, 27, 4
	v_lshlrev_b32_sdwa v2, v17, v2 dst_sel:DWORD dst_unused:UNUSED_PAD src0_sel:DWORD src1_sel:BYTE_3
	v_sub_u32_e32 v16, 29, v16
	v_and_b32_e32 v2, 7, v2
	v_cmp_eq_u16_e32 vcc, 0, v14
	v_cndmask_b32_e32 v2, v6, v2, vcc
	v_cndmask_b32_e32 v6, v15, v16, vcc
	v_mov_b32_e32 v14, 0x3b800000
	v_lshlrev_b32_e32 v2, 20, v2
	v_lshl_add_u32 v6, v6, 23, v14
	v_or3_b32 v6, v13, v6, v2
.LBB12_544:
	s_or_b64 exec, exec, s[6:7]
	s_nop 0
	v_mfma_f32_16x16x4f32 a[0:3], v12, v6, a[0:3]
	s_movk_i32 s4, 0x7f
	v_cmp_gt_i16_sdwa s[6:7], v7, s4 src0_sel:BYTE_0 src1_sel:DWORD
	s_mov_b64 s[4:5], 0
                                        ; implicit-def: $sgpr10
	s_and_saveexec_b64 s[8:9], s[6:7]
	s_xor_b64 s[6:7], exec, s[8:9]
	s_cbranch_execnz .LBB12_2593
; %bb.545:
	s_or_saveexec_b64 s[6:7], s[6:7]
	v_mov_b32_e32 v2, s10
	s_xor_b64 exec, exec, s[6:7]
	s_cbranch_execnz .LBB12_2596
.LBB12_546:
	s_or_b64 exec, exec, s[6:7]
	s_and_saveexec_b64 s[6:7], s[4:5]
	s_cbranch_execz .LBB12_548
.LBB12_547:
	v_and_b32_e32 v2, 7, v7
	v_ffbh_u32_e32 v12, v2
	v_min_u32_e32 v12, 32, v12
	v_lshrrev_b16_e32 v6, 3, v7
	v_subrev_u32_e32 v13, 28, v12
	v_and_b32_e32 v6, 15, v6
	v_lshlrev_b32_e32 v13, v13, v7
	v_sub_u32_e32 v12, 29, v12
	v_and_b32_e32 v13, 7, v13
	v_cmp_eq_u16_e32 vcc, 0, v6
	v_cndmask_b32_e32 v2, v2, v13, vcc
	v_cndmask_b32_e32 v6, v6, v12, vcc
	v_lshlrev_b32_e32 v12, 24, v7
	v_mov_b32_e32 v13, 0x3b800000
	v_lshlrev_b32_e32 v2, 20, v2
	v_and_b32_e32 v12, 0x80000000, v12
	v_lshl_add_u32 v6, v6, 23, v13
	v_or3_b32 v2, v12, v6, v2
.LBB12_548:
	s_or_b64 exec, exec, s[6:7]
	s_movk_i32 s4, 0x7f
	v_cmp_gt_i16_sdwa s[6:7], v3, s4 src0_sel:BYTE_0 src1_sel:DWORD
	s_mov_b64 s[4:5], 0
                                        ; implicit-def: $sgpr10
	s_and_saveexec_b64 s[8:9], s[6:7]
	s_xor_b64 s[6:7], exec, s[8:9]
	s_cbranch_execnz .LBB12_2597
; %bb.549:
	s_or_saveexec_b64 s[6:7], s[6:7]
	v_mov_b32_e32 v6, s10
	s_xor_b64 exec, exec, s[6:7]
	s_cbranch_execnz .LBB12_2600
.LBB12_550:
	s_or_b64 exec, exec, s[6:7]
	s_and_saveexec_b64 s[6:7], s[4:5]
	s_cbranch_execz .LBB12_552
.LBB12_551:
	v_and_b32_e32 v6, 7, v3
	v_ffbh_u32_e32 v13, v6
	v_min_u32_e32 v13, 32, v13
	v_lshrrev_b16_e32 v12, 3, v3
	v_subrev_u32_e32 v14, 28, v13
	v_and_b32_e32 v12, 15, v12
	v_lshlrev_b32_e32 v14, v14, v3
	v_sub_u32_e32 v13, 29, v13
	v_and_b32_e32 v14, 7, v14
	v_cmp_eq_u16_e32 vcc, 0, v12
	v_cndmask_b32_e32 v6, v6, v14, vcc
	v_cndmask_b32_e32 v12, v12, v13, vcc
	v_lshlrev_b32_e32 v13, 24, v3
	v_mov_b32_e32 v14, 0x3b800000
	v_lshlrev_b32_e32 v6, 20, v6
	v_and_b32_e32 v13, 0x80000000, v13
	v_lshl_add_u32 v12, v12, 23, v14
	v_or3_b32 v6, v13, v12, v6
.LBB12_552:
	s_or_b64 exec, exec, s[6:7]
	s_nop 0
	v_mfma_f32_16x16x4f32 a[0:3], v2, v6, a[0:3]
	v_lshrrev_b32_e32 v6, 8, v7
	s_movk_i32 s4, 0x7f
	v_cmp_gt_i16_sdwa s[6:7], v6, s4 src0_sel:BYTE_0 src1_sel:DWORD
	s_mov_b64 s[4:5], 0
                                        ; implicit-def: $sgpr10
	s_and_saveexec_b64 s[8:9], s[6:7]
	s_xor_b64 s[6:7], exec, s[8:9]
	s_cbranch_execnz .LBB12_2601
; %bb.553:
	s_or_saveexec_b64 s[6:7], s[6:7]
	v_mov_b32_e32 v2, s10
	s_xor_b64 exec, exec, s[6:7]
	s_cbranch_execnz .LBB12_2604
.LBB12_554:
	s_or_b64 exec, exec, s[6:7]
	s_and_saveexec_b64 s[6:7], s[4:5]
	s_cbranch_execz .LBB12_556
.LBB12_555:
	v_bfe_u32 v2, v7, 8, 3
	v_ffbh_u32_e32 v13, v2
	v_min_u32_e32 v13, 32, v13
	v_lshrrev_b16_e32 v12, 3, v6
	v_subrev_u32_e32 v14, 28, v13
	v_and_b32_e32 v12, 15, v12
	v_lshlrev_b32_e32 v6, v14, v6
	v_sub_u32_e32 v13, 29, v13
	v_and_b32_e32 v6, 7, v6
	v_cmp_eq_u16_e32 vcc, 0, v12
	v_cndmask_b32_e32 v2, v2, v6, vcc
	v_cndmask_b32_e32 v6, v12, v13, vcc
	v_lshlrev_b32_e32 v12, 16, v7
	v_mov_b32_e32 v13, 0x3b800000
	v_lshlrev_b32_e32 v2, 20, v2
	v_and_b32_e32 v12, 0x80000000, v12
	v_lshl_add_u32 v6, v6, 23, v13
	v_or3_b32 v2, v12, v6, v2
.LBB12_556:
	s_or_b64 exec, exec, s[6:7]
	v_lshrrev_b32_e32 v6, 8, v3
	s_movk_i32 s4, 0x7f
	v_cmp_gt_i16_sdwa s[6:7], v6, s4 src0_sel:BYTE_0 src1_sel:DWORD
	s_mov_b64 s[4:5], 0
                                        ; implicit-def: $sgpr10
	s_and_saveexec_b64 s[8:9], s[6:7]
	s_xor_b64 s[6:7], exec, s[8:9]
	s_cbranch_execnz .LBB12_2605
; %bb.557:
	s_or_saveexec_b64 s[6:7], s[6:7]
	v_mov_b32_e32 v12, s10
	s_xor_b64 exec, exec, s[6:7]
	s_cbranch_execnz .LBB12_2608
.LBB12_558:
	s_or_b64 exec, exec, s[6:7]
	s_and_saveexec_b64 s[6:7], s[4:5]
	s_cbranch_execz .LBB12_560
.LBB12_559:
	v_bfe_u32 v12, v3, 8, 3
	v_ffbh_u32_e32 v14, v12
	v_min_u32_e32 v14, 32, v14
	v_lshrrev_b16_e32 v13, 3, v6
	v_subrev_u32_e32 v15, 28, v14
	v_and_b32_e32 v13, 15, v13
	v_lshlrev_b32_e32 v6, v15, v6
	v_sub_u32_e32 v14, 29, v14
	v_and_b32_e32 v6, 7, v6
	v_cmp_eq_u16_e32 vcc, 0, v13
	v_cndmask_b32_e32 v6, v12, v6, vcc
	v_cndmask_b32_e32 v12, v13, v14, vcc
	v_lshlrev_b32_e32 v13, 16, v3
	v_mov_b32_e32 v14, 0x3b800000
	v_lshlrev_b32_e32 v6, 20, v6
	v_and_b32_e32 v13, 0x80000000, v13
	v_lshl_add_u32 v12, v12, 23, v14
	v_or3_b32 v12, v13, v12, v6
.LBB12_560:
	s_or_b64 exec, exec, s[6:7]
	s_nop 0
	v_mfma_f32_16x16x4f32 a[0:3], v2, v12, a[0:3]
	s_movk_i32 s4, 0xff
	v_and_b32_sdwa v6, v7, s4 dst_sel:DWORD dst_unused:UNUSED_PAD src0_sel:WORD_1 src1_sel:DWORD
	s_movk_i32 s4, 0x7f
	v_cmp_lt_i16_e32 vcc, s4, v6
	s_mov_b64 s[4:5], 0
                                        ; implicit-def: $sgpr10
	s_and_saveexec_b64 s[6:7], vcc
	s_xor_b64 s[6:7], exec, s[6:7]
	s_cbranch_execnz .LBB12_2609
; %bb.561:
	s_or_saveexec_b64 s[6:7], s[6:7]
	v_mov_b32_e32 v2, s10
	s_xor_b64 exec, exec, s[6:7]
	s_cbranch_execnz .LBB12_2612
.LBB12_562:
	s_or_b64 exec, exec, s[6:7]
	s_and_saveexec_b64 s[6:7], s[4:5]
	s_cbranch_execz .LBB12_564
.LBB12_563:
	v_bfe_u32 v2, v7, 16, 3
	v_ffbh_u32_e32 v13, v2
	v_min_u32_e32 v13, 32, v13
	v_lshrrev_b32_e32 v6, 19, v7
	v_subrev_u32_e32 v14, 28, v13
	v_and_b32_e32 v6, 15, v6
	v_lshlrev_b32_sdwa v14, v14, v7 dst_sel:DWORD dst_unused:UNUSED_PAD src0_sel:DWORD src1_sel:WORD_1
	v_bfe_u32 v12, v7, 19, 4
	v_sub_u32_e32 v13, 29, v13
	v_and_b32_e32 v14, 7, v14
	v_cmp_eq_u16_e32 vcc, 0, v6
	v_cndmask_b32_e32 v2, v2, v14, vcc
	v_cndmask_b32_e32 v6, v12, v13, vcc
	v_lshlrev_b32_e32 v12, 8, v7
	v_mov_b32_e32 v13, 0x3b800000
	v_lshlrev_b32_e32 v2, 20, v2
	v_and_b32_e32 v12, 0x80000000, v12
	v_lshl_add_u32 v6, v6, 23, v13
	v_or3_b32 v2, v12, v6, v2
.LBB12_564:
	s_or_b64 exec, exec, s[6:7]
	s_movk_i32 s4, 0xff
	v_and_b32_sdwa v6, v3, s4 dst_sel:DWORD dst_unused:UNUSED_PAD src0_sel:WORD_1 src1_sel:DWORD
	s_movk_i32 s4, 0x7f
	v_cmp_lt_i16_e32 vcc, s4, v6
	s_mov_b64 s[4:5], 0
                                        ; implicit-def: $sgpr10
	s_and_saveexec_b64 s[6:7], vcc
	s_xor_b64 s[6:7], exec, s[6:7]
	s_cbranch_execnz .LBB12_2613
; %bb.565:
	s_or_saveexec_b64 s[6:7], s[6:7]
	v_mov_b32_e32 v12, s10
	s_xor_b64 exec, exec, s[6:7]
	s_cbranch_execnz .LBB12_2616
.LBB12_566:
	s_or_b64 exec, exec, s[6:7]
	s_and_saveexec_b64 s[6:7], s[4:5]
	s_cbranch_execz .LBB12_568
.LBB12_567:
	v_bfe_u32 v6, v3, 16, 3
	v_ffbh_u32_e32 v14, v6
	v_min_u32_e32 v14, 32, v14
	v_lshrrev_b32_e32 v12, 19, v3
	v_subrev_u32_e32 v15, 28, v14
	v_and_b32_e32 v12, 15, v12
	v_lshlrev_b32_sdwa v15, v15, v3 dst_sel:DWORD dst_unused:UNUSED_PAD src0_sel:DWORD src1_sel:WORD_1
	v_bfe_u32 v13, v3, 19, 4
	v_sub_u32_e32 v14, 29, v14
	v_and_b32_e32 v15, 7, v15
	v_cmp_eq_u16_e32 vcc, 0, v12
	v_cndmask_b32_e32 v6, v6, v15, vcc
	v_cndmask_b32_e32 v12, v13, v14, vcc
	v_lshlrev_b32_e32 v13, 8, v3
	v_mov_b32_e32 v14, 0x3b800000
	v_lshlrev_b32_e32 v6, 20, v6
	v_and_b32_e32 v13, 0x80000000, v13
	v_lshl_add_u32 v12, v12, 23, v14
	v_or3_b32 v12, v13, v12, v6
.LBB12_568:
	s_or_b64 exec, exec, s[6:7]
	s_nop 0
	v_mfma_f32_16x16x4f32 a[0:3], v2, v12, a[0:3]
	s_movk_i32 s4, 0x7f
	v_cmp_gt_i16_sdwa s[6:7], v7, s4 src0_sel:BYTE_3 src1_sel:DWORD
	s_mov_b64 s[4:5], 0
                                        ; implicit-def: $sgpr10
	s_and_saveexec_b64 s[8:9], s[6:7]
	s_xor_b64 s[6:7], exec, s[8:9]
	s_cbranch_execnz .LBB12_2617
; %bb.569:
	s_or_saveexec_b64 s[6:7], s[6:7]
	v_mov_b32_e32 v2, s10
	s_xor_b64 exec, exec, s[6:7]
	s_cbranch_execnz .LBB12_2620
.LBB12_570:
	s_or_b64 exec, exec, s[6:7]
	s_and_saveexec_b64 s[6:7], s[4:5]
	s_cbranch_execz .LBB12_572
.LBB12_571:
	v_bfe_u32 v2, v7, 24, 3
	v_ffbh_u32_e32 v14, v2
	v_min_u32_e32 v14, 32, v14
	v_lshrrev_b32_e32 v12, 27, v7
	v_subrev_u32_e32 v15, 28, v14
	v_and_b32_e32 v6, 0x80000000, v7
	v_and_b32_e32 v12, 15, v12
	v_bfe_u32 v13, v7, 27, 4
	v_lshlrev_b32_sdwa v7, v15, v7 dst_sel:DWORD dst_unused:UNUSED_PAD src0_sel:DWORD src1_sel:BYTE_3
	v_sub_u32_e32 v14, 29, v14
	v_and_b32_e32 v7, 7, v7
	v_cmp_eq_u16_e32 vcc, 0, v12
	v_cndmask_b32_e32 v2, v2, v7, vcc
	v_cndmask_b32_e32 v7, v13, v14, vcc
	v_mov_b32_e32 v12, 0x3b800000
	v_lshlrev_b32_e32 v2, 20, v2
	v_lshl_add_u32 v7, v7, 23, v12
	v_or3_b32 v2, v6, v7, v2
.LBB12_572:
	s_or_b64 exec, exec, s[6:7]
	s_movk_i32 s4, 0x7f
	v_cmp_gt_i16_sdwa s[6:7], v3, s4 src0_sel:BYTE_3 src1_sel:DWORD
	s_mov_b64 s[4:5], 0
                                        ; implicit-def: $sgpr10
	s_and_saveexec_b64 s[8:9], s[6:7]
	s_xor_b64 s[6:7], exec, s[8:9]
	s_cbranch_execnz .LBB12_2621
; %bb.573:
	s_or_saveexec_b64 s[6:7], s[6:7]
	v_mov_b32_e32 v6, s10
	s_xor_b64 exec, exec, s[6:7]
	s_cbranch_execnz .LBB12_2624
.LBB12_574:
	s_or_b64 exec, exec, s[6:7]
	s_and_saveexec_b64 s[6:7], s[4:5]
	s_cbranch_execz .LBB12_576
.LBB12_575:
	v_bfe_u32 v6, v3, 24, 3
	v_ffbh_u32_e32 v14, v6
	v_min_u32_e32 v14, 32, v14
	v_lshrrev_b32_e32 v12, 27, v3
	v_subrev_u32_e32 v15, 28, v14
	v_and_b32_e32 v7, 0x80000000, v3
	v_and_b32_e32 v12, 15, v12
	v_bfe_u32 v13, v3, 27, 4
	v_lshlrev_b32_sdwa v3, v15, v3 dst_sel:DWORD dst_unused:UNUSED_PAD src0_sel:DWORD src1_sel:BYTE_3
	v_sub_u32_e32 v14, 29, v14
	v_and_b32_e32 v3, 7, v3
	v_cmp_eq_u16_e32 vcc, 0, v12
	v_cndmask_b32_e32 v3, v6, v3, vcc
	v_cndmask_b32_e32 v6, v13, v14, vcc
	v_mov_b32_e32 v12, 0x3b800000
	v_lshlrev_b32_e32 v3, 20, v3
	v_lshl_add_u32 v6, v6, 23, v12
	v_or3_b32 v6, v7, v6, v3
.LBB12_576:
	s_or_b64 exec, exec, s[6:7]
	s_nop 0
	v_mfma_f32_16x16x4f32 a[0:3], v2, v6, a[0:3]
	s_movk_i32 s4, 0x7f
	v_cmp_gt_i16_sdwa s[6:7], v8, s4 src0_sel:BYTE_0 src1_sel:DWORD
	s_mov_b64 s[4:5], 0
                                        ; implicit-def: $sgpr10
	s_and_saveexec_b64 s[8:9], s[6:7]
	s_xor_b64 s[6:7], exec, s[8:9]
	s_cbranch_execnz .LBB12_2625
; %bb.577:
	s_or_saveexec_b64 s[6:7], s[6:7]
	v_mov_b32_e32 v2, s10
	s_xor_b64 exec, exec, s[6:7]
	s_cbranch_execnz .LBB12_2628
.LBB12_578:
	s_or_b64 exec, exec, s[6:7]
	s_and_saveexec_b64 s[6:7], s[4:5]
	s_cbranch_execz .LBB12_580
.LBB12_579:
	v_and_b32_e32 v2, 7, v8
	v_ffbh_u32_e32 v6, v2
	v_min_u32_e32 v6, 32, v6
	v_lshrrev_b16_e32 v3, 3, v8
	v_subrev_u32_e32 v7, 28, v6
	v_and_b32_e32 v3, 15, v3
	v_lshlrev_b32_e32 v7, v7, v8
	v_sub_u32_e32 v6, 29, v6
	v_and_b32_e32 v7, 7, v7
	v_cmp_eq_u16_e32 vcc, 0, v3
	v_cndmask_b32_e32 v2, v2, v7, vcc
	v_cndmask_b32_e32 v3, v3, v6, vcc
	v_lshlrev_b32_e32 v6, 24, v8
	v_mov_b32_e32 v7, 0x3b800000
	v_lshlrev_b32_e32 v2, 20, v2
	v_and_b32_e32 v6, 0x80000000, v6
	v_lshl_add_u32 v3, v3, 23, v7
	v_or3_b32 v2, v6, v3, v2
.LBB12_580:
	s_or_b64 exec, exec, s[6:7]
	s_movk_i32 s4, 0x7f
	v_cmp_gt_i16_sdwa s[6:7], v4, s4 src0_sel:BYTE_0 src1_sel:DWORD
	s_mov_b64 s[4:5], 0
                                        ; implicit-def: $sgpr10
	s_and_saveexec_b64 s[8:9], s[6:7]
	s_xor_b64 s[6:7], exec, s[8:9]
	s_cbranch_execnz .LBB12_2629
; %bb.581:
	s_or_saveexec_b64 s[6:7], s[6:7]
	v_mov_b32_e32 v3, s10
	s_xor_b64 exec, exec, s[6:7]
	s_cbranch_execnz .LBB12_2632
.LBB12_582:
	s_or_b64 exec, exec, s[6:7]
	s_and_saveexec_b64 s[6:7], s[4:5]
	s_cbranch_execz .LBB12_584
.LBB12_583:
	v_and_b32_e32 v3, 7, v4
	v_ffbh_u32_e32 v7, v3
	v_min_u32_e32 v7, 32, v7
	v_lshrrev_b16_e32 v6, 3, v4
	v_subrev_u32_e32 v12, 28, v7
	v_and_b32_e32 v6, 15, v6
	v_lshlrev_b32_e32 v12, v12, v4
	v_sub_u32_e32 v7, 29, v7
	v_and_b32_e32 v12, 7, v12
	v_cmp_eq_u16_e32 vcc, 0, v6
	v_cndmask_b32_e32 v3, v3, v12, vcc
	v_cndmask_b32_e32 v6, v6, v7, vcc
	v_lshlrev_b32_e32 v7, 24, v4
	v_mov_b32_e32 v12, 0x3b800000
	v_lshlrev_b32_e32 v3, 20, v3
	v_and_b32_e32 v7, 0x80000000, v7
	v_lshl_add_u32 v6, v6, 23, v12
	v_or3_b32 v3, v7, v6, v3
.LBB12_584:
	s_or_b64 exec, exec, s[6:7]
	s_nop 0
	v_mfma_f32_16x16x4f32 a[0:3], v2, v3, a[0:3]
	v_lshrrev_b32_e32 v3, 8, v8
	s_movk_i32 s4, 0x7f
	v_cmp_gt_i16_sdwa s[6:7], v3, s4 src0_sel:BYTE_0 src1_sel:DWORD
	s_mov_b64 s[4:5], 0
                                        ; implicit-def: $sgpr10
	s_and_saveexec_b64 s[8:9], s[6:7]
	s_xor_b64 s[6:7], exec, s[8:9]
	s_cbranch_execnz .LBB12_2633
; %bb.585:
	s_or_saveexec_b64 s[6:7], s[6:7]
	v_mov_b32_e32 v2, s10
	s_xor_b64 exec, exec, s[6:7]
	s_cbranch_execnz .LBB12_2636
.LBB12_586:
	s_or_b64 exec, exec, s[6:7]
	s_and_saveexec_b64 s[6:7], s[4:5]
	s_cbranch_execz .LBB12_588
.LBB12_587:
	v_bfe_u32 v2, v8, 8, 3
	v_ffbh_u32_e32 v7, v2
	v_min_u32_e32 v7, 32, v7
	v_lshrrev_b16_e32 v6, 3, v3
	v_subrev_u32_e32 v12, 28, v7
	v_and_b32_e32 v6, 15, v6
	v_lshlrev_b32_e32 v3, v12, v3
	v_sub_u32_e32 v7, 29, v7
	v_and_b32_e32 v3, 7, v3
	v_cmp_eq_u16_e32 vcc, 0, v6
	v_cndmask_b32_e32 v2, v2, v3, vcc
	v_cndmask_b32_e32 v3, v6, v7, vcc
	v_lshlrev_b32_e32 v6, 16, v8
	v_mov_b32_e32 v7, 0x3b800000
	v_lshlrev_b32_e32 v2, 20, v2
	v_and_b32_e32 v6, 0x80000000, v6
	v_lshl_add_u32 v3, v3, 23, v7
	v_or3_b32 v2, v6, v3, v2
.LBB12_588:
	s_or_b64 exec, exec, s[6:7]
	v_lshrrev_b32_e32 v3, 8, v4
	s_movk_i32 s4, 0x7f
	v_cmp_gt_i16_sdwa s[6:7], v3, s4 src0_sel:BYTE_0 src1_sel:DWORD
	s_mov_b64 s[4:5], 0
                                        ; implicit-def: $sgpr10
	s_and_saveexec_b64 s[8:9], s[6:7]
	s_xor_b64 s[6:7], exec, s[8:9]
	s_cbranch_execnz .LBB12_2637
; %bb.589:
	s_or_saveexec_b64 s[6:7], s[6:7]
	v_mov_b32_e32 v6, s10
	s_xor_b64 exec, exec, s[6:7]
	s_cbranch_execnz .LBB12_2640
.LBB12_590:
	s_or_b64 exec, exec, s[6:7]
	s_and_saveexec_b64 s[6:7], s[4:5]
	s_cbranch_execz .LBB12_592
.LBB12_591:
	v_bfe_u32 v6, v4, 8, 3
	v_ffbh_u32_e32 v12, v6
	v_min_u32_e32 v12, 32, v12
	v_lshrrev_b16_e32 v7, 3, v3
	v_subrev_u32_e32 v13, 28, v12
	v_and_b32_e32 v7, 15, v7
	v_lshlrev_b32_e32 v3, v13, v3
	v_sub_u32_e32 v12, 29, v12
	v_and_b32_e32 v3, 7, v3
	v_cmp_eq_u16_e32 vcc, 0, v7
	v_cndmask_b32_e32 v3, v6, v3, vcc
	v_cndmask_b32_e32 v6, v7, v12, vcc
	v_lshlrev_b32_e32 v7, 16, v4
	v_mov_b32_e32 v12, 0x3b800000
	v_lshlrev_b32_e32 v3, 20, v3
	v_and_b32_e32 v7, 0x80000000, v7
	v_lshl_add_u32 v6, v6, 23, v12
	v_or3_b32 v6, v7, v6, v3
.LBB12_592:
	s_or_b64 exec, exec, s[6:7]
	s_nop 0
	v_mfma_f32_16x16x4f32 a[0:3], v2, v6, a[0:3]
	s_movk_i32 s4, 0xff
	v_and_b32_sdwa v3, v8, s4 dst_sel:DWORD dst_unused:UNUSED_PAD src0_sel:WORD_1 src1_sel:DWORD
	s_movk_i32 s4, 0x7f
	v_cmp_lt_i16_e32 vcc, s4, v3
	s_mov_b64 s[4:5], 0
                                        ; implicit-def: $sgpr10
	s_and_saveexec_b64 s[6:7], vcc
	s_xor_b64 s[6:7], exec, s[6:7]
	s_cbranch_execnz .LBB12_2641
; %bb.593:
	s_or_saveexec_b64 s[6:7], s[6:7]
	v_mov_b32_e32 v2, s10
	s_xor_b64 exec, exec, s[6:7]
	s_cbranch_execnz .LBB12_2644
.LBB12_594:
	s_or_b64 exec, exec, s[6:7]
	s_and_saveexec_b64 s[6:7], s[4:5]
	s_cbranch_execz .LBB12_596
.LBB12_595:
	v_bfe_u32 v2, v8, 16, 3
	v_ffbh_u32_e32 v7, v2
	v_min_u32_e32 v7, 32, v7
	v_lshrrev_b32_e32 v3, 19, v8
	v_subrev_u32_e32 v12, 28, v7
	v_and_b32_e32 v3, 15, v3
	v_lshlrev_b32_sdwa v12, v12, v8 dst_sel:DWORD dst_unused:UNUSED_PAD src0_sel:DWORD src1_sel:WORD_1
	v_bfe_u32 v6, v8, 19, 4
	v_sub_u32_e32 v7, 29, v7
	v_and_b32_e32 v12, 7, v12
	v_cmp_eq_u16_e32 vcc, 0, v3
	v_cndmask_b32_e32 v2, v2, v12, vcc
	v_cndmask_b32_e32 v3, v6, v7, vcc
	v_lshlrev_b32_e32 v6, 8, v8
	v_mov_b32_e32 v7, 0x3b800000
	v_lshlrev_b32_e32 v2, 20, v2
	v_and_b32_e32 v6, 0x80000000, v6
	v_lshl_add_u32 v3, v3, 23, v7
	v_or3_b32 v2, v6, v3, v2
.LBB12_596:
	s_or_b64 exec, exec, s[6:7]
	s_movk_i32 s4, 0xff
	v_and_b32_sdwa v3, v4, s4 dst_sel:DWORD dst_unused:UNUSED_PAD src0_sel:WORD_1 src1_sel:DWORD
	s_movk_i32 s4, 0x7f
	v_cmp_lt_i16_e32 vcc, s4, v3
	s_mov_b64 s[4:5], 0
                                        ; implicit-def: $sgpr10
	s_and_saveexec_b64 s[6:7], vcc
	s_xor_b64 s[6:7], exec, s[6:7]
	s_cbranch_execnz .LBB12_2645
; %bb.597:
	s_or_saveexec_b64 s[6:7], s[6:7]
	v_mov_b32_e32 v6, s10
	s_xor_b64 exec, exec, s[6:7]
	s_cbranch_execnz .LBB12_2648
.LBB12_598:
	s_or_b64 exec, exec, s[6:7]
	s_and_saveexec_b64 s[6:7], s[4:5]
	s_cbranch_execz .LBB12_600
.LBB12_599:
	v_bfe_u32 v3, v4, 16, 3
	v_ffbh_u32_e32 v12, v3
	v_min_u32_e32 v12, 32, v12
	v_lshrrev_b32_e32 v6, 19, v4
	v_subrev_u32_e32 v13, 28, v12
	v_and_b32_e32 v6, 15, v6
	v_lshlrev_b32_sdwa v13, v13, v4 dst_sel:DWORD dst_unused:UNUSED_PAD src0_sel:DWORD src1_sel:WORD_1
	v_bfe_u32 v7, v4, 19, 4
	v_sub_u32_e32 v12, 29, v12
	v_and_b32_e32 v13, 7, v13
	v_cmp_eq_u16_e32 vcc, 0, v6
	v_cndmask_b32_e32 v3, v3, v13, vcc
	v_cndmask_b32_e32 v6, v7, v12, vcc
	v_lshlrev_b32_e32 v7, 8, v4
	v_mov_b32_e32 v12, 0x3b800000
	v_lshlrev_b32_e32 v3, 20, v3
	v_and_b32_e32 v7, 0x80000000, v7
	v_lshl_add_u32 v6, v6, 23, v12
	v_or3_b32 v6, v7, v6, v3
.LBB12_600:
	s_or_b64 exec, exec, s[6:7]
	s_nop 0
	v_mfma_f32_16x16x4f32 a[0:3], v2, v6, a[0:3]
	s_movk_i32 s4, 0x7f
	v_cmp_gt_i16_sdwa s[6:7], v8, s4 src0_sel:BYTE_3 src1_sel:DWORD
	s_mov_b64 s[4:5], 0
                                        ; implicit-def: $sgpr10
	s_and_saveexec_b64 s[8:9], s[6:7]
	s_xor_b64 s[6:7], exec, s[8:9]
	s_cbranch_execnz .LBB12_2649
; %bb.601:
	s_or_saveexec_b64 s[6:7], s[6:7]
	v_mov_b32_e32 v2, s10
	s_xor_b64 exec, exec, s[6:7]
	s_cbranch_execnz .LBB12_2652
.LBB12_602:
	s_or_b64 exec, exec, s[6:7]
	s_and_saveexec_b64 s[6:7], s[4:5]
	s_cbranch_execz .LBB12_604
.LBB12_603:
	v_bfe_u32 v2, v8, 24, 3
	v_ffbh_u32_e32 v12, v2
	v_min_u32_e32 v12, 32, v12
	v_lshrrev_b32_e32 v6, 27, v8
	v_subrev_u32_e32 v13, 28, v12
	v_and_b32_e32 v3, 0x80000000, v8
	v_and_b32_e32 v6, 15, v6
	v_bfe_u32 v7, v8, 27, 4
	v_lshlrev_b32_sdwa v8, v13, v8 dst_sel:DWORD dst_unused:UNUSED_PAD src0_sel:DWORD src1_sel:BYTE_3
	v_sub_u32_e32 v12, 29, v12
	v_and_b32_e32 v8, 7, v8
	v_cmp_eq_u16_e32 vcc, 0, v6
	v_cndmask_b32_e32 v2, v2, v8, vcc
	v_cndmask_b32_e32 v6, v7, v12, vcc
	v_mov_b32_e32 v7, 0x3b800000
	v_lshlrev_b32_e32 v2, 20, v2
	v_lshl_add_u32 v6, v6, 23, v7
	v_or3_b32 v2, v3, v6, v2
.LBB12_604:
	s_or_b64 exec, exec, s[6:7]
	s_movk_i32 s4, 0x7f
	v_cmp_gt_i16_sdwa s[6:7], v4, s4 src0_sel:BYTE_3 src1_sel:DWORD
	s_mov_b64 s[4:5], 0
                                        ; implicit-def: $sgpr10
	s_and_saveexec_b64 s[8:9], s[6:7]
	s_xor_b64 s[6:7], exec, s[8:9]
	s_cbranch_execnz .LBB12_2653
; %bb.605:
	s_or_saveexec_b64 s[6:7], s[6:7]
	v_mov_b32_e32 v3, s10
	s_xor_b64 exec, exec, s[6:7]
	s_cbranch_execnz .LBB12_2656
.LBB12_606:
	s_or_b64 exec, exec, s[6:7]
	s_and_saveexec_b64 s[6:7], s[4:5]
	s_cbranch_execz .LBB12_608
.LBB12_607:
	v_bfe_u32 v3, v4, 24, 3
	v_ffbh_u32_e32 v12, v3
	v_min_u32_e32 v12, 32, v12
	v_lshrrev_b32_e32 v7, 27, v4
	v_subrev_u32_e32 v13, 28, v12
	v_and_b32_e32 v6, 0x80000000, v4
	v_and_b32_e32 v7, 15, v7
	v_bfe_u32 v8, v4, 27, 4
	v_lshlrev_b32_sdwa v4, v13, v4 dst_sel:DWORD dst_unused:UNUSED_PAD src0_sel:DWORD src1_sel:BYTE_3
	v_sub_u32_e32 v12, 29, v12
	v_and_b32_e32 v4, 7, v4
	v_cmp_eq_u16_e32 vcc, 0, v7
	v_cndmask_b32_e32 v3, v3, v4, vcc
	v_cndmask_b32_e32 v4, v8, v12, vcc
	v_mov_b32_e32 v7, 0x3b800000
	v_lshlrev_b32_e32 v3, 20, v3
	v_lshl_add_u32 v4, v4, 23, v7
	v_or3_b32 v3, v6, v4, v3
.LBB12_608:
	s_or_b64 exec, exec, s[6:7]
	s_nop 0
	v_mfma_f32_16x16x4f32 a[0:3], v2, v3, a[0:3]
	s_movk_i32 s4, 0x7f
	v_cmp_gt_i16_sdwa s[6:7], v9, s4 src0_sel:BYTE_0 src1_sel:DWORD
	s_mov_b64 s[4:5], 0
                                        ; implicit-def: $sgpr10
	s_and_saveexec_b64 s[8:9], s[6:7]
	s_xor_b64 s[6:7], exec, s[8:9]
	s_cbranch_execnz .LBB12_2657
; %bb.609:
	s_or_saveexec_b64 s[6:7], s[6:7]
	v_mov_b32_e32 v2, s10
	s_xor_b64 exec, exec, s[6:7]
	s_cbranch_execnz .LBB12_2660
.LBB12_610:
	s_or_b64 exec, exec, s[6:7]
	s_and_saveexec_b64 s[6:7], s[4:5]
	s_cbranch_execz .LBB12_612
.LBB12_611:
	v_mov_b32_e32 v2, 8
	v_and_b32_e32 v3, 7, v9
	v_lshrrev_b32_sdwa v2, v2, v9 dst_sel:BYTE_1 dst_unused:UNUSED_PAD src0_sel:DWORD src1_sel:DWORD
	v_ffbh_u32_e32 v4, v3
	v_or_b32_sdwa v2, v9, v2 dst_sel:DWORD dst_unused:UNUSED_PAD src0_sel:BYTE_0 src1_sel:DWORD
	v_min_u32_e32 v4, 32, v4
	v_lshrrev_b16_e32 v2, 3, v2
	v_subrev_u32_e32 v6, 28, v4
	v_and_b32_e32 v2, 15, v2
	v_lshlrev_b32_e32 v6, v6, v9
	v_sub_u32_e32 v4, 29, v4
	v_and_b32_e32 v6, 7, v6
	v_cmp_eq_u16_e32 vcc, 0, v2
	v_cndmask_b32_e32 v3, v3, v6, vcc
	v_cndmask_b32_e32 v2, v2, v4, vcc
	v_lshlrev_b32_e32 v4, 24, v9
	v_mov_b32_e32 v6, 0x3b800000
	v_lshlrev_b32_e32 v3, 20, v3
	v_and_b32_e32 v4, 0x80000000, v4
	v_lshl_add_u32 v2, v2, 23, v6
	v_or3_b32 v2, v4, v2, v3
.LBB12_612:
	s_or_b64 exec, exec, s[6:7]
	s_movk_i32 s4, 0x7f
	v_cmp_gt_i16_sdwa s[6:7], v5, s4 src0_sel:BYTE_0 src1_sel:DWORD
	s_mov_b64 s[4:5], 0
                                        ; implicit-def: $sgpr10
	s_and_saveexec_b64 s[8:9], s[6:7]
	s_xor_b64 s[6:7], exec, s[8:9]
	s_cbranch_execnz .LBB12_2661
; %bb.613:
	s_or_saveexec_b64 s[6:7], s[6:7]
	v_mov_b32_e32 v3, s10
	s_xor_b64 exec, exec, s[6:7]
	s_cbranch_execnz .LBB12_2664
.LBB12_614:
	s_or_b64 exec, exec, s[6:7]
	s_and_saveexec_b64 s[6:7], s[4:5]
	s_cbranch_execz .LBB12_616
.LBB12_615:
	v_mov_b32_e32 v3, 8
	v_and_b32_e32 v4, 7, v5
	v_lshrrev_b32_sdwa v3, v3, v5 dst_sel:BYTE_1 dst_unused:UNUSED_PAD src0_sel:DWORD src1_sel:DWORD
	v_ffbh_u32_e32 v6, v4
	v_or_b32_sdwa v3, v5, v3 dst_sel:DWORD dst_unused:UNUSED_PAD src0_sel:BYTE_0 src1_sel:DWORD
	v_min_u32_e32 v6, 32, v6
	v_lshrrev_b16_e32 v3, 3, v3
	v_subrev_u32_e32 v7, 28, v6
	v_and_b32_e32 v3, 15, v3
	v_lshlrev_b32_e32 v7, v7, v5
	v_sub_u32_e32 v6, 29, v6
	v_and_b32_e32 v7, 7, v7
	v_cmp_eq_u16_e32 vcc, 0, v3
	v_cndmask_b32_e32 v4, v4, v7, vcc
	v_cndmask_b32_e32 v3, v3, v6, vcc
	v_lshlrev_b32_e32 v6, 24, v5
	v_mov_b32_e32 v7, 0x3b800000
	v_lshlrev_b32_e32 v4, 20, v4
	v_and_b32_e32 v6, 0x80000000, v6
	v_lshl_add_u32 v3, v3, 23, v7
	v_or3_b32 v3, v6, v3, v4
.LBB12_616:
	s_or_b64 exec, exec, s[6:7]
	s_nop 0
	v_mfma_f32_16x16x4f32 a[0:3], v2, v3, a[0:3]
	v_lshrrev_b32_e32 v3, 8, v9
	s_movk_i32 s4, 0x7f
	v_cmp_gt_i16_sdwa s[6:7], v3, s4 src0_sel:BYTE_0 src1_sel:DWORD
	s_mov_b64 s[4:5], 0
                                        ; implicit-def: $sgpr10
	s_and_saveexec_b64 s[8:9], s[6:7]
	s_xor_b64 s[6:7], exec, s[8:9]
	s_cbranch_execnz .LBB12_2665
; %bb.617:
	s_or_saveexec_b64 s[6:7], s[6:7]
	v_mov_b32_e32 v2, s10
	s_xor_b64 exec, exec, s[6:7]
	s_cbranch_execnz .LBB12_2668
.LBB12_618:
	s_or_b64 exec, exec, s[6:7]
	s_and_saveexec_b64 s[6:7], s[4:5]
	s_cbranch_execz .LBB12_620
.LBB12_619:
	v_bfe_u32 v2, v9, 8, 3
	v_ffbh_u32_e32 v6, v2
	v_min_u32_e32 v6, 32, v6
	v_lshrrev_b16_e32 v4, 3, v3
	v_subrev_u32_e32 v7, 28, v6
	v_and_b32_e32 v4, 15, v4
	v_lshlrev_b32_e32 v3, v7, v3
	v_sub_u32_e32 v6, 29, v6
	v_and_b32_e32 v3, 7, v3
	v_cmp_eq_u16_e32 vcc, 0, v4
	v_cndmask_b32_e32 v2, v2, v3, vcc
	v_cndmask_b32_e32 v3, v4, v6, vcc
	v_lshlrev_b32_e32 v4, 16, v9
	v_mov_b32_e32 v6, 0x3b800000
	v_lshlrev_b32_e32 v2, 20, v2
	v_and_b32_e32 v4, 0x80000000, v4
	v_lshl_add_u32 v3, v3, 23, v6
	v_or3_b32 v2, v4, v3, v2
.LBB12_620:
	s_or_b64 exec, exec, s[6:7]
	v_lshrrev_b32_e32 v3, 8, v5
	s_movk_i32 s4, 0x7f
	v_cmp_gt_i16_sdwa s[6:7], v3, s4 src0_sel:BYTE_0 src1_sel:DWORD
	s_mov_b64 s[4:5], 0
                                        ; implicit-def: $sgpr10
	s_and_saveexec_b64 s[8:9], s[6:7]
	s_xor_b64 s[6:7], exec, s[8:9]
	s_cbranch_execnz .LBB12_2669
; %bb.621:
	s_or_saveexec_b64 s[6:7], s[6:7]
	v_mov_b32_e32 v4, s10
	s_xor_b64 exec, exec, s[6:7]
	s_cbranch_execnz .LBB12_2672
.LBB12_622:
	s_or_b64 exec, exec, s[6:7]
	s_and_saveexec_b64 s[6:7], s[4:5]
	s_cbranch_execz .LBB12_624
.LBB12_623:
	v_bfe_u32 v4, v5, 8, 3
	v_ffbh_u32_e32 v7, v4
	v_min_u32_e32 v7, 32, v7
	v_lshrrev_b16_e32 v6, 3, v3
	v_subrev_u32_e32 v8, 28, v7
	v_and_b32_e32 v6, 15, v6
	v_lshlrev_b32_e32 v3, v8, v3
	v_sub_u32_e32 v7, 29, v7
	v_and_b32_e32 v3, 7, v3
	v_cmp_eq_u16_e32 vcc, 0, v6
	v_cndmask_b32_e32 v3, v4, v3, vcc
	v_cndmask_b32_e32 v4, v6, v7, vcc
	v_lshlrev_b32_e32 v6, 16, v5
	v_mov_b32_e32 v7, 0x3b800000
	v_lshlrev_b32_e32 v3, 20, v3
	v_and_b32_e32 v6, 0x80000000, v6
	v_lshl_add_u32 v4, v4, 23, v7
	v_or3_b32 v4, v6, v4, v3
.LBB12_624:
	s_or_b64 exec, exec, s[6:7]
	s_nop 0
	v_mfma_f32_16x16x4f32 a[0:3], v2, v4, a[0:3]
	s_movk_i32 s4, 0xff
	v_and_b32_sdwa v3, v9, s4 dst_sel:DWORD dst_unused:UNUSED_PAD src0_sel:WORD_1 src1_sel:DWORD
	s_movk_i32 s4, 0x7f
	v_cmp_lt_i16_e32 vcc, s4, v3
	s_mov_b64 s[4:5], 0
                                        ; implicit-def: $sgpr10
	s_and_saveexec_b64 s[6:7], vcc
	s_xor_b64 s[6:7], exec, s[6:7]
	s_cbranch_execnz .LBB12_2673
; %bb.625:
	s_or_saveexec_b64 s[6:7], s[6:7]
	v_mov_b32_e32 v2, s10
	s_xor_b64 exec, exec, s[6:7]
	s_cbranch_execnz .LBB12_2676
.LBB12_626:
	s_or_b64 exec, exec, s[6:7]
	s_and_saveexec_b64 s[6:7], s[4:5]
	s_cbranch_execz .LBB12_628
.LBB12_627:
	v_bfe_u32 v2, v9, 16, 3
	v_ffbh_u32_e32 v6, v2
	v_min_u32_e32 v6, 32, v6
	v_lshrrev_b32_e32 v3, 19, v9
	v_subrev_u32_e32 v7, 28, v6
	v_and_b32_e32 v3, 15, v3
	v_lshlrev_b32_sdwa v7, v7, v9 dst_sel:DWORD dst_unused:UNUSED_PAD src0_sel:DWORD src1_sel:WORD_1
	v_bfe_u32 v4, v9, 19, 4
	v_sub_u32_e32 v6, 29, v6
	v_and_b32_e32 v7, 7, v7
	v_cmp_eq_u16_e32 vcc, 0, v3
	v_cndmask_b32_e32 v2, v2, v7, vcc
	v_cndmask_b32_e32 v3, v4, v6, vcc
	v_lshlrev_b32_e32 v4, 8, v9
	v_mov_b32_e32 v6, 0x3b800000
	v_lshlrev_b32_e32 v2, 20, v2
	v_and_b32_e32 v4, 0x80000000, v4
	v_lshl_add_u32 v3, v3, 23, v6
	v_or3_b32 v2, v4, v3, v2
.LBB12_628:
	s_or_b64 exec, exec, s[6:7]
	s_movk_i32 s4, 0xff
	v_and_b32_sdwa v3, v5, s4 dst_sel:DWORD dst_unused:UNUSED_PAD src0_sel:WORD_1 src1_sel:DWORD
	s_movk_i32 s4, 0x7f
	v_cmp_lt_i16_e32 vcc, s4, v3
	s_mov_b64 s[4:5], 0
                                        ; implicit-def: $sgpr10
	s_and_saveexec_b64 s[6:7], vcc
	s_xor_b64 s[6:7], exec, s[6:7]
	s_cbranch_execnz .LBB12_2677
; %bb.629:
	s_or_saveexec_b64 s[6:7], s[6:7]
	v_mov_b32_e32 v4, s10
	s_xor_b64 exec, exec, s[6:7]
	s_cbranch_execnz .LBB12_2680
.LBB12_630:
	s_or_b64 exec, exec, s[6:7]
	s_and_saveexec_b64 s[6:7], s[4:5]
	s_cbranch_execz .LBB12_632
.LBB12_631:
	v_bfe_u32 v3, v5, 16, 3
	v_ffbh_u32_e32 v7, v3
	v_min_u32_e32 v7, 32, v7
	v_lshrrev_b32_e32 v4, 19, v5
	v_subrev_u32_e32 v8, 28, v7
	v_and_b32_e32 v4, 15, v4
	v_lshlrev_b32_sdwa v8, v8, v5 dst_sel:DWORD dst_unused:UNUSED_PAD src0_sel:DWORD src1_sel:WORD_1
	v_bfe_u32 v6, v5, 19, 4
	v_sub_u32_e32 v7, 29, v7
	v_and_b32_e32 v8, 7, v8
	v_cmp_eq_u16_e32 vcc, 0, v4
	v_cndmask_b32_e32 v3, v3, v8, vcc
	v_cndmask_b32_e32 v4, v6, v7, vcc
	v_lshlrev_b32_e32 v6, 8, v5
	v_mov_b32_e32 v7, 0x3b800000
	v_lshlrev_b32_e32 v3, 20, v3
	v_and_b32_e32 v6, 0x80000000, v6
	v_lshl_add_u32 v4, v4, 23, v7
	v_or3_b32 v4, v6, v4, v3
.LBB12_632:
	s_or_b64 exec, exec, s[6:7]
	s_nop 0
	v_mfma_f32_16x16x4f32 a[0:3], v2, v4, a[0:3]
	s_movk_i32 s4, 0x7f
	v_cmp_gt_i16_sdwa s[6:7], v9, s4 src0_sel:BYTE_3 src1_sel:DWORD
	s_mov_b64 s[4:5], 0
                                        ; implicit-def: $sgpr10
	s_and_saveexec_b64 s[8:9], s[6:7]
	s_xor_b64 s[6:7], exec, s[8:9]
	s_cbranch_execnz .LBB12_2681
; %bb.633:
	s_or_saveexec_b64 s[6:7], s[6:7]
	v_mov_b32_e32 v2, s10
	s_xor_b64 exec, exec, s[6:7]
	s_cbranch_execnz .LBB12_2684
.LBB12_634:
	s_or_b64 exec, exec, s[6:7]
	s_and_saveexec_b64 s[6:7], s[4:5]
	s_cbranch_execz .LBB12_636
.LBB12_635:
	v_bfe_u32 v2, v9, 24, 3
	v_ffbh_u32_e32 v7, v2
	v_min_u32_e32 v7, 32, v7
	v_lshrrev_b32_e32 v4, 27, v9
	v_subrev_u32_e32 v8, 28, v7
	v_and_b32_e32 v4, 15, v4
	v_lshlrev_b32_sdwa v8, v8, v9 dst_sel:DWORD dst_unused:UNUSED_PAD src0_sel:DWORD src1_sel:BYTE_3
	v_bfe_u32 v6, v9, 27, 4
	v_sub_u32_e32 v7, 29, v7
	v_and_b32_e32 v8, 7, v8
	v_cmp_eq_u16_e32 vcc, 0, v4
	v_cndmask_b32_e32 v2, v2, v8, vcc
	v_cndmask_b32_e32 v4, v6, v7, vcc
	v_mov_b32_e32 v6, 0x3b800000
	v_and_b32_e32 v3, 0x80000000, v9
	v_lshlrev_b32_e32 v2, 20, v2
	v_lshl_add_u32 v4, v4, 23, v6
	v_or3_b32 v2, v3, v4, v2
.LBB12_636:
	s_or_b64 exec, exec, s[6:7]
	s_movk_i32 s4, 0x7f
	v_cmp_gt_i16_sdwa s[6:7], v5, s4 src0_sel:BYTE_3 src1_sel:DWORD
	s_mov_b64 s[4:5], 0
                                        ; implicit-def: $sgpr10
	s_and_saveexec_b64 s[8:9], s[6:7]
	s_xor_b64 s[6:7], exec, s[8:9]
	s_cbranch_execnz .LBB12_2685
; %bb.637:
	s_or_saveexec_b64 s[6:7], s[6:7]
	v_mov_b32_e32 v3, s10
	s_xor_b64 exec, exec, s[6:7]
	s_cbranch_execnz .LBB12_2688
.LBB12_638:
	s_or_b64 exec, exec, s[6:7]
	s_and_saveexec_b64 s[6:7], s[4:5]
	s_cbranch_execz .LBB12_640
.LBB12_639:
	v_bfe_u32 v3, v5, 24, 3
	v_ffbh_u32_e32 v8, v3
	v_min_u32_e32 v8, 32, v8
	v_lshrrev_b32_e32 v6, 27, v5
	v_subrev_u32_e32 v9, 28, v8
	v_and_b32_e32 v4, 0x80000000, v5
	v_and_b32_e32 v6, 15, v6
	v_bfe_u32 v7, v5, 27, 4
	v_lshlrev_b32_sdwa v5, v9, v5 dst_sel:DWORD dst_unused:UNUSED_PAD src0_sel:DWORD src1_sel:BYTE_3
	v_sub_u32_e32 v8, 29, v8
	v_and_b32_e32 v5, 7, v5
	v_cmp_eq_u16_e32 vcc, 0, v6
	v_cndmask_b32_e32 v3, v3, v5, vcc
	v_cndmask_b32_e32 v5, v7, v8, vcc
	v_mov_b32_e32 v6, 0x3b800000
	v_lshlrev_b32_e32 v3, 20, v3
	v_lshl_add_u32 v5, v5, 23, v6
	v_or3_b32 v3, v4, v5, v3
.LBB12_640:
	s_or_b64 exec, exec, s[6:7]
	s_nop 0
	v_mfma_f32_16x16x4f32 a[0:3], v2, v3, a[0:3]
	s_movk_i32 s4, 0x7f
                                        ; implicit-def: $sgpr10
	s_nop 7
	s_nop 1
	flat_store_dwordx4 v[10:11], a[0:3] offset:64
	flat_load_dwordx4 v[12:15], v[0:1] offset:8
	s_nop 0
	flat_load_dwordx2 v[10:11], v[0:1] offset:32
	s_waitcnt vmcnt(0) lgkmcnt(0)
	flat_load_dwordx4 v[6:9], v[12:13] offset:32
	flat_load_dwordx4 v[2:5], v[14:15] offset:32
	s_waitcnt vmcnt(0) lgkmcnt(0)
	v_cmp_gt_i16_sdwa s[6:7], v6, s4 src0_sel:BYTE_0 src1_sel:DWORD
	s_mov_b64 s[4:5], 0
	s_and_saveexec_b64 s[8:9], s[6:7]
	s_xor_b64 s[6:7], exec, s[8:9]
	s_cbranch_execnz .LBB12_2689
; %bb.641:
	s_or_saveexec_b64 s[6:7], s[6:7]
	v_mov_b32_e32 v12, s10
	s_xor_b64 exec, exec, s[6:7]
	s_cbranch_execnz .LBB12_2692
.LBB12_642:
	s_or_b64 exec, exec, s[6:7]
	s_and_saveexec_b64 s[6:7], s[4:5]
	s_cbranch_execz .LBB12_644
.LBB12_643:
	v_and_b32_e32 v12, 7, v6
	v_ffbh_u32_e32 v14, v12
	v_min_u32_e32 v14, 32, v14
	v_lshrrev_b16_e32 v13, 3, v6
	v_subrev_u32_e32 v15, 28, v14
	v_and_b32_e32 v13, 15, v13
	v_lshlrev_b32_e32 v15, v15, v6
	v_sub_u32_e32 v14, 29, v14
	v_and_b32_e32 v15, 7, v15
	v_cmp_eq_u16_e32 vcc, 0, v13
	v_cndmask_b32_e32 v12, v12, v15, vcc
	v_cndmask_b32_e32 v13, v13, v14, vcc
	v_lshlrev_b32_e32 v14, 24, v6
	v_mov_b32_e32 v15, 0x3b800000
	v_lshlrev_b32_e32 v12, 20, v12
	v_and_b32_e32 v14, 0x80000000, v14
	v_lshl_add_u32 v13, v13, 23, v15
	v_or3_b32 v12, v14, v13, v12
.LBB12_644:
	s_or_b64 exec, exec, s[6:7]
	s_movk_i32 s4, 0x7f
	v_cmp_gt_i16_sdwa s[6:7], v2, s4 src0_sel:BYTE_0 src1_sel:DWORD
	s_mov_b64 s[4:5], 0
                                        ; implicit-def: $sgpr10
	s_and_saveexec_b64 s[8:9], s[6:7]
	s_xor_b64 s[6:7], exec, s[8:9]
	s_cbranch_execnz .LBB12_2693
; %bb.645:
	s_or_saveexec_b64 s[6:7], s[6:7]
	v_mov_b32_e32 v13, s10
	s_xor_b64 exec, exec, s[6:7]
	s_cbranch_execnz .LBB12_2696
.LBB12_646:
	s_or_b64 exec, exec, s[6:7]
	s_and_saveexec_b64 s[6:7], s[4:5]
	s_cbranch_execz .LBB12_648
.LBB12_647:
	v_and_b32_e32 v13, 7, v2
	v_ffbh_u32_e32 v15, v13
	v_min_u32_e32 v15, 32, v15
	v_lshrrev_b16_e32 v14, 3, v2
	v_subrev_u32_e32 v16, 28, v15
	v_and_b32_e32 v14, 15, v14
	v_lshlrev_b32_e32 v16, v16, v2
	v_sub_u32_e32 v15, 29, v15
	v_and_b32_e32 v16, 7, v16
	v_cmp_eq_u16_e32 vcc, 0, v14
	v_cndmask_b32_e32 v13, v13, v16, vcc
	v_cndmask_b32_e32 v14, v14, v15, vcc
	v_lshlrev_b32_e32 v15, 24, v2
	v_mov_b32_e32 v16, 0x3b800000
	v_lshlrev_b32_e32 v13, 20, v13
	v_and_b32_e32 v15, 0x80000000, v15
	v_lshl_add_u32 v14, v14, 23, v16
	v_or3_b32 v13, v15, v14, v13
.LBB12_648:
	s_or_b64 exec, exec, s[6:7]
	flat_load_dwordx4 a[0:3], v[10:11] offset:80
	s_movk_i32 s4, 0x7f
                                        ; implicit-def: $sgpr10
	s_waitcnt vmcnt(0) lgkmcnt(0)
	v_mfma_f32_16x16x4f32 a[0:3], v12, v13, a[0:3]
	v_lshrrev_b32_e32 v13, 8, v6
	v_cmp_gt_i16_sdwa s[6:7], v13, s4 src0_sel:BYTE_0 src1_sel:DWORD
	s_mov_b64 s[4:5], 0
	s_and_saveexec_b64 s[8:9], s[6:7]
	s_xor_b64 s[6:7], exec, s[8:9]
	s_cbranch_execnz .LBB12_2697
; %bb.649:
	s_or_saveexec_b64 s[6:7], s[6:7]
	v_mov_b32_e32 v12, s10
	s_xor_b64 exec, exec, s[6:7]
	s_cbranch_execnz .LBB12_2700
.LBB12_650:
	s_or_b64 exec, exec, s[6:7]
	s_and_saveexec_b64 s[6:7], s[4:5]
	s_cbranch_execz .LBB12_652
.LBB12_651:
	v_bfe_u32 v12, v6, 8, 3
	v_ffbh_u32_e32 v15, v12
	v_min_u32_e32 v15, 32, v15
	v_lshrrev_b16_e32 v14, 3, v13
	v_subrev_u32_e32 v16, 28, v15
	v_and_b32_e32 v14, 15, v14
	v_lshlrev_b32_e32 v13, v16, v13
	v_sub_u32_e32 v15, 29, v15
	v_and_b32_e32 v13, 7, v13
	v_cmp_eq_u16_e32 vcc, 0, v14
	v_cndmask_b32_e32 v12, v12, v13, vcc
	v_cndmask_b32_e32 v13, v14, v15, vcc
	v_lshlrev_b32_e32 v14, 16, v6
	v_mov_b32_e32 v15, 0x3b800000
	v_lshlrev_b32_e32 v12, 20, v12
	v_and_b32_e32 v14, 0x80000000, v14
	v_lshl_add_u32 v13, v13, 23, v15
	v_or3_b32 v12, v14, v13, v12
.LBB12_652:
	s_or_b64 exec, exec, s[6:7]
	v_lshrrev_b32_e32 v13, 8, v2
	s_movk_i32 s4, 0x7f
	v_cmp_gt_i16_sdwa s[6:7], v13, s4 src0_sel:BYTE_0 src1_sel:DWORD
	s_mov_b64 s[4:5], 0
                                        ; implicit-def: $sgpr10
	s_and_saveexec_b64 s[8:9], s[6:7]
	s_xor_b64 s[6:7], exec, s[8:9]
	s_cbranch_execnz .LBB12_2701
; %bb.653:
	s_or_saveexec_b64 s[6:7], s[6:7]
	v_mov_b32_e32 v14, s10
	s_xor_b64 exec, exec, s[6:7]
	s_cbranch_execnz .LBB12_2704
.LBB12_654:
	s_or_b64 exec, exec, s[6:7]
	s_and_saveexec_b64 s[6:7], s[4:5]
	s_cbranch_execz .LBB12_656
.LBB12_655:
	v_bfe_u32 v14, v2, 8, 3
	v_ffbh_u32_e32 v16, v14
	v_min_u32_e32 v16, 32, v16
	v_lshrrev_b16_e32 v15, 3, v13
	v_subrev_u32_e32 v17, 28, v16
	v_and_b32_e32 v15, 15, v15
	v_lshlrev_b32_e32 v13, v17, v13
	v_sub_u32_e32 v16, 29, v16
	v_and_b32_e32 v13, 7, v13
	v_cmp_eq_u16_e32 vcc, 0, v15
	v_cndmask_b32_e32 v13, v14, v13, vcc
	v_cndmask_b32_e32 v14, v15, v16, vcc
	v_lshlrev_b32_e32 v15, 16, v2
	v_mov_b32_e32 v16, 0x3b800000
	v_lshlrev_b32_e32 v13, 20, v13
	v_and_b32_e32 v15, 0x80000000, v15
	v_lshl_add_u32 v14, v14, 23, v16
	v_or3_b32 v14, v15, v14, v13
.LBB12_656:
	s_or_b64 exec, exec, s[6:7]
	s_nop 0
	v_mfma_f32_16x16x4f32 a[0:3], v12, v14, a[0:3]
	s_movk_i32 s4, 0xff
	v_and_b32_sdwa v13, v6, s4 dst_sel:DWORD dst_unused:UNUSED_PAD src0_sel:WORD_1 src1_sel:DWORD
	s_movk_i32 s4, 0x7f
	v_cmp_lt_i16_e32 vcc, s4, v13
	s_mov_b64 s[4:5], 0
                                        ; implicit-def: $sgpr10
	s_and_saveexec_b64 s[6:7], vcc
	s_xor_b64 s[6:7], exec, s[6:7]
	s_cbranch_execnz .LBB12_2705
; %bb.657:
	s_or_saveexec_b64 s[6:7], s[6:7]
	v_mov_b32_e32 v12, s10
	s_xor_b64 exec, exec, s[6:7]
	s_cbranch_execnz .LBB12_2708
.LBB12_658:
	s_or_b64 exec, exec, s[6:7]
	s_and_saveexec_b64 s[6:7], s[4:5]
	s_cbranch_execz .LBB12_660
.LBB12_659:
	v_bfe_u32 v12, v6, 16, 3
	v_ffbh_u32_e32 v15, v12
	v_min_u32_e32 v15, 32, v15
	v_lshrrev_b32_e32 v13, 19, v6
	v_subrev_u32_e32 v16, 28, v15
	v_and_b32_e32 v13, 15, v13
	v_lshlrev_b32_sdwa v16, v16, v6 dst_sel:DWORD dst_unused:UNUSED_PAD src0_sel:DWORD src1_sel:WORD_1
	v_bfe_u32 v14, v6, 19, 4
	v_sub_u32_e32 v15, 29, v15
	v_and_b32_e32 v16, 7, v16
	v_cmp_eq_u16_e32 vcc, 0, v13
	v_cndmask_b32_e32 v12, v12, v16, vcc
	v_cndmask_b32_e32 v13, v14, v15, vcc
	v_lshlrev_b32_e32 v14, 8, v6
	v_mov_b32_e32 v15, 0x3b800000
	v_lshlrev_b32_e32 v12, 20, v12
	v_and_b32_e32 v14, 0x80000000, v14
	v_lshl_add_u32 v13, v13, 23, v15
	v_or3_b32 v12, v14, v13, v12
.LBB12_660:
	s_or_b64 exec, exec, s[6:7]
	s_movk_i32 s4, 0xff
	v_and_b32_sdwa v13, v2, s4 dst_sel:DWORD dst_unused:UNUSED_PAD src0_sel:WORD_1 src1_sel:DWORD
	s_movk_i32 s4, 0x7f
	v_cmp_lt_i16_e32 vcc, s4, v13
	s_mov_b64 s[4:5], 0
                                        ; implicit-def: $sgpr10
	s_and_saveexec_b64 s[6:7], vcc
	s_xor_b64 s[6:7], exec, s[6:7]
	s_cbranch_execnz .LBB12_2709
; %bb.661:
	s_or_saveexec_b64 s[6:7], s[6:7]
	v_mov_b32_e32 v14, s10
	s_xor_b64 exec, exec, s[6:7]
	s_cbranch_execnz .LBB12_2712
.LBB12_662:
	s_or_b64 exec, exec, s[6:7]
	s_and_saveexec_b64 s[6:7], s[4:5]
	s_cbranch_execz .LBB12_664
.LBB12_663:
	v_bfe_u32 v13, v2, 16, 3
	v_ffbh_u32_e32 v16, v13
	v_min_u32_e32 v16, 32, v16
	v_lshrrev_b32_e32 v14, 19, v2
	v_subrev_u32_e32 v17, 28, v16
	v_and_b32_e32 v14, 15, v14
	v_lshlrev_b32_sdwa v17, v17, v2 dst_sel:DWORD dst_unused:UNUSED_PAD src0_sel:DWORD src1_sel:WORD_1
	v_bfe_u32 v15, v2, 19, 4
	v_sub_u32_e32 v16, 29, v16
	v_and_b32_e32 v17, 7, v17
	v_cmp_eq_u16_e32 vcc, 0, v14
	v_cndmask_b32_e32 v13, v13, v17, vcc
	v_cndmask_b32_e32 v14, v15, v16, vcc
	v_lshlrev_b32_e32 v15, 8, v2
	v_mov_b32_e32 v16, 0x3b800000
	v_lshlrev_b32_e32 v13, 20, v13
	v_and_b32_e32 v15, 0x80000000, v15
	v_lshl_add_u32 v14, v14, 23, v16
	v_or3_b32 v14, v15, v14, v13
.LBB12_664:
	s_or_b64 exec, exec, s[6:7]
	s_nop 0
	v_mfma_f32_16x16x4f32 a[0:3], v12, v14, a[0:3]
	s_movk_i32 s4, 0x7f
	v_cmp_gt_i16_sdwa s[6:7], v6, s4 src0_sel:BYTE_3 src1_sel:DWORD
	s_mov_b64 s[4:5], 0
                                        ; implicit-def: $sgpr10
	s_and_saveexec_b64 s[8:9], s[6:7]
	s_xor_b64 s[6:7], exec, s[8:9]
	s_cbranch_execnz .LBB12_2713
; %bb.665:
	s_or_saveexec_b64 s[6:7], s[6:7]
	v_mov_b32_e32 v12, s10
	s_xor_b64 exec, exec, s[6:7]
	s_cbranch_execnz .LBB12_2716
.LBB12_666:
	s_or_b64 exec, exec, s[6:7]
	s_and_saveexec_b64 s[6:7], s[4:5]
	s_cbranch_execz .LBB12_668
.LBB12_667:
	v_bfe_u32 v12, v6, 24, 3
	v_ffbh_u32_e32 v16, v12
	v_min_u32_e32 v16, 32, v16
	v_lshrrev_b32_e32 v14, 27, v6
	v_subrev_u32_e32 v17, 28, v16
	v_and_b32_e32 v13, 0x80000000, v6
	v_and_b32_e32 v14, 15, v14
	v_bfe_u32 v15, v6, 27, 4
	v_lshlrev_b32_sdwa v6, v17, v6 dst_sel:DWORD dst_unused:UNUSED_PAD src0_sel:DWORD src1_sel:BYTE_3
	v_sub_u32_e32 v16, 29, v16
	v_and_b32_e32 v6, 7, v6
	v_cmp_eq_u16_e32 vcc, 0, v14
	v_cndmask_b32_e32 v6, v12, v6, vcc
	v_cndmask_b32_e32 v12, v15, v16, vcc
	v_mov_b32_e32 v14, 0x3b800000
	v_lshlrev_b32_e32 v6, 20, v6
	v_lshl_add_u32 v12, v12, 23, v14
	v_or3_b32 v12, v13, v12, v6
.LBB12_668:
	s_or_b64 exec, exec, s[6:7]
	s_movk_i32 s4, 0x7f
	v_cmp_gt_i16_sdwa s[6:7], v2, s4 src0_sel:BYTE_3 src1_sel:DWORD
	s_mov_b64 s[4:5], 0
                                        ; implicit-def: $sgpr10
	s_and_saveexec_b64 s[8:9], s[6:7]
	s_xor_b64 s[6:7], exec, s[8:9]
	s_cbranch_execnz .LBB12_2717
; %bb.669:
	s_or_saveexec_b64 s[6:7], s[6:7]
	v_mov_b32_e32 v6, s10
	s_xor_b64 exec, exec, s[6:7]
	s_cbranch_execnz .LBB12_2720
.LBB12_670:
	s_or_b64 exec, exec, s[6:7]
	s_and_saveexec_b64 s[6:7], s[4:5]
	s_cbranch_execz .LBB12_672
.LBB12_671:
	v_bfe_u32 v6, v2, 24, 3
	v_ffbh_u32_e32 v16, v6
	v_min_u32_e32 v16, 32, v16
	v_lshrrev_b32_e32 v14, 27, v2
	v_subrev_u32_e32 v17, 28, v16
	v_and_b32_e32 v13, 0x80000000, v2
	v_and_b32_e32 v14, 15, v14
	v_bfe_u32 v15, v2, 27, 4
	v_lshlrev_b32_sdwa v2, v17, v2 dst_sel:DWORD dst_unused:UNUSED_PAD src0_sel:DWORD src1_sel:BYTE_3
	v_sub_u32_e32 v16, 29, v16
	v_and_b32_e32 v2, 7, v2
	v_cmp_eq_u16_e32 vcc, 0, v14
	v_cndmask_b32_e32 v2, v6, v2, vcc
	v_cndmask_b32_e32 v6, v15, v16, vcc
	v_mov_b32_e32 v14, 0x3b800000
	v_lshlrev_b32_e32 v2, 20, v2
	v_lshl_add_u32 v6, v6, 23, v14
	v_or3_b32 v6, v13, v6, v2
.LBB12_672:
	s_or_b64 exec, exec, s[6:7]
	s_nop 0
	v_mfma_f32_16x16x4f32 a[0:3], v12, v6, a[0:3]
	s_movk_i32 s4, 0x7f
	v_cmp_gt_i16_sdwa s[6:7], v7, s4 src0_sel:BYTE_0 src1_sel:DWORD
	s_mov_b64 s[4:5], 0
                                        ; implicit-def: $sgpr10
	s_and_saveexec_b64 s[8:9], s[6:7]
	s_xor_b64 s[6:7], exec, s[8:9]
	s_cbranch_execnz .LBB12_2721
; %bb.673:
	s_or_saveexec_b64 s[6:7], s[6:7]
	v_mov_b32_e32 v2, s10
	s_xor_b64 exec, exec, s[6:7]
	s_cbranch_execnz .LBB12_2724
.LBB12_674:
	s_or_b64 exec, exec, s[6:7]
	s_and_saveexec_b64 s[6:7], s[4:5]
	s_cbranch_execz .LBB12_676
.LBB12_675:
	v_and_b32_e32 v2, 7, v7
	v_ffbh_u32_e32 v12, v2
	v_min_u32_e32 v12, 32, v12
	v_lshrrev_b16_e32 v6, 3, v7
	v_subrev_u32_e32 v13, 28, v12
	v_and_b32_e32 v6, 15, v6
	v_lshlrev_b32_e32 v13, v13, v7
	v_sub_u32_e32 v12, 29, v12
	v_and_b32_e32 v13, 7, v13
	v_cmp_eq_u16_e32 vcc, 0, v6
	v_cndmask_b32_e32 v2, v2, v13, vcc
	v_cndmask_b32_e32 v6, v6, v12, vcc
	v_lshlrev_b32_e32 v12, 24, v7
	v_mov_b32_e32 v13, 0x3b800000
	v_lshlrev_b32_e32 v2, 20, v2
	v_and_b32_e32 v12, 0x80000000, v12
	v_lshl_add_u32 v6, v6, 23, v13
	v_or3_b32 v2, v12, v6, v2
.LBB12_676:
	s_or_b64 exec, exec, s[6:7]
	s_movk_i32 s4, 0x7f
	v_cmp_gt_i16_sdwa s[6:7], v3, s4 src0_sel:BYTE_0 src1_sel:DWORD
	s_mov_b64 s[4:5], 0
                                        ; implicit-def: $sgpr10
	s_and_saveexec_b64 s[8:9], s[6:7]
	s_xor_b64 s[6:7], exec, s[8:9]
	s_cbranch_execnz .LBB12_2725
; %bb.677:
	s_or_saveexec_b64 s[6:7], s[6:7]
	v_mov_b32_e32 v6, s10
	s_xor_b64 exec, exec, s[6:7]
	s_cbranch_execnz .LBB12_2728
.LBB12_678:
	s_or_b64 exec, exec, s[6:7]
	s_and_saveexec_b64 s[6:7], s[4:5]
	s_cbranch_execz .LBB12_680
.LBB12_679:
	v_and_b32_e32 v6, 7, v3
	v_ffbh_u32_e32 v13, v6
	v_min_u32_e32 v13, 32, v13
	v_lshrrev_b16_e32 v12, 3, v3
	v_subrev_u32_e32 v14, 28, v13
	v_and_b32_e32 v12, 15, v12
	v_lshlrev_b32_e32 v14, v14, v3
	v_sub_u32_e32 v13, 29, v13
	v_and_b32_e32 v14, 7, v14
	v_cmp_eq_u16_e32 vcc, 0, v12
	v_cndmask_b32_e32 v6, v6, v14, vcc
	v_cndmask_b32_e32 v12, v12, v13, vcc
	v_lshlrev_b32_e32 v13, 24, v3
	v_mov_b32_e32 v14, 0x3b800000
	v_lshlrev_b32_e32 v6, 20, v6
	v_and_b32_e32 v13, 0x80000000, v13
	v_lshl_add_u32 v12, v12, 23, v14
	v_or3_b32 v6, v13, v12, v6
.LBB12_680:
	s_or_b64 exec, exec, s[6:7]
	s_nop 0
	v_mfma_f32_16x16x4f32 a[0:3], v2, v6, a[0:3]
	v_lshrrev_b32_e32 v6, 8, v7
	s_movk_i32 s4, 0x7f
	v_cmp_gt_i16_sdwa s[6:7], v6, s4 src0_sel:BYTE_0 src1_sel:DWORD
	s_mov_b64 s[4:5], 0
                                        ; implicit-def: $sgpr10
	s_and_saveexec_b64 s[8:9], s[6:7]
	s_xor_b64 s[6:7], exec, s[8:9]
	s_cbranch_execnz .LBB12_2729
; %bb.681:
	s_or_saveexec_b64 s[6:7], s[6:7]
	v_mov_b32_e32 v2, s10
	s_xor_b64 exec, exec, s[6:7]
	s_cbranch_execnz .LBB12_2732
.LBB12_682:
	s_or_b64 exec, exec, s[6:7]
	s_and_saveexec_b64 s[6:7], s[4:5]
	s_cbranch_execz .LBB12_684
.LBB12_683:
	v_bfe_u32 v2, v7, 8, 3
	v_ffbh_u32_e32 v13, v2
	v_min_u32_e32 v13, 32, v13
	v_lshrrev_b16_e32 v12, 3, v6
	v_subrev_u32_e32 v14, 28, v13
	v_and_b32_e32 v12, 15, v12
	v_lshlrev_b32_e32 v6, v14, v6
	v_sub_u32_e32 v13, 29, v13
	v_and_b32_e32 v6, 7, v6
	v_cmp_eq_u16_e32 vcc, 0, v12
	v_cndmask_b32_e32 v2, v2, v6, vcc
	v_cndmask_b32_e32 v6, v12, v13, vcc
	v_lshlrev_b32_e32 v12, 16, v7
	v_mov_b32_e32 v13, 0x3b800000
	v_lshlrev_b32_e32 v2, 20, v2
	v_and_b32_e32 v12, 0x80000000, v12
	v_lshl_add_u32 v6, v6, 23, v13
	v_or3_b32 v2, v12, v6, v2
.LBB12_684:
	s_or_b64 exec, exec, s[6:7]
	v_lshrrev_b32_e32 v6, 8, v3
	s_movk_i32 s4, 0x7f
	v_cmp_gt_i16_sdwa s[6:7], v6, s4 src0_sel:BYTE_0 src1_sel:DWORD
	s_mov_b64 s[4:5], 0
                                        ; implicit-def: $sgpr10
	s_and_saveexec_b64 s[8:9], s[6:7]
	s_xor_b64 s[6:7], exec, s[8:9]
	s_cbranch_execnz .LBB12_2733
; %bb.685:
	s_or_saveexec_b64 s[6:7], s[6:7]
	v_mov_b32_e32 v12, s10
	s_xor_b64 exec, exec, s[6:7]
	s_cbranch_execnz .LBB12_2736
.LBB12_686:
	s_or_b64 exec, exec, s[6:7]
	s_and_saveexec_b64 s[6:7], s[4:5]
	s_cbranch_execz .LBB12_688
.LBB12_687:
	v_bfe_u32 v12, v3, 8, 3
	v_ffbh_u32_e32 v14, v12
	v_min_u32_e32 v14, 32, v14
	v_lshrrev_b16_e32 v13, 3, v6
	v_subrev_u32_e32 v15, 28, v14
	v_and_b32_e32 v13, 15, v13
	v_lshlrev_b32_e32 v6, v15, v6
	v_sub_u32_e32 v14, 29, v14
	v_and_b32_e32 v6, 7, v6
	v_cmp_eq_u16_e32 vcc, 0, v13
	v_cndmask_b32_e32 v6, v12, v6, vcc
	v_cndmask_b32_e32 v12, v13, v14, vcc
	v_lshlrev_b32_e32 v13, 16, v3
	v_mov_b32_e32 v14, 0x3b800000
	v_lshlrev_b32_e32 v6, 20, v6
	v_and_b32_e32 v13, 0x80000000, v13
	v_lshl_add_u32 v12, v12, 23, v14
	v_or3_b32 v12, v13, v12, v6
.LBB12_688:
	s_or_b64 exec, exec, s[6:7]
	s_nop 0
	v_mfma_f32_16x16x4f32 a[0:3], v2, v12, a[0:3]
	s_movk_i32 s4, 0xff
	v_and_b32_sdwa v6, v7, s4 dst_sel:DWORD dst_unused:UNUSED_PAD src0_sel:WORD_1 src1_sel:DWORD
	s_movk_i32 s4, 0x7f
	v_cmp_lt_i16_e32 vcc, s4, v6
	s_mov_b64 s[4:5], 0
                                        ; implicit-def: $sgpr10
	s_and_saveexec_b64 s[6:7], vcc
	s_xor_b64 s[6:7], exec, s[6:7]
	s_cbranch_execnz .LBB12_2737
; %bb.689:
	s_or_saveexec_b64 s[6:7], s[6:7]
	v_mov_b32_e32 v2, s10
	s_xor_b64 exec, exec, s[6:7]
	s_cbranch_execnz .LBB12_2740
.LBB12_690:
	s_or_b64 exec, exec, s[6:7]
	s_and_saveexec_b64 s[6:7], s[4:5]
	s_cbranch_execz .LBB12_692
.LBB12_691:
	v_bfe_u32 v2, v7, 16, 3
	v_ffbh_u32_e32 v13, v2
	v_min_u32_e32 v13, 32, v13
	v_lshrrev_b32_e32 v6, 19, v7
	v_subrev_u32_e32 v14, 28, v13
	v_and_b32_e32 v6, 15, v6
	v_lshlrev_b32_sdwa v14, v14, v7 dst_sel:DWORD dst_unused:UNUSED_PAD src0_sel:DWORD src1_sel:WORD_1
	v_bfe_u32 v12, v7, 19, 4
	v_sub_u32_e32 v13, 29, v13
	v_and_b32_e32 v14, 7, v14
	v_cmp_eq_u16_e32 vcc, 0, v6
	v_cndmask_b32_e32 v2, v2, v14, vcc
	v_cndmask_b32_e32 v6, v12, v13, vcc
	v_lshlrev_b32_e32 v12, 8, v7
	v_mov_b32_e32 v13, 0x3b800000
	v_lshlrev_b32_e32 v2, 20, v2
	v_and_b32_e32 v12, 0x80000000, v12
	v_lshl_add_u32 v6, v6, 23, v13
	v_or3_b32 v2, v12, v6, v2
.LBB12_692:
	s_or_b64 exec, exec, s[6:7]
	s_movk_i32 s4, 0xff
	v_and_b32_sdwa v6, v3, s4 dst_sel:DWORD dst_unused:UNUSED_PAD src0_sel:WORD_1 src1_sel:DWORD
	s_movk_i32 s4, 0x7f
	v_cmp_lt_i16_e32 vcc, s4, v6
	s_mov_b64 s[4:5], 0
                                        ; implicit-def: $sgpr10
	s_and_saveexec_b64 s[6:7], vcc
	s_xor_b64 s[6:7], exec, s[6:7]
	s_cbranch_execnz .LBB12_2741
; %bb.693:
	s_or_saveexec_b64 s[6:7], s[6:7]
	v_mov_b32_e32 v12, s10
	s_xor_b64 exec, exec, s[6:7]
	s_cbranch_execnz .LBB12_2744
.LBB12_694:
	s_or_b64 exec, exec, s[6:7]
	s_and_saveexec_b64 s[6:7], s[4:5]
	s_cbranch_execz .LBB12_696
.LBB12_695:
	v_bfe_u32 v6, v3, 16, 3
	v_ffbh_u32_e32 v14, v6
	v_min_u32_e32 v14, 32, v14
	v_lshrrev_b32_e32 v12, 19, v3
	v_subrev_u32_e32 v15, 28, v14
	v_and_b32_e32 v12, 15, v12
	v_lshlrev_b32_sdwa v15, v15, v3 dst_sel:DWORD dst_unused:UNUSED_PAD src0_sel:DWORD src1_sel:WORD_1
	v_bfe_u32 v13, v3, 19, 4
	v_sub_u32_e32 v14, 29, v14
	v_and_b32_e32 v15, 7, v15
	v_cmp_eq_u16_e32 vcc, 0, v12
	v_cndmask_b32_e32 v6, v6, v15, vcc
	v_cndmask_b32_e32 v12, v13, v14, vcc
	v_lshlrev_b32_e32 v13, 8, v3
	v_mov_b32_e32 v14, 0x3b800000
	v_lshlrev_b32_e32 v6, 20, v6
	v_and_b32_e32 v13, 0x80000000, v13
	v_lshl_add_u32 v12, v12, 23, v14
	v_or3_b32 v12, v13, v12, v6
.LBB12_696:
	s_or_b64 exec, exec, s[6:7]
	s_nop 0
	v_mfma_f32_16x16x4f32 a[0:3], v2, v12, a[0:3]
	s_movk_i32 s4, 0x7f
	v_cmp_gt_i16_sdwa s[6:7], v7, s4 src0_sel:BYTE_3 src1_sel:DWORD
	s_mov_b64 s[4:5], 0
                                        ; implicit-def: $sgpr10
	s_and_saveexec_b64 s[8:9], s[6:7]
	s_xor_b64 s[6:7], exec, s[8:9]
	s_cbranch_execnz .LBB12_2745
; %bb.697:
	s_or_saveexec_b64 s[6:7], s[6:7]
	v_mov_b32_e32 v2, s10
	s_xor_b64 exec, exec, s[6:7]
	s_cbranch_execnz .LBB12_2748
.LBB12_698:
	s_or_b64 exec, exec, s[6:7]
	s_and_saveexec_b64 s[6:7], s[4:5]
	s_cbranch_execz .LBB12_700
.LBB12_699:
	v_bfe_u32 v2, v7, 24, 3
	v_ffbh_u32_e32 v14, v2
	v_min_u32_e32 v14, 32, v14
	v_lshrrev_b32_e32 v12, 27, v7
	v_subrev_u32_e32 v15, 28, v14
	v_and_b32_e32 v6, 0x80000000, v7
	v_and_b32_e32 v12, 15, v12
	v_bfe_u32 v13, v7, 27, 4
	v_lshlrev_b32_sdwa v7, v15, v7 dst_sel:DWORD dst_unused:UNUSED_PAD src0_sel:DWORD src1_sel:BYTE_3
	v_sub_u32_e32 v14, 29, v14
	v_and_b32_e32 v7, 7, v7
	v_cmp_eq_u16_e32 vcc, 0, v12
	v_cndmask_b32_e32 v2, v2, v7, vcc
	v_cndmask_b32_e32 v7, v13, v14, vcc
	v_mov_b32_e32 v12, 0x3b800000
	v_lshlrev_b32_e32 v2, 20, v2
	v_lshl_add_u32 v7, v7, 23, v12
	v_or3_b32 v2, v6, v7, v2
.LBB12_700:
	s_or_b64 exec, exec, s[6:7]
	s_movk_i32 s4, 0x7f
	v_cmp_gt_i16_sdwa s[6:7], v3, s4 src0_sel:BYTE_3 src1_sel:DWORD
	s_mov_b64 s[4:5], 0
                                        ; implicit-def: $sgpr10
	s_and_saveexec_b64 s[8:9], s[6:7]
	s_xor_b64 s[6:7], exec, s[8:9]
	s_cbranch_execnz .LBB12_2749
; %bb.701:
	s_or_saveexec_b64 s[6:7], s[6:7]
	v_mov_b32_e32 v6, s10
	s_xor_b64 exec, exec, s[6:7]
	s_cbranch_execnz .LBB12_2752
.LBB12_702:
	s_or_b64 exec, exec, s[6:7]
	s_and_saveexec_b64 s[6:7], s[4:5]
	s_cbranch_execz .LBB12_704
.LBB12_703:
	v_bfe_u32 v6, v3, 24, 3
	v_ffbh_u32_e32 v14, v6
	v_min_u32_e32 v14, 32, v14
	v_lshrrev_b32_e32 v12, 27, v3
	v_subrev_u32_e32 v15, 28, v14
	v_and_b32_e32 v7, 0x80000000, v3
	v_and_b32_e32 v12, 15, v12
	v_bfe_u32 v13, v3, 27, 4
	v_lshlrev_b32_sdwa v3, v15, v3 dst_sel:DWORD dst_unused:UNUSED_PAD src0_sel:DWORD src1_sel:BYTE_3
	v_sub_u32_e32 v14, 29, v14
	v_and_b32_e32 v3, 7, v3
	v_cmp_eq_u16_e32 vcc, 0, v12
	v_cndmask_b32_e32 v3, v6, v3, vcc
	v_cndmask_b32_e32 v6, v13, v14, vcc
	v_mov_b32_e32 v12, 0x3b800000
	v_lshlrev_b32_e32 v3, 20, v3
	v_lshl_add_u32 v6, v6, 23, v12
	v_or3_b32 v6, v7, v6, v3
.LBB12_704:
	s_or_b64 exec, exec, s[6:7]
	s_nop 0
	v_mfma_f32_16x16x4f32 a[0:3], v2, v6, a[0:3]
	s_movk_i32 s4, 0x7f
	v_cmp_gt_i16_sdwa s[6:7], v8, s4 src0_sel:BYTE_0 src1_sel:DWORD
	s_mov_b64 s[4:5], 0
                                        ; implicit-def: $sgpr10
	s_and_saveexec_b64 s[8:9], s[6:7]
	s_xor_b64 s[6:7], exec, s[8:9]
	s_cbranch_execnz .LBB12_2753
; %bb.705:
	s_or_saveexec_b64 s[6:7], s[6:7]
	v_mov_b32_e32 v2, s10
	s_xor_b64 exec, exec, s[6:7]
	s_cbranch_execnz .LBB12_2756
.LBB12_706:
	s_or_b64 exec, exec, s[6:7]
	s_and_saveexec_b64 s[6:7], s[4:5]
	s_cbranch_execz .LBB12_708
.LBB12_707:
	v_and_b32_e32 v2, 7, v8
	v_ffbh_u32_e32 v6, v2
	v_min_u32_e32 v6, 32, v6
	v_lshrrev_b16_e32 v3, 3, v8
	v_subrev_u32_e32 v7, 28, v6
	v_and_b32_e32 v3, 15, v3
	v_lshlrev_b32_e32 v7, v7, v8
	v_sub_u32_e32 v6, 29, v6
	v_and_b32_e32 v7, 7, v7
	v_cmp_eq_u16_e32 vcc, 0, v3
	v_cndmask_b32_e32 v2, v2, v7, vcc
	v_cndmask_b32_e32 v3, v3, v6, vcc
	v_lshlrev_b32_e32 v6, 24, v8
	v_mov_b32_e32 v7, 0x3b800000
	v_lshlrev_b32_e32 v2, 20, v2
	v_and_b32_e32 v6, 0x80000000, v6
	v_lshl_add_u32 v3, v3, 23, v7
	v_or3_b32 v2, v6, v3, v2
.LBB12_708:
	s_or_b64 exec, exec, s[6:7]
	s_movk_i32 s4, 0x7f
	v_cmp_gt_i16_sdwa s[6:7], v4, s4 src0_sel:BYTE_0 src1_sel:DWORD
	s_mov_b64 s[4:5], 0
                                        ; implicit-def: $sgpr10
	s_and_saveexec_b64 s[8:9], s[6:7]
	s_xor_b64 s[6:7], exec, s[8:9]
	s_cbranch_execnz .LBB12_2757
; %bb.709:
	s_or_saveexec_b64 s[6:7], s[6:7]
	v_mov_b32_e32 v3, s10
	s_xor_b64 exec, exec, s[6:7]
	s_cbranch_execnz .LBB12_2760
.LBB12_710:
	s_or_b64 exec, exec, s[6:7]
	s_and_saveexec_b64 s[6:7], s[4:5]
	s_cbranch_execz .LBB12_712
.LBB12_711:
	v_and_b32_e32 v3, 7, v4
	v_ffbh_u32_e32 v7, v3
	v_min_u32_e32 v7, 32, v7
	v_lshrrev_b16_e32 v6, 3, v4
	v_subrev_u32_e32 v12, 28, v7
	v_and_b32_e32 v6, 15, v6
	v_lshlrev_b32_e32 v12, v12, v4
	v_sub_u32_e32 v7, 29, v7
	v_and_b32_e32 v12, 7, v12
	v_cmp_eq_u16_e32 vcc, 0, v6
	v_cndmask_b32_e32 v3, v3, v12, vcc
	v_cndmask_b32_e32 v6, v6, v7, vcc
	v_lshlrev_b32_e32 v7, 24, v4
	v_mov_b32_e32 v12, 0x3b800000
	v_lshlrev_b32_e32 v3, 20, v3
	v_and_b32_e32 v7, 0x80000000, v7
	v_lshl_add_u32 v6, v6, 23, v12
	v_or3_b32 v3, v7, v6, v3
.LBB12_712:
	s_or_b64 exec, exec, s[6:7]
	s_nop 0
	v_mfma_f32_16x16x4f32 a[0:3], v2, v3, a[0:3]
	v_lshrrev_b32_e32 v3, 8, v8
	s_movk_i32 s4, 0x7f
	v_cmp_gt_i16_sdwa s[6:7], v3, s4 src0_sel:BYTE_0 src1_sel:DWORD
	s_mov_b64 s[4:5], 0
                                        ; implicit-def: $sgpr10
	s_and_saveexec_b64 s[8:9], s[6:7]
	s_xor_b64 s[6:7], exec, s[8:9]
	s_cbranch_execnz .LBB12_2761
; %bb.713:
	s_or_saveexec_b64 s[6:7], s[6:7]
	v_mov_b32_e32 v2, s10
	s_xor_b64 exec, exec, s[6:7]
	s_cbranch_execnz .LBB12_2764
.LBB12_714:
	s_or_b64 exec, exec, s[6:7]
	s_and_saveexec_b64 s[6:7], s[4:5]
	s_cbranch_execz .LBB12_716
.LBB12_715:
	v_bfe_u32 v2, v8, 8, 3
	v_ffbh_u32_e32 v7, v2
	v_min_u32_e32 v7, 32, v7
	v_lshrrev_b16_e32 v6, 3, v3
	v_subrev_u32_e32 v12, 28, v7
	v_and_b32_e32 v6, 15, v6
	v_lshlrev_b32_e32 v3, v12, v3
	v_sub_u32_e32 v7, 29, v7
	v_and_b32_e32 v3, 7, v3
	v_cmp_eq_u16_e32 vcc, 0, v6
	v_cndmask_b32_e32 v2, v2, v3, vcc
	v_cndmask_b32_e32 v3, v6, v7, vcc
	v_lshlrev_b32_e32 v6, 16, v8
	v_mov_b32_e32 v7, 0x3b800000
	v_lshlrev_b32_e32 v2, 20, v2
	v_and_b32_e32 v6, 0x80000000, v6
	v_lshl_add_u32 v3, v3, 23, v7
	v_or3_b32 v2, v6, v3, v2
.LBB12_716:
	s_or_b64 exec, exec, s[6:7]
	v_lshrrev_b32_e32 v3, 8, v4
	s_movk_i32 s4, 0x7f
	v_cmp_gt_i16_sdwa s[6:7], v3, s4 src0_sel:BYTE_0 src1_sel:DWORD
	s_mov_b64 s[4:5], 0
                                        ; implicit-def: $sgpr10
	s_and_saveexec_b64 s[8:9], s[6:7]
	s_xor_b64 s[6:7], exec, s[8:9]
	s_cbranch_execnz .LBB12_2765
; %bb.717:
	s_or_saveexec_b64 s[6:7], s[6:7]
	v_mov_b32_e32 v6, s10
	s_xor_b64 exec, exec, s[6:7]
	s_cbranch_execnz .LBB12_2768
.LBB12_718:
	s_or_b64 exec, exec, s[6:7]
	s_and_saveexec_b64 s[6:7], s[4:5]
	s_cbranch_execz .LBB12_720
.LBB12_719:
	v_bfe_u32 v6, v4, 8, 3
	v_ffbh_u32_e32 v12, v6
	v_min_u32_e32 v12, 32, v12
	v_lshrrev_b16_e32 v7, 3, v3
	v_subrev_u32_e32 v13, 28, v12
	v_and_b32_e32 v7, 15, v7
	v_lshlrev_b32_e32 v3, v13, v3
	v_sub_u32_e32 v12, 29, v12
	v_and_b32_e32 v3, 7, v3
	v_cmp_eq_u16_e32 vcc, 0, v7
	v_cndmask_b32_e32 v3, v6, v3, vcc
	v_cndmask_b32_e32 v6, v7, v12, vcc
	v_lshlrev_b32_e32 v7, 16, v4
	v_mov_b32_e32 v12, 0x3b800000
	v_lshlrev_b32_e32 v3, 20, v3
	v_and_b32_e32 v7, 0x80000000, v7
	v_lshl_add_u32 v6, v6, 23, v12
	v_or3_b32 v6, v7, v6, v3
.LBB12_720:
	s_or_b64 exec, exec, s[6:7]
	s_nop 0
	v_mfma_f32_16x16x4f32 a[0:3], v2, v6, a[0:3]
	s_movk_i32 s4, 0xff
	v_and_b32_sdwa v3, v8, s4 dst_sel:DWORD dst_unused:UNUSED_PAD src0_sel:WORD_1 src1_sel:DWORD
	s_movk_i32 s4, 0x7f
	v_cmp_lt_i16_e32 vcc, s4, v3
	s_mov_b64 s[4:5], 0
                                        ; implicit-def: $sgpr10
	s_and_saveexec_b64 s[6:7], vcc
	s_xor_b64 s[6:7], exec, s[6:7]
	s_cbranch_execnz .LBB12_2769
; %bb.721:
	s_or_saveexec_b64 s[6:7], s[6:7]
	v_mov_b32_e32 v2, s10
	s_xor_b64 exec, exec, s[6:7]
	s_cbranch_execnz .LBB12_2772
.LBB12_722:
	s_or_b64 exec, exec, s[6:7]
	s_and_saveexec_b64 s[6:7], s[4:5]
	s_cbranch_execz .LBB12_724
.LBB12_723:
	v_bfe_u32 v2, v8, 16, 3
	v_ffbh_u32_e32 v7, v2
	v_min_u32_e32 v7, 32, v7
	v_lshrrev_b32_e32 v3, 19, v8
	v_subrev_u32_e32 v12, 28, v7
	v_and_b32_e32 v3, 15, v3
	v_lshlrev_b32_sdwa v12, v12, v8 dst_sel:DWORD dst_unused:UNUSED_PAD src0_sel:DWORD src1_sel:WORD_1
	v_bfe_u32 v6, v8, 19, 4
	v_sub_u32_e32 v7, 29, v7
	v_and_b32_e32 v12, 7, v12
	v_cmp_eq_u16_e32 vcc, 0, v3
	v_cndmask_b32_e32 v2, v2, v12, vcc
	v_cndmask_b32_e32 v3, v6, v7, vcc
	v_lshlrev_b32_e32 v6, 8, v8
	v_mov_b32_e32 v7, 0x3b800000
	v_lshlrev_b32_e32 v2, 20, v2
	v_and_b32_e32 v6, 0x80000000, v6
	v_lshl_add_u32 v3, v3, 23, v7
	v_or3_b32 v2, v6, v3, v2
.LBB12_724:
	s_or_b64 exec, exec, s[6:7]
	s_movk_i32 s4, 0xff
	v_and_b32_sdwa v3, v4, s4 dst_sel:DWORD dst_unused:UNUSED_PAD src0_sel:WORD_1 src1_sel:DWORD
	s_movk_i32 s4, 0x7f
	v_cmp_lt_i16_e32 vcc, s4, v3
	s_mov_b64 s[4:5], 0
                                        ; implicit-def: $sgpr10
	s_and_saveexec_b64 s[6:7], vcc
	s_xor_b64 s[6:7], exec, s[6:7]
	s_cbranch_execnz .LBB12_2773
; %bb.725:
	s_or_saveexec_b64 s[6:7], s[6:7]
	v_mov_b32_e32 v6, s10
	s_xor_b64 exec, exec, s[6:7]
	s_cbranch_execnz .LBB12_2776
.LBB12_726:
	s_or_b64 exec, exec, s[6:7]
	s_and_saveexec_b64 s[6:7], s[4:5]
	s_cbranch_execz .LBB12_728
.LBB12_727:
	v_bfe_u32 v3, v4, 16, 3
	v_ffbh_u32_e32 v12, v3
	v_min_u32_e32 v12, 32, v12
	v_lshrrev_b32_e32 v6, 19, v4
	v_subrev_u32_e32 v13, 28, v12
	v_and_b32_e32 v6, 15, v6
	v_lshlrev_b32_sdwa v13, v13, v4 dst_sel:DWORD dst_unused:UNUSED_PAD src0_sel:DWORD src1_sel:WORD_1
	v_bfe_u32 v7, v4, 19, 4
	v_sub_u32_e32 v12, 29, v12
	v_and_b32_e32 v13, 7, v13
	v_cmp_eq_u16_e32 vcc, 0, v6
	v_cndmask_b32_e32 v3, v3, v13, vcc
	v_cndmask_b32_e32 v6, v7, v12, vcc
	v_lshlrev_b32_e32 v7, 8, v4
	v_mov_b32_e32 v12, 0x3b800000
	v_lshlrev_b32_e32 v3, 20, v3
	v_and_b32_e32 v7, 0x80000000, v7
	v_lshl_add_u32 v6, v6, 23, v12
	v_or3_b32 v6, v7, v6, v3
.LBB12_728:
	s_or_b64 exec, exec, s[6:7]
	s_nop 0
	v_mfma_f32_16x16x4f32 a[0:3], v2, v6, a[0:3]
	s_movk_i32 s4, 0x7f
	v_cmp_gt_i16_sdwa s[6:7], v8, s4 src0_sel:BYTE_3 src1_sel:DWORD
	s_mov_b64 s[4:5], 0
                                        ; implicit-def: $sgpr10
	s_and_saveexec_b64 s[8:9], s[6:7]
	s_xor_b64 s[6:7], exec, s[8:9]
	s_cbranch_execnz .LBB12_2777
; %bb.729:
	s_or_saveexec_b64 s[6:7], s[6:7]
	v_mov_b32_e32 v2, s10
	s_xor_b64 exec, exec, s[6:7]
	s_cbranch_execnz .LBB12_2780
.LBB12_730:
	s_or_b64 exec, exec, s[6:7]
	s_and_saveexec_b64 s[6:7], s[4:5]
	s_cbranch_execz .LBB12_732
.LBB12_731:
	v_bfe_u32 v2, v8, 24, 3
	v_ffbh_u32_e32 v12, v2
	v_min_u32_e32 v12, 32, v12
	v_lshrrev_b32_e32 v6, 27, v8
	v_subrev_u32_e32 v13, 28, v12
	v_and_b32_e32 v3, 0x80000000, v8
	v_and_b32_e32 v6, 15, v6
	v_bfe_u32 v7, v8, 27, 4
	v_lshlrev_b32_sdwa v8, v13, v8 dst_sel:DWORD dst_unused:UNUSED_PAD src0_sel:DWORD src1_sel:BYTE_3
	v_sub_u32_e32 v12, 29, v12
	v_and_b32_e32 v8, 7, v8
	v_cmp_eq_u16_e32 vcc, 0, v6
	v_cndmask_b32_e32 v2, v2, v8, vcc
	v_cndmask_b32_e32 v6, v7, v12, vcc
	v_mov_b32_e32 v7, 0x3b800000
	v_lshlrev_b32_e32 v2, 20, v2
	v_lshl_add_u32 v6, v6, 23, v7
	v_or3_b32 v2, v3, v6, v2
.LBB12_732:
	s_or_b64 exec, exec, s[6:7]
	s_movk_i32 s4, 0x7f
	v_cmp_gt_i16_sdwa s[6:7], v4, s4 src0_sel:BYTE_3 src1_sel:DWORD
	s_mov_b64 s[4:5], 0
                                        ; implicit-def: $sgpr10
	s_and_saveexec_b64 s[8:9], s[6:7]
	s_xor_b64 s[6:7], exec, s[8:9]
	s_cbranch_execnz .LBB12_2781
; %bb.733:
	s_or_saveexec_b64 s[6:7], s[6:7]
	v_mov_b32_e32 v3, s10
	s_xor_b64 exec, exec, s[6:7]
	s_cbranch_execnz .LBB12_2784
.LBB12_734:
	s_or_b64 exec, exec, s[6:7]
	s_and_saveexec_b64 s[6:7], s[4:5]
	s_cbranch_execz .LBB12_736
.LBB12_735:
	v_bfe_u32 v3, v4, 24, 3
	v_ffbh_u32_e32 v12, v3
	v_min_u32_e32 v12, 32, v12
	v_lshrrev_b32_e32 v7, 27, v4
	v_subrev_u32_e32 v13, 28, v12
	v_and_b32_e32 v6, 0x80000000, v4
	v_and_b32_e32 v7, 15, v7
	v_bfe_u32 v8, v4, 27, 4
	v_lshlrev_b32_sdwa v4, v13, v4 dst_sel:DWORD dst_unused:UNUSED_PAD src0_sel:DWORD src1_sel:BYTE_3
	v_sub_u32_e32 v12, 29, v12
	v_and_b32_e32 v4, 7, v4
	v_cmp_eq_u16_e32 vcc, 0, v7
	v_cndmask_b32_e32 v3, v3, v4, vcc
	v_cndmask_b32_e32 v4, v8, v12, vcc
	v_mov_b32_e32 v7, 0x3b800000
	v_lshlrev_b32_e32 v3, 20, v3
	v_lshl_add_u32 v4, v4, 23, v7
	v_or3_b32 v3, v6, v4, v3
.LBB12_736:
	s_or_b64 exec, exec, s[6:7]
	s_nop 0
	v_mfma_f32_16x16x4f32 a[0:3], v2, v3, a[0:3]
	s_movk_i32 s4, 0x7f
	v_cmp_gt_i16_sdwa s[6:7], v9, s4 src0_sel:BYTE_0 src1_sel:DWORD
	s_mov_b64 s[4:5], 0
                                        ; implicit-def: $sgpr10
	s_and_saveexec_b64 s[8:9], s[6:7]
	s_xor_b64 s[6:7], exec, s[8:9]
	s_cbranch_execnz .LBB12_2785
; %bb.737:
	s_or_saveexec_b64 s[6:7], s[6:7]
	v_mov_b32_e32 v2, s10
	s_xor_b64 exec, exec, s[6:7]
	s_cbranch_execnz .LBB12_2788
.LBB12_738:
	s_or_b64 exec, exec, s[6:7]
	s_and_saveexec_b64 s[6:7], s[4:5]
	s_cbranch_execz .LBB12_740
.LBB12_739:
	v_mov_b32_e32 v2, 8
	v_and_b32_e32 v3, 7, v9
	v_lshrrev_b32_sdwa v2, v2, v9 dst_sel:BYTE_1 dst_unused:UNUSED_PAD src0_sel:DWORD src1_sel:DWORD
	v_ffbh_u32_e32 v4, v3
	v_or_b32_sdwa v2, v9, v2 dst_sel:DWORD dst_unused:UNUSED_PAD src0_sel:BYTE_0 src1_sel:DWORD
	v_min_u32_e32 v4, 32, v4
	v_lshrrev_b16_e32 v2, 3, v2
	v_subrev_u32_e32 v6, 28, v4
	v_and_b32_e32 v2, 15, v2
	v_lshlrev_b32_e32 v6, v6, v9
	v_sub_u32_e32 v4, 29, v4
	v_and_b32_e32 v6, 7, v6
	v_cmp_eq_u16_e32 vcc, 0, v2
	v_cndmask_b32_e32 v3, v3, v6, vcc
	v_cndmask_b32_e32 v2, v2, v4, vcc
	v_lshlrev_b32_e32 v4, 24, v9
	v_mov_b32_e32 v6, 0x3b800000
	v_lshlrev_b32_e32 v3, 20, v3
	v_and_b32_e32 v4, 0x80000000, v4
	v_lshl_add_u32 v2, v2, 23, v6
	v_or3_b32 v2, v4, v2, v3
.LBB12_740:
	s_or_b64 exec, exec, s[6:7]
	s_movk_i32 s4, 0x7f
	v_cmp_gt_i16_sdwa s[6:7], v5, s4 src0_sel:BYTE_0 src1_sel:DWORD
	s_mov_b64 s[4:5], 0
                                        ; implicit-def: $sgpr10
	s_and_saveexec_b64 s[8:9], s[6:7]
	s_xor_b64 s[6:7], exec, s[8:9]
	s_cbranch_execnz .LBB12_2789
; %bb.741:
	s_or_saveexec_b64 s[6:7], s[6:7]
	v_mov_b32_e32 v3, s10
	s_xor_b64 exec, exec, s[6:7]
	s_cbranch_execnz .LBB12_2792
.LBB12_742:
	s_or_b64 exec, exec, s[6:7]
	s_and_saveexec_b64 s[6:7], s[4:5]
	s_cbranch_execz .LBB12_744
.LBB12_743:
	v_mov_b32_e32 v3, 8
	v_and_b32_e32 v4, 7, v5
	v_lshrrev_b32_sdwa v3, v3, v5 dst_sel:BYTE_1 dst_unused:UNUSED_PAD src0_sel:DWORD src1_sel:DWORD
	v_ffbh_u32_e32 v6, v4
	v_or_b32_sdwa v3, v5, v3 dst_sel:DWORD dst_unused:UNUSED_PAD src0_sel:BYTE_0 src1_sel:DWORD
	v_min_u32_e32 v6, 32, v6
	v_lshrrev_b16_e32 v3, 3, v3
	v_subrev_u32_e32 v7, 28, v6
	v_and_b32_e32 v3, 15, v3
	v_lshlrev_b32_e32 v7, v7, v5
	v_sub_u32_e32 v6, 29, v6
	v_and_b32_e32 v7, 7, v7
	v_cmp_eq_u16_e32 vcc, 0, v3
	v_cndmask_b32_e32 v4, v4, v7, vcc
	v_cndmask_b32_e32 v3, v3, v6, vcc
	v_lshlrev_b32_e32 v6, 24, v5
	v_mov_b32_e32 v7, 0x3b800000
	v_lshlrev_b32_e32 v4, 20, v4
	v_and_b32_e32 v6, 0x80000000, v6
	v_lshl_add_u32 v3, v3, 23, v7
	v_or3_b32 v3, v6, v3, v4
.LBB12_744:
	s_or_b64 exec, exec, s[6:7]
	s_nop 0
	v_mfma_f32_16x16x4f32 a[0:3], v2, v3, a[0:3]
	v_lshrrev_b32_e32 v3, 8, v9
	s_movk_i32 s4, 0x7f
	v_cmp_gt_i16_sdwa s[6:7], v3, s4 src0_sel:BYTE_0 src1_sel:DWORD
	s_mov_b64 s[4:5], 0
                                        ; implicit-def: $sgpr10
	s_and_saveexec_b64 s[8:9], s[6:7]
	s_xor_b64 s[6:7], exec, s[8:9]
	s_cbranch_execnz .LBB12_2793
; %bb.745:
	s_or_saveexec_b64 s[6:7], s[6:7]
	v_mov_b32_e32 v2, s10
	s_xor_b64 exec, exec, s[6:7]
	s_cbranch_execnz .LBB12_2796
.LBB12_746:
	s_or_b64 exec, exec, s[6:7]
	s_and_saveexec_b64 s[6:7], s[4:5]
	s_cbranch_execz .LBB12_748
.LBB12_747:
	v_bfe_u32 v2, v9, 8, 3
	v_ffbh_u32_e32 v6, v2
	v_min_u32_e32 v6, 32, v6
	v_lshrrev_b16_e32 v4, 3, v3
	v_subrev_u32_e32 v7, 28, v6
	v_and_b32_e32 v4, 15, v4
	v_lshlrev_b32_e32 v3, v7, v3
	v_sub_u32_e32 v6, 29, v6
	v_and_b32_e32 v3, 7, v3
	v_cmp_eq_u16_e32 vcc, 0, v4
	v_cndmask_b32_e32 v2, v2, v3, vcc
	v_cndmask_b32_e32 v3, v4, v6, vcc
	v_lshlrev_b32_e32 v4, 16, v9
	v_mov_b32_e32 v6, 0x3b800000
	v_lshlrev_b32_e32 v2, 20, v2
	v_and_b32_e32 v4, 0x80000000, v4
	v_lshl_add_u32 v3, v3, 23, v6
	v_or3_b32 v2, v4, v3, v2
.LBB12_748:
	s_or_b64 exec, exec, s[6:7]
	v_lshrrev_b32_e32 v3, 8, v5
	s_movk_i32 s4, 0x7f
	v_cmp_gt_i16_sdwa s[6:7], v3, s4 src0_sel:BYTE_0 src1_sel:DWORD
	s_mov_b64 s[4:5], 0
                                        ; implicit-def: $sgpr10
	s_and_saveexec_b64 s[8:9], s[6:7]
	s_xor_b64 s[6:7], exec, s[8:9]
	s_cbranch_execnz .LBB12_2797
; %bb.749:
	s_or_saveexec_b64 s[6:7], s[6:7]
	v_mov_b32_e32 v4, s10
	s_xor_b64 exec, exec, s[6:7]
	s_cbranch_execnz .LBB12_2800
.LBB12_750:
	s_or_b64 exec, exec, s[6:7]
	s_and_saveexec_b64 s[6:7], s[4:5]
	s_cbranch_execz .LBB12_752
.LBB12_751:
	v_bfe_u32 v4, v5, 8, 3
	v_ffbh_u32_e32 v7, v4
	v_min_u32_e32 v7, 32, v7
	v_lshrrev_b16_e32 v6, 3, v3
	v_subrev_u32_e32 v8, 28, v7
	v_and_b32_e32 v6, 15, v6
	v_lshlrev_b32_e32 v3, v8, v3
	v_sub_u32_e32 v7, 29, v7
	v_and_b32_e32 v3, 7, v3
	v_cmp_eq_u16_e32 vcc, 0, v6
	v_cndmask_b32_e32 v3, v4, v3, vcc
	v_cndmask_b32_e32 v4, v6, v7, vcc
	v_lshlrev_b32_e32 v6, 16, v5
	v_mov_b32_e32 v7, 0x3b800000
	v_lshlrev_b32_e32 v3, 20, v3
	v_and_b32_e32 v6, 0x80000000, v6
	v_lshl_add_u32 v4, v4, 23, v7
	v_or3_b32 v4, v6, v4, v3
.LBB12_752:
	s_or_b64 exec, exec, s[6:7]
	s_nop 0
	v_mfma_f32_16x16x4f32 a[0:3], v2, v4, a[0:3]
	s_movk_i32 s4, 0xff
	v_and_b32_sdwa v3, v9, s4 dst_sel:DWORD dst_unused:UNUSED_PAD src0_sel:WORD_1 src1_sel:DWORD
	s_movk_i32 s4, 0x7f
	v_cmp_lt_i16_e32 vcc, s4, v3
	s_mov_b64 s[4:5], 0
                                        ; implicit-def: $sgpr10
	s_and_saveexec_b64 s[6:7], vcc
	s_xor_b64 s[6:7], exec, s[6:7]
	s_cbranch_execnz .LBB12_2801
; %bb.753:
	s_or_saveexec_b64 s[6:7], s[6:7]
	v_mov_b32_e32 v2, s10
	s_xor_b64 exec, exec, s[6:7]
	s_cbranch_execnz .LBB12_2804
.LBB12_754:
	s_or_b64 exec, exec, s[6:7]
	s_and_saveexec_b64 s[6:7], s[4:5]
	s_cbranch_execz .LBB12_756
.LBB12_755:
	v_bfe_u32 v2, v9, 16, 3
	v_ffbh_u32_e32 v6, v2
	v_min_u32_e32 v6, 32, v6
	v_lshrrev_b32_e32 v3, 19, v9
	v_subrev_u32_e32 v7, 28, v6
	v_and_b32_e32 v3, 15, v3
	v_lshlrev_b32_sdwa v7, v7, v9 dst_sel:DWORD dst_unused:UNUSED_PAD src0_sel:DWORD src1_sel:WORD_1
	v_bfe_u32 v4, v9, 19, 4
	v_sub_u32_e32 v6, 29, v6
	v_and_b32_e32 v7, 7, v7
	v_cmp_eq_u16_e32 vcc, 0, v3
	v_cndmask_b32_e32 v2, v2, v7, vcc
	v_cndmask_b32_e32 v3, v4, v6, vcc
	v_lshlrev_b32_e32 v4, 8, v9
	v_mov_b32_e32 v6, 0x3b800000
	v_lshlrev_b32_e32 v2, 20, v2
	v_and_b32_e32 v4, 0x80000000, v4
	v_lshl_add_u32 v3, v3, 23, v6
	v_or3_b32 v2, v4, v3, v2
.LBB12_756:
	s_or_b64 exec, exec, s[6:7]
	s_movk_i32 s4, 0xff
	v_and_b32_sdwa v3, v5, s4 dst_sel:DWORD dst_unused:UNUSED_PAD src0_sel:WORD_1 src1_sel:DWORD
	s_movk_i32 s4, 0x7f
	v_cmp_lt_i16_e32 vcc, s4, v3
	s_mov_b64 s[4:5], 0
                                        ; implicit-def: $sgpr10
	s_and_saveexec_b64 s[6:7], vcc
	s_xor_b64 s[6:7], exec, s[6:7]
	s_cbranch_execnz .LBB12_2805
; %bb.757:
	s_or_saveexec_b64 s[6:7], s[6:7]
	v_mov_b32_e32 v4, s10
	s_xor_b64 exec, exec, s[6:7]
	s_cbranch_execnz .LBB12_2808
.LBB12_758:
	s_or_b64 exec, exec, s[6:7]
	s_and_saveexec_b64 s[6:7], s[4:5]
	s_cbranch_execz .LBB12_760
.LBB12_759:
	v_bfe_u32 v3, v5, 16, 3
	v_ffbh_u32_e32 v7, v3
	v_min_u32_e32 v7, 32, v7
	v_lshrrev_b32_e32 v4, 19, v5
	v_subrev_u32_e32 v8, 28, v7
	v_and_b32_e32 v4, 15, v4
	v_lshlrev_b32_sdwa v8, v8, v5 dst_sel:DWORD dst_unused:UNUSED_PAD src0_sel:DWORD src1_sel:WORD_1
	v_bfe_u32 v6, v5, 19, 4
	v_sub_u32_e32 v7, 29, v7
	v_and_b32_e32 v8, 7, v8
	v_cmp_eq_u16_e32 vcc, 0, v4
	v_cndmask_b32_e32 v3, v3, v8, vcc
	v_cndmask_b32_e32 v4, v6, v7, vcc
	v_lshlrev_b32_e32 v6, 8, v5
	v_mov_b32_e32 v7, 0x3b800000
	v_lshlrev_b32_e32 v3, 20, v3
	v_and_b32_e32 v6, 0x80000000, v6
	v_lshl_add_u32 v4, v4, 23, v7
	v_or3_b32 v4, v6, v4, v3
.LBB12_760:
	s_or_b64 exec, exec, s[6:7]
	s_nop 0
	v_mfma_f32_16x16x4f32 a[0:3], v2, v4, a[0:3]
	s_movk_i32 s4, 0x7f
	v_cmp_gt_i16_sdwa s[6:7], v9, s4 src0_sel:BYTE_3 src1_sel:DWORD
	s_mov_b64 s[4:5], 0
                                        ; implicit-def: $sgpr10
	s_and_saveexec_b64 s[8:9], s[6:7]
	s_xor_b64 s[6:7], exec, s[8:9]
	s_cbranch_execnz .LBB12_2809
; %bb.761:
	s_or_saveexec_b64 s[6:7], s[6:7]
	v_mov_b32_e32 v2, s10
	s_xor_b64 exec, exec, s[6:7]
	s_cbranch_execnz .LBB12_2812
.LBB12_762:
	s_or_b64 exec, exec, s[6:7]
	s_and_saveexec_b64 s[6:7], s[4:5]
	s_cbranch_execz .LBB12_764
.LBB12_763:
	v_bfe_u32 v2, v9, 24, 3
	v_ffbh_u32_e32 v7, v2
	v_min_u32_e32 v7, 32, v7
	v_lshrrev_b32_e32 v4, 27, v9
	v_subrev_u32_e32 v8, 28, v7
	v_and_b32_e32 v4, 15, v4
	v_lshlrev_b32_sdwa v8, v8, v9 dst_sel:DWORD dst_unused:UNUSED_PAD src0_sel:DWORD src1_sel:BYTE_3
	v_bfe_u32 v6, v9, 27, 4
	v_sub_u32_e32 v7, 29, v7
	v_and_b32_e32 v8, 7, v8
	v_cmp_eq_u16_e32 vcc, 0, v4
	v_cndmask_b32_e32 v2, v2, v8, vcc
	v_cndmask_b32_e32 v4, v6, v7, vcc
	v_mov_b32_e32 v6, 0x3b800000
	v_and_b32_e32 v3, 0x80000000, v9
	v_lshlrev_b32_e32 v2, 20, v2
	v_lshl_add_u32 v4, v4, 23, v6
	v_or3_b32 v2, v3, v4, v2
.LBB12_764:
	s_or_b64 exec, exec, s[6:7]
	s_movk_i32 s4, 0x7f
	v_cmp_gt_i16_sdwa s[6:7], v5, s4 src0_sel:BYTE_3 src1_sel:DWORD
	s_mov_b64 s[4:5], 0
                                        ; implicit-def: $sgpr10
	s_and_saveexec_b64 s[8:9], s[6:7]
	s_xor_b64 s[6:7], exec, s[8:9]
	s_cbranch_execnz .LBB12_2813
; %bb.765:
	s_or_saveexec_b64 s[6:7], s[6:7]
	v_mov_b32_e32 v3, s10
	s_xor_b64 exec, exec, s[6:7]
	s_cbranch_execnz .LBB12_2816
.LBB12_766:
	s_or_b64 exec, exec, s[6:7]
	s_and_saveexec_b64 s[6:7], s[4:5]
	s_cbranch_execz .LBB12_768
.LBB12_767:
	v_bfe_u32 v3, v5, 24, 3
	v_ffbh_u32_e32 v8, v3
	v_min_u32_e32 v8, 32, v8
	v_lshrrev_b32_e32 v6, 27, v5
	v_subrev_u32_e32 v9, 28, v8
	v_and_b32_e32 v4, 0x80000000, v5
	v_and_b32_e32 v6, 15, v6
	v_bfe_u32 v7, v5, 27, 4
	v_lshlrev_b32_sdwa v5, v9, v5 dst_sel:DWORD dst_unused:UNUSED_PAD src0_sel:DWORD src1_sel:BYTE_3
	v_sub_u32_e32 v8, 29, v8
	v_and_b32_e32 v5, 7, v5
	v_cmp_eq_u16_e32 vcc, 0, v6
	v_cndmask_b32_e32 v3, v3, v5, vcc
	v_cndmask_b32_e32 v5, v7, v8, vcc
	v_mov_b32_e32 v6, 0x3b800000
	v_lshlrev_b32_e32 v3, 20, v3
	v_lshl_add_u32 v5, v5, 23, v6
	v_or3_b32 v3, v4, v5, v3
.LBB12_768:
	s_or_b64 exec, exec, s[6:7]
	s_nop 0
	v_mfma_f32_16x16x4f32 a[0:3], v2, v3, a[0:3]
	s_movk_i32 s4, 0x7f
                                        ; implicit-def: $sgpr10
	s_nop 7
	s_nop 1
	flat_store_dwordx4 v[10:11], a[0:3] offset:80
	flat_load_dwordx4 v[12:15], v[0:1] offset:8
	s_nop 0
	flat_load_dwordx2 v[10:11], v[0:1] offset:32
	s_waitcnt vmcnt(0) lgkmcnt(0)
	flat_load_dwordx4 v[6:9], v[12:13] offset:32
	flat_load_dwordx4 v[2:5], v[14:15] offset:64
	s_waitcnt vmcnt(0) lgkmcnt(0)
	v_cmp_gt_i16_sdwa s[6:7], v6, s4 src0_sel:BYTE_0 src1_sel:DWORD
	s_mov_b64 s[4:5], 0
	s_and_saveexec_b64 s[8:9], s[6:7]
	s_xor_b64 s[6:7], exec, s[8:9]
	s_cbranch_execnz .LBB12_2817
; %bb.769:
	s_or_saveexec_b64 s[6:7], s[6:7]
	v_mov_b32_e32 v12, s10
	s_xor_b64 exec, exec, s[6:7]
	s_cbranch_execnz .LBB12_2820
.LBB12_770:
	s_or_b64 exec, exec, s[6:7]
	s_and_saveexec_b64 s[6:7], s[4:5]
	s_cbranch_execz .LBB12_772
.LBB12_771:
	v_and_b32_e32 v12, 7, v6
	v_ffbh_u32_e32 v14, v12
	v_min_u32_e32 v14, 32, v14
	v_lshrrev_b16_e32 v13, 3, v6
	v_subrev_u32_e32 v15, 28, v14
	v_and_b32_e32 v13, 15, v13
	v_lshlrev_b32_e32 v15, v15, v6
	v_sub_u32_e32 v14, 29, v14
	v_and_b32_e32 v15, 7, v15
	v_cmp_eq_u16_e32 vcc, 0, v13
	v_cndmask_b32_e32 v12, v12, v15, vcc
	v_cndmask_b32_e32 v13, v13, v14, vcc
	v_lshlrev_b32_e32 v14, 24, v6
	v_mov_b32_e32 v15, 0x3b800000
	v_lshlrev_b32_e32 v12, 20, v12
	v_and_b32_e32 v14, 0x80000000, v14
	v_lshl_add_u32 v13, v13, 23, v15
	v_or3_b32 v12, v14, v13, v12
.LBB12_772:
	s_or_b64 exec, exec, s[6:7]
	s_movk_i32 s4, 0x7f
	v_cmp_gt_i16_sdwa s[6:7], v2, s4 src0_sel:BYTE_0 src1_sel:DWORD
	s_mov_b64 s[4:5], 0
                                        ; implicit-def: $sgpr10
	s_and_saveexec_b64 s[8:9], s[6:7]
	s_xor_b64 s[6:7], exec, s[8:9]
	s_cbranch_execnz .LBB12_2821
; %bb.773:
	s_or_saveexec_b64 s[6:7], s[6:7]
	v_mov_b32_e32 v13, s10
	s_xor_b64 exec, exec, s[6:7]
	s_cbranch_execnz .LBB12_2824
.LBB12_774:
	s_or_b64 exec, exec, s[6:7]
	s_and_saveexec_b64 s[6:7], s[4:5]
	s_cbranch_execz .LBB12_776
.LBB12_775:
	v_and_b32_e32 v13, 7, v2
	v_ffbh_u32_e32 v15, v13
	v_min_u32_e32 v15, 32, v15
	v_lshrrev_b16_e32 v14, 3, v2
	v_subrev_u32_e32 v16, 28, v15
	v_and_b32_e32 v14, 15, v14
	v_lshlrev_b32_e32 v16, v16, v2
	v_sub_u32_e32 v15, 29, v15
	v_and_b32_e32 v16, 7, v16
	v_cmp_eq_u16_e32 vcc, 0, v14
	v_cndmask_b32_e32 v13, v13, v16, vcc
	v_cndmask_b32_e32 v14, v14, v15, vcc
	v_lshlrev_b32_e32 v15, 24, v2
	v_mov_b32_e32 v16, 0x3b800000
	v_lshlrev_b32_e32 v13, 20, v13
	v_and_b32_e32 v15, 0x80000000, v15
	v_lshl_add_u32 v14, v14, 23, v16
	v_or3_b32 v13, v15, v14, v13
.LBB12_776:
	s_or_b64 exec, exec, s[6:7]
	flat_load_dwordx4 a[0:3], v[10:11] offset:96
	s_movk_i32 s4, 0x7f
                                        ; implicit-def: $sgpr10
	s_waitcnt vmcnt(0) lgkmcnt(0)
	v_mfma_f32_16x16x4f32 a[0:3], v12, v13, a[0:3]
	v_lshrrev_b32_e32 v13, 8, v6
	v_cmp_gt_i16_sdwa s[6:7], v13, s4 src0_sel:BYTE_0 src1_sel:DWORD
	s_mov_b64 s[4:5], 0
	s_and_saveexec_b64 s[8:9], s[6:7]
	s_xor_b64 s[6:7], exec, s[8:9]
	s_cbranch_execnz .LBB12_2825
; %bb.777:
	s_or_saveexec_b64 s[6:7], s[6:7]
	v_mov_b32_e32 v12, s10
	s_xor_b64 exec, exec, s[6:7]
	s_cbranch_execnz .LBB12_2828
.LBB12_778:
	s_or_b64 exec, exec, s[6:7]
	s_and_saveexec_b64 s[6:7], s[4:5]
	s_cbranch_execz .LBB12_780
.LBB12_779:
	v_bfe_u32 v12, v6, 8, 3
	v_ffbh_u32_e32 v15, v12
	v_min_u32_e32 v15, 32, v15
	v_lshrrev_b16_e32 v14, 3, v13
	v_subrev_u32_e32 v16, 28, v15
	v_and_b32_e32 v14, 15, v14
	v_lshlrev_b32_e32 v13, v16, v13
	v_sub_u32_e32 v15, 29, v15
	v_and_b32_e32 v13, 7, v13
	v_cmp_eq_u16_e32 vcc, 0, v14
	v_cndmask_b32_e32 v12, v12, v13, vcc
	v_cndmask_b32_e32 v13, v14, v15, vcc
	v_lshlrev_b32_e32 v14, 16, v6
	v_mov_b32_e32 v15, 0x3b800000
	v_lshlrev_b32_e32 v12, 20, v12
	v_and_b32_e32 v14, 0x80000000, v14
	v_lshl_add_u32 v13, v13, 23, v15
	v_or3_b32 v12, v14, v13, v12
.LBB12_780:
	s_or_b64 exec, exec, s[6:7]
	v_lshrrev_b32_e32 v13, 8, v2
	s_movk_i32 s4, 0x7f
	v_cmp_gt_i16_sdwa s[6:7], v13, s4 src0_sel:BYTE_0 src1_sel:DWORD
	s_mov_b64 s[4:5], 0
                                        ; implicit-def: $sgpr10
	s_and_saveexec_b64 s[8:9], s[6:7]
	s_xor_b64 s[6:7], exec, s[8:9]
	s_cbranch_execnz .LBB12_2829
; %bb.781:
	s_or_saveexec_b64 s[6:7], s[6:7]
	v_mov_b32_e32 v14, s10
	s_xor_b64 exec, exec, s[6:7]
	s_cbranch_execnz .LBB12_2832
.LBB12_782:
	s_or_b64 exec, exec, s[6:7]
	s_and_saveexec_b64 s[6:7], s[4:5]
	s_cbranch_execz .LBB12_784
.LBB12_783:
	v_bfe_u32 v14, v2, 8, 3
	v_ffbh_u32_e32 v16, v14
	v_min_u32_e32 v16, 32, v16
	v_lshrrev_b16_e32 v15, 3, v13
	v_subrev_u32_e32 v17, 28, v16
	v_and_b32_e32 v15, 15, v15
	v_lshlrev_b32_e32 v13, v17, v13
	v_sub_u32_e32 v16, 29, v16
	v_and_b32_e32 v13, 7, v13
	v_cmp_eq_u16_e32 vcc, 0, v15
	v_cndmask_b32_e32 v13, v14, v13, vcc
	v_cndmask_b32_e32 v14, v15, v16, vcc
	v_lshlrev_b32_e32 v15, 16, v2
	v_mov_b32_e32 v16, 0x3b800000
	v_lshlrev_b32_e32 v13, 20, v13
	v_and_b32_e32 v15, 0x80000000, v15
	v_lshl_add_u32 v14, v14, 23, v16
	v_or3_b32 v14, v15, v14, v13
.LBB12_784:
	s_or_b64 exec, exec, s[6:7]
	s_nop 0
	v_mfma_f32_16x16x4f32 a[0:3], v12, v14, a[0:3]
	s_movk_i32 s4, 0xff
	v_and_b32_sdwa v13, v6, s4 dst_sel:DWORD dst_unused:UNUSED_PAD src0_sel:WORD_1 src1_sel:DWORD
	s_movk_i32 s4, 0x7f
	v_cmp_lt_i16_e32 vcc, s4, v13
	s_mov_b64 s[4:5], 0
                                        ; implicit-def: $sgpr10
	s_and_saveexec_b64 s[6:7], vcc
	s_xor_b64 s[6:7], exec, s[6:7]
	s_cbranch_execnz .LBB12_2833
; %bb.785:
	s_or_saveexec_b64 s[6:7], s[6:7]
	v_mov_b32_e32 v12, s10
	s_xor_b64 exec, exec, s[6:7]
	s_cbranch_execnz .LBB12_2836
.LBB12_786:
	s_or_b64 exec, exec, s[6:7]
	s_and_saveexec_b64 s[6:7], s[4:5]
	s_cbranch_execz .LBB12_788
.LBB12_787:
	v_bfe_u32 v12, v6, 16, 3
	v_ffbh_u32_e32 v15, v12
	v_min_u32_e32 v15, 32, v15
	v_lshrrev_b32_e32 v13, 19, v6
	v_subrev_u32_e32 v16, 28, v15
	v_and_b32_e32 v13, 15, v13
	v_lshlrev_b32_sdwa v16, v16, v6 dst_sel:DWORD dst_unused:UNUSED_PAD src0_sel:DWORD src1_sel:WORD_1
	v_bfe_u32 v14, v6, 19, 4
	v_sub_u32_e32 v15, 29, v15
	v_and_b32_e32 v16, 7, v16
	v_cmp_eq_u16_e32 vcc, 0, v13
	v_cndmask_b32_e32 v12, v12, v16, vcc
	v_cndmask_b32_e32 v13, v14, v15, vcc
	v_lshlrev_b32_e32 v14, 8, v6
	v_mov_b32_e32 v15, 0x3b800000
	v_lshlrev_b32_e32 v12, 20, v12
	v_and_b32_e32 v14, 0x80000000, v14
	v_lshl_add_u32 v13, v13, 23, v15
	v_or3_b32 v12, v14, v13, v12
.LBB12_788:
	s_or_b64 exec, exec, s[6:7]
	s_movk_i32 s4, 0xff
	v_and_b32_sdwa v13, v2, s4 dst_sel:DWORD dst_unused:UNUSED_PAD src0_sel:WORD_1 src1_sel:DWORD
	s_movk_i32 s4, 0x7f
	v_cmp_lt_i16_e32 vcc, s4, v13
	s_mov_b64 s[4:5], 0
                                        ; implicit-def: $sgpr10
	s_and_saveexec_b64 s[6:7], vcc
	s_xor_b64 s[6:7], exec, s[6:7]
	s_cbranch_execnz .LBB12_2837
; %bb.789:
	s_or_saveexec_b64 s[6:7], s[6:7]
	v_mov_b32_e32 v14, s10
	s_xor_b64 exec, exec, s[6:7]
	s_cbranch_execnz .LBB12_2840
.LBB12_790:
	s_or_b64 exec, exec, s[6:7]
	s_and_saveexec_b64 s[6:7], s[4:5]
	s_cbranch_execz .LBB12_792
.LBB12_791:
	v_bfe_u32 v13, v2, 16, 3
	v_ffbh_u32_e32 v16, v13
	v_min_u32_e32 v16, 32, v16
	v_lshrrev_b32_e32 v14, 19, v2
	v_subrev_u32_e32 v17, 28, v16
	v_and_b32_e32 v14, 15, v14
	v_lshlrev_b32_sdwa v17, v17, v2 dst_sel:DWORD dst_unused:UNUSED_PAD src0_sel:DWORD src1_sel:WORD_1
	v_bfe_u32 v15, v2, 19, 4
	v_sub_u32_e32 v16, 29, v16
	v_and_b32_e32 v17, 7, v17
	v_cmp_eq_u16_e32 vcc, 0, v14
	v_cndmask_b32_e32 v13, v13, v17, vcc
	v_cndmask_b32_e32 v14, v15, v16, vcc
	v_lshlrev_b32_e32 v15, 8, v2
	v_mov_b32_e32 v16, 0x3b800000
	v_lshlrev_b32_e32 v13, 20, v13
	v_and_b32_e32 v15, 0x80000000, v15
	v_lshl_add_u32 v14, v14, 23, v16
	v_or3_b32 v14, v15, v14, v13
.LBB12_792:
	s_or_b64 exec, exec, s[6:7]
	s_nop 0
	v_mfma_f32_16x16x4f32 a[0:3], v12, v14, a[0:3]
	s_movk_i32 s4, 0x7f
	v_cmp_gt_i16_sdwa s[6:7], v6, s4 src0_sel:BYTE_3 src1_sel:DWORD
	s_mov_b64 s[4:5], 0
                                        ; implicit-def: $sgpr10
	s_and_saveexec_b64 s[8:9], s[6:7]
	s_xor_b64 s[6:7], exec, s[8:9]
	s_cbranch_execnz .LBB12_2841
; %bb.793:
	s_or_saveexec_b64 s[6:7], s[6:7]
	v_mov_b32_e32 v12, s10
	s_xor_b64 exec, exec, s[6:7]
	s_cbranch_execnz .LBB12_2844
.LBB12_794:
	s_or_b64 exec, exec, s[6:7]
	s_and_saveexec_b64 s[6:7], s[4:5]
	s_cbranch_execz .LBB12_796
.LBB12_795:
	v_bfe_u32 v12, v6, 24, 3
	v_ffbh_u32_e32 v16, v12
	v_min_u32_e32 v16, 32, v16
	v_lshrrev_b32_e32 v14, 27, v6
	v_subrev_u32_e32 v17, 28, v16
	v_and_b32_e32 v13, 0x80000000, v6
	v_and_b32_e32 v14, 15, v14
	v_bfe_u32 v15, v6, 27, 4
	v_lshlrev_b32_sdwa v6, v17, v6 dst_sel:DWORD dst_unused:UNUSED_PAD src0_sel:DWORD src1_sel:BYTE_3
	v_sub_u32_e32 v16, 29, v16
	v_and_b32_e32 v6, 7, v6
	v_cmp_eq_u16_e32 vcc, 0, v14
	v_cndmask_b32_e32 v6, v12, v6, vcc
	v_cndmask_b32_e32 v12, v15, v16, vcc
	v_mov_b32_e32 v14, 0x3b800000
	v_lshlrev_b32_e32 v6, 20, v6
	v_lshl_add_u32 v12, v12, 23, v14
	v_or3_b32 v12, v13, v12, v6
.LBB12_796:
	s_or_b64 exec, exec, s[6:7]
	s_movk_i32 s4, 0x7f
	v_cmp_gt_i16_sdwa s[6:7], v2, s4 src0_sel:BYTE_3 src1_sel:DWORD
	s_mov_b64 s[4:5], 0
                                        ; implicit-def: $sgpr10
	s_and_saveexec_b64 s[8:9], s[6:7]
	s_xor_b64 s[6:7], exec, s[8:9]
	s_cbranch_execnz .LBB12_2845
; %bb.797:
	s_or_saveexec_b64 s[6:7], s[6:7]
	v_mov_b32_e32 v6, s10
	s_xor_b64 exec, exec, s[6:7]
	s_cbranch_execnz .LBB12_2848
.LBB12_798:
	s_or_b64 exec, exec, s[6:7]
	s_and_saveexec_b64 s[6:7], s[4:5]
	s_cbranch_execz .LBB12_800
.LBB12_799:
	v_bfe_u32 v6, v2, 24, 3
	v_ffbh_u32_e32 v16, v6
	v_min_u32_e32 v16, 32, v16
	v_lshrrev_b32_e32 v14, 27, v2
	v_subrev_u32_e32 v17, 28, v16
	v_and_b32_e32 v13, 0x80000000, v2
	v_and_b32_e32 v14, 15, v14
	v_bfe_u32 v15, v2, 27, 4
	v_lshlrev_b32_sdwa v2, v17, v2 dst_sel:DWORD dst_unused:UNUSED_PAD src0_sel:DWORD src1_sel:BYTE_3
	v_sub_u32_e32 v16, 29, v16
	v_and_b32_e32 v2, 7, v2
	v_cmp_eq_u16_e32 vcc, 0, v14
	v_cndmask_b32_e32 v2, v6, v2, vcc
	v_cndmask_b32_e32 v6, v15, v16, vcc
	v_mov_b32_e32 v14, 0x3b800000
	v_lshlrev_b32_e32 v2, 20, v2
	v_lshl_add_u32 v6, v6, 23, v14
	v_or3_b32 v6, v13, v6, v2
.LBB12_800:
	s_or_b64 exec, exec, s[6:7]
	s_nop 0
	v_mfma_f32_16x16x4f32 a[0:3], v12, v6, a[0:3]
	s_movk_i32 s4, 0x7f
	v_cmp_gt_i16_sdwa s[6:7], v7, s4 src0_sel:BYTE_0 src1_sel:DWORD
	s_mov_b64 s[4:5], 0
                                        ; implicit-def: $sgpr10
	s_and_saveexec_b64 s[8:9], s[6:7]
	s_xor_b64 s[6:7], exec, s[8:9]
	s_cbranch_execnz .LBB12_2849
; %bb.801:
	s_or_saveexec_b64 s[6:7], s[6:7]
	v_mov_b32_e32 v2, s10
	s_xor_b64 exec, exec, s[6:7]
	s_cbranch_execnz .LBB12_2852
.LBB12_802:
	s_or_b64 exec, exec, s[6:7]
	s_and_saveexec_b64 s[6:7], s[4:5]
	s_cbranch_execz .LBB12_804
.LBB12_803:
	v_and_b32_e32 v2, 7, v7
	v_ffbh_u32_e32 v12, v2
	v_min_u32_e32 v12, 32, v12
	v_lshrrev_b16_e32 v6, 3, v7
	v_subrev_u32_e32 v13, 28, v12
	v_and_b32_e32 v6, 15, v6
	v_lshlrev_b32_e32 v13, v13, v7
	v_sub_u32_e32 v12, 29, v12
	v_and_b32_e32 v13, 7, v13
	v_cmp_eq_u16_e32 vcc, 0, v6
	v_cndmask_b32_e32 v2, v2, v13, vcc
	v_cndmask_b32_e32 v6, v6, v12, vcc
	v_lshlrev_b32_e32 v12, 24, v7
	v_mov_b32_e32 v13, 0x3b800000
	v_lshlrev_b32_e32 v2, 20, v2
	v_and_b32_e32 v12, 0x80000000, v12
	v_lshl_add_u32 v6, v6, 23, v13
	v_or3_b32 v2, v12, v6, v2
.LBB12_804:
	s_or_b64 exec, exec, s[6:7]
	s_movk_i32 s4, 0x7f
	v_cmp_gt_i16_sdwa s[6:7], v3, s4 src0_sel:BYTE_0 src1_sel:DWORD
	s_mov_b64 s[4:5], 0
                                        ; implicit-def: $sgpr10
	s_and_saveexec_b64 s[8:9], s[6:7]
	s_xor_b64 s[6:7], exec, s[8:9]
	s_cbranch_execnz .LBB12_2853
; %bb.805:
	s_or_saveexec_b64 s[6:7], s[6:7]
	v_mov_b32_e32 v6, s10
	s_xor_b64 exec, exec, s[6:7]
	s_cbranch_execnz .LBB12_2856
.LBB12_806:
	s_or_b64 exec, exec, s[6:7]
	s_and_saveexec_b64 s[6:7], s[4:5]
	s_cbranch_execz .LBB12_808
.LBB12_807:
	v_and_b32_e32 v6, 7, v3
	v_ffbh_u32_e32 v13, v6
	v_min_u32_e32 v13, 32, v13
	v_lshrrev_b16_e32 v12, 3, v3
	v_subrev_u32_e32 v14, 28, v13
	v_and_b32_e32 v12, 15, v12
	v_lshlrev_b32_e32 v14, v14, v3
	v_sub_u32_e32 v13, 29, v13
	v_and_b32_e32 v14, 7, v14
	v_cmp_eq_u16_e32 vcc, 0, v12
	v_cndmask_b32_e32 v6, v6, v14, vcc
	v_cndmask_b32_e32 v12, v12, v13, vcc
	v_lshlrev_b32_e32 v13, 24, v3
	v_mov_b32_e32 v14, 0x3b800000
	v_lshlrev_b32_e32 v6, 20, v6
	v_and_b32_e32 v13, 0x80000000, v13
	v_lshl_add_u32 v12, v12, 23, v14
	v_or3_b32 v6, v13, v12, v6
.LBB12_808:
	s_or_b64 exec, exec, s[6:7]
	s_nop 0
	v_mfma_f32_16x16x4f32 a[0:3], v2, v6, a[0:3]
	v_lshrrev_b32_e32 v6, 8, v7
	s_movk_i32 s4, 0x7f
	v_cmp_gt_i16_sdwa s[6:7], v6, s4 src0_sel:BYTE_0 src1_sel:DWORD
	s_mov_b64 s[4:5], 0
                                        ; implicit-def: $sgpr10
	s_and_saveexec_b64 s[8:9], s[6:7]
	s_xor_b64 s[6:7], exec, s[8:9]
	s_cbranch_execnz .LBB12_2857
; %bb.809:
	s_or_saveexec_b64 s[6:7], s[6:7]
	v_mov_b32_e32 v2, s10
	s_xor_b64 exec, exec, s[6:7]
	s_cbranch_execnz .LBB12_2860
.LBB12_810:
	s_or_b64 exec, exec, s[6:7]
	s_and_saveexec_b64 s[6:7], s[4:5]
	s_cbranch_execz .LBB12_812
.LBB12_811:
	v_bfe_u32 v2, v7, 8, 3
	v_ffbh_u32_e32 v13, v2
	v_min_u32_e32 v13, 32, v13
	v_lshrrev_b16_e32 v12, 3, v6
	v_subrev_u32_e32 v14, 28, v13
	v_and_b32_e32 v12, 15, v12
	v_lshlrev_b32_e32 v6, v14, v6
	v_sub_u32_e32 v13, 29, v13
	v_and_b32_e32 v6, 7, v6
	v_cmp_eq_u16_e32 vcc, 0, v12
	v_cndmask_b32_e32 v2, v2, v6, vcc
	v_cndmask_b32_e32 v6, v12, v13, vcc
	v_lshlrev_b32_e32 v12, 16, v7
	v_mov_b32_e32 v13, 0x3b800000
	v_lshlrev_b32_e32 v2, 20, v2
	v_and_b32_e32 v12, 0x80000000, v12
	v_lshl_add_u32 v6, v6, 23, v13
	v_or3_b32 v2, v12, v6, v2
.LBB12_812:
	s_or_b64 exec, exec, s[6:7]
	v_lshrrev_b32_e32 v6, 8, v3
	s_movk_i32 s4, 0x7f
	v_cmp_gt_i16_sdwa s[6:7], v6, s4 src0_sel:BYTE_0 src1_sel:DWORD
	s_mov_b64 s[4:5], 0
                                        ; implicit-def: $sgpr10
	s_and_saveexec_b64 s[8:9], s[6:7]
	s_xor_b64 s[6:7], exec, s[8:9]
	s_cbranch_execnz .LBB12_2861
; %bb.813:
	s_or_saveexec_b64 s[6:7], s[6:7]
	v_mov_b32_e32 v12, s10
	s_xor_b64 exec, exec, s[6:7]
	s_cbranch_execnz .LBB12_2864
.LBB12_814:
	s_or_b64 exec, exec, s[6:7]
	s_and_saveexec_b64 s[6:7], s[4:5]
	s_cbranch_execz .LBB12_816
.LBB12_815:
	v_bfe_u32 v12, v3, 8, 3
	v_ffbh_u32_e32 v14, v12
	v_min_u32_e32 v14, 32, v14
	v_lshrrev_b16_e32 v13, 3, v6
	v_subrev_u32_e32 v15, 28, v14
	v_and_b32_e32 v13, 15, v13
	v_lshlrev_b32_e32 v6, v15, v6
	v_sub_u32_e32 v14, 29, v14
	v_and_b32_e32 v6, 7, v6
	v_cmp_eq_u16_e32 vcc, 0, v13
	v_cndmask_b32_e32 v6, v12, v6, vcc
	v_cndmask_b32_e32 v12, v13, v14, vcc
	v_lshlrev_b32_e32 v13, 16, v3
	v_mov_b32_e32 v14, 0x3b800000
	v_lshlrev_b32_e32 v6, 20, v6
	v_and_b32_e32 v13, 0x80000000, v13
	v_lshl_add_u32 v12, v12, 23, v14
	v_or3_b32 v12, v13, v12, v6
.LBB12_816:
	s_or_b64 exec, exec, s[6:7]
	s_nop 0
	v_mfma_f32_16x16x4f32 a[0:3], v2, v12, a[0:3]
	s_movk_i32 s4, 0xff
	v_and_b32_sdwa v6, v7, s4 dst_sel:DWORD dst_unused:UNUSED_PAD src0_sel:WORD_1 src1_sel:DWORD
	s_movk_i32 s4, 0x7f
	v_cmp_lt_i16_e32 vcc, s4, v6
	s_mov_b64 s[4:5], 0
                                        ; implicit-def: $sgpr10
	s_and_saveexec_b64 s[6:7], vcc
	s_xor_b64 s[6:7], exec, s[6:7]
	s_cbranch_execnz .LBB12_2865
; %bb.817:
	s_or_saveexec_b64 s[6:7], s[6:7]
	v_mov_b32_e32 v2, s10
	s_xor_b64 exec, exec, s[6:7]
	s_cbranch_execnz .LBB12_2868
.LBB12_818:
	s_or_b64 exec, exec, s[6:7]
	s_and_saveexec_b64 s[6:7], s[4:5]
	s_cbranch_execz .LBB12_820
.LBB12_819:
	v_bfe_u32 v2, v7, 16, 3
	v_ffbh_u32_e32 v13, v2
	v_min_u32_e32 v13, 32, v13
	v_lshrrev_b32_e32 v6, 19, v7
	v_subrev_u32_e32 v14, 28, v13
	v_and_b32_e32 v6, 15, v6
	v_lshlrev_b32_sdwa v14, v14, v7 dst_sel:DWORD dst_unused:UNUSED_PAD src0_sel:DWORD src1_sel:WORD_1
	v_bfe_u32 v12, v7, 19, 4
	v_sub_u32_e32 v13, 29, v13
	v_and_b32_e32 v14, 7, v14
	v_cmp_eq_u16_e32 vcc, 0, v6
	v_cndmask_b32_e32 v2, v2, v14, vcc
	v_cndmask_b32_e32 v6, v12, v13, vcc
	v_lshlrev_b32_e32 v12, 8, v7
	v_mov_b32_e32 v13, 0x3b800000
	v_lshlrev_b32_e32 v2, 20, v2
	v_and_b32_e32 v12, 0x80000000, v12
	v_lshl_add_u32 v6, v6, 23, v13
	v_or3_b32 v2, v12, v6, v2
.LBB12_820:
	s_or_b64 exec, exec, s[6:7]
	s_movk_i32 s4, 0xff
	v_and_b32_sdwa v6, v3, s4 dst_sel:DWORD dst_unused:UNUSED_PAD src0_sel:WORD_1 src1_sel:DWORD
	s_movk_i32 s4, 0x7f
	v_cmp_lt_i16_e32 vcc, s4, v6
	s_mov_b64 s[4:5], 0
                                        ; implicit-def: $sgpr10
	s_and_saveexec_b64 s[6:7], vcc
	s_xor_b64 s[6:7], exec, s[6:7]
	s_cbranch_execnz .LBB12_2869
; %bb.821:
	s_or_saveexec_b64 s[6:7], s[6:7]
	v_mov_b32_e32 v12, s10
	s_xor_b64 exec, exec, s[6:7]
	s_cbranch_execnz .LBB12_2872
.LBB12_822:
	s_or_b64 exec, exec, s[6:7]
	s_and_saveexec_b64 s[6:7], s[4:5]
	s_cbranch_execz .LBB12_824
.LBB12_823:
	v_bfe_u32 v6, v3, 16, 3
	v_ffbh_u32_e32 v14, v6
	v_min_u32_e32 v14, 32, v14
	v_lshrrev_b32_e32 v12, 19, v3
	v_subrev_u32_e32 v15, 28, v14
	v_and_b32_e32 v12, 15, v12
	v_lshlrev_b32_sdwa v15, v15, v3 dst_sel:DWORD dst_unused:UNUSED_PAD src0_sel:DWORD src1_sel:WORD_1
	v_bfe_u32 v13, v3, 19, 4
	v_sub_u32_e32 v14, 29, v14
	v_and_b32_e32 v15, 7, v15
	v_cmp_eq_u16_e32 vcc, 0, v12
	v_cndmask_b32_e32 v6, v6, v15, vcc
	v_cndmask_b32_e32 v12, v13, v14, vcc
	v_lshlrev_b32_e32 v13, 8, v3
	v_mov_b32_e32 v14, 0x3b800000
	v_lshlrev_b32_e32 v6, 20, v6
	v_and_b32_e32 v13, 0x80000000, v13
	v_lshl_add_u32 v12, v12, 23, v14
	v_or3_b32 v12, v13, v12, v6
.LBB12_824:
	s_or_b64 exec, exec, s[6:7]
	s_nop 0
	v_mfma_f32_16x16x4f32 a[0:3], v2, v12, a[0:3]
	s_movk_i32 s4, 0x7f
	v_cmp_gt_i16_sdwa s[6:7], v7, s4 src0_sel:BYTE_3 src1_sel:DWORD
	s_mov_b64 s[4:5], 0
                                        ; implicit-def: $sgpr10
	s_and_saveexec_b64 s[8:9], s[6:7]
	s_xor_b64 s[6:7], exec, s[8:9]
	s_cbranch_execnz .LBB12_2873
; %bb.825:
	s_or_saveexec_b64 s[6:7], s[6:7]
	v_mov_b32_e32 v2, s10
	s_xor_b64 exec, exec, s[6:7]
	s_cbranch_execnz .LBB12_2876
.LBB12_826:
	s_or_b64 exec, exec, s[6:7]
	s_and_saveexec_b64 s[6:7], s[4:5]
	s_cbranch_execz .LBB12_828
.LBB12_827:
	v_bfe_u32 v2, v7, 24, 3
	v_ffbh_u32_e32 v14, v2
	v_min_u32_e32 v14, 32, v14
	v_lshrrev_b32_e32 v12, 27, v7
	v_subrev_u32_e32 v15, 28, v14
	v_and_b32_e32 v6, 0x80000000, v7
	v_and_b32_e32 v12, 15, v12
	v_bfe_u32 v13, v7, 27, 4
	v_lshlrev_b32_sdwa v7, v15, v7 dst_sel:DWORD dst_unused:UNUSED_PAD src0_sel:DWORD src1_sel:BYTE_3
	v_sub_u32_e32 v14, 29, v14
	v_and_b32_e32 v7, 7, v7
	v_cmp_eq_u16_e32 vcc, 0, v12
	v_cndmask_b32_e32 v2, v2, v7, vcc
	v_cndmask_b32_e32 v7, v13, v14, vcc
	v_mov_b32_e32 v12, 0x3b800000
	v_lshlrev_b32_e32 v2, 20, v2
	v_lshl_add_u32 v7, v7, 23, v12
	v_or3_b32 v2, v6, v7, v2
.LBB12_828:
	s_or_b64 exec, exec, s[6:7]
	s_movk_i32 s4, 0x7f
	v_cmp_gt_i16_sdwa s[6:7], v3, s4 src0_sel:BYTE_3 src1_sel:DWORD
	s_mov_b64 s[4:5], 0
                                        ; implicit-def: $sgpr10
	s_and_saveexec_b64 s[8:9], s[6:7]
	s_xor_b64 s[6:7], exec, s[8:9]
	s_cbranch_execnz .LBB12_2877
; %bb.829:
	s_or_saveexec_b64 s[6:7], s[6:7]
	v_mov_b32_e32 v6, s10
	s_xor_b64 exec, exec, s[6:7]
	s_cbranch_execnz .LBB12_2880
.LBB12_830:
	s_or_b64 exec, exec, s[6:7]
	s_and_saveexec_b64 s[6:7], s[4:5]
	s_cbranch_execz .LBB12_832
.LBB12_831:
	v_bfe_u32 v6, v3, 24, 3
	v_ffbh_u32_e32 v14, v6
	v_min_u32_e32 v14, 32, v14
	v_lshrrev_b32_e32 v12, 27, v3
	v_subrev_u32_e32 v15, 28, v14
	v_and_b32_e32 v7, 0x80000000, v3
	v_and_b32_e32 v12, 15, v12
	v_bfe_u32 v13, v3, 27, 4
	v_lshlrev_b32_sdwa v3, v15, v3 dst_sel:DWORD dst_unused:UNUSED_PAD src0_sel:DWORD src1_sel:BYTE_3
	v_sub_u32_e32 v14, 29, v14
	v_and_b32_e32 v3, 7, v3
	v_cmp_eq_u16_e32 vcc, 0, v12
	v_cndmask_b32_e32 v3, v6, v3, vcc
	v_cndmask_b32_e32 v6, v13, v14, vcc
	v_mov_b32_e32 v12, 0x3b800000
	v_lshlrev_b32_e32 v3, 20, v3
	v_lshl_add_u32 v6, v6, 23, v12
	v_or3_b32 v6, v7, v6, v3
.LBB12_832:
	s_or_b64 exec, exec, s[6:7]
	s_nop 0
	v_mfma_f32_16x16x4f32 a[0:3], v2, v6, a[0:3]
	s_movk_i32 s4, 0x7f
	v_cmp_gt_i16_sdwa s[6:7], v8, s4 src0_sel:BYTE_0 src1_sel:DWORD
	s_mov_b64 s[4:5], 0
                                        ; implicit-def: $sgpr10
	s_and_saveexec_b64 s[8:9], s[6:7]
	s_xor_b64 s[6:7], exec, s[8:9]
	s_cbranch_execnz .LBB12_2881
; %bb.833:
	s_or_saveexec_b64 s[6:7], s[6:7]
	v_mov_b32_e32 v2, s10
	s_xor_b64 exec, exec, s[6:7]
	s_cbranch_execnz .LBB12_2884
.LBB12_834:
	s_or_b64 exec, exec, s[6:7]
	s_and_saveexec_b64 s[6:7], s[4:5]
	s_cbranch_execz .LBB12_836
.LBB12_835:
	v_and_b32_e32 v2, 7, v8
	v_ffbh_u32_e32 v6, v2
	v_min_u32_e32 v6, 32, v6
	v_lshrrev_b16_e32 v3, 3, v8
	v_subrev_u32_e32 v7, 28, v6
	v_and_b32_e32 v3, 15, v3
	v_lshlrev_b32_e32 v7, v7, v8
	v_sub_u32_e32 v6, 29, v6
	v_and_b32_e32 v7, 7, v7
	v_cmp_eq_u16_e32 vcc, 0, v3
	v_cndmask_b32_e32 v2, v2, v7, vcc
	v_cndmask_b32_e32 v3, v3, v6, vcc
	v_lshlrev_b32_e32 v6, 24, v8
	v_mov_b32_e32 v7, 0x3b800000
	v_lshlrev_b32_e32 v2, 20, v2
	v_and_b32_e32 v6, 0x80000000, v6
	v_lshl_add_u32 v3, v3, 23, v7
	v_or3_b32 v2, v6, v3, v2
.LBB12_836:
	s_or_b64 exec, exec, s[6:7]
	s_movk_i32 s4, 0x7f
	v_cmp_gt_i16_sdwa s[6:7], v4, s4 src0_sel:BYTE_0 src1_sel:DWORD
	s_mov_b64 s[4:5], 0
                                        ; implicit-def: $sgpr10
	s_and_saveexec_b64 s[8:9], s[6:7]
	s_xor_b64 s[6:7], exec, s[8:9]
	s_cbranch_execnz .LBB12_2885
; %bb.837:
	s_or_saveexec_b64 s[6:7], s[6:7]
	v_mov_b32_e32 v3, s10
	s_xor_b64 exec, exec, s[6:7]
	s_cbranch_execnz .LBB12_2888
.LBB12_838:
	s_or_b64 exec, exec, s[6:7]
	s_and_saveexec_b64 s[6:7], s[4:5]
	s_cbranch_execz .LBB12_840
.LBB12_839:
	v_and_b32_e32 v3, 7, v4
	v_ffbh_u32_e32 v7, v3
	v_min_u32_e32 v7, 32, v7
	v_lshrrev_b16_e32 v6, 3, v4
	v_subrev_u32_e32 v12, 28, v7
	v_and_b32_e32 v6, 15, v6
	v_lshlrev_b32_e32 v12, v12, v4
	v_sub_u32_e32 v7, 29, v7
	v_and_b32_e32 v12, 7, v12
	v_cmp_eq_u16_e32 vcc, 0, v6
	v_cndmask_b32_e32 v3, v3, v12, vcc
	v_cndmask_b32_e32 v6, v6, v7, vcc
	v_lshlrev_b32_e32 v7, 24, v4
	v_mov_b32_e32 v12, 0x3b800000
	v_lshlrev_b32_e32 v3, 20, v3
	v_and_b32_e32 v7, 0x80000000, v7
	v_lshl_add_u32 v6, v6, 23, v12
	v_or3_b32 v3, v7, v6, v3
.LBB12_840:
	s_or_b64 exec, exec, s[6:7]
	s_nop 0
	v_mfma_f32_16x16x4f32 a[0:3], v2, v3, a[0:3]
	v_lshrrev_b32_e32 v3, 8, v8
	s_movk_i32 s4, 0x7f
	v_cmp_gt_i16_sdwa s[6:7], v3, s4 src0_sel:BYTE_0 src1_sel:DWORD
	s_mov_b64 s[4:5], 0
                                        ; implicit-def: $sgpr10
	s_and_saveexec_b64 s[8:9], s[6:7]
	s_xor_b64 s[6:7], exec, s[8:9]
	s_cbranch_execnz .LBB12_2889
; %bb.841:
	s_or_saveexec_b64 s[6:7], s[6:7]
	v_mov_b32_e32 v2, s10
	s_xor_b64 exec, exec, s[6:7]
	s_cbranch_execnz .LBB12_2892
.LBB12_842:
	s_or_b64 exec, exec, s[6:7]
	s_and_saveexec_b64 s[6:7], s[4:5]
	s_cbranch_execz .LBB12_844
.LBB12_843:
	v_bfe_u32 v2, v8, 8, 3
	v_ffbh_u32_e32 v7, v2
	v_min_u32_e32 v7, 32, v7
	v_lshrrev_b16_e32 v6, 3, v3
	v_subrev_u32_e32 v12, 28, v7
	v_and_b32_e32 v6, 15, v6
	v_lshlrev_b32_e32 v3, v12, v3
	v_sub_u32_e32 v7, 29, v7
	v_and_b32_e32 v3, 7, v3
	v_cmp_eq_u16_e32 vcc, 0, v6
	v_cndmask_b32_e32 v2, v2, v3, vcc
	v_cndmask_b32_e32 v3, v6, v7, vcc
	v_lshlrev_b32_e32 v6, 16, v8
	v_mov_b32_e32 v7, 0x3b800000
	v_lshlrev_b32_e32 v2, 20, v2
	v_and_b32_e32 v6, 0x80000000, v6
	v_lshl_add_u32 v3, v3, 23, v7
	v_or3_b32 v2, v6, v3, v2
.LBB12_844:
	s_or_b64 exec, exec, s[6:7]
	v_lshrrev_b32_e32 v3, 8, v4
	s_movk_i32 s4, 0x7f
	v_cmp_gt_i16_sdwa s[6:7], v3, s4 src0_sel:BYTE_0 src1_sel:DWORD
	s_mov_b64 s[4:5], 0
                                        ; implicit-def: $sgpr10
	s_and_saveexec_b64 s[8:9], s[6:7]
	s_xor_b64 s[6:7], exec, s[8:9]
	s_cbranch_execnz .LBB12_2893
; %bb.845:
	s_or_saveexec_b64 s[6:7], s[6:7]
	v_mov_b32_e32 v6, s10
	s_xor_b64 exec, exec, s[6:7]
	s_cbranch_execnz .LBB12_2896
.LBB12_846:
	s_or_b64 exec, exec, s[6:7]
	s_and_saveexec_b64 s[6:7], s[4:5]
	s_cbranch_execz .LBB12_848
.LBB12_847:
	v_bfe_u32 v6, v4, 8, 3
	v_ffbh_u32_e32 v12, v6
	v_min_u32_e32 v12, 32, v12
	v_lshrrev_b16_e32 v7, 3, v3
	v_subrev_u32_e32 v13, 28, v12
	v_and_b32_e32 v7, 15, v7
	v_lshlrev_b32_e32 v3, v13, v3
	v_sub_u32_e32 v12, 29, v12
	v_and_b32_e32 v3, 7, v3
	v_cmp_eq_u16_e32 vcc, 0, v7
	v_cndmask_b32_e32 v3, v6, v3, vcc
	v_cndmask_b32_e32 v6, v7, v12, vcc
	v_lshlrev_b32_e32 v7, 16, v4
	v_mov_b32_e32 v12, 0x3b800000
	v_lshlrev_b32_e32 v3, 20, v3
	v_and_b32_e32 v7, 0x80000000, v7
	v_lshl_add_u32 v6, v6, 23, v12
	v_or3_b32 v6, v7, v6, v3
.LBB12_848:
	s_or_b64 exec, exec, s[6:7]
	s_nop 0
	v_mfma_f32_16x16x4f32 a[0:3], v2, v6, a[0:3]
	s_movk_i32 s4, 0xff
	v_and_b32_sdwa v3, v8, s4 dst_sel:DWORD dst_unused:UNUSED_PAD src0_sel:WORD_1 src1_sel:DWORD
	s_movk_i32 s4, 0x7f
	v_cmp_lt_i16_e32 vcc, s4, v3
	s_mov_b64 s[4:5], 0
                                        ; implicit-def: $sgpr10
	s_and_saveexec_b64 s[6:7], vcc
	s_xor_b64 s[6:7], exec, s[6:7]
	s_cbranch_execnz .LBB12_2897
; %bb.849:
	s_or_saveexec_b64 s[6:7], s[6:7]
	v_mov_b32_e32 v2, s10
	s_xor_b64 exec, exec, s[6:7]
	s_cbranch_execnz .LBB12_2900
.LBB12_850:
	s_or_b64 exec, exec, s[6:7]
	s_and_saveexec_b64 s[6:7], s[4:5]
	s_cbranch_execz .LBB12_852
.LBB12_851:
	v_bfe_u32 v2, v8, 16, 3
	v_ffbh_u32_e32 v7, v2
	v_min_u32_e32 v7, 32, v7
	v_lshrrev_b32_e32 v3, 19, v8
	v_subrev_u32_e32 v12, 28, v7
	v_and_b32_e32 v3, 15, v3
	v_lshlrev_b32_sdwa v12, v12, v8 dst_sel:DWORD dst_unused:UNUSED_PAD src0_sel:DWORD src1_sel:WORD_1
	v_bfe_u32 v6, v8, 19, 4
	v_sub_u32_e32 v7, 29, v7
	v_and_b32_e32 v12, 7, v12
	v_cmp_eq_u16_e32 vcc, 0, v3
	v_cndmask_b32_e32 v2, v2, v12, vcc
	v_cndmask_b32_e32 v3, v6, v7, vcc
	v_lshlrev_b32_e32 v6, 8, v8
	v_mov_b32_e32 v7, 0x3b800000
	v_lshlrev_b32_e32 v2, 20, v2
	v_and_b32_e32 v6, 0x80000000, v6
	v_lshl_add_u32 v3, v3, 23, v7
	v_or3_b32 v2, v6, v3, v2
.LBB12_852:
	s_or_b64 exec, exec, s[6:7]
	s_movk_i32 s4, 0xff
	v_and_b32_sdwa v3, v4, s4 dst_sel:DWORD dst_unused:UNUSED_PAD src0_sel:WORD_1 src1_sel:DWORD
	s_movk_i32 s4, 0x7f
	v_cmp_lt_i16_e32 vcc, s4, v3
	s_mov_b64 s[4:5], 0
                                        ; implicit-def: $sgpr10
	s_and_saveexec_b64 s[6:7], vcc
	s_xor_b64 s[6:7], exec, s[6:7]
	s_cbranch_execnz .LBB12_2901
; %bb.853:
	s_or_saveexec_b64 s[6:7], s[6:7]
	v_mov_b32_e32 v6, s10
	s_xor_b64 exec, exec, s[6:7]
	s_cbranch_execnz .LBB12_2904
.LBB12_854:
	s_or_b64 exec, exec, s[6:7]
	s_and_saveexec_b64 s[6:7], s[4:5]
	s_cbranch_execz .LBB12_856
.LBB12_855:
	v_bfe_u32 v3, v4, 16, 3
	v_ffbh_u32_e32 v12, v3
	v_min_u32_e32 v12, 32, v12
	v_lshrrev_b32_e32 v6, 19, v4
	v_subrev_u32_e32 v13, 28, v12
	v_and_b32_e32 v6, 15, v6
	v_lshlrev_b32_sdwa v13, v13, v4 dst_sel:DWORD dst_unused:UNUSED_PAD src0_sel:DWORD src1_sel:WORD_1
	v_bfe_u32 v7, v4, 19, 4
	v_sub_u32_e32 v12, 29, v12
	v_and_b32_e32 v13, 7, v13
	v_cmp_eq_u16_e32 vcc, 0, v6
	v_cndmask_b32_e32 v3, v3, v13, vcc
	v_cndmask_b32_e32 v6, v7, v12, vcc
	v_lshlrev_b32_e32 v7, 8, v4
	v_mov_b32_e32 v12, 0x3b800000
	v_lshlrev_b32_e32 v3, 20, v3
	v_and_b32_e32 v7, 0x80000000, v7
	v_lshl_add_u32 v6, v6, 23, v12
	v_or3_b32 v6, v7, v6, v3
.LBB12_856:
	s_or_b64 exec, exec, s[6:7]
	s_nop 0
	v_mfma_f32_16x16x4f32 a[0:3], v2, v6, a[0:3]
	s_movk_i32 s4, 0x7f
	v_cmp_gt_i16_sdwa s[6:7], v8, s4 src0_sel:BYTE_3 src1_sel:DWORD
	s_mov_b64 s[4:5], 0
                                        ; implicit-def: $sgpr10
	s_and_saveexec_b64 s[8:9], s[6:7]
	s_xor_b64 s[6:7], exec, s[8:9]
	s_cbranch_execnz .LBB12_2905
; %bb.857:
	s_or_saveexec_b64 s[6:7], s[6:7]
	v_mov_b32_e32 v2, s10
	s_xor_b64 exec, exec, s[6:7]
	s_cbranch_execnz .LBB12_2908
.LBB12_858:
	s_or_b64 exec, exec, s[6:7]
	s_and_saveexec_b64 s[6:7], s[4:5]
	s_cbranch_execz .LBB12_860
.LBB12_859:
	v_bfe_u32 v2, v8, 24, 3
	v_ffbh_u32_e32 v12, v2
	v_min_u32_e32 v12, 32, v12
	v_lshrrev_b32_e32 v6, 27, v8
	v_subrev_u32_e32 v13, 28, v12
	v_and_b32_e32 v3, 0x80000000, v8
	v_and_b32_e32 v6, 15, v6
	v_bfe_u32 v7, v8, 27, 4
	v_lshlrev_b32_sdwa v8, v13, v8 dst_sel:DWORD dst_unused:UNUSED_PAD src0_sel:DWORD src1_sel:BYTE_3
	v_sub_u32_e32 v12, 29, v12
	v_and_b32_e32 v8, 7, v8
	v_cmp_eq_u16_e32 vcc, 0, v6
	v_cndmask_b32_e32 v2, v2, v8, vcc
	v_cndmask_b32_e32 v6, v7, v12, vcc
	v_mov_b32_e32 v7, 0x3b800000
	v_lshlrev_b32_e32 v2, 20, v2
	v_lshl_add_u32 v6, v6, 23, v7
	v_or3_b32 v2, v3, v6, v2
.LBB12_860:
	s_or_b64 exec, exec, s[6:7]
	s_movk_i32 s4, 0x7f
	v_cmp_gt_i16_sdwa s[6:7], v4, s4 src0_sel:BYTE_3 src1_sel:DWORD
	s_mov_b64 s[4:5], 0
                                        ; implicit-def: $sgpr10
	s_and_saveexec_b64 s[8:9], s[6:7]
	s_xor_b64 s[6:7], exec, s[8:9]
	s_cbranch_execnz .LBB12_2909
; %bb.861:
	s_or_saveexec_b64 s[6:7], s[6:7]
	v_mov_b32_e32 v3, s10
	s_xor_b64 exec, exec, s[6:7]
	s_cbranch_execnz .LBB12_2912
.LBB12_862:
	s_or_b64 exec, exec, s[6:7]
	s_and_saveexec_b64 s[6:7], s[4:5]
	s_cbranch_execz .LBB12_864
.LBB12_863:
	v_bfe_u32 v3, v4, 24, 3
	v_ffbh_u32_e32 v12, v3
	v_min_u32_e32 v12, 32, v12
	v_lshrrev_b32_e32 v7, 27, v4
	v_subrev_u32_e32 v13, 28, v12
	v_and_b32_e32 v6, 0x80000000, v4
	v_and_b32_e32 v7, 15, v7
	v_bfe_u32 v8, v4, 27, 4
	v_lshlrev_b32_sdwa v4, v13, v4 dst_sel:DWORD dst_unused:UNUSED_PAD src0_sel:DWORD src1_sel:BYTE_3
	v_sub_u32_e32 v12, 29, v12
	v_and_b32_e32 v4, 7, v4
	v_cmp_eq_u16_e32 vcc, 0, v7
	v_cndmask_b32_e32 v3, v3, v4, vcc
	v_cndmask_b32_e32 v4, v8, v12, vcc
	v_mov_b32_e32 v7, 0x3b800000
	v_lshlrev_b32_e32 v3, 20, v3
	v_lshl_add_u32 v4, v4, 23, v7
	v_or3_b32 v3, v6, v4, v3
.LBB12_864:
	s_or_b64 exec, exec, s[6:7]
	s_nop 0
	v_mfma_f32_16x16x4f32 a[0:3], v2, v3, a[0:3]
	s_movk_i32 s4, 0x7f
	v_cmp_gt_i16_sdwa s[6:7], v9, s4 src0_sel:BYTE_0 src1_sel:DWORD
	s_mov_b64 s[4:5], 0
                                        ; implicit-def: $sgpr10
	s_and_saveexec_b64 s[8:9], s[6:7]
	s_xor_b64 s[6:7], exec, s[8:9]
	s_cbranch_execnz .LBB12_2913
; %bb.865:
	s_or_saveexec_b64 s[6:7], s[6:7]
	v_mov_b32_e32 v2, s10
	s_xor_b64 exec, exec, s[6:7]
	s_cbranch_execnz .LBB12_2916
.LBB12_866:
	s_or_b64 exec, exec, s[6:7]
	s_and_saveexec_b64 s[6:7], s[4:5]
	s_cbranch_execz .LBB12_868
.LBB12_867:
	v_mov_b32_e32 v2, 8
	v_and_b32_e32 v3, 7, v9
	v_lshrrev_b32_sdwa v2, v2, v9 dst_sel:BYTE_1 dst_unused:UNUSED_PAD src0_sel:DWORD src1_sel:DWORD
	v_ffbh_u32_e32 v4, v3
	v_or_b32_sdwa v2, v9, v2 dst_sel:DWORD dst_unused:UNUSED_PAD src0_sel:BYTE_0 src1_sel:DWORD
	v_min_u32_e32 v4, 32, v4
	v_lshrrev_b16_e32 v2, 3, v2
	v_subrev_u32_e32 v6, 28, v4
	v_and_b32_e32 v2, 15, v2
	v_lshlrev_b32_e32 v6, v6, v9
	v_sub_u32_e32 v4, 29, v4
	v_and_b32_e32 v6, 7, v6
	v_cmp_eq_u16_e32 vcc, 0, v2
	v_cndmask_b32_e32 v3, v3, v6, vcc
	v_cndmask_b32_e32 v2, v2, v4, vcc
	v_lshlrev_b32_e32 v4, 24, v9
	v_mov_b32_e32 v6, 0x3b800000
	v_lshlrev_b32_e32 v3, 20, v3
	v_and_b32_e32 v4, 0x80000000, v4
	v_lshl_add_u32 v2, v2, 23, v6
	v_or3_b32 v2, v4, v2, v3
.LBB12_868:
	s_or_b64 exec, exec, s[6:7]
	s_movk_i32 s4, 0x7f
	v_cmp_gt_i16_sdwa s[6:7], v5, s4 src0_sel:BYTE_0 src1_sel:DWORD
	s_mov_b64 s[4:5], 0
                                        ; implicit-def: $sgpr10
	s_and_saveexec_b64 s[8:9], s[6:7]
	s_xor_b64 s[6:7], exec, s[8:9]
	s_cbranch_execnz .LBB12_2917
; %bb.869:
	s_or_saveexec_b64 s[6:7], s[6:7]
	v_mov_b32_e32 v3, s10
	s_xor_b64 exec, exec, s[6:7]
	s_cbranch_execnz .LBB12_2920
.LBB12_870:
	s_or_b64 exec, exec, s[6:7]
	s_and_saveexec_b64 s[6:7], s[4:5]
	s_cbranch_execz .LBB12_872
.LBB12_871:
	v_mov_b32_e32 v3, 8
	v_and_b32_e32 v4, 7, v5
	v_lshrrev_b32_sdwa v3, v3, v5 dst_sel:BYTE_1 dst_unused:UNUSED_PAD src0_sel:DWORD src1_sel:DWORD
	v_ffbh_u32_e32 v6, v4
	v_or_b32_sdwa v3, v5, v3 dst_sel:DWORD dst_unused:UNUSED_PAD src0_sel:BYTE_0 src1_sel:DWORD
	v_min_u32_e32 v6, 32, v6
	v_lshrrev_b16_e32 v3, 3, v3
	v_subrev_u32_e32 v7, 28, v6
	v_and_b32_e32 v3, 15, v3
	v_lshlrev_b32_e32 v7, v7, v5
	v_sub_u32_e32 v6, 29, v6
	v_and_b32_e32 v7, 7, v7
	v_cmp_eq_u16_e32 vcc, 0, v3
	v_cndmask_b32_e32 v4, v4, v7, vcc
	v_cndmask_b32_e32 v3, v3, v6, vcc
	v_lshlrev_b32_e32 v6, 24, v5
	v_mov_b32_e32 v7, 0x3b800000
	v_lshlrev_b32_e32 v4, 20, v4
	v_and_b32_e32 v6, 0x80000000, v6
	v_lshl_add_u32 v3, v3, 23, v7
	v_or3_b32 v3, v6, v3, v4
.LBB12_872:
	s_or_b64 exec, exec, s[6:7]
	s_nop 0
	v_mfma_f32_16x16x4f32 a[0:3], v2, v3, a[0:3]
	v_lshrrev_b32_e32 v3, 8, v9
	s_movk_i32 s4, 0x7f
	v_cmp_gt_i16_sdwa s[6:7], v3, s4 src0_sel:BYTE_0 src1_sel:DWORD
	s_mov_b64 s[4:5], 0
                                        ; implicit-def: $sgpr10
	s_and_saveexec_b64 s[8:9], s[6:7]
	s_xor_b64 s[6:7], exec, s[8:9]
	s_cbranch_execnz .LBB12_2921
; %bb.873:
	s_or_saveexec_b64 s[6:7], s[6:7]
	v_mov_b32_e32 v2, s10
	s_xor_b64 exec, exec, s[6:7]
	s_cbranch_execnz .LBB12_2924
.LBB12_874:
	s_or_b64 exec, exec, s[6:7]
	s_and_saveexec_b64 s[6:7], s[4:5]
	s_cbranch_execz .LBB12_876
.LBB12_875:
	v_bfe_u32 v2, v9, 8, 3
	v_ffbh_u32_e32 v6, v2
	v_min_u32_e32 v6, 32, v6
	v_lshrrev_b16_e32 v4, 3, v3
	v_subrev_u32_e32 v7, 28, v6
	v_and_b32_e32 v4, 15, v4
	v_lshlrev_b32_e32 v3, v7, v3
	v_sub_u32_e32 v6, 29, v6
	v_and_b32_e32 v3, 7, v3
	v_cmp_eq_u16_e32 vcc, 0, v4
	v_cndmask_b32_e32 v2, v2, v3, vcc
	v_cndmask_b32_e32 v3, v4, v6, vcc
	v_lshlrev_b32_e32 v4, 16, v9
	v_mov_b32_e32 v6, 0x3b800000
	v_lshlrev_b32_e32 v2, 20, v2
	v_and_b32_e32 v4, 0x80000000, v4
	v_lshl_add_u32 v3, v3, 23, v6
	v_or3_b32 v2, v4, v3, v2
.LBB12_876:
	s_or_b64 exec, exec, s[6:7]
	v_lshrrev_b32_e32 v3, 8, v5
	s_movk_i32 s4, 0x7f
	v_cmp_gt_i16_sdwa s[6:7], v3, s4 src0_sel:BYTE_0 src1_sel:DWORD
	s_mov_b64 s[4:5], 0
                                        ; implicit-def: $sgpr10
	s_and_saveexec_b64 s[8:9], s[6:7]
	s_xor_b64 s[6:7], exec, s[8:9]
	s_cbranch_execnz .LBB12_2925
; %bb.877:
	s_or_saveexec_b64 s[6:7], s[6:7]
	v_mov_b32_e32 v4, s10
	s_xor_b64 exec, exec, s[6:7]
	s_cbranch_execnz .LBB12_2928
.LBB12_878:
	s_or_b64 exec, exec, s[6:7]
	s_and_saveexec_b64 s[6:7], s[4:5]
	s_cbranch_execz .LBB12_880
.LBB12_879:
	v_bfe_u32 v4, v5, 8, 3
	v_ffbh_u32_e32 v7, v4
	v_min_u32_e32 v7, 32, v7
	v_lshrrev_b16_e32 v6, 3, v3
	v_subrev_u32_e32 v8, 28, v7
	v_and_b32_e32 v6, 15, v6
	v_lshlrev_b32_e32 v3, v8, v3
	v_sub_u32_e32 v7, 29, v7
	v_and_b32_e32 v3, 7, v3
	v_cmp_eq_u16_e32 vcc, 0, v6
	v_cndmask_b32_e32 v3, v4, v3, vcc
	v_cndmask_b32_e32 v4, v6, v7, vcc
	v_lshlrev_b32_e32 v6, 16, v5
	v_mov_b32_e32 v7, 0x3b800000
	v_lshlrev_b32_e32 v3, 20, v3
	v_and_b32_e32 v6, 0x80000000, v6
	v_lshl_add_u32 v4, v4, 23, v7
	v_or3_b32 v4, v6, v4, v3
.LBB12_880:
	s_or_b64 exec, exec, s[6:7]
	s_nop 0
	v_mfma_f32_16x16x4f32 a[0:3], v2, v4, a[0:3]
	s_movk_i32 s4, 0xff
	v_and_b32_sdwa v3, v9, s4 dst_sel:DWORD dst_unused:UNUSED_PAD src0_sel:WORD_1 src1_sel:DWORD
	s_movk_i32 s4, 0x7f
	v_cmp_lt_i16_e32 vcc, s4, v3
	s_mov_b64 s[4:5], 0
                                        ; implicit-def: $sgpr10
	s_and_saveexec_b64 s[6:7], vcc
	s_xor_b64 s[6:7], exec, s[6:7]
	s_cbranch_execnz .LBB12_2929
; %bb.881:
	s_or_saveexec_b64 s[6:7], s[6:7]
	v_mov_b32_e32 v2, s10
	s_xor_b64 exec, exec, s[6:7]
	s_cbranch_execnz .LBB12_2932
.LBB12_882:
	s_or_b64 exec, exec, s[6:7]
	s_and_saveexec_b64 s[6:7], s[4:5]
	s_cbranch_execz .LBB12_884
.LBB12_883:
	v_bfe_u32 v2, v9, 16, 3
	v_ffbh_u32_e32 v6, v2
	v_min_u32_e32 v6, 32, v6
	v_lshrrev_b32_e32 v3, 19, v9
	v_subrev_u32_e32 v7, 28, v6
	v_and_b32_e32 v3, 15, v3
	v_lshlrev_b32_sdwa v7, v7, v9 dst_sel:DWORD dst_unused:UNUSED_PAD src0_sel:DWORD src1_sel:WORD_1
	v_bfe_u32 v4, v9, 19, 4
	v_sub_u32_e32 v6, 29, v6
	v_and_b32_e32 v7, 7, v7
	v_cmp_eq_u16_e32 vcc, 0, v3
	v_cndmask_b32_e32 v2, v2, v7, vcc
	v_cndmask_b32_e32 v3, v4, v6, vcc
	v_lshlrev_b32_e32 v4, 8, v9
	v_mov_b32_e32 v6, 0x3b800000
	v_lshlrev_b32_e32 v2, 20, v2
	v_and_b32_e32 v4, 0x80000000, v4
	v_lshl_add_u32 v3, v3, 23, v6
	v_or3_b32 v2, v4, v3, v2
.LBB12_884:
	s_or_b64 exec, exec, s[6:7]
	s_movk_i32 s4, 0xff
	v_and_b32_sdwa v3, v5, s4 dst_sel:DWORD dst_unused:UNUSED_PAD src0_sel:WORD_1 src1_sel:DWORD
	s_movk_i32 s4, 0x7f
	v_cmp_lt_i16_e32 vcc, s4, v3
	s_mov_b64 s[4:5], 0
                                        ; implicit-def: $sgpr10
	s_and_saveexec_b64 s[6:7], vcc
	s_xor_b64 s[6:7], exec, s[6:7]
	s_cbranch_execnz .LBB12_2933
; %bb.885:
	s_or_saveexec_b64 s[6:7], s[6:7]
	v_mov_b32_e32 v4, s10
	s_xor_b64 exec, exec, s[6:7]
	s_cbranch_execnz .LBB12_2936
.LBB12_886:
	s_or_b64 exec, exec, s[6:7]
	s_and_saveexec_b64 s[6:7], s[4:5]
	s_cbranch_execz .LBB12_888
.LBB12_887:
	v_bfe_u32 v3, v5, 16, 3
	v_ffbh_u32_e32 v7, v3
	v_min_u32_e32 v7, 32, v7
	v_lshrrev_b32_e32 v4, 19, v5
	v_subrev_u32_e32 v8, 28, v7
	v_and_b32_e32 v4, 15, v4
	v_lshlrev_b32_sdwa v8, v8, v5 dst_sel:DWORD dst_unused:UNUSED_PAD src0_sel:DWORD src1_sel:WORD_1
	v_bfe_u32 v6, v5, 19, 4
	v_sub_u32_e32 v7, 29, v7
	v_and_b32_e32 v8, 7, v8
	v_cmp_eq_u16_e32 vcc, 0, v4
	v_cndmask_b32_e32 v3, v3, v8, vcc
	v_cndmask_b32_e32 v4, v6, v7, vcc
	v_lshlrev_b32_e32 v6, 8, v5
	v_mov_b32_e32 v7, 0x3b800000
	v_lshlrev_b32_e32 v3, 20, v3
	v_and_b32_e32 v6, 0x80000000, v6
	v_lshl_add_u32 v4, v4, 23, v7
	v_or3_b32 v4, v6, v4, v3
.LBB12_888:
	s_or_b64 exec, exec, s[6:7]
	s_nop 0
	v_mfma_f32_16x16x4f32 a[0:3], v2, v4, a[0:3]
	s_movk_i32 s4, 0x7f
	v_cmp_gt_i16_sdwa s[6:7], v9, s4 src0_sel:BYTE_3 src1_sel:DWORD
	s_mov_b64 s[4:5], 0
                                        ; implicit-def: $sgpr10
	s_and_saveexec_b64 s[8:9], s[6:7]
	s_xor_b64 s[6:7], exec, s[8:9]
	s_cbranch_execnz .LBB12_2937
; %bb.889:
	s_or_saveexec_b64 s[6:7], s[6:7]
	v_mov_b32_e32 v2, s10
	s_xor_b64 exec, exec, s[6:7]
	s_cbranch_execnz .LBB12_2940
.LBB12_890:
	s_or_b64 exec, exec, s[6:7]
	s_and_saveexec_b64 s[6:7], s[4:5]
	s_cbranch_execz .LBB12_892
.LBB12_891:
	v_bfe_u32 v2, v9, 24, 3
	v_ffbh_u32_e32 v7, v2
	v_min_u32_e32 v7, 32, v7
	v_lshrrev_b32_e32 v4, 27, v9
	v_subrev_u32_e32 v8, 28, v7
	v_and_b32_e32 v4, 15, v4
	v_lshlrev_b32_sdwa v8, v8, v9 dst_sel:DWORD dst_unused:UNUSED_PAD src0_sel:DWORD src1_sel:BYTE_3
	v_bfe_u32 v6, v9, 27, 4
	v_sub_u32_e32 v7, 29, v7
	v_and_b32_e32 v8, 7, v8
	v_cmp_eq_u16_e32 vcc, 0, v4
	v_cndmask_b32_e32 v2, v2, v8, vcc
	v_cndmask_b32_e32 v4, v6, v7, vcc
	v_mov_b32_e32 v6, 0x3b800000
	v_and_b32_e32 v3, 0x80000000, v9
	v_lshlrev_b32_e32 v2, 20, v2
	v_lshl_add_u32 v4, v4, 23, v6
	v_or3_b32 v2, v3, v4, v2
.LBB12_892:
	s_or_b64 exec, exec, s[6:7]
	s_movk_i32 s4, 0x7f
	v_cmp_gt_i16_sdwa s[6:7], v5, s4 src0_sel:BYTE_3 src1_sel:DWORD
	s_mov_b64 s[4:5], 0
                                        ; implicit-def: $sgpr10
	s_and_saveexec_b64 s[8:9], s[6:7]
	s_xor_b64 s[6:7], exec, s[8:9]
	s_cbranch_execnz .LBB12_2941
; %bb.893:
	s_or_saveexec_b64 s[6:7], s[6:7]
	v_mov_b32_e32 v3, s10
	s_xor_b64 exec, exec, s[6:7]
	s_cbranch_execnz .LBB12_2944
.LBB12_894:
	s_or_b64 exec, exec, s[6:7]
	s_and_saveexec_b64 s[6:7], s[4:5]
	s_cbranch_execz .LBB12_896
.LBB12_895:
	v_bfe_u32 v3, v5, 24, 3
	v_ffbh_u32_e32 v8, v3
	v_min_u32_e32 v8, 32, v8
	v_lshrrev_b32_e32 v6, 27, v5
	v_subrev_u32_e32 v9, 28, v8
	v_and_b32_e32 v4, 0x80000000, v5
	v_and_b32_e32 v6, 15, v6
	v_bfe_u32 v7, v5, 27, 4
	v_lshlrev_b32_sdwa v5, v9, v5 dst_sel:DWORD dst_unused:UNUSED_PAD src0_sel:DWORD src1_sel:BYTE_3
	v_sub_u32_e32 v8, 29, v8
	v_and_b32_e32 v5, 7, v5
	v_cmp_eq_u16_e32 vcc, 0, v6
	v_cndmask_b32_e32 v3, v3, v5, vcc
	v_cndmask_b32_e32 v5, v7, v8, vcc
	v_mov_b32_e32 v6, 0x3b800000
	v_lshlrev_b32_e32 v3, 20, v3
	v_lshl_add_u32 v5, v5, 23, v6
	v_or3_b32 v3, v4, v5, v3
.LBB12_896:
	s_or_b64 exec, exec, s[6:7]
	s_nop 0
	v_mfma_f32_16x16x4f32 a[0:3], v2, v3, a[0:3]
	s_movk_i32 s4, 0x7f
                                        ; implicit-def: $sgpr10
	s_nop 7
	s_nop 1
	flat_store_dwordx4 v[10:11], a[0:3] offset:96
	flat_load_dwordx4 v[12:15], v[0:1] offset:8
	s_nop 0
	flat_load_dwordx2 v[10:11], v[0:1] offset:32
	s_waitcnt vmcnt(0) lgkmcnt(0)
	flat_load_dwordx4 v[6:9], v[12:13] offset:32
	flat_load_dwordx4 v[2:5], v[14:15] offset:96
	s_waitcnt vmcnt(0) lgkmcnt(0)
	v_cmp_gt_i16_sdwa s[6:7], v6, s4 src0_sel:BYTE_0 src1_sel:DWORD
	s_mov_b64 s[4:5], 0
	s_and_saveexec_b64 s[8:9], s[6:7]
	s_xor_b64 s[6:7], exec, s[8:9]
	s_cbranch_execnz .LBB12_2945
; %bb.897:
	s_or_saveexec_b64 s[6:7], s[6:7]
	v_mov_b32_e32 v12, s10
	s_xor_b64 exec, exec, s[6:7]
	s_cbranch_execnz .LBB12_2948
.LBB12_898:
	s_or_b64 exec, exec, s[6:7]
	s_and_saveexec_b64 s[6:7], s[4:5]
	s_cbranch_execz .LBB12_900
.LBB12_899:
	v_and_b32_e32 v12, 7, v6
	v_ffbh_u32_e32 v14, v12
	v_min_u32_e32 v14, 32, v14
	v_lshrrev_b16_e32 v13, 3, v6
	v_subrev_u32_e32 v15, 28, v14
	v_and_b32_e32 v13, 15, v13
	v_lshlrev_b32_e32 v15, v15, v6
	v_sub_u32_e32 v14, 29, v14
	v_and_b32_e32 v15, 7, v15
	v_cmp_eq_u16_e32 vcc, 0, v13
	v_cndmask_b32_e32 v12, v12, v15, vcc
	v_cndmask_b32_e32 v13, v13, v14, vcc
	v_lshlrev_b32_e32 v14, 24, v6
	v_mov_b32_e32 v15, 0x3b800000
	v_lshlrev_b32_e32 v12, 20, v12
	v_and_b32_e32 v14, 0x80000000, v14
	v_lshl_add_u32 v13, v13, 23, v15
	v_or3_b32 v12, v14, v13, v12
.LBB12_900:
	s_or_b64 exec, exec, s[6:7]
	s_movk_i32 s4, 0x7f
	v_cmp_gt_i16_sdwa s[6:7], v2, s4 src0_sel:BYTE_0 src1_sel:DWORD
	s_mov_b64 s[4:5], 0
                                        ; implicit-def: $sgpr10
	s_and_saveexec_b64 s[8:9], s[6:7]
	s_xor_b64 s[6:7], exec, s[8:9]
	s_cbranch_execnz .LBB12_2949
; %bb.901:
	s_or_saveexec_b64 s[6:7], s[6:7]
	v_mov_b32_e32 v13, s10
	s_xor_b64 exec, exec, s[6:7]
	s_cbranch_execnz .LBB12_2952
.LBB12_902:
	s_or_b64 exec, exec, s[6:7]
	s_and_saveexec_b64 s[6:7], s[4:5]
	s_cbranch_execz .LBB12_904
.LBB12_903:
	v_and_b32_e32 v13, 7, v2
	v_ffbh_u32_e32 v15, v13
	v_min_u32_e32 v15, 32, v15
	v_lshrrev_b16_e32 v14, 3, v2
	v_subrev_u32_e32 v16, 28, v15
	v_and_b32_e32 v14, 15, v14
	v_lshlrev_b32_e32 v16, v16, v2
	v_sub_u32_e32 v15, 29, v15
	v_and_b32_e32 v16, 7, v16
	v_cmp_eq_u16_e32 vcc, 0, v14
	v_cndmask_b32_e32 v13, v13, v16, vcc
	v_cndmask_b32_e32 v14, v14, v15, vcc
	v_lshlrev_b32_e32 v15, 24, v2
	v_mov_b32_e32 v16, 0x3b800000
	v_lshlrev_b32_e32 v13, 20, v13
	v_and_b32_e32 v15, 0x80000000, v15
	v_lshl_add_u32 v14, v14, 23, v16
	v_or3_b32 v13, v15, v14, v13
.LBB12_904:
	s_or_b64 exec, exec, s[6:7]
	flat_load_dwordx4 a[0:3], v[10:11] offset:112
	s_movk_i32 s4, 0x7f
                                        ; implicit-def: $sgpr10
	s_waitcnt vmcnt(0) lgkmcnt(0)
	v_mfma_f32_16x16x4f32 a[0:3], v12, v13, a[0:3]
	v_lshrrev_b32_e32 v13, 8, v6
	v_cmp_gt_i16_sdwa s[6:7], v13, s4 src0_sel:BYTE_0 src1_sel:DWORD
	s_mov_b64 s[4:5], 0
	s_and_saveexec_b64 s[8:9], s[6:7]
	s_xor_b64 s[6:7], exec, s[8:9]
	s_cbranch_execnz .LBB12_2953
; %bb.905:
	s_or_saveexec_b64 s[6:7], s[6:7]
	v_mov_b32_e32 v12, s10
	s_xor_b64 exec, exec, s[6:7]
	s_cbranch_execnz .LBB12_2956
.LBB12_906:
	s_or_b64 exec, exec, s[6:7]
	s_and_saveexec_b64 s[6:7], s[4:5]
	s_cbranch_execz .LBB12_908
.LBB12_907:
	v_bfe_u32 v12, v6, 8, 3
	v_ffbh_u32_e32 v15, v12
	v_min_u32_e32 v15, 32, v15
	v_lshrrev_b16_e32 v14, 3, v13
	v_subrev_u32_e32 v16, 28, v15
	v_and_b32_e32 v14, 15, v14
	v_lshlrev_b32_e32 v13, v16, v13
	v_sub_u32_e32 v15, 29, v15
	v_and_b32_e32 v13, 7, v13
	v_cmp_eq_u16_e32 vcc, 0, v14
	v_cndmask_b32_e32 v12, v12, v13, vcc
	v_cndmask_b32_e32 v13, v14, v15, vcc
	v_lshlrev_b32_e32 v14, 16, v6
	v_mov_b32_e32 v15, 0x3b800000
	v_lshlrev_b32_e32 v12, 20, v12
	v_and_b32_e32 v14, 0x80000000, v14
	v_lshl_add_u32 v13, v13, 23, v15
	v_or3_b32 v12, v14, v13, v12
.LBB12_908:
	s_or_b64 exec, exec, s[6:7]
	v_lshrrev_b32_e32 v13, 8, v2
	s_movk_i32 s4, 0x7f
	v_cmp_gt_i16_sdwa s[6:7], v13, s4 src0_sel:BYTE_0 src1_sel:DWORD
	s_mov_b64 s[4:5], 0
                                        ; implicit-def: $sgpr10
	s_and_saveexec_b64 s[8:9], s[6:7]
	s_xor_b64 s[6:7], exec, s[8:9]
	s_cbranch_execnz .LBB12_2957
; %bb.909:
	s_or_saveexec_b64 s[6:7], s[6:7]
	v_mov_b32_e32 v14, s10
	s_xor_b64 exec, exec, s[6:7]
	s_cbranch_execnz .LBB12_2960
.LBB12_910:
	s_or_b64 exec, exec, s[6:7]
	s_and_saveexec_b64 s[6:7], s[4:5]
	s_cbranch_execz .LBB12_912
.LBB12_911:
	v_bfe_u32 v14, v2, 8, 3
	v_ffbh_u32_e32 v16, v14
	v_min_u32_e32 v16, 32, v16
	v_lshrrev_b16_e32 v15, 3, v13
	v_subrev_u32_e32 v17, 28, v16
	v_and_b32_e32 v15, 15, v15
	v_lshlrev_b32_e32 v13, v17, v13
	v_sub_u32_e32 v16, 29, v16
	v_and_b32_e32 v13, 7, v13
	v_cmp_eq_u16_e32 vcc, 0, v15
	v_cndmask_b32_e32 v13, v14, v13, vcc
	v_cndmask_b32_e32 v14, v15, v16, vcc
	v_lshlrev_b32_e32 v15, 16, v2
	v_mov_b32_e32 v16, 0x3b800000
	v_lshlrev_b32_e32 v13, 20, v13
	v_and_b32_e32 v15, 0x80000000, v15
	v_lshl_add_u32 v14, v14, 23, v16
	v_or3_b32 v14, v15, v14, v13
.LBB12_912:
	s_or_b64 exec, exec, s[6:7]
	s_nop 0
	v_mfma_f32_16x16x4f32 a[0:3], v12, v14, a[0:3]
	s_movk_i32 s4, 0xff
	v_and_b32_sdwa v13, v6, s4 dst_sel:DWORD dst_unused:UNUSED_PAD src0_sel:WORD_1 src1_sel:DWORD
	s_movk_i32 s4, 0x7f
	v_cmp_lt_i16_e32 vcc, s4, v13
	s_mov_b64 s[4:5], 0
                                        ; implicit-def: $sgpr10
	s_and_saveexec_b64 s[6:7], vcc
	s_xor_b64 s[6:7], exec, s[6:7]
	s_cbranch_execnz .LBB12_2961
; %bb.913:
	s_or_saveexec_b64 s[6:7], s[6:7]
	v_mov_b32_e32 v12, s10
	s_xor_b64 exec, exec, s[6:7]
	s_cbranch_execnz .LBB12_2964
.LBB12_914:
	s_or_b64 exec, exec, s[6:7]
	s_and_saveexec_b64 s[6:7], s[4:5]
	s_cbranch_execz .LBB12_916
.LBB12_915:
	v_bfe_u32 v12, v6, 16, 3
	v_ffbh_u32_e32 v15, v12
	v_min_u32_e32 v15, 32, v15
	v_lshrrev_b32_e32 v13, 19, v6
	v_subrev_u32_e32 v16, 28, v15
	v_and_b32_e32 v13, 15, v13
	v_lshlrev_b32_sdwa v16, v16, v6 dst_sel:DWORD dst_unused:UNUSED_PAD src0_sel:DWORD src1_sel:WORD_1
	v_bfe_u32 v14, v6, 19, 4
	v_sub_u32_e32 v15, 29, v15
	v_and_b32_e32 v16, 7, v16
	v_cmp_eq_u16_e32 vcc, 0, v13
	v_cndmask_b32_e32 v12, v12, v16, vcc
	v_cndmask_b32_e32 v13, v14, v15, vcc
	v_lshlrev_b32_e32 v14, 8, v6
	v_mov_b32_e32 v15, 0x3b800000
	v_lshlrev_b32_e32 v12, 20, v12
	v_and_b32_e32 v14, 0x80000000, v14
	v_lshl_add_u32 v13, v13, 23, v15
	v_or3_b32 v12, v14, v13, v12
.LBB12_916:
	s_or_b64 exec, exec, s[6:7]
	s_movk_i32 s4, 0xff
	v_and_b32_sdwa v13, v2, s4 dst_sel:DWORD dst_unused:UNUSED_PAD src0_sel:WORD_1 src1_sel:DWORD
	s_movk_i32 s4, 0x7f
	v_cmp_lt_i16_e32 vcc, s4, v13
	s_mov_b64 s[4:5], 0
                                        ; implicit-def: $sgpr10
	s_and_saveexec_b64 s[6:7], vcc
	s_xor_b64 s[6:7], exec, s[6:7]
	s_cbranch_execnz .LBB12_2965
; %bb.917:
	s_or_saveexec_b64 s[6:7], s[6:7]
	v_mov_b32_e32 v14, s10
	s_xor_b64 exec, exec, s[6:7]
	s_cbranch_execnz .LBB12_2968
.LBB12_918:
	s_or_b64 exec, exec, s[6:7]
	s_and_saveexec_b64 s[6:7], s[4:5]
	s_cbranch_execz .LBB12_920
.LBB12_919:
	v_bfe_u32 v13, v2, 16, 3
	v_ffbh_u32_e32 v16, v13
	v_min_u32_e32 v16, 32, v16
	v_lshrrev_b32_e32 v14, 19, v2
	v_subrev_u32_e32 v17, 28, v16
	v_and_b32_e32 v14, 15, v14
	v_lshlrev_b32_sdwa v17, v17, v2 dst_sel:DWORD dst_unused:UNUSED_PAD src0_sel:DWORD src1_sel:WORD_1
	v_bfe_u32 v15, v2, 19, 4
	v_sub_u32_e32 v16, 29, v16
	v_and_b32_e32 v17, 7, v17
	v_cmp_eq_u16_e32 vcc, 0, v14
	v_cndmask_b32_e32 v13, v13, v17, vcc
	v_cndmask_b32_e32 v14, v15, v16, vcc
	v_lshlrev_b32_e32 v15, 8, v2
	v_mov_b32_e32 v16, 0x3b800000
	v_lshlrev_b32_e32 v13, 20, v13
	v_and_b32_e32 v15, 0x80000000, v15
	v_lshl_add_u32 v14, v14, 23, v16
	v_or3_b32 v14, v15, v14, v13
.LBB12_920:
	s_or_b64 exec, exec, s[6:7]
	s_nop 0
	v_mfma_f32_16x16x4f32 a[0:3], v12, v14, a[0:3]
	s_movk_i32 s4, 0x7f
	v_cmp_gt_i16_sdwa s[6:7], v6, s4 src0_sel:BYTE_3 src1_sel:DWORD
	s_mov_b64 s[4:5], 0
                                        ; implicit-def: $sgpr10
	s_and_saveexec_b64 s[8:9], s[6:7]
	s_xor_b64 s[6:7], exec, s[8:9]
	s_cbranch_execnz .LBB12_2969
; %bb.921:
	s_or_saveexec_b64 s[6:7], s[6:7]
	v_mov_b32_e32 v12, s10
	s_xor_b64 exec, exec, s[6:7]
	s_cbranch_execnz .LBB12_2972
.LBB12_922:
	s_or_b64 exec, exec, s[6:7]
	s_and_saveexec_b64 s[6:7], s[4:5]
	s_cbranch_execz .LBB12_924
.LBB12_923:
	v_bfe_u32 v12, v6, 24, 3
	v_ffbh_u32_e32 v16, v12
	v_min_u32_e32 v16, 32, v16
	v_lshrrev_b32_e32 v14, 27, v6
	v_subrev_u32_e32 v17, 28, v16
	v_and_b32_e32 v13, 0x80000000, v6
	v_and_b32_e32 v14, 15, v14
	v_bfe_u32 v15, v6, 27, 4
	v_lshlrev_b32_sdwa v6, v17, v6 dst_sel:DWORD dst_unused:UNUSED_PAD src0_sel:DWORD src1_sel:BYTE_3
	v_sub_u32_e32 v16, 29, v16
	v_and_b32_e32 v6, 7, v6
	v_cmp_eq_u16_e32 vcc, 0, v14
	v_cndmask_b32_e32 v6, v12, v6, vcc
	v_cndmask_b32_e32 v12, v15, v16, vcc
	v_mov_b32_e32 v14, 0x3b800000
	v_lshlrev_b32_e32 v6, 20, v6
	v_lshl_add_u32 v12, v12, 23, v14
	v_or3_b32 v12, v13, v12, v6
.LBB12_924:
	s_or_b64 exec, exec, s[6:7]
	s_movk_i32 s4, 0x7f
	v_cmp_gt_i16_sdwa s[6:7], v2, s4 src0_sel:BYTE_3 src1_sel:DWORD
	s_mov_b64 s[4:5], 0
                                        ; implicit-def: $sgpr10
	s_and_saveexec_b64 s[8:9], s[6:7]
	s_xor_b64 s[6:7], exec, s[8:9]
	s_cbranch_execnz .LBB12_2973
; %bb.925:
	s_or_saveexec_b64 s[6:7], s[6:7]
	v_mov_b32_e32 v6, s10
	s_xor_b64 exec, exec, s[6:7]
	s_cbranch_execnz .LBB12_2976
.LBB12_926:
	s_or_b64 exec, exec, s[6:7]
	s_and_saveexec_b64 s[6:7], s[4:5]
	s_cbranch_execz .LBB12_928
.LBB12_927:
	v_bfe_u32 v6, v2, 24, 3
	v_ffbh_u32_e32 v16, v6
	v_min_u32_e32 v16, 32, v16
	v_lshrrev_b32_e32 v14, 27, v2
	v_subrev_u32_e32 v17, 28, v16
	v_and_b32_e32 v13, 0x80000000, v2
	v_and_b32_e32 v14, 15, v14
	v_bfe_u32 v15, v2, 27, 4
	v_lshlrev_b32_sdwa v2, v17, v2 dst_sel:DWORD dst_unused:UNUSED_PAD src0_sel:DWORD src1_sel:BYTE_3
	v_sub_u32_e32 v16, 29, v16
	v_and_b32_e32 v2, 7, v2
	v_cmp_eq_u16_e32 vcc, 0, v14
	v_cndmask_b32_e32 v2, v6, v2, vcc
	v_cndmask_b32_e32 v6, v15, v16, vcc
	v_mov_b32_e32 v14, 0x3b800000
	v_lshlrev_b32_e32 v2, 20, v2
	v_lshl_add_u32 v6, v6, 23, v14
	v_or3_b32 v6, v13, v6, v2
.LBB12_928:
	s_or_b64 exec, exec, s[6:7]
	s_nop 0
	v_mfma_f32_16x16x4f32 a[0:3], v12, v6, a[0:3]
	s_movk_i32 s4, 0x7f
	v_cmp_gt_i16_sdwa s[6:7], v7, s4 src0_sel:BYTE_0 src1_sel:DWORD
	s_mov_b64 s[4:5], 0
                                        ; implicit-def: $sgpr10
	s_and_saveexec_b64 s[8:9], s[6:7]
	s_xor_b64 s[6:7], exec, s[8:9]
	s_cbranch_execnz .LBB12_2977
; %bb.929:
	s_or_saveexec_b64 s[6:7], s[6:7]
	v_mov_b32_e32 v2, s10
	s_xor_b64 exec, exec, s[6:7]
	s_cbranch_execnz .LBB12_2980
.LBB12_930:
	s_or_b64 exec, exec, s[6:7]
	s_and_saveexec_b64 s[6:7], s[4:5]
	s_cbranch_execz .LBB12_932
.LBB12_931:
	v_and_b32_e32 v2, 7, v7
	v_ffbh_u32_e32 v12, v2
	v_min_u32_e32 v12, 32, v12
	v_lshrrev_b16_e32 v6, 3, v7
	v_subrev_u32_e32 v13, 28, v12
	v_and_b32_e32 v6, 15, v6
	v_lshlrev_b32_e32 v13, v13, v7
	v_sub_u32_e32 v12, 29, v12
	v_and_b32_e32 v13, 7, v13
	v_cmp_eq_u16_e32 vcc, 0, v6
	v_cndmask_b32_e32 v2, v2, v13, vcc
	v_cndmask_b32_e32 v6, v6, v12, vcc
	v_lshlrev_b32_e32 v12, 24, v7
	v_mov_b32_e32 v13, 0x3b800000
	v_lshlrev_b32_e32 v2, 20, v2
	v_and_b32_e32 v12, 0x80000000, v12
	v_lshl_add_u32 v6, v6, 23, v13
	v_or3_b32 v2, v12, v6, v2
.LBB12_932:
	s_or_b64 exec, exec, s[6:7]
	s_movk_i32 s4, 0x7f
	v_cmp_gt_i16_sdwa s[6:7], v3, s4 src0_sel:BYTE_0 src1_sel:DWORD
	s_mov_b64 s[4:5], 0
                                        ; implicit-def: $sgpr10
	s_and_saveexec_b64 s[8:9], s[6:7]
	s_xor_b64 s[6:7], exec, s[8:9]
	s_cbranch_execnz .LBB12_2981
; %bb.933:
	s_or_saveexec_b64 s[6:7], s[6:7]
	v_mov_b32_e32 v6, s10
	s_xor_b64 exec, exec, s[6:7]
	s_cbranch_execnz .LBB12_2984
.LBB12_934:
	s_or_b64 exec, exec, s[6:7]
	s_and_saveexec_b64 s[6:7], s[4:5]
	s_cbranch_execz .LBB12_936
.LBB12_935:
	v_and_b32_e32 v6, 7, v3
	v_ffbh_u32_e32 v13, v6
	v_min_u32_e32 v13, 32, v13
	v_lshrrev_b16_e32 v12, 3, v3
	v_subrev_u32_e32 v14, 28, v13
	v_and_b32_e32 v12, 15, v12
	v_lshlrev_b32_e32 v14, v14, v3
	v_sub_u32_e32 v13, 29, v13
	v_and_b32_e32 v14, 7, v14
	v_cmp_eq_u16_e32 vcc, 0, v12
	v_cndmask_b32_e32 v6, v6, v14, vcc
	v_cndmask_b32_e32 v12, v12, v13, vcc
	v_lshlrev_b32_e32 v13, 24, v3
	v_mov_b32_e32 v14, 0x3b800000
	v_lshlrev_b32_e32 v6, 20, v6
	v_and_b32_e32 v13, 0x80000000, v13
	v_lshl_add_u32 v12, v12, 23, v14
	v_or3_b32 v6, v13, v12, v6
.LBB12_936:
	s_or_b64 exec, exec, s[6:7]
	s_nop 0
	v_mfma_f32_16x16x4f32 a[0:3], v2, v6, a[0:3]
	v_lshrrev_b32_e32 v6, 8, v7
	s_movk_i32 s4, 0x7f
	v_cmp_gt_i16_sdwa s[6:7], v6, s4 src0_sel:BYTE_0 src1_sel:DWORD
	s_mov_b64 s[4:5], 0
                                        ; implicit-def: $sgpr10
	s_and_saveexec_b64 s[8:9], s[6:7]
	s_xor_b64 s[6:7], exec, s[8:9]
	s_cbranch_execnz .LBB12_2985
; %bb.937:
	s_or_saveexec_b64 s[6:7], s[6:7]
	v_mov_b32_e32 v2, s10
	s_xor_b64 exec, exec, s[6:7]
	s_cbranch_execnz .LBB12_2988
.LBB12_938:
	s_or_b64 exec, exec, s[6:7]
	s_and_saveexec_b64 s[6:7], s[4:5]
	s_cbranch_execz .LBB12_940
.LBB12_939:
	v_bfe_u32 v2, v7, 8, 3
	v_ffbh_u32_e32 v13, v2
	v_min_u32_e32 v13, 32, v13
	v_lshrrev_b16_e32 v12, 3, v6
	v_subrev_u32_e32 v14, 28, v13
	v_and_b32_e32 v12, 15, v12
	v_lshlrev_b32_e32 v6, v14, v6
	v_sub_u32_e32 v13, 29, v13
	v_and_b32_e32 v6, 7, v6
	v_cmp_eq_u16_e32 vcc, 0, v12
	v_cndmask_b32_e32 v2, v2, v6, vcc
	v_cndmask_b32_e32 v6, v12, v13, vcc
	v_lshlrev_b32_e32 v12, 16, v7
	v_mov_b32_e32 v13, 0x3b800000
	v_lshlrev_b32_e32 v2, 20, v2
	v_and_b32_e32 v12, 0x80000000, v12
	v_lshl_add_u32 v6, v6, 23, v13
	v_or3_b32 v2, v12, v6, v2
.LBB12_940:
	s_or_b64 exec, exec, s[6:7]
	v_lshrrev_b32_e32 v6, 8, v3
	s_movk_i32 s4, 0x7f
	v_cmp_gt_i16_sdwa s[6:7], v6, s4 src0_sel:BYTE_0 src1_sel:DWORD
	s_mov_b64 s[4:5], 0
                                        ; implicit-def: $sgpr10
	s_and_saveexec_b64 s[8:9], s[6:7]
	s_xor_b64 s[6:7], exec, s[8:9]
	s_cbranch_execnz .LBB12_2989
; %bb.941:
	s_or_saveexec_b64 s[6:7], s[6:7]
	v_mov_b32_e32 v12, s10
	s_xor_b64 exec, exec, s[6:7]
	s_cbranch_execnz .LBB12_2992
.LBB12_942:
	s_or_b64 exec, exec, s[6:7]
	s_and_saveexec_b64 s[6:7], s[4:5]
	s_cbranch_execz .LBB12_944
.LBB12_943:
	v_bfe_u32 v12, v3, 8, 3
	v_ffbh_u32_e32 v14, v12
	v_min_u32_e32 v14, 32, v14
	v_lshrrev_b16_e32 v13, 3, v6
	v_subrev_u32_e32 v15, 28, v14
	v_and_b32_e32 v13, 15, v13
	v_lshlrev_b32_e32 v6, v15, v6
	v_sub_u32_e32 v14, 29, v14
	v_and_b32_e32 v6, 7, v6
	v_cmp_eq_u16_e32 vcc, 0, v13
	v_cndmask_b32_e32 v6, v12, v6, vcc
	v_cndmask_b32_e32 v12, v13, v14, vcc
	v_lshlrev_b32_e32 v13, 16, v3
	v_mov_b32_e32 v14, 0x3b800000
	v_lshlrev_b32_e32 v6, 20, v6
	v_and_b32_e32 v13, 0x80000000, v13
	v_lshl_add_u32 v12, v12, 23, v14
	v_or3_b32 v12, v13, v12, v6
.LBB12_944:
	s_or_b64 exec, exec, s[6:7]
	s_nop 0
	v_mfma_f32_16x16x4f32 a[0:3], v2, v12, a[0:3]
	s_movk_i32 s4, 0xff
	v_and_b32_sdwa v6, v7, s4 dst_sel:DWORD dst_unused:UNUSED_PAD src0_sel:WORD_1 src1_sel:DWORD
	s_movk_i32 s4, 0x7f
	v_cmp_lt_i16_e32 vcc, s4, v6
	s_mov_b64 s[4:5], 0
                                        ; implicit-def: $sgpr10
	s_and_saveexec_b64 s[6:7], vcc
	s_xor_b64 s[6:7], exec, s[6:7]
	s_cbranch_execnz .LBB12_2993
; %bb.945:
	s_or_saveexec_b64 s[6:7], s[6:7]
	v_mov_b32_e32 v2, s10
	s_xor_b64 exec, exec, s[6:7]
	s_cbranch_execnz .LBB12_2996
.LBB12_946:
	s_or_b64 exec, exec, s[6:7]
	s_and_saveexec_b64 s[6:7], s[4:5]
	s_cbranch_execz .LBB12_948
.LBB12_947:
	v_bfe_u32 v2, v7, 16, 3
	v_ffbh_u32_e32 v13, v2
	v_min_u32_e32 v13, 32, v13
	v_lshrrev_b32_e32 v6, 19, v7
	v_subrev_u32_e32 v14, 28, v13
	v_and_b32_e32 v6, 15, v6
	v_lshlrev_b32_sdwa v14, v14, v7 dst_sel:DWORD dst_unused:UNUSED_PAD src0_sel:DWORD src1_sel:WORD_1
	v_bfe_u32 v12, v7, 19, 4
	v_sub_u32_e32 v13, 29, v13
	v_and_b32_e32 v14, 7, v14
	v_cmp_eq_u16_e32 vcc, 0, v6
	v_cndmask_b32_e32 v2, v2, v14, vcc
	v_cndmask_b32_e32 v6, v12, v13, vcc
	v_lshlrev_b32_e32 v12, 8, v7
	v_mov_b32_e32 v13, 0x3b800000
	v_lshlrev_b32_e32 v2, 20, v2
	v_and_b32_e32 v12, 0x80000000, v12
	v_lshl_add_u32 v6, v6, 23, v13
	v_or3_b32 v2, v12, v6, v2
.LBB12_948:
	s_or_b64 exec, exec, s[6:7]
	s_movk_i32 s4, 0xff
	v_and_b32_sdwa v6, v3, s4 dst_sel:DWORD dst_unused:UNUSED_PAD src0_sel:WORD_1 src1_sel:DWORD
	s_movk_i32 s4, 0x7f
	v_cmp_lt_i16_e32 vcc, s4, v6
	s_mov_b64 s[4:5], 0
                                        ; implicit-def: $sgpr10
	s_and_saveexec_b64 s[6:7], vcc
	s_xor_b64 s[6:7], exec, s[6:7]
	s_cbranch_execnz .LBB12_2997
; %bb.949:
	s_or_saveexec_b64 s[6:7], s[6:7]
	v_mov_b32_e32 v12, s10
	s_xor_b64 exec, exec, s[6:7]
	s_cbranch_execnz .LBB12_3000
.LBB12_950:
	s_or_b64 exec, exec, s[6:7]
	s_and_saveexec_b64 s[6:7], s[4:5]
	s_cbranch_execz .LBB12_952
.LBB12_951:
	v_bfe_u32 v6, v3, 16, 3
	v_ffbh_u32_e32 v14, v6
	v_min_u32_e32 v14, 32, v14
	v_lshrrev_b32_e32 v12, 19, v3
	v_subrev_u32_e32 v15, 28, v14
	v_and_b32_e32 v12, 15, v12
	v_lshlrev_b32_sdwa v15, v15, v3 dst_sel:DWORD dst_unused:UNUSED_PAD src0_sel:DWORD src1_sel:WORD_1
	v_bfe_u32 v13, v3, 19, 4
	v_sub_u32_e32 v14, 29, v14
	v_and_b32_e32 v15, 7, v15
	v_cmp_eq_u16_e32 vcc, 0, v12
	v_cndmask_b32_e32 v6, v6, v15, vcc
	v_cndmask_b32_e32 v12, v13, v14, vcc
	v_lshlrev_b32_e32 v13, 8, v3
	v_mov_b32_e32 v14, 0x3b800000
	v_lshlrev_b32_e32 v6, 20, v6
	v_and_b32_e32 v13, 0x80000000, v13
	v_lshl_add_u32 v12, v12, 23, v14
	v_or3_b32 v12, v13, v12, v6
.LBB12_952:
	s_or_b64 exec, exec, s[6:7]
	s_nop 0
	v_mfma_f32_16x16x4f32 a[0:3], v2, v12, a[0:3]
	s_movk_i32 s4, 0x7f
	v_cmp_gt_i16_sdwa s[6:7], v7, s4 src0_sel:BYTE_3 src1_sel:DWORD
	s_mov_b64 s[4:5], 0
                                        ; implicit-def: $sgpr10
	s_and_saveexec_b64 s[8:9], s[6:7]
	s_xor_b64 s[6:7], exec, s[8:9]
	s_cbranch_execnz .LBB12_3001
; %bb.953:
	s_or_saveexec_b64 s[6:7], s[6:7]
	v_mov_b32_e32 v2, s10
	s_xor_b64 exec, exec, s[6:7]
	s_cbranch_execnz .LBB12_3004
.LBB12_954:
	s_or_b64 exec, exec, s[6:7]
	s_and_saveexec_b64 s[6:7], s[4:5]
	s_cbranch_execz .LBB12_956
.LBB12_955:
	v_bfe_u32 v2, v7, 24, 3
	v_ffbh_u32_e32 v14, v2
	v_min_u32_e32 v14, 32, v14
	v_lshrrev_b32_e32 v12, 27, v7
	v_subrev_u32_e32 v15, 28, v14
	v_and_b32_e32 v6, 0x80000000, v7
	v_and_b32_e32 v12, 15, v12
	v_bfe_u32 v13, v7, 27, 4
	v_lshlrev_b32_sdwa v7, v15, v7 dst_sel:DWORD dst_unused:UNUSED_PAD src0_sel:DWORD src1_sel:BYTE_3
	v_sub_u32_e32 v14, 29, v14
	v_and_b32_e32 v7, 7, v7
	v_cmp_eq_u16_e32 vcc, 0, v12
	v_cndmask_b32_e32 v2, v2, v7, vcc
	v_cndmask_b32_e32 v7, v13, v14, vcc
	v_mov_b32_e32 v12, 0x3b800000
	v_lshlrev_b32_e32 v2, 20, v2
	v_lshl_add_u32 v7, v7, 23, v12
	v_or3_b32 v2, v6, v7, v2
.LBB12_956:
	s_or_b64 exec, exec, s[6:7]
	s_movk_i32 s4, 0x7f
	v_cmp_gt_i16_sdwa s[6:7], v3, s4 src0_sel:BYTE_3 src1_sel:DWORD
	s_mov_b64 s[4:5], 0
                                        ; implicit-def: $sgpr10
	s_and_saveexec_b64 s[8:9], s[6:7]
	s_xor_b64 s[6:7], exec, s[8:9]
	s_cbranch_execnz .LBB12_3005
; %bb.957:
	s_or_saveexec_b64 s[6:7], s[6:7]
	v_mov_b32_e32 v6, s10
	s_xor_b64 exec, exec, s[6:7]
	s_cbranch_execnz .LBB12_3008
.LBB12_958:
	s_or_b64 exec, exec, s[6:7]
	s_and_saveexec_b64 s[6:7], s[4:5]
	s_cbranch_execz .LBB12_960
.LBB12_959:
	v_bfe_u32 v6, v3, 24, 3
	v_ffbh_u32_e32 v14, v6
	v_min_u32_e32 v14, 32, v14
	v_lshrrev_b32_e32 v12, 27, v3
	v_subrev_u32_e32 v15, 28, v14
	v_and_b32_e32 v7, 0x80000000, v3
	v_and_b32_e32 v12, 15, v12
	v_bfe_u32 v13, v3, 27, 4
	v_lshlrev_b32_sdwa v3, v15, v3 dst_sel:DWORD dst_unused:UNUSED_PAD src0_sel:DWORD src1_sel:BYTE_3
	v_sub_u32_e32 v14, 29, v14
	v_and_b32_e32 v3, 7, v3
	v_cmp_eq_u16_e32 vcc, 0, v12
	v_cndmask_b32_e32 v3, v6, v3, vcc
	v_cndmask_b32_e32 v6, v13, v14, vcc
	v_mov_b32_e32 v12, 0x3b800000
	v_lshlrev_b32_e32 v3, 20, v3
	v_lshl_add_u32 v6, v6, 23, v12
	v_or3_b32 v6, v7, v6, v3
.LBB12_960:
	s_or_b64 exec, exec, s[6:7]
	s_nop 0
	v_mfma_f32_16x16x4f32 a[0:3], v2, v6, a[0:3]
	s_movk_i32 s4, 0x7f
	v_cmp_gt_i16_sdwa s[6:7], v8, s4 src0_sel:BYTE_0 src1_sel:DWORD
	s_mov_b64 s[4:5], 0
                                        ; implicit-def: $sgpr10
	s_and_saveexec_b64 s[8:9], s[6:7]
	s_xor_b64 s[6:7], exec, s[8:9]
	s_cbranch_execnz .LBB12_3009
; %bb.961:
	s_or_saveexec_b64 s[6:7], s[6:7]
	v_mov_b32_e32 v2, s10
	s_xor_b64 exec, exec, s[6:7]
	s_cbranch_execnz .LBB12_3012
.LBB12_962:
	s_or_b64 exec, exec, s[6:7]
	s_and_saveexec_b64 s[6:7], s[4:5]
	s_cbranch_execz .LBB12_964
.LBB12_963:
	v_and_b32_e32 v2, 7, v8
	v_ffbh_u32_e32 v6, v2
	v_min_u32_e32 v6, 32, v6
	v_lshrrev_b16_e32 v3, 3, v8
	v_subrev_u32_e32 v7, 28, v6
	v_and_b32_e32 v3, 15, v3
	v_lshlrev_b32_e32 v7, v7, v8
	v_sub_u32_e32 v6, 29, v6
	v_and_b32_e32 v7, 7, v7
	v_cmp_eq_u16_e32 vcc, 0, v3
	v_cndmask_b32_e32 v2, v2, v7, vcc
	v_cndmask_b32_e32 v3, v3, v6, vcc
	v_lshlrev_b32_e32 v6, 24, v8
	v_mov_b32_e32 v7, 0x3b800000
	v_lshlrev_b32_e32 v2, 20, v2
	v_and_b32_e32 v6, 0x80000000, v6
	v_lshl_add_u32 v3, v3, 23, v7
	v_or3_b32 v2, v6, v3, v2
.LBB12_964:
	s_or_b64 exec, exec, s[6:7]
	s_movk_i32 s4, 0x7f
	v_cmp_gt_i16_sdwa s[6:7], v4, s4 src0_sel:BYTE_0 src1_sel:DWORD
	s_mov_b64 s[4:5], 0
                                        ; implicit-def: $sgpr10
	s_and_saveexec_b64 s[8:9], s[6:7]
	s_xor_b64 s[6:7], exec, s[8:9]
	s_cbranch_execnz .LBB12_3013
; %bb.965:
	s_or_saveexec_b64 s[6:7], s[6:7]
	v_mov_b32_e32 v3, s10
	s_xor_b64 exec, exec, s[6:7]
	s_cbranch_execnz .LBB12_3016
.LBB12_966:
	s_or_b64 exec, exec, s[6:7]
	s_and_saveexec_b64 s[6:7], s[4:5]
	s_cbranch_execz .LBB12_968
.LBB12_967:
	v_and_b32_e32 v3, 7, v4
	v_ffbh_u32_e32 v7, v3
	v_min_u32_e32 v7, 32, v7
	v_lshrrev_b16_e32 v6, 3, v4
	v_subrev_u32_e32 v12, 28, v7
	v_and_b32_e32 v6, 15, v6
	v_lshlrev_b32_e32 v12, v12, v4
	v_sub_u32_e32 v7, 29, v7
	v_and_b32_e32 v12, 7, v12
	v_cmp_eq_u16_e32 vcc, 0, v6
	v_cndmask_b32_e32 v3, v3, v12, vcc
	v_cndmask_b32_e32 v6, v6, v7, vcc
	v_lshlrev_b32_e32 v7, 24, v4
	v_mov_b32_e32 v12, 0x3b800000
	v_lshlrev_b32_e32 v3, 20, v3
	v_and_b32_e32 v7, 0x80000000, v7
	v_lshl_add_u32 v6, v6, 23, v12
	v_or3_b32 v3, v7, v6, v3
.LBB12_968:
	s_or_b64 exec, exec, s[6:7]
	s_nop 0
	v_mfma_f32_16x16x4f32 a[0:3], v2, v3, a[0:3]
	v_lshrrev_b32_e32 v3, 8, v8
	s_movk_i32 s4, 0x7f
	v_cmp_gt_i16_sdwa s[6:7], v3, s4 src0_sel:BYTE_0 src1_sel:DWORD
	s_mov_b64 s[4:5], 0
                                        ; implicit-def: $sgpr10
	s_and_saveexec_b64 s[8:9], s[6:7]
	s_xor_b64 s[6:7], exec, s[8:9]
	s_cbranch_execnz .LBB12_3017
; %bb.969:
	s_or_saveexec_b64 s[6:7], s[6:7]
	v_mov_b32_e32 v2, s10
	s_xor_b64 exec, exec, s[6:7]
	s_cbranch_execnz .LBB12_3020
.LBB12_970:
	s_or_b64 exec, exec, s[6:7]
	s_and_saveexec_b64 s[6:7], s[4:5]
	s_cbranch_execz .LBB12_972
.LBB12_971:
	v_bfe_u32 v2, v8, 8, 3
	v_ffbh_u32_e32 v7, v2
	v_min_u32_e32 v7, 32, v7
	v_lshrrev_b16_e32 v6, 3, v3
	v_subrev_u32_e32 v12, 28, v7
	v_and_b32_e32 v6, 15, v6
	v_lshlrev_b32_e32 v3, v12, v3
	v_sub_u32_e32 v7, 29, v7
	v_and_b32_e32 v3, 7, v3
	v_cmp_eq_u16_e32 vcc, 0, v6
	v_cndmask_b32_e32 v2, v2, v3, vcc
	v_cndmask_b32_e32 v3, v6, v7, vcc
	v_lshlrev_b32_e32 v6, 16, v8
	v_mov_b32_e32 v7, 0x3b800000
	v_lshlrev_b32_e32 v2, 20, v2
	v_and_b32_e32 v6, 0x80000000, v6
	v_lshl_add_u32 v3, v3, 23, v7
	v_or3_b32 v2, v6, v3, v2
.LBB12_972:
	s_or_b64 exec, exec, s[6:7]
	v_lshrrev_b32_e32 v3, 8, v4
	s_movk_i32 s4, 0x7f
	v_cmp_gt_i16_sdwa s[6:7], v3, s4 src0_sel:BYTE_0 src1_sel:DWORD
	s_mov_b64 s[4:5], 0
                                        ; implicit-def: $sgpr10
	s_and_saveexec_b64 s[8:9], s[6:7]
	s_xor_b64 s[6:7], exec, s[8:9]
	s_cbranch_execnz .LBB12_3021
; %bb.973:
	s_or_saveexec_b64 s[6:7], s[6:7]
	v_mov_b32_e32 v6, s10
	s_xor_b64 exec, exec, s[6:7]
	s_cbranch_execnz .LBB12_3024
.LBB12_974:
	s_or_b64 exec, exec, s[6:7]
	s_and_saveexec_b64 s[6:7], s[4:5]
	s_cbranch_execz .LBB12_976
.LBB12_975:
	v_bfe_u32 v6, v4, 8, 3
	v_ffbh_u32_e32 v12, v6
	v_min_u32_e32 v12, 32, v12
	v_lshrrev_b16_e32 v7, 3, v3
	v_subrev_u32_e32 v13, 28, v12
	v_and_b32_e32 v7, 15, v7
	v_lshlrev_b32_e32 v3, v13, v3
	v_sub_u32_e32 v12, 29, v12
	v_and_b32_e32 v3, 7, v3
	v_cmp_eq_u16_e32 vcc, 0, v7
	v_cndmask_b32_e32 v3, v6, v3, vcc
	v_cndmask_b32_e32 v6, v7, v12, vcc
	v_lshlrev_b32_e32 v7, 16, v4
	v_mov_b32_e32 v12, 0x3b800000
	v_lshlrev_b32_e32 v3, 20, v3
	v_and_b32_e32 v7, 0x80000000, v7
	v_lshl_add_u32 v6, v6, 23, v12
	v_or3_b32 v6, v7, v6, v3
.LBB12_976:
	s_or_b64 exec, exec, s[6:7]
	s_nop 0
	v_mfma_f32_16x16x4f32 a[0:3], v2, v6, a[0:3]
	s_movk_i32 s4, 0xff
	v_and_b32_sdwa v3, v8, s4 dst_sel:DWORD dst_unused:UNUSED_PAD src0_sel:WORD_1 src1_sel:DWORD
	s_movk_i32 s4, 0x7f
	v_cmp_lt_i16_e32 vcc, s4, v3
	s_mov_b64 s[4:5], 0
                                        ; implicit-def: $sgpr10
	s_and_saveexec_b64 s[6:7], vcc
	s_xor_b64 s[6:7], exec, s[6:7]
	s_cbranch_execnz .LBB12_3025
; %bb.977:
	s_or_saveexec_b64 s[6:7], s[6:7]
	v_mov_b32_e32 v2, s10
	s_xor_b64 exec, exec, s[6:7]
	s_cbranch_execnz .LBB12_3028
.LBB12_978:
	s_or_b64 exec, exec, s[6:7]
	s_and_saveexec_b64 s[6:7], s[4:5]
	s_cbranch_execz .LBB12_980
.LBB12_979:
	v_bfe_u32 v2, v8, 16, 3
	v_ffbh_u32_e32 v7, v2
	v_min_u32_e32 v7, 32, v7
	v_lshrrev_b32_e32 v3, 19, v8
	v_subrev_u32_e32 v12, 28, v7
	v_and_b32_e32 v3, 15, v3
	v_lshlrev_b32_sdwa v12, v12, v8 dst_sel:DWORD dst_unused:UNUSED_PAD src0_sel:DWORD src1_sel:WORD_1
	v_bfe_u32 v6, v8, 19, 4
	v_sub_u32_e32 v7, 29, v7
	v_and_b32_e32 v12, 7, v12
	v_cmp_eq_u16_e32 vcc, 0, v3
	v_cndmask_b32_e32 v2, v2, v12, vcc
	v_cndmask_b32_e32 v3, v6, v7, vcc
	v_lshlrev_b32_e32 v6, 8, v8
	v_mov_b32_e32 v7, 0x3b800000
	v_lshlrev_b32_e32 v2, 20, v2
	v_and_b32_e32 v6, 0x80000000, v6
	v_lshl_add_u32 v3, v3, 23, v7
	v_or3_b32 v2, v6, v3, v2
.LBB12_980:
	s_or_b64 exec, exec, s[6:7]
	s_movk_i32 s4, 0xff
	v_and_b32_sdwa v3, v4, s4 dst_sel:DWORD dst_unused:UNUSED_PAD src0_sel:WORD_1 src1_sel:DWORD
	s_movk_i32 s4, 0x7f
	v_cmp_lt_i16_e32 vcc, s4, v3
	s_mov_b64 s[4:5], 0
                                        ; implicit-def: $sgpr10
	s_and_saveexec_b64 s[6:7], vcc
	s_xor_b64 s[6:7], exec, s[6:7]
	s_cbranch_execnz .LBB12_3029
; %bb.981:
	s_or_saveexec_b64 s[6:7], s[6:7]
	v_mov_b32_e32 v6, s10
	s_xor_b64 exec, exec, s[6:7]
	s_cbranch_execnz .LBB12_3032
.LBB12_982:
	s_or_b64 exec, exec, s[6:7]
	s_and_saveexec_b64 s[6:7], s[4:5]
	s_cbranch_execz .LBB12_984
.LBB12_983:
	v_bfe_u32 v3, v4, 16, 3
	v_ffbh_u32_e32 v12, v3
	v_min_u32_e32 v12, 32, v12
	v_lshrrev_b32_e32 v6, 19, v4
	v_subrev_u32_e32 v13, 28, v12
	v_and_b32_e32 v6, 15, v6
	v_lshlrev_b32_sdwa v13, v13, v4 dst_sel:DWORD dst_unused:UNUSED_PAD src0_sel:DWORD src1_sel:WORD_1
	v_bfe_u32 v7, v4, 19, 4
	v_sub_u32_e32 v12, 29, v12
	v_and_b32_e32 v13, 7, v13
	v_cmp_eq_u16_e32 vcc, 0, v6
	v_cndmask_b32_e32 v3, v3, v13, vcc
	v_cndmask_b32_e32 v6, v7, v12, vcc
	v_lshlrev_b32_e32 v7, 8, v4
	v_mov_b32_e32 v12, 0x3b800000
	v_lshlrev_b32_e32 v3, 20, v3
	v_and_b32_e32 v7, 0x80000000, v7
	v_lshl_add_u32 v6, v6, 23, v12
	v_or3_b32 v6, v7, v6, v3
.LBB12_984:
	s_or_b64 exec, exec, s[6:7]
	s_nop 0
	v_mfma_f32_16x16x4f32 a[0:3], v2, v6, a[0:3]
	s_movk_i32 s4, 0x7f
	v_cmp_gt_i16_sdwa s[6:7], v8, s4 src0_sel:BYTE_3 src1_sel:DWORD
	s_mov_b64 s[4:5], 0
                                        ; implicit-def: $sgpr10
	s_and_saveexec_b64 s[8:9], s[6:7]
	s_xor_b64 s[6:7], exec, s[8:9]
	s_cbranch_execnz .LBB12_3033
; %bb.985:
	s_or_saveexec_b64 s[6:7], s[6:7]
	v_mov_b32_e32 v2, s10
	s_xor_b64 exec, exec, s[6:7]
	s_cbranch_execnz .LBB12_3036
.LBB12_986:
	s_or_b64 exec, exec, s[6:7]
	s_and_saveexec_b64 s[6:7], s[4:5]
	s_cbranch_execz .LBB12_988
.LBB12_987:
	v_bfe_u32 v2, v8, 24, 3
	v_ffbh_u32_e32 v12, v2
	v_min_u32_e32 v12, 32, v12
	v_lshrrev_b32_e32 v6, 27, v8
	v_subrev_u32_e32 v13, 28, v12
	v_and_b32_e32 v3, 0x80000000, v8
	v_and_b32_e32 v6, 15, v6
	v_bfe_u32 v7, v8, 27, 4
	v_lshlrev_b32_sdwa v8, v13, v8 dst_sel:DWORD dst_unused:UNUSED_PAD src0_sel:DWORD src1_sel:BYTE_3
	v_sub_u32_e32 v12, 29, v12
	v_and_b32_e32 v8, 7, v8
	v_cmp_eq_u16_e32 vcc, 0, v6
	v_cndmask_b32_e32 v2, v2, v8, vcc
	v_cndmask_b32_e32 v6, v7, v12, vcc
	v_mov_b32_e32 v7, 0x3b800000
	v_lshlrev_b32_e32 v2, 20, v2
	v_lshl_add_u32 v6, v6, 23, v7
	v_or3_b32 v2, v3, v6, v2
.LBB12_988:
	s_or_b64 exec, exec, s[6:7]
	s_movk_i32 s4, 0x7f
	v_cmp_gt_i16_sdwa s[6:7], v4, s4 src0_sel:BYTE_3 src1_sel:DWORD
	s_mov_b64 s[4:5], 0
                                        ; implicit-def: $sgpr10
	s_and_saveexec_b64 s[8:9], s[6:7]
	s_xor_b64 s[6:7], exec, s[8:9]
	s_cbranch_execnz .LBB12_3037
; %bb.989:
	s_or_saveexec_b64 s[6:7], s[6:7]
	v_mov_b32_e32 v3, s10
	s_xor_b64 exec, exec, s[6:7]
	s_cbranch_execnz .LBB12_3040
.LBB12_990:
	s_or_b64 exec, exec, s[6:7]
	s_and_saveexec_b64 s[6:7], s[4:5]
	s_cbranch_execz .LBB12_992
.LBB12_991:
	v_bfe_u32 v3, v4, 24, 3
	v_ffbh_u32_e32 v12, v3
	v_min_u32_e32 v12, 32, v12
	v_lshrrev_b32_e32 v7, 27, v4
	v_subrev_u32_e32 v13, 28, v12
	v_and_b32_e32 v6, 0x80000000, v4
	v_and_b32_e32 v7, 15, v7
	v_bfe_u32 v8, v4, 27, 4
	v_lshlrev_b32_sdwa v4, v13, v4 dst_sel:DWORD dst_unused:UNUSED_PAD src0_sel:DWORD src1_sel:BYTE_3
	v_sub_u32_e32 v12, 29, v12
	v_and_b32_e32 v4, 7, v4
	v_cmp_eq_u16_e32 vcc, 0, v7
	v_cndmask_b32_e32 v3, v3, v4, vcc
	v_cndmask_b32_e32 v4, v8, v12, vcc
	v_mov_b32_e32 v7, 0x3b800000
	v_lshlrev_b32_e32 v3, 20, v3
	v_lshl_add_u32 v4, v4, 23, v7
	v_or3_b32 v3, v6, v4, v3
.LBB12_992:
	s_or_b64 exec, exec, s[6:7]
	s_nop 0
	v_mfma_f32_16x16x4f32 a[0:3], v2, v3, a[0:3]
	s_movk_i32 s4, 0x7f
	v_cmp_gt_i16_sdwa s[6:7], v9, s4 src0_sel:BYTE_0 src1_sel:DWORD
	s_mov_b64 s[4:5], 0
                                        ; implicit-def: $sgpr10
	s_and_saveexec_b64 s[8:9], s[6:7]
	s_xor_b64 s[6:7], exec, s[8:9]
	s_cbranch_execnz .LBB12_3041
; %bb.993:
	s_or_saveexec_b64 s[6:7], s[6:7]
	v_mov_b32_e32 v2, s10
	s_xor_b64 exec, exec, s[6:7]
	s_cbranch_execnz .LBB12_3044
.LBB12_994:
	s_or_b64 exec, exec, s[6:7]
	s_and_saveexec_b64 s[6:7], s[4:5]
	s_cbranch_execz .LBB12_996
.LBB12_995:
	v_mov_b32_e32 v2, 8
	v_and_b32_e32 v3, 7, v9
	v_lshrrev_b32_sdwa v2, v2, v9 dst_sel:BYTE_1 dst_unused:UNUSED_PAD src0_sel:DWORD src1_sel:DWORD
	v_ffbh_u32_e32 v4, v3
	v_or_b32_sdwa v2, v9, v2 dst_sel:DWORD dst_unused:UNUSED_PAD src0_sel:BYTE_0 src1_sel:DWORD
	v_min_u32_e32 v4, 32, v4
	v_lshrrev_b16_e32 v2, 3, v2
	v_subrev_u32_e32 v6, 28, v4
	v_and_b32_e32 v2, 15, v2
	v_lshlrev_b32_e32 v6, v6, v9
	v_sub_u32_e32 v4, 29, v4
	v_and_b32_e32 v6, 7, v6
	v_cmp_eq_u16_e32 vcc, 0, v2
	v_cndmask_b32_e32 v3, v3, v6, vcc
	v_cndmask_b32_e32 v2, v2, v4, vcc
	v_lshlrev_b32_e32 v4, 24, v9
	v_mov_b32_e32 v6, 0x3b800000
	v_lshlrev_b32_e32 v3, 20, v3
	v_and_b32_e32 v4, 0x80000000, v4
	v_lshl_add_u32 v2, v2, 23, v6
	v_or3_b32 v2, v4, v2, v3
.LBB12_996:
	s_or_b64 exec, exec, s[6:7]
	s_movk_i32 s4, 0x7f
	v_cmp_gt_i16_sdwa s[6:7], v5, s4 src0_sel:BYTE_0 src1_sel:DWORD
	s_mov_b64 s[4:5], 0
                                        ; implicit-def: $sgpr10
	s_and_saveexec_b64 s[8:9], s[6:7]
	s_xor_b64 s[6:7], exec, s[8:9]
	s_cbranch_execnz .LBB12_3045
; %bb.997:
	s_or_saveexec_b64 s[6:7], s[6:7]
	v_mov_b32_e32 v3, s10
	s_xor_b64 exec, exec, s[6:7]
	s_cbranch_execnz .LBB12_3048
.LBB12_998:
	s_or_b64 exec, exec, s[6:7]
	s_and_saveexec_b64 s[6:7], s[4:5]
	s_cbranch_execz .LBB12_1000
.LBB12_999:
	v_mov_b32_e32 v3, 8
	v_and_b32_e32 v4, 7, v5
	v_lshrrev_b32_sdwa v3, v3, v5 dst_sel:BYTE_1 dst_unused:UNUSED_PAD src0_sel:DWORD src1_sel:DWORD
	v_ffbh_u32_e32 v6, v4
	v_or_b32_sdwa v3, v5, v3 dst_sel:DWORD dst_unused:UNUSED_PAD src0_sel:BYTE_0 src1_sel:DWORD
	v_min_u32_e32 v6, 32, v6
	v_lshrrev_b16_e32 v3, 3, v3
	v_subrev_u32_e32 v7, 28, v6
	v_and_b32_e32 v3, 15, v3
	v_lshlrev_b32_e32 v7, v7, v5
	v_sub_u32_e32 v6, 29, v6
	v_and_b32_e32 v7, 7, v7
	v_cmp_eq_u16_e32 vcc, 0, v3
	v_cndmask_b32_e32 v4, v4, v7, vcc
	v_cndmask_b32_e32 v3, v3, v6, vcc
	v_lshlrev_b32_e32 v6, 24, v5
	v_mov_b32_e32 v7, 0x3b800000
	v_lshlrev_b32_e32 v4, 20, v4
	v_and_b32_e32 v6, 0x80000000, v6
	v_lshl_add_u32 v3, v3, 23, v7
	v_or3_b32 v3, v6, v3, v4
.LBB12_1000:
	s_or_b64 exec, exec, s[6:7]
	s_nop 0
	v_mfma_f32_16x16x4f32 a[0:3], v2, v3, a[0:3]
	v_lshrrev_b32_e32 v3, 8, v9
	s_movk_i32 s4, 0x7f
	v_cmp_gt_i16_sdwa s[6:7], v3, s4 src0_sel:BYTE_0 src1_sel:DWORD
	s_mov_b64 s[4:5], 0
                                        ; implicit-def: $sgpr10
	s_and_saveexec_b64 s[8:9], s[6:7]
	s_xor_b64 s[6:7], exec, s[8:9]
	s_cbranch_execnz .LBB12_3049
; %bb.1001:
	s_or_saveexec_b64 s[6:7], s[6:7]
	v_mov_b32_e32 v2, s10
	s_xor_b64 exec, exec, s[6:7]
	s_cbranch_execnz .LBB12_3052
.LBB12_1002:
	s_or_b64 exec, exec, s[6:7]
	s_and_saveexec_b64 s[6:7], s[4:5]
	s_cbranch_execz .LBB12_1004
.LBB12_1003:
	v_bfe_u32 v2, v9, 8, 3
	v_ffbh_u32_e32 v6, v2
	v_min_u32_e32 v6, 32, v6
	v_lshrrev_b16_e32 v4, 3, v3
	v_subrev_u32_e32 v7, 28, v6
	v_and_b32_e32 v4, 15, v4
	v_lshlrev_b32_e32 v3, v7, v3
	v_sub_u32_e32 v6, 29, v6
	v_and_b32_e32 v3, 7, v3
	v_cmp_eq_u16_e32 vcc, 0, v4
	v_cndmask_b32_e32 v2, v2, v3, vcc
	v_cndmask_b32_e32 v3, v4, v6, vcc
	v_lshlrev_b32_e32 v4, 16, v9
	v_mov_b32_e32 v6, 0x3b800000
	v_lshlrev_b32_e32 v2, 20, v2
	v_and_b32_e32 v4, 0x80000000, v4
	v_lshl_add_u32 v3, v3, 23, v6
	v_or3_b32 v2, v4, v3, v2
.LBB12_1004:
	s_or_b64 exec, exec, s[6:7]
	v_lshrrev_b32_e32 v3, 8, v5
	s_movk_i32 s4, 0x7f
	v_cmp_gt_i16_sdwa s[6:7], v3, s4 src0_sel:BYTE_0 src1_sel:DWORD
	s_mov_b64 s[4:5], 0
                                        ; implicit-def: $sgpr10
	s_and_saveexec_b64 s[8:9], s[6:7]
	s_xor_b64 s[6:7], exec, s[8:9]
	s_cbranch_execnz .LBB12_3053
; %bb.1005:
	s_or_saveexec_b64 s[6:7], s[6:7]
	v_mov_b32_e32 v4, s10
	s_xor_b64 exec, exec, s[6:7]
	s_cbranch_execnz .LBB12_3056
.LBB12_1006:
	s_or_b64 exec, exec, s[6:7]
	s_and_saveexec_b64 s[6:7], s[4:5]
	s_cbranch_execz .LBB12_1008
.LBB12_1007:
	v_bfe_u32 v4, v5, 8, 3
	v_ffbh_u32_e32 v7, v4
	v_min_u32_e32 v7, 32, v7
	v_lshrrev_b16_e32 v6, 3, v3
	v_subrev_u32_e32 v8, 28, v7
	v_and_b32_e32 v6, 15, v6
	v_lshlrev_b32_e32 v3, v8, v3
	v_sub_u32_e32 v7, 29, v7
	v_and_b32_e32 v3, 7, v3
	v_cmp_eq_u16_e32 vcc, 0, v6
	v_cndmask_b32_e32 v3, v4, v3, vcc
	v_cndmask_b32_e32 v4, v6, v7, vcc
	v_lshlrev_b32_e32 v6, 16, v5
	v_mov_b32_e32 v7, 0x3b800000
	v_lshlrev_b32_e32 v3, 20, v3
	v_and_b32_e32 v6, 0x80000000, v6
	v_lshl_add_u32 v4, v4, 23, v7
	v_or3_b32 v4, v6, v4, v3
.LBB12_1008:
	s_or_b64 exec, exec, s[6:7]
	s_nop 0
	v_mfma_f32_16x16x4f32 a[0:3], v2, v4, a[0:3]
	s_movk_i32 s4, 0xff
	v_and_b32_sdwa v3, v9, s4 dst_sel:DWORD dst_unused:UNUSED_PAD src0_sel:WORD_1 src1_sel:DWORD
	s_movk_i32 s4, 0x7f
	v_cmp_lt_i16_e32 vcc, s4, v3
	s_mov_b64 s[4:5], 0
                                        ; implicit-def: $sgpr10
	s_and_saveexec_b64 s[6:7], vcc
	s_xor_b64 s[6:7], exec, s[6:7]
	s_cbranch_execnz .LBB12_3057
; %bb.1009:
	s_or_saveexec_b64 s[6:7], s[6:7]
	v_mov_b32_e32 v2, s10
	s_xor_b64 exec, exec, s[6:7]
	s_cbranch_execnz .LBB12_3060
.LBB12_1010:
	s_or_b64 exec, exec, s[6:7]
	s_and_saveexec_b64 s[6:7], s[4:5]
	s_cbranch_execz .LBB12_1012
.LBB12_1011:
	v_bfe_u32 v2, v9, 16, 3
	v_ffbh_u32_e32 v6, v2
	v_min_u32_e32 v6, 32, v6
	v_lshrrev_b32_e32 v3, 19, v9
	v_subrev_u32_e32 v7, 28, v6
	v_and_b32_e32 v3, 15, v3
	v_lshlrev_b32_sdwa v7, v7, v9 dst_sel:DWORD dst_unused:UNUSED_PAD src0_sel:DWORD src1_sel:WORD_1
	v_bfe_u32 v4, v9, 19, 4
	v_sub_u32_e32 v6, 29, v6
	v_and_b32_e32 v7, 7, v7
	v_cmp_eq_u16_e32 vcc, 0, v3
	v_cndmask_b32_e32 v2, v2, v7, vcc
	v_cndmask_b32_e32 v3, v4, v6, vcc
	v_lshlrev_b32_e32 v4, 8, v9
	v_mov_b32_e32 v6, 0x3b800000
	v_lshlrev_b32_e32 v2, 20, v2
	v_and_b32_e32 v4, 0x80000000, v4
	v_lshl_add_u32 v3, v3, 23, v6
	v_or3_b32 v2, v4, v3, v2
.LBB12_1012:
	s_or_b64 exec, exec, s[6:7]
	s_movk_i32 s4, 0xff
	v_and_b32_sdwa v3, v5, s4 dst_sel:DWORD dst_unused:UNUSED_PAD src0_sel:WORD_1 src1_sel:DWORD
	s_movk_i32 s4, 0x7f
	v_cmp_lt_i16_e32 vcc, s4, v3
	s_mov_b64 s[4:5], 0
                                        ; implicit-def: $sgpr10
	s_and_saveexec_b64 s[6:7], vcc
	s_xor_b64 s[6:7], exec, s[6:7]
	s_cbranch_execnz .LBB12_3061
; %bb.1013:
	s_or_saveexec_b64 s[6:7], s[6:7]
	v_mov_b32_e32 v4, s10
	s_xor_b64 exec, exec, s[6:7]
	s_cbranch_execnz .LBB12_3064
.LBB12_1014:
	s_or_b64 exec, exec, s[6:7]
	s_and_saveexec_b64 s[6:7], s[4:5]
	s_cbranch_execz .LBB12_1016
.LBB12_1015:
	v_bfe_u32 v3, v5, 16, 3
	v_ffbh_u32_e32 v7, v3
	v_min_u32_e32 v7, 32, v7
	v_lshrrev_b32_e32 v4, 19, v5
	v_subrev_u32_e32 v8, 28, v7
	v_and_b32_e32 v4, 15, v4
	v_lshlrev_b32_sdwa v8, v8, v5 dst_sel:DWORD dst_unused:UNUSED_PAD src0_sel:DWORD src1_sel:WORD_1
	v_bfe_u32 v6, v5, 19, 4
	v_sub_u32_e32 v7, 29, v7
	v_and_b32_e32 v8, 7, v8
	v_cmp_eq_u16_e32 vcc, 0, v4
	v_cndmask_b32_e32 v3, v3, v8, vcc
	v_cndmask_b32_e32 v4, v6, v7, vcc
	v_lshlrev_b32_e32 v6, 8, v5
	v_mov_b32_e32 v7, 0x3b800000
	v_lshlrev_b32_e32 v3, 20, v3
	v_and_b32_e32 v6, 0x80000000, v6
	v_lshl_add_u32 v4, v4, 23, v7
	v_or3_b32 v4, v6, v4, v3
.LBB12_1016:
	s_or_b64 exec, exec, s[6:7]
	s_nop 0
	v_mfma_f32_16x16x4f32 a[0:3], v2, v4, a[0:3]
	s_movk_i32 s4, 0x7f
	v_cmp_gt_i16_sdwa s[6:7], v9, s4 src0_sel:BYTE_3 src1_sel:DWORD
	s_mov_b64 s[4:5], 0
                                        ; implicit-def: $sgpr10
	s_and_saveexec_b64 s[8:9], s[6:7]
	s_xor_b64 s[6:7], exec, s[8:9]
	s_cbranch_execnz .LBB12_3065
; %bb.1017:
	s_or_saveexec_b64 s[6:7], s[6:7]
	v_mov_b32_e32 v2, s10
	s_xor_b64 exec, exec, s[6:7]
	s_cbranch_execnz .LBB12_3068
.LBB12_1018:
	s_or_b64 exec, exec, s[6:7]
	s_and_saveexec_b64 s[6:7], s[4:5]
	s_cbranch_execz .LBB12_1020
.LBB12_1019:
	v_bfe_u32 v2, v9, 24, 3
	v_ffbh_u32_e32 v7, v2
	v_min_u32_e32 v7, 32, v7
	v_lshrrev_b32_e32 v4, 27, v9
	v_subrev_u32_e32 v8, 28, v7
	v_and_b32_e32 v4, 15, v4
	v_lshlrev_b32_sdwa v8, v8, v9 dst_sel:DWORD dst_unused:UNUSED_PAD src0_sel:DWORD src1_sel:BYTE_3
	v_bfe_u32 v6, v9, 27, 4
	v_sub_u32_e32 v7, 29, v7
	v_and_b32_e32 v8, 7, v8
	v_cmp_eq_u16_e32 vcc, 0, v4
	v_cndmask_b32_e32 v2, v2, v8, vcc
	v_cndmask_b32_e32 v4, v6, v7, vcc
	v_mov_b32_e32 v6, 0x3b800000
	v_and_b32_e32 v3, 0x80000000, v9
	v_lshlrev_b32_e32 v2, 20, v2
	v_lshl_add_u32 v4, v4, 23, v6
	v_or3_b32 v2, v3, v4, v2
.LBB12_1020:
	s_or_b64 exec, exec, s[6:7]
	s_movk_i32 s4, 0x7f
	v_cmp_gt_i16_sdwa s[6:7], v5, s4 src0_sel:BYTE_3 src1_sel:DWORD
	s_mov_b64 s[4:5], 0
                                        ; implicit-def: $sgpr10
	s_and_saveexec_b64 s[8:9], s[6:7]
	s_xor_b64 s[6:7], exec, s[8:9]
	s_cbranch_execnz .LBB12_3069
; %bb.1021:
	s_or_saveexec_b64 s[6:7], s[6:7]
	v_mov_b32_e32 v3, s10
	s_xor_b64 exec, exec, s[6:7]
	s_cbranch_execnz .LBB12_3072
.LBB12_1022:
	s_or_b64 exec, exec, s[6:7]
	s_and_saveexec_b64 s[6:7], s[4:5]
	s_cbranch_execz .LBB12_1024
.LBB12_1023:
	v_bfe_u32 v3, v5, 24, 3
	v_ffbh_u32_e32 v8, v3
	v_min_u32_e32 v8, 32, v8
	v_lshrrev_b32_e32 v6, 27, v5
	v_subrev_u32_e32 v9, 28, v8
	v_and_b32_e32 v4, 0x80000000, v5
	v_and_b32_e32 v6, 15, v6
	v_bfe_u32 v7, v5, 27, 4
	v_lshlrev_b32_sdwa v5, v9, v5 dst_sel:DWORD dst_unused:UNUSED_PAD src0_sel:DWORD src1_sel:BYTE_3
	v_sub_u32_e32 v8, 29, v8
	v_and_b32_e32 v5, 7, v5
	v_cmp_eq_u16_e32 vcc, 0, v6
	v_cndmask_b32_e32 v3, v3, v5, vcc
	v_cndmask_b32_e32 v5, v7, v8, vcc
	v_mov_b32_e32 v6, 0x3b800000
	v_lshlrev_b32_e32 v3, 20, v3
	v_lshl_add_u32 v5, v5, 23, v6
	v_or3_b32 v3, v4, v5, v3
.LBB12_1024:
	s_or_b64 exec, exec, s[6:7]
	s_nop 0
	v_mfma_f32_16x16x4f32 a[0:3], v2, v3, a[0:3]
	s_movk_i32 s4, 0x7f
                                        ; implicit-def: $sgpr10
	s_nop 7
	s_nop 1
	flat_store_dwordx4 v[10:11], a[0:3] offset:112
	flat_load_dwordx4 v[12:15], v[0:1] offset:8
	s_nop 0
	flat_load_dwordx2 v[10:11], v[0:1] offset:32
	s_waitcnt vmcnt(0) lgkmcnt(0)
	flat_load_dwordx4 v[6:9], v[12:13] offset:64
	flat_load_dwordx4 v[2:5], v[14:15]
	s_waitcnt vmcnt(0) lgkmcnt(0)
	v_cmp_gt_i16_sdwa s[6:7], v6, s4 src0_sel:BYTE_0 src1_sel:DWORD
	s_mov_b64 s[4:5], 0
	s_and_saveexec_b64 s[8:9], s[6:7]
	s_xor_b64 s[6:7], exec, s[8:9]
	s_cbranch_execnz .LBB12_3073
; %bb.1025:
	s_or_saveexec_b64 s[6:7], s[6:7]
	v_mov_b32_e32 v12, s10
	s_xor_b64 exec, exec, s[6:7]
	s_cbranch_execnz .LBB12_3076
.LBB12_1026:
	s_or_b64 exec, exec, s[6:7]
	s_and_saveexec_b64 s[6:7], s[4:5]
	s_cbranch_execz .LBB12_1028
.LBB12_1027:
	v_and_b32_e32 v12, 7, v6
	v_ffbh_u32_e32 v14, v12
	v_min_u32_e32 v14, 32, v14
	v_lshrrev_b16_e32 v13, 3, v6
	v_subrev_u32_e32 v15, 28, v14
	v_and_b32_e32 v13, 15, v13
	v_lshlrev_b32_e32 v15, v15, v6
	v_sub_u32_e32 v14, 29, v14
	v_and_b32_e32 v15, 7, v15
	v_cmp_eq_u16_e32 vcc, 0, v13
	v_cndmask_b32_e32 v12, v12, v15, vcc
	v_cndmask_b32_e32 v13, v13, v14, vcc
	v_lshlrev_b32_e32 v14, 24, v6
	v_mov_b32_e32 v15, 0x3b800000
	v_lshlrev_b32_e32 v12, 20, v12
	v_and_b32_e32 v14, 0x80000000, v14
	v_lshl_add_u32 v13, v13, 23, v15
	v_or3_b32 v12, v14, v13, v12
.LBB12_1028:
	s_or_b64 exec, exec, s[6:7]
	s_movk_i32 s4, 0x7f
	v_cmp_gt_i16_sdwa s[6:7], v2, s4 src0_sel:BYTE_0 src1_sel:DWORD
	s_mov_b64 s[4:5], 0
                                        ; implicit-def: $sgpr10
	s_and_saveexec_b64 s[8:9], s[6:7]
	s_xor_b64 s[6:7], exec, s[8:9]
	s_cbranch_execnz .LBB12_3077
; %bb.1029:
	s_or_saveexec_b64 s[6:7], s[6:7]
	v_mov_b32_e32 v13, s10
	s_xor_b64 exec, exec, s[6:7]
	s_cbranch_execnz .LBB12_3080
.LBB12_1030:
	s_or_b64 exec, exec, s[6:7]
	s_and_saveexec_b64 s[6:7], s[4:5]
	s_cbranch_execz .LBB12_1032
.LBB12_1031:
	v_and_b32_e32 v13, 7, v2
	v_ffbh_u32_e32 v15, v13
	v_min_u32_e32 v15, 32, v15
	v_lshrrev_b16_e32 v14, 3, v2
	v_subrev_u32_e32 v16, 28, v15
	v_and_b32_e32 v14, 15, v14
	v_lshlrev_b32_e32 v16, v16, v2
	v_sub_u32_e32 v15, 29, v15
	v_and_b32_e32 v16, 7, v16
	v_cmp_eq_u16_e32 vcc, 0, v14
	v_cndmask_b32_e32 v13, v13, v16, vcc
	v_cndmask_b32_e32 v14, v14, v15, vcc
	v_lshlrev_b32_e32 v15, 24, v2
	v_mov_b32_e32 v16, 0x3b800000
	v_lshlrev_b32_e32 v13, 20, v13
	v_and_b32_e32 v15, 0x80000000, v15
	v_lshl_add_u32 v14, v14, 23, v16
	v_or3_b32 v13, v15, v14, v13
.LBB12_1032:
	s_or_b64 exec, exec, s[6:7]
	flat_load_dwordx4 a[0:3], v[10:11] offset:128
	s_movk_i32 s4, 0x7f
                                        ; implicit-def: $sgpr10
	s_waitcnt vmcnt(0) lgkmcnt(0)
	v_mfma_f32_16x16x4f32 a[0:3], v12, v13, a[0:3]
	v_lshrrev_b32_e32 v13, 8, v6
	v_cmp_gt_i16_sdwa s[6:7], v13, s4 src0_sel:BYTE_0 src1_sel:DWORD
	s_mov_b64 s[4:5], 0
	s_and_saveexec_b64 s[8:9], s[6:7]
	s_xor_b64 s[6:7], exec, s[8:9]
	s_cbranch_execnz .LBB12_3081
; %bb.1033:
	s_or_saveexec_b64 s[6:7], s[6:7]
	v_mov_b32_e32 v12, s10
	s_xor_b64 exec, exec, s[6:7]
	s_cbranch_execnz .LBB12_3084
.LBB12_1034:
	s_or_b64 exec, exec, s[6:7]
	s_and_saveexec_b64 s[6:7], s[4:5]
	s_cbranch_execz .LBB12_1036
.LBB12_1035:
	v_bfe_u32 v12, v6, 8, 3
	v_ffbh_u32_e32 v15, v12
	v_min_u32_e32 v15, 32, v15
	v_lshrrev_b16_e32 v14, 3, v13
	v_subrev_u32_e32 v16, 28, v15
	v_and_b32_e32 v14, 15, v14
	v_lshlrev_b32_e32 v13, v16, v13
	v_sub_u32_e32 v15, 29, v15
	v_and_b32_e32 v13, 7, v13
	v_cmp_eq_u16_e32 vcc, 0, v14
	v_cndmask_b32_e32 v12, v12, v13, vcc
	v_cndmask_b32_e32 v13, v14, v15, vcc
	v_lshlrev_b32_e32 v14, 16, v6
	v_mov_b32_e32 v15, 0x3b800000
	v_lshlrev_b32_e32 v12, 20, v12
	v_and_b32_e32 v14, 0x80000000, v14
	v_lshl_add_u32 v13, v13, 23, v15
	v_or3_b32 v12, v14, v13, v12
.LBB12_1036:
	s_or_b64 exec, exec, s[6:7]
	v_lshrrev_b32_e32 v13, 8, v2
	s_movk_i32 s4, 0x7f
	v_cmp_gt_i16_sdwa s[6:7], v13, s4 src0_sel:BYTE_0 src1_sel:DWORD
	s_mov_b64 s[4:5], 0
                                        ; implicit-def: $sgpr10
	s_and_saveexec_b64 s[8:9], s[6:7]
	s_xor_b64 s[6:7], exec, s[8:9]
	s_cbranch_execnz .LBB12_3085
; %bb.1037:
	s_or_saveexec_b64 s[6:7], s[6:7]
	v_mov_b32_e32 v14, s10
	s_xor_b64 exec, exec, s[6:7]
	s_cbranch_execnz .LBB12_3088
.LBB12_1038:
	s_or_b64 exec, exec, s[6:7]
	s_and_saveexec_b64 s[6:7], s[4:5]
	s_cbranch_execz .LBB12_1040
.LBB12_1039:
	v_bfe_u32 v14, v2, 8, 3
	v_ffbh_u32_e32 v16, v14
	v_min_u32_e32 v16, 32, v16
	v_lshrrev_b16_e32 v15, 3, v13
	v_subrev_u32_e32 v17, 28, v16
	v_and_b32_e32 v15, 15, v15
	v_lshlrev_b32_e32 v13, v17, v13
	v_sub_u32_e32 v16, 29, v16
	v_and_b32_e32 v13, 7, v13
	v_cmp_eq_u16_e32 vcc, 0, v15
	v_cndmask_b32_e32 v13, v14, v13, vcc
	v_cndmask_b32_e32 v14, v15, v16, vcc
	v_lshlrev_b32_e32 v15, 16, v2
	v_mov_b32_e32 v16, 0x3b800000
	v_lshlrev_b32_e32 v13, 20, v13
	v_and_b32_e32 v15, 0x80000000, v15
	v_lshl_add_u32 v14, v14, 23, v16
	v_or3_b32 v14, v15, v14, v13
.LBB12_1040:
	s_or_b64 exec, exec, s[6:7]
	s_nop 0
	v_mfma_f32_16x16x4f32 a[0:3], v12, v14, a[0:3]
	s_movk_i32 s4, 0xff
	v_and_b32_sdwa v13, v6, s4 dst_sel:DWORD dst_unused:UNUSED_PAD src0_sel:WORD_1 src1_sel:DWORD
	s_movk_i32 s4, 0x7f
	v_cmp_lt_i16_e32 vcc, s4, v13
	s_mov_b64 s[4:5], 0
                                        ; implicit-def: $sgpr10
	s_and_saveexec_b64 s[6:7], vcc
	s_xor_b64 s[6:7], exec, s[6:7]
	s_cbranch_execnz .LBB12_3089
; %bb.1041:
	s_or_saveexec_b64 s[6:7], s[6:7]
	v_mov_b32_e32 v12, s10
	s_xor_b64 exec, exec, s[6:7]
	s_cbranch_execnz .LBB12_3092
.LBB12_1042:
	s_or_b64 exec, exec, s[6:7]
	s_and_saveexec_b64 s[6:7], s[4:5]
	s_cbranch_execz .LBB12_1044
.LBB12_1043:
	v_bfe_u32 v12, v6, 16, 3
	v_ffbh_u32_e32 v15, v12
	v_min_u32_e32 v15, 32, v15
	v_lshrrev_b32_e32 v13, 19, v6
	v_subrev_u32_e32 v16, 28, v15
	v_and_b32_e32 v13, 15, v13
	v_lshlrev_b32_sdwa v16, v16, v6 dst_sel:DWORD dst_unused:UNUSED_PAD src0_sel:DWORD src1_sel:WORD_1
	v_bfe_u32 v14, v6, 19, 4
	v_sub_u32_e32 v15, 29, v15
	v_and_b32_e32 v16, 7, v16
	v_cmp_eq_u16_e32 vcc, 0, v13
	v_cndmask_b32_e32 v12, v12, v16, vcc
	v_cndmask_b32_e32 v13, v14, v15, vcc
	v_lshlrev_b32_e32 v14, 8, v6
	v_mov_b32_e32 v15, 0x3b800000
	v_lshlrev_b32_e32 v12, 20, v12
	v_and_b32_e32 v14, 0x80000000, v14
	v_lshl_add_u32 v13, v13, 23, v15
	v_or3_b32 v12, v14, v13, v12
.LBB12_1044:
	s_or_b64 exec, exec, s[6:7]
	s_movk_i32 s4, 0xff
	v_and_b32_sdwa v13, v2, s4 dst_sel:DWORD dst_unused:UNUSED_PAD src0_sel:WORD_1 src1_sel:DWORD
	s_movk_i32 s4, 0x7f
	v_cmp_lt_i16_e32 vcc, s4, v13
	s_mov_b64 s[4:5], 0
                                        ; implicit-def: $sgpr10
	s_and_saveexec_b64 s[6:7], vcc
	s_xor_b64 s[6:7], exec, s[6:7]
	s_cbranch_execnz .LBB12_3093
; %bb.1045:
	s_or_saveexec_b64 s[6:7], s[6:7]
	v_mov_b32_e32 v14, s10
	s_xor_b64 exec, exec, s[6:7]
	s_cbranch_execnz .LBB12_3096
.LBB12_1046:
	s_or_b64 exec, exec, s[6:7]
	s_and_saveexec_b64 s[6:7], s[4:5]
	s_cbranch_execz .LBB12_1048
.LBB12_1047:
	v_bfe_u32 v13, v2, 16, 3
	v_ffbh_u32_e32 v16, v13
	v_min_u32_e32 v16, 32, v16
	v_lshrrev_b32_e32 v14, 19, v2
	v_subrev_u32_e32 v17, 28, v16
	v_and_b32_e32 v14, 15, v14
	v_lshlrev_b32_sdwa v17, v17, v2 dst_sel:DWORD dst_unused:UNUSED_PAD src0_sel:DWORD src1_sel:WORD_1
	v_bfe_u32 v15, v2, 19, 4
	v_sub_u32_e32 v16, 29, v16
	v_and_b32_e32 v17, 7, v17
	v_cmp_eq_u16_e32 vcc, 0, v14
	v_cndmask_b32_e32 v13, v13, v17, vcc
	v_cndmask_b32_e32 v14, v15, v16, vcc
	v_lshlrev_b32_e32 v15, 8, v2
	v_mov_b32_e32 v16, 0x3b800000
	v_lshlrev_b32_e32 v13, 20, v13
	v_and_b32_e32 v15, 0x80000000, v15
	v_lshl_add_u32 v14, v14, 23, v16
	v_or3_b32 v14, v15, v14, v13
.LBB12_1048:
	s_or_b64 exec, exec, s[6:7]
	s_nop 0
	v_mfma_f32_16x16x4f32 a[0:3], v12, v14, a[0:3]
	s_movk_i32 s4, 0x7f
	v_cmp_gt_i16_sdwa s[6:7], v6, s4 src0_sel:BYTE_3 src1_sel:DWORD
	s_mov_b64 s[4:5], 0
                                        ; implicit-def: $sgpr10
	s_and_saveexec_b64 s[8:9], s[6:7]
	s_xor_b64 s[6:7], exec, s[8:9]
	s_cbranch_execnz .LBB12_3097
; %bb.1049:
	s_or_saveexec_b64 s[6:7], s[6:7]
	v_mov_b32_e32 v12, s10
	s_xor_b64 exec, exec, s[6:7]
	s_cbranch_execnz .LBB12_3100
.LBB12_1050:
	s_or_b64 exec, exec, s[6:7]
	s_and_saveexec_b64 s[6:7], s[4:5]
	s_cbranch_execz .LBB12_1052
.LBB12_1051:
	v_bfe_u32 v12, v6, 24, 3
	v_ffbh_u32_e32 v16, v12
	v_min_u32_e32 v16, 32, v16
	v_lshrrev_b32_e32 v14, 27, v6
	v_subrev_u32_e32 v17, 28, v16
	v_and_b32_e32 v13, 0x80000000, v6
	v_and_b32_e32 v14, 15, v14
	v_bfe_u32 v15, v6, 27, 4
	v_lshlrev_b32_sdwa v6, v17, v6 dst_sel:DWORD dst_unused:UNUSED_PAD src0_sel:DWORD src1_sel:BYTE_3
	v_sub_u32_e32 v16, 29, v16
	v_and_b32_e32 v6, 7, v6
	v_cmp_eq_u16_e32 vcc, 0, v14
	v_cndmask_b32_e32 v6, v12, v6, vcc
	v_cndmask_b32_e32 v12, v15, v16, vcc
	v_mov_b32_e32 v14, 0x3b800000
	v_lshlrev_b32_e32 v6, 20, v6
	v_lshl_add_u32 v12, v12, 23, v14
	v_or3_b32 v12, v13, v12, v6
.LBB12_1052:
	s_or_b64 exec, exec, s[6:7]
	s_movk_i32 s4, 0x7f
	v_cmp_gt_i16_sdwa s[6:7], v2, s4 src0_sel:BYTE_3 src1_sel:DWORD
	s_mov_b64 s[4:5], 0
                                        ; implicit-def: $sgpr10
	s_and_saveexec_b64 s[8:9], s[6:7]
	s_xor_b64 s[6:7], exec, s[8:9]
	s_cbranch_execnz .LBB12_3101
; %bb.1053:
	s_or_saveexec_b64 s[6:7], s[6:7]
	v_mov_b32_e32 v6, s10
	s_xor_b64 exec, exec, s[6:7]
	s_cbranch_execnz .LBB12_3104
.LBB12_1054:
	s_or_b64 exec, exec, s[6:7]
	s_and_saveexec_b64 s[6:7], s[4:5]
	s_cbranch_execz .LBB12_1056
.LBB12_1055:
	v_bfe_u32 v6, v2, 24, 3
	v_ffbh_u32_e32 v16, v6
	v_min_u32_e32 v16, 32, v16
	v_lshrrev_b32_e32 v14, 27, v2
	v_subrev_u32_e32 v17, 28, v16
	v_and_b32_e32 v13, 0x80000000, v2
	v_and_b32_e32 v14, 15, v14
	v_bfe_u32 v15, v2, 27, 4
	v_lshlrev_b32_sdwa v2, v17, v2 dst_sel:DWORD dst_unused:UNUSED_PAD src0_sel:DWORD src1_sel:BYTE_3
	v_sub_u32_e32 v16, 29, v16
	v_and_b32_e32 v2, 7, v2
	v_cmp_eq_u16_e32 vcc, 0, v14
	v_cndmask_b32_e32 v2, v6, v2, vcc
	v_cndmask_b32_e32 v6, v15, v16, vcc
	v_mov_b32_e32 v14, 0x3b800000
	v_lshlrev_b32_e32 v2, 20, v2
	v_lshl_add_u32 v6, v6, 23, v14
	v_or3_b32 v6, v13, v6, v2
.LBB12_1056:
	s_or_b64 exec, exec, s[6:7]
	s_nop 0
	v_mfma_f32_16x16x4f32 a[0:3], v12, v6, a[0:3]
	s_movk_i32 s4, 0x7f
	v_cmp_gt_i16_sdwa s[6:7], v7, s4 src0_sel:BYTE_0 src1_sel:DWORD
	s_mov_b64 s[4:5], 0
                                        ; implicit-def: $sgpr10
	s_and_saveexec_b64 s[8:9], s[6:7]
	s_xor_b64 s[6:7], exec, s[8:9]
	s_cbranch_execnz .LBB12_3105
; %bb.1057:
	s_or_saveexec_b64 s[6:7], s[6:7]
	v_mov_b32_e32 v2, s10
	s_xor_b64 exec, exec, s[6:7]
	s_cbranch_execnz .LBB12_3108
.LBB12_1058:
	s_or_b64 exec, exec, s[6:7]
	s_and_saveexec_b64 s[6:7], s[4:5]
	s_cbranch_execz .LBB12_1060
.LBB12_1059:
	v_and_b32_e32 v2, 7, v7
	v_ffbh_u32_e32 v12, v2
	v_min_u32_e32 v12, 32, v12
	v_lshrrev_b16_e32 v6, 3, v7
	v_subrev_u32_e32 v13, 28, v12
	v_and_b32_e32 v6, 15, v6
	v_lshlrev_b32_e32 v13, v13, v7
	v_sub_u32_e32 v12, 29, v12
	v_and_b32_e32 v13, 7, v13
	v_cmp_eq_u16_e32 vcc, 0, v6
	v_cndmask_b32_e32 v2, v2, v13, vcc
	v_cndmask_b32_e32 v6, v6, v12, vcc
	v_lshlrev_b32_e32 v12, 24, v7
	v_mov_b32_e32 v13, 0x3b800000
	v_lshlrev_b32_e32 v2, 20, v2
	v_and_b32_e32 v12, 0x80000000, v12
	v_lshl_add_u32 v6, v6, 23, v13
	v_or3_b32 v2, v12, v6, v2
.LBB12_1060:
	s_or_b64 exec, exec, s[6:7]
	s_movk_i32 s4, 0x7f
	v_cmp_gt_i16_sdwa s[6:7], v3, s4 src0_sel:BYTE_0 src1_sel:DWORD
	s_mov_b64 s[4:5], 0
                                        ; implicit-def: $sgpr10
	s_and_saveexec_b64 s[8:9], s[6:7]
	s_xor_b64 s[6:7], exec, s[8:9]
	s_cbranch_execnz .LBB12_3109
; %bb.1061:
	s_or_saveexec_b64 s[6:7], s[6:7]
	v_mov_b32_e32 v6, s10
	s_xor_b64 exec, exec, s[6:7]
	s_cbranch_execnz .LBB12_3112
.LBB12_1062:
	s_or_b64 exec, exec, s[6:7]
	s_and_saveexec_b64 s[6:7], s[4:5]
	s_cbranch_execz .LBB12_1064
.LBB12_1063:
	v_and_b32_e32 v6, 7, v3
	v_ffbh_u32_e32 v13, v6
	v_min_u32_e32 v13, 32, v13
	v_lshrrev_b16_e32 v12, 3, v3
	v_subrev_u32_e32 v14, 28, v13
	v_and_b32_e32 v12, 15, v12
	v_lshlrev_b32_e32 v14, v14, v3
	v_sub_u32_e32 v13, 29, v13
	v_and_b32_e32 v14, 7, v14
	v_cmp_eq_u16_e32 vcc, 0, v12
	v_cndmask_b32_e32 v6, v6, v14, vcc
	v_cndmask_b32_e32 v12, v12, v13, vcc
	v_lshlrev_b32_e32 v13, 24, v3
	v_mov_b32_e32 v14, 0x3b800000
	v_lshlrev_b32_e32 v6, 20, v6
	v_and_b32_e32 v13, 0x80000000, v13
	v_lshl_add_u32 v12, v12, 23, v14
	v_or3_b32 v6, v13, v12, v6
.LBB12_1064:
	s_or_b64 exec, exec, s[6:7]
	s_nop 0
	v_mfma_f32_16x16x4f32 a[0:3], v2, v6, a[0:3]
	v_lshrrev_b32_e32 v6, 8, v7
	s_movk_i32 s4, 0x7f
	v_cmp_gt_i16_sdwa s[6:7], v6, s4 src0_sel:BYTE_0 src1_sel:DWORD
	s_mov_b64 s[4:5], 0
                                        ; implicit-def: $sgpr10
	s_and_saveexec_b64 s[8:9], s[6:7]
	s_xor_b64 s[6:7], exec, s[8:9]
	s_cbranch_execnz .LBB12_3113
; %bb.1065:
	s_or_saveexec_b64 s[6:7], s[6:7]
	v_mov_b32_e32 v2, s10
	s_xor_b64 exec, exec, s[6:7]
	s_cbranch_execnz .LBB12_3116
.LBB12_1066:
	s_or_b64 exec, exec, s[6:7]
	s_and_saveexec_b64 s[6:7], s[4:5]
	s_cbranch_execz .LBB12_1068
.LBB12_1067:
	v_bfe_u32 v2, v7, 8, 3
	v_ffbh_u32_e32 v13, v2
	v_min_u32_e32 v13, 32, v13
	v_lshrrev_b16_e32 v12, 3, v6
	v_subrev_u32_e32 v14, 28, v13
	v_and_b32_e32 v12, 15, v12
	v_lshlrev_b32_e32 v6, v14, v6
	v_sub_u32_e32 v13, 29, v13
	v_and_b32_e32 v6, 7, v6
	v_cmp_eq_u16_e32 vcc, 0, v12
	v_cndmask_b32_e32 v2, v2, v6, vcc
	v_cndmask_b32_e32 v6, v12, v13, vcc
	v_lshlrev_b32_e32 v12, 16, v7
	v_mov_b32_e32 v13, 0x3b800000
	v_lshlrev_b32_e32 v2, 20, v2
	v_and_b32_e32 v12, 0x80000000, v12
	v_lshl_add_u32 v6, v6, 23, v13
	v_or3_b32 v2, v12, v6, v2
.LBB12_1068:
	s_or_b64 exec, exec, s[6:7]
	v_lshrrev_b32_e32 v6, 8, v3
	s_movk_i32 s4, 0x7f
	v_cmp_gt_i16_sdwa s[6:7], v6, s4 src0_sel:BYTE_0 src1_sel:DWORD
	s_mov_b64 s[4:5], 0
                                        ; implicit-def: $sgpr10
	s_and_saveexec_b64 s[8:9], s[6:7]
	s_xor_b64 s[6:7], exec, s[8:9]
	s_cbranch_execnz .LBB12_3117
; %bb.1069:
	s_or_saveexec_b64 s[6:7], s[6:7]
	v_mov_b32_e32 v12, s10
	s_xor_b64 exec, exec, s[6:7]
	s_cbranch_execnz .LBB12_3120
.LBB12_1070:
	s_or_b64 exec, exec, s[6:7]
	s_and_saveexec_b64 s[6:7], s[4:5]
	s_cbranch_execz .LBB12_1072
.LBB12_1071:
	v_bfe_u32 v12, v3, 8, 3
	v_ffbh_u32_e32 v14, v12
	v_min_u32_e32 v14, 32, v14
	v_lshrrev_b16_e32 v13, 3, v6
	v_subrev_u32_e32 v15, 28, v14
	v_and_b32_e32 v13, 15, v13
	v_lshlrev_b32_e32 v6, v15, v6
	v_sub_u32_e32 v14, 29, v14
	v_and_b32_e32 v6, 7, v6
	v_cmp_eq_u16_e32 vcc, 0, v13
	v_cndmask_b32_e32 v6, v12, v6, vcc
	v_cndmask_b32_e32 v12, v13, v14, vcc
	v_lshlrev_b32_e32 v13, 16, v3
	v_mov_b32_e32 v14, 0x3b800000
	v_lshlrev_b32_e32 v6, 20, v6
	v_and_b32_e32 v13, 0x80000000, v13
	v_lshl_add_u32 v12, v12, 23, v14
	v_or3_b32 v12, v13, v12, v6
.LBB12_1072:
	s_or_b64 exec, exec, s[6:7]
	s_nop 0
	v_mfma_f32_16x16x4f32 a[0:3], v2, v12, a[0:3]
	s_movk_i32 s4, 0xff
	v_and_b32_sdwa v6, v7, s4 dst_sel:DWORD dst_unused:UNUSED_PAD src0_sel:WORD_1 src1_sel:DWORD
	s_movk_i32 s4, 0x7f
	v_cmp_lt_i16_e32 vcc, s4, v6
	s_mov_b64 s[4:5], 0
                                        ; implicit-def: $sgpr10
	s_and_saveexec_b64 s[6:7], vcc
	s_xor_b64 s[6:7], exec, s[6:7]
	s_cbranch_execnz .LBB12_3121
; %bb.1073:
	s_or_saveexec_b64 s[6:7], s[6:7]
	v_mov_b32_e32 v2, s10
	s_xor_b64 exec, exec, s[6:7]
	s_cbranch_execnz .LBB12_3124
.LBB12_1074:
	s_or_b64 exec, exec, s[6:7]
	s_and_saveexec_b64 s[6:7], s[4:5]
	s_cbranch_execz .LBB12_1076
.LBB12_1075:
	v_bfe_u32 v2, v7, 16, 3
	v_ffbh_u32_e32 v13, v2
	v_min_u32_e32 v13, 32, v13
	v_lshrrev_b32_e32 v6, 19, v7
	v_subrev_u32_e32 v14, 28, v13
	v_and_b32_e32 v6, 15, v6
	v_lshlrev_b32_sdwa v14, v14, v7 dst_sel:DWORD dst_unused:UNUSED_PAD src0_sel:DWORD src1_sel:WORD_1
	v_bfe_u32 v12, v7, 19, 4
	v_sub_u32_e32 v13, 29, v13
	v_and_b32_e32 v14, 7, v14
	v_cmp_eq_u16_e32 vcc, 0, v6
	v_cndmask_b32_e32 v2, v2, v14, vcc
	v_cndmask_b32_e32 v6, v12, v13, vcc
	v_lshlrev_b32_e32 v12, 8, v7
	v_mov_b32_e32 v13, 0x3b800000
	v_lshlrev_b32_e32 v2, 20, v2
	v_and_b32_e32 v12, 0x80000000, v12
	v_lshl_add_u32 v6, v6, 23, v13
	v_or3_b32 v2, v12, v6, v2
.LBB12_1076:
	s_or_b64 exec, exec, s[6:7]
	s_movk_i32 s4, 0xff
	v_and_b32_sdwa v6, v3, s4 dst_sel:DWORD dst_unused:UNUSED_PAD src0_sel:WORD_1 src1_sel:DWORD
	s_movk_i32 s4, 0x7f
	v_cmp_lt_i16_e32 vcc, s4, v6
	s_mov_b64 s[4:5], 0
                                        ; implicit-def: $sgpr10
	s_and_saveexec_b64 s[6:7], vcc
	s_xor_b64 s[6:7], exec, s[6:7]
	s_cbranch_execnz .LBB12_3125
; %bb.1077:
	s_or_saveexec_b64 s[6:7], s[6:7]
	v_mov_b32_e32 v12, s10
	s_xor_b64 exec, exec, s[6:7]
	s_cbranch_execnz .LBB12_3128
.LBB12_1078:
	s_or_b64 exec, exec, s[6:7]
	s_and_saveexec_b64 s[6:7], s[4:5]
	s_cbranch_execz .LBB12_1080
.LBB12_1079:
	v_bfe_u32 v6, v3, 16, 3
	v_ffbh_u32_e32 v14, v6
	v_min_u32_e32 v14, 32, v14
	v_lshrrev_b32_e32 v12, 19, v3
	v_subrev_u32_e32 v15, 28, v14
	v_and_b32_e32 v12, 15, v12
	v_lshlrev_b32_sdwa v15, v15, v3 dst_sel:DWORD dst_unused:UNUSED_PAD src0_sel:DWORD src1_sel:WORD_1
	v_bfe_u32 v13, v3, 19, 4
	v_sub_u32_e32 v14, 29, v14
	v_and_b32_e32 v15, 7, v15
	v_cmp_eq_u16_e32 vcc, 0, v12
	v_cndmask_b32_e32 v6, v6, v15, vcc
	v_cndmask_b32_e32 v12, v13, v14, vcc
	v_lshlrev_b32_e32 v13, 8, v3
	v_mov_b32_e32 v14, 0x3b800000
	v_lshlrev_b32_e32 v6, 20, v6
	v_and_b32_e32 v13, 0x80000000, v13
	v_lshl_add_u32 v12, v12, 23, v14
	v_or3_b32 v12, v13, v12, v6
.LBB12_1080:
	s_or_b64 exec, exec, s[6:7]
	s_nop 0
	v_mfma_f32_16x16x4f32 a[0:3], v2, v12, a[0:3]
	s_movk_i32 s4, 0x7f
	v_cmp_gt_i16_sdwa s[6:7], v7, s4 src0_sel:BYTE_3 src1_sel:DWORD
	s_mov_b64 s[4:5], 0
                                        ; implicit-def: $sgpr10
	s_and_saveexec_b64 s[8:9], s[6:7]
	s_xor_b64 s[6:7], exec, s[8:9]
	s_cbranch_execnz .LBB12_3129
; %bb.1081:
	s_or_saveexec_b64 s[6:7], s[6:7]
	v_mov_b32_e32 v2, s10
	s_xor_b64 exec, exec, s[6:7]
	s_cbranch_execnz .LBB12_3132
.LBB12_1082:
	s_or_b64 exec, exec, s[6:7]
	s_and_saveexec_b64 s[6:7], s[4:5]
	s_cbranch_execz .LBB12_1084
.LBB12_1083:
	v_bfe_u32 v2, v7, 24, 3
	v_ffbh_u32_e32 v14, v2
	v_min_u32_e32 v14, 32, v14
	v_lshrrev_b32_e32 v12, 27, v7
	v_subrev_u32_e32 v15, 28, v14
	v_and_b32_e32 v6, 0x80000000, v7
	v_and_b32_e32 v12, 15, v12
	v_bfe_u32 v13, v7, 27, 4
	v_lshlrev_b32_sdwa v7, v15, v7 dst_sel:DWORD dst_unused:UNUSED_PAD src0_sel:DWORD src1_sel:BYTE_3
	v_sub_u32_e32 v14, 29, v14
	v_and_b32_e32 v7, 7, v7
	v_cmp_eq_u16_e32 vcc, 0, v12
	v_cndmask_b32_e32 v2, v2, v7, vcc
	v_cndmask_b32_e32 v7, v13, v14, vcc
	v_mov_b32_e32 v12, 0x3b800000
	v_lshlrev_b32_e32 v2, 20, v2
	v_lshl_add_u32 v7, v7, 23, v12
	v_or3_b32 v2, v6, v7, v2
.LBB12_1084:
	s_or_b64 exec, exec, s[6:7]
	s_movk_i32 s4, 0x7f
	v_cmp_gt_i16_sdwa s[6:7], v3, s4 src0_sel:BYTE_3 src1_sel:DWORD
	s_mov_b64 s[4:5], 0
                                        ; implicit-def: $sgpr10
	s_and_saveexec_b64 s[8:9], s[6:7]
	s_xor_b64 s[6:7], exec, s[8:9]
	s_cbranch_execnz .LBB12_3133
; %bb.1085:
	s_or_saveexec_b64 s[6:7], s[6:7]
	v_mov_b32_e32 v6, s10
	s_xor_b64 exec, exec, s[6:7]
	s_cbranch_execnz .LBB12_3136
.LBB12_1086:
	s_or_b64 exec, exec, s[6:7]
	s_and_saveexec_b64 s[6:7], s[4:5]
	s_cbranch_execz .LBB12_1088
.LBB12_1087:
	v_bfe_u32 v6, v3, 24, 3
	v_ffbh_u32_e32 v14, v6
	v_min_u32_e32 v14, 32, v14
	v_lshrrev_b32_e32 v12, 27, v3
	v_subrev_u32_e32 v15, 28, v14
	v_and_b32_e32 v7, 0x80000000, v3
	v_and_b32_e32 v12, 15, v12
	v_bfe_u32 v13, v3, 27, 4
	v_lshlrev_b32_sdwa v3, v15, v3 dst_sel:DWORD dst_unused:UNUSED_PAD src0_sel:DWORD src1_sel:BYTE_3
	v_sub_u32_e32 v14, 29, v14
	v_and_b32_e32 v3, 7, v3
	v_cmp_eq_u16_e32 vcc, 0, v12
	v_cndmask_b32_e32 v3, v6, v3, vcc
	v_cndmask_b32_e32 v6, v13, v14, vcc
	v_mov_b32_e32 v12, 0x3b800000
	v_lshlrev_b32_e32 v3, 20, v3
	v_lshl_add_u32 v6, v6, 23, v12
	v_or3_b32 v6, v7, v6, v3
.LBB12_1088:
	s_or_b64 exec, exec, s[6:7]
	s_nop 0
	v_mfma_f32_16x16x4f32 a[0:3], v2, v6, a[0:3]
	s_movk_i32 s4, 0x7f
	v_cmp_gt_i16_sdwa s[6:7], v8, s4 src0_sel:BYTE_0 src1_sel:DWORD
	s_mov_b64 s[4:5], 0
                                        ; implicit-def: $sgpr10
	s_and_saveexec_b64 s[8:9], s[6:7]
	s_xor_b64 s[6:7], exec, s[8:9]
	s_cbranch_execnz .LBB12_3137
; %bb.1089:
	s_or_saveexec_b64 s[6:7], s[6:7]
	v_mov_b32_e32 v2, s10
	s_xor_b64 exec, exec, s[6:7]
	s_cbranch_execnz .LBB12_3140
.LBB12_1090:
	s_or_b64 exec, exec, s[6:7]
	s_and_saveexec_b64 s[6:7], s[4:5]
	s_cbranch_execz .LBB12_1092
.LBB12_1091:
	v_and_b32_e32 v2, 7, v8
	v_ffbh_u32_e32 v6, v2
	v_min_u32_e32 v6, 32, v6
	v_lshrrev_b16_e32 v3, 3, v8
	v_subrev_u32_e32 v7, 28, v6
	v_and_b32_e32 v3, 15, v3
	v_lshlrev_b32_e32 v7, v7, v8
	v_sub_u32_e32 v6, 29, v6
	v_and_b32_e32 v7, 7, v7
	v_cmp_eq_u16_e32 vcc, 0, v3
	v_cndmask_b32_e32 v2, v2, v7, vcc
	v_cndmask_b32_e32 v3, v3, v6, vcc
	v_lshlrev_b32_e32 v6, 24, v8
	v_mov_b32_e32 v7, 0x3b800000
	v_lshlrev_b32_e32 v2, 20, v2
	v_and_b32_e32 v6, 0x80000000, v6
	v_lshl_add_u32 v3, v3, 23, v7
	v_or3_b32 v2, v6, v3, v2
.LBB12_1092:
	s_or_b64 exec, exec, s[6:7]
	s_movk_i32 s4, 0x7f
	v_cmp_gt_i16_sdwa s[6:7], v4, s4 src0_sel:BYTE_0 src1_sel:DWORD
	s_mov_b64 s[4:5], 0
                                        ; implicit-def: $sgpr10
	s_and_saveexec_b64 s[8:9], s[6:7]
	s_xor_b64 s[6:7], exec, s[8:9]
	s_cbranch_execnz .LBB12_3141
; %bb.1093:
	s_or_saveexec_b64 s[6:7], s[6:7]
	v_mov_b32_e32 v3, s10
	s_xor_b64 exec, exec, s[6:7]
	s_cbranch_execnz .LBB12_3144
.LBB12_1094:
	s_or_b64 exec, exec, s[6:7]
	s_and_saveexec_b64 s[6:7], s[4:5]
	s_cbranch_execz .LBB12_1096
.LBB12_1095:
	v_and_b32_e32 v3, 7, v4
	v_ffbh_u32_e32 v7, v3
	v_min_u32_e32 v7, 32, v7
	v_lshrrev_b16_e32 v6, 3, v4
	v_subrev_u32_e32 v12, 28, v7
	v_and_b32_e32 v6, 15, v6
	v_lshlrev_b32_e32 v12, v12, v4
	v_sub_u32_e32 v7, 29, v7
	v_and_b32_e32 v12, 7, v12
	v_cmp_eq_u16_e32 vcc, 0, v6
	v_cndmask_b32_e32 v3, v3, v12, vcc
	v_cndmask_b32_e32 v6, v6, v7, vcc
	v_lshlrev_b32_e32 v7, 24, v4
	v_mov_b32_e32 v12, 0x3b800000
	v_lshlrev_b32_e32 v3, 20, v3
	v_and_b32_e32 v7, 0x80000000, v7
	v_lshl_add_u32 v6, v6, 23, v12
	v_or3_b32 v3, v7, v6, v3
.LBB12_1096:
	s_or_b64 exec, exec, s[6:7]
	s_nop 0
	v_mfma_f32_16x16x4f32 a[0:3], v2, v3, a[0:3]
	v_lshrrev_b32_e32 v3, 8, v8
	s_movk_i32 s4, 0x7f
	v_cmp_gt_i16_sdwa s[6:7], v3, s4 src0_sel:BYTE_0 src1_sel:DWORD
	s_mov_b64 s[4:5], 0
                                        ; implicit-def: $sgpr10
	s_and_saveexec_b64 s[8:9], s[6:7]
	s_xor_b64 s[6:7], exec, s[8:9]
	s_cbranch_execnz .LBB12_3145
; %bb.1097:
	s_or_saveexec_b64 s[6:7], s[6:7]
	v_mov_b32_e32 v2, s10
	s_xor_b64 exec, exec, s[6:7]
	s_cbranch_execnz .LBB12_3148
.LBB12_1098:
	s_or_b64 exec, exec, s[6:7]
	s_and_saveexec_b64 s[6:7], s[4:5]
	s_cbranch_execz .LBB12_1100
.LBB12_1099:
	v_bfe_u32 v2, v8, 8, 3
	v_ffbh_u32_e32 v7, v2
	v_min_u32_e32 v7, 32, v7
	v_lshrrev_b16_e32 v6, 3, v3
	v_subrev_u32_e32 v12, 28, v7
	v_and_b32_e32 v6, 15, v6
	v_lshlrev_b32_e32 v3, v12, v3
	v_sub_u32_e32 v7, 29, v7
	v_and_b32_e32 v3, 7, v3
	v_cmp_eq_u16_e32 vcc, 0, v6
	v_cndmask_b32_e32 v2, v2, v3, vcc
	v_cndmask_b32_e32 v3, v6, v7, vcc
	v_lshlrev_b32_e32 v6, 16, v8
	v_mov_b32_e32 v7, 0x3b800000
	v_lshlrev_b32_e32 v2, 20, v2
	v_and_b32_e32 v6, 0x80000000, v6
	v_lshl_add_u32 v3, v3, 23, v7
	v_or3_b32 v2, v6, v3, v2
.LBB12_1100:
	s_or_b64 exec, exec, s[6:7]
	v_lshrrev_b32_e32 v3, 8, v4
	s_movk_i32 s4, 0x7f
	v_cmp_gt_i16_sdwa s[6:7], v3, s4 src0_sel:BYTE_0 src1_sel:DWORD
	s_mov_b64 s[4:5], 0
                                        ; implicit-def: $sgpr10
	s_and_saveexec_b64 s[8:9], s[6:7]
	s_xor_b64 s[6:7], exec, s[8:9]
	s_cbranch_execnz .LBB12_3149
; %bb.1101:
	s_or_saveexec_b64 s[6:7], s[6:7]
	v_mov_b32_e32 v6, s10
	s_xor_b64 exec, exec, s[6:7]
	s_cbranch_execnz .LBB12_3152
.LBB12_1102:
	s_or_b64 exec, exec, s[6:7]
	s_and_saveexec_b64 s[6:7], s[4:5]
	s_cbranch_execz .LBB12_1104
.LBB12_1103:
	v_bfe_u32 v6, v4, 8, 3
	v_ffbh_u32_e32 v12, v6
	v_min_u32_e32 v12, 32, v12
	v_lshrrev_b16_e32 v7, 3, v3
	v_subrev_u32_e32 v13, 28, v12
	v_and_b32_e32 v7, 15, v7
	v_lshlrev_b32_e32 v3, v13, v3
	v_sub_u32_e32 v12, 29, v12
	v_and_b32_e32 v3, 7, v3
	v_cmp_eq_u16_e32 vcc, 0, v7
	v_cndmask_b32_e32 v3, v6, v3, vcc
	v_cndmask_b32_e32 v6, v7, v12, vcc
	v_lshlrev_b32_e32 v7, 16, v4
	v_mov_b32_e32 v12, 0x3b800000
	v_lshlrev_b32_e32 v3, 20, v3
	v_and_b32_e32 v7, 0x80000000, v7
	v_lshl_add_u32 v6, v6, 23, v12
	v_or3_b32 v6, v7, v6, v3
.LBB12_1104:
	s_or_b64 exec, exec, s[6:7]
	s_nop 0
	v_mfma_f32_16x16x4f32 a[0:3], v2, v6, a[0:3]
	s_movk_i32 s4, 0xff
	v_and_b32_sdwa v3, v8, s4 dst_sel:DWORD dst_unused:UNUSED_PAD src0_sel:WORD_1 src1_sel:DWORD
	s_movk_i32 s4, 0x7f
	v_cmp_lt_i16_e32 vcc, s4, v3
	s_mov_b64 s[4:5], 0
                                        ; implicit-def: $sgpr10
	s_and_saveexec_b64 s[6:7], vcc
	s_xor_b64 s[6:7], exec, s[6:7]
	s_cbranch_execnz .LBB12_3153
; %bb.1105:
	s_or_saveexec_b64 s[6:7], s[6:7]
	v_mov_b32_e32 v2, s10
	s_xor_b64 exec, exec, s[6:7]
	s_cbranch_execnz .LBB12_3156
.LBB12_1106:
	s_or_b64 exec, exec, s[6:7]
	s_and_saveexec_b64 s[6:7], s[4:5]
	s_cbranch_execz .LBB12_1108
.LBB12_1107:
	v_bfe_u32 v2, v8, 16, 3
	v_ffbh_u32_e32 v7, v2
	v_min_u32_e32 v7, 32, v7
	v_lshrrev_b32_e32 v3, 19, v8
	v_subrev_u32_e32 v12, 28, v7
	v_and_b32_e32 v3, 15, v3
	v_lshlrev_b32_sdwa v12, v12, v8 dst_sel:DWORD dst_unused:UNUSED_PAD src0_sel:DWORD src1_sel:WORD_1
	v_bfe_u32 v6, v8, 19, 4
	v_sub_u32_e32 v7, 29, v7
	v_and_b32_e32 v12, 7, v12
	v_cmp_eq_u16_e32 vcc, 0, v3
	v_cndmask_b32_e32 v2, v2, v12, vcc
	v_cndmask_b32_e32 v3, v6, v7, vcc
	v_lshlrev_b32_e32 v6, 8, v8
	v_mov_b32_e32 v7, 0x3b800000
	v_lshlrev_b32_e32 v2, 20, v2
	v_and_b32_e32 v6, 0x80000000, v6
	v_lshl_add_u32 v3, v3, 23, v7
	v_or3_b32 v2, v6, v3, v2
.LBB12_1108:
	s_or_b64 exec, exec, s[6:7]
	s_movk_i32 s4, 0xff
	v_and_b32_sdwa v3, v4, s4 dst_sel:DWORD dst_unused:UNUSED_PAD src0_sel:WORD_1 src1_sel:DWORD
	s_movk_i32 s4, 0x7f
	v_cmp_lt_i16_e32 vcc, s4, v3
	s_mov_b64 s[4:5], 0
                                        ; implicit-def: $sgpr10
	s_and_saveexec_b64 s[6:7], vcc
	s_xor_b64 s[6:7], exec, s[6:7]
	s_cbranch_execnz .LBB12_3157
; %bb.1109:
	s_or_saveexec_b64 s[6:7], s[6:7]
	v_mov_b32_e32 v6, s10
	s_xor_b64 exec, exec, s[6:7]
	s_cbranch_execnz .LBB12_3160
.LBB12_1110:
	s_or_b64 exec, exec, s[6:7]
	s_and_saveexec_b64 s[6:7], s[4:5]
	s_cbranch_execz .LBB12_1112
.LBB12_1111:
	v_bfe_u32 v3, v4, 16, 3
	v_ffbh_u32_e32 v12, v3
	v_min_u32_e32 v12, 32, v12
	v_lshrrev_b32_e32 v6, 19, v4
	v_subrev_u32_e32 v13, 28, v12
	v_and_b32_e32 v6, 15, v6
	v_lshlrev_b32_sdwa v13, v13, v4 dst_sel:DWORD dst_unused:UNUSED_PAD src0_sel:DWORD src1_sel:WORD_1
	v_bfe_u32 v7, v4, 19, 4
	v_sub_u32_e32 v12, 29, v12
	v_and_b32_e32 v13, 7, v13
	v_cmp_eq_u16_e32 vcc, 0, v6
	v_cndmask_b32_e32 v3, v3, v13, vcc
	v_cndmask_b32_e32 v6, v7, v12, vcc
	v_lshlrev_b32_e32 v7, 8, v4
	v_mov_b32_e32 v12, 0x3b800000
	v_lshlrev_b32_e32 v3, 20, v3
	v_and_b32_e32 v7, 0x80000000, v7
	v_lshl_add_u32 v6, v6, 23, v12
	v_or3_b32 v6, v7, v6, v3
.LBB12_1112:
	s_or_b64 exec, exec, s[6:7]
	s_nop 0
	v_mfma_f32_16x16x4f32 a[0:3], v2, v6, a[0:3]
	s_movk_i32 s4, 0x7f
	v_cmp_gt_i16_sdwa s[6:7], v8, s4 src0_sel:BYTE_3 src1_sel:DWORD
	s_mov_b64 s[4:5], 0
                                        ; implicit-def: $sgpr10
	s_and_saveexec_b64 s[8:9], s[6:7]
	s_xor_b64 s[6:7], exec, s[8:9]
	s_cbranch_execnz .LBB12_3161
; %bb.1113:
	s_or_saveexec_b64 s[6:7], s[6:7]
	v_mov_b32_e32 v2, s10
	s_xor_b64 exec, exec, s[6:7]
	s_cbranch_execnz .LBB12_3164
.LBB12_1114:
	s_or_b64 exec, exec, s[6:7]
	s_and_saveexec_b64 s[6:7], s[4:5]
	s_cbranch_execz .LBB12_1116
.LBB12_1115:
	v_bfe_u32 v2, v8, 24, 3
	v_ffbh_u32_e32 v12, v2
	v_min_u32_e32 v12, 32, v12
	v_lshrrev_b32_e32 v6, 27, v8
	v_subrev_u32_e32 v13, 28, v12
	v_and_b32_e32 v3, 0x80000000, v8
	v_and_b32_e32 v6, 15, v6
	v_bfe_u32 v7, v8, 27, 4
	v_lshlrev_b32_sdwa v8, v13, v8 dst_sel:DWORD dst_unused:UNUSED_PAD src0_sel:DWORD src1_sel:BYTE_3
	v_sub_u32_e32 v12, 29, v12
	v_and_b32_e32 v8, 7, v8
	v_cmp_eq_u16_e32 vcc, 0, v6
	v_cndmask_b32_e32 v2, v2, v8, vcc
	v_cndmask_b32_e32 v6, v7, v12, vcc
	v_mov_b32_e32 v7, 0x3b800000
	v_lshlrev_b32_e32 v2, 20, v2
	v_lshl_add_u32 v6, v6, 23, v7
	v_or3_b32 v2, v3, v6, v2
.LBB12_1116:
	s_or_b64 exec, exec, s[6:7]
	s_movk_i32 s4, 0x7f
	v_cmp_gt_i16_sdwa s[6:7], v4, s4 src0_sel:BYTE_3 src1_sel:DWORD
	s_mov_b64 s[4:5], 0
                                        ; implicit-def: $sgpr10
	s_and_saveexec_b64 s[8:9], s[6:7]
	s_xor_b64 s[6:7], exec, s[8:9]
	s_cbranch_execnz .LBB12_3165
; %bb.1117:
	s_or_saveexec_b64 s[6:7], s[6:7]
	v_mov_b32_e32 v3, s10
	s_xor_b64 exec, exec, s[6:7]
	s_cbranch_execnz .LBB12_3168
.LBB12_1118:
	s_or_b64 exec, exec, s[6:7]
	s_and_saveexec_b64 s[6:7], s[4:5]
	s_cbranch_execz .LBB12_1120
.LBB12_1119:
	v_bfe_u32 v3, v4, 24, 3
	v_ffbh_u32_e32 v12, v3
	v_min_u32_e32 v12, 32, v12
	v_lshrrev_b32_e32 v7, 27, v4
	v_subrev_u32_e32 v13, 28, v12
	v_and_b32_e32 v6, 0x80000000, v4
	v_and_b32_e32 v7, 15, v7
	v_bfe_u32 v8, v4, 27, 4
	v_lshlrev_b32_sdwa v4, v13, v4 dst_sel:DWORD dst_unused:UNUSED_PAD src0_sel:DWORD src1_sel:BYTE_3
	v_sub_u32_e32 v12, 29, v12
	v_and_b32_e32 v4, 7, v4
	v_cmp_eq_u16_e32 vcc, 0, v7
	v_cndmask_b32_e32 v3, v3, v4, vcc
	v_cndmask_b32_e32 v4, v8, v12, vcc
	v_mov_b32_e32 v7, 0x3b800000
	v_lshlrev_b32_e32 v3, 20, v3
	v_lshl_add_u32 v4, v4, 23, v7
	v_or3_b32 v3, v6, v4, v3
.LBB12_1120:
	s_or_b64 exec, exec, s[6:7]
	s_nop 0
	v_mfma_f32_16x16x4f32 a[0:3], v2, v3, a[0:3]
	s_movk_i32 s4, 0x7f
	v_cmp_gt_i16_sdwa s[6:7], v9, s4 src0_sel:BYTE_0 src1_sel:DWORD
	s_mov_b64 s[4:5], 0
                                        ; implicit-def: $sgpr10
	s_and_saveexec_b64 s[8:9], s[6:7]
	s_xor_b64 s[6:7], exec, s[8:9]
	s_cbranch_execnz .LBB12_3169
; %bb.1121:
	s_or_saveexec_b64 s[6:7], s[6:7]
	v_mov_b32_e32 v2, s10
	s_xor_b64 exec, exec, s[6:7]
	s_cbranch_execnz .LBB12_3172
.LBB12_1122:
	s_or_b64 exec, exec, s[6:7]
	s_and_saveexec_b64 s[6:7], s[4:5]
	s_cbranch_execz .LBB12_1124
.LBB12_1123:
	v_mov_b32_e32 v2, 8
	v_and_b32_e32 v3, 7, v9
	v_lshrrev_b32_sdwa v2, v2, v9 dst_sel:BYTE_1 dst_unused:UNUSED_PAD src0_sel:DWORD src1_sel:DWORD
	v_ffbh_u32_e32 v4, v3
	v_or_b32_sdwa v2, v9, v2 dst_sel:DWORD dst_unused:UNUSED_PAD src0_sel:BYTE_0 src1_sel:DWORD
	v_min_u32_e32 v4, 32, v4
	v_lshrrev_b16_e32 v2, 3, v2
	v_subrev_u32_e32 v6, 28, v4
	v_and_b32_e32 v2, 15, v2
	v_lshlrev_b32_e32 v6, v6, v9
	v_sub_u32_e32 v4, 29, v4
	v_and_b32_e32 v6, 7, v6
	v_cmp_eq_u16_e32 vcc, 0, v2
	v_cndmask_b32_e32 v3, v3, v6, vcc
	v_cndmask_b32_e32 v2, v2, v4, vcc
	v_lshlrev_b32_e32 v4, 24, v9
	v_mov_b32_e32 v6, 0x3b800000
	v_lshlrev_b32_e32 v3, 20, v3
	v_and_b32_e32 v4, 0x80000000, v4
	v_lshl_add_u32 v2, v2, 23, v6
	v_or3_b32 v2, v4, v2, v3
.LBB12_1124:
	s_or_b64 exec, exec, s[6:7]
	s_movk_i32 s4, 0x7f
	v_cmp_gt_i16_sdwa s[6:7], v5, s4 src0_sel:BYTE_0 src1_sel:DWORD
	s_mov_b64 s[4:5], 0
                                        ; implicit-def: $sgpr10
	s_and_saveexec_b64 s[8:9], s[6:7]
	s_xor_b64 s[6:7], exec, s[8:9]
	s_cbranch_execnz .LBB12_3173
; %bb.1125:
	s_or_saveexec_b64 s[6:7], s[6:7]
	v_mov_b32_e32 v3, s10
	s_xor_b64 exec, exec, s[6:7]
	s_cbranch_execnz .LBB12_3176
.LBB12_1126:
	s_or_b64 exec, exec, s[6:7]
	s_and_saveexec_b64 s[6:7], s[4:5]
	s_cbranch_execz .LBB12_1128
.LBB12_1127:
	v_mov_b32_e32 v3, 8
	v_and_b32_e32 v4, 7, v5
	v_lshrrev_b32_sdwa v3, v3, v5 dst_sel:BYTE_1 dst_unused:UNUSED_PAD src0_sel:DWORD src1_sel:DWORD
	v_ffbh_u32_e32 v6, v4
	v_or_b32_sdwa v3, v5, v3 dst_sel:DWORD dst_unused:UNUSED_PAD src0_sel:BYTE_0 src1_sel:DWORD
	v_min_u32_e32 v6, 32, v6
	v_lshrrev_b16_e32 v3, 3, v3
	v_subrev_u32_e32 v7, 28, v6
	v_and_b32_e32 v3, 15, v3
	v_lshlrev_b32_e32 v7, v7, v5
	v_sub_u32_e32 v6, 29, v6
	v_and_b32_e32 v7, 7, v7
	v_cmp_eq_u16_e32 vcc, 0, v3
	v_cndmask_b32_e32 v4, v4, v7, vcc
	v_cndmask_b32_e32 v3, v3, v6, vcc
	v_lshlrev_b32_e32 v6, 24, v5
	v_mov_b32_e32 v7, 0x3b800000
	v_lshlrev_b32_e32 v4, 20, v4
	v_and_b32_e32 v6, 0x80000000, v6
	v_lshl_add_u32 v3, v3, 23, v7
	v_or3_b32 v3, v6, v3, v4
.LBB12_1128:
	s_or_b64 exec, exec, s[6:7]
	s_nop 0
	v_mfma_f32_16x16x4f32 a[0:3], v2, v3, a[0:3]
	v_lshrrev_b32_e32 v3, 8, v9
	s_movk_i32 s4, 0x7f
	v_cmp_gt_i16_sdwa s[6:7], v3, s4 src0_sel:BYTE_0 src1_sel:DWORD
	s_mov_b64 s[4:5], 0
                                        ; implicit-def: $sgpr10
	s_and_saveexec_b64 s[8:9], s[6:7]
	s_xor_b64 s[6:7], exec, s[8:9]
	s_cbranch_execnz .LBB12_3177
; %bb.1129:
	s_or_saveexec_b64 s[6:7], s[6:7]
	v_mov_b32_e32 v2, s10
	s_xor_b64 exec, exec, s[6:7]
	s_cbranch_execnz .LBB12_3180
.LBB12_1130:
	s_or_b64 exec, exec, s[6:7]
	s_and_saveexec_b64 s[6:7], s[4:5]
	s_cbranch_execz .LBB12_1132
.LBB12_1131:
	v_bfe_u32 v2, v9, 8, 3
	v_ffbh_u32_e32 v6, v2
	v_min_u32_e32 v6, 32, v6
	v_lshrrev_b16_e32 v4, 3, v3
	v_subrev_u32_e32 v7, 28, v6
	v_and_b32_e32 v4, 15, v4
	v_lshlrev_b32_e32 v3, v7, v3
	v_sub_u32_e32 v6, 29, v6
	v_and_b32_e32 v3, 7, v3
	v_cmp_eq_u16_e32 vcc, 0, v4
	v_cndmask_b32_e32 v2, v2, v3, vcc
	v_cndmask_b32_e32 v3, v4, v6, vcc
	v_lshlrev_b32_e32 v4, 16, v9
	v_mov_b32_e32 v6, 0x3b800000
	v_lshlrev_b32_e32 v2, 20, v2
	v_and_b32_e32 v4, 0x80000000, v4
	v_lshl_add_u32 v3, v3, 23, v6
	v_or3_b32 v2, v4, v3, v2
.LBB12_1132:
	s_or_b64 exec, exec, s[6:7]
	v_lshrrev_b32_e32 v3, 8, v5
	s_movk_i32 s4, 0x7f
	v_cmp_gt_i16_sdwa s[6:7], v3, s4 src0_sel:BYTE_0 src1_sel:DWORD
	s_mov_b64 s[4:5], 0
                                        ; implicit-def: $sgpr10
	s_and_saveexec_b64 s[8:9], s[6:7]
	s_xor_b64 s[6:7], exec, s[8:9]
	s_cbranch_execnz .LBB12_3181
; %bb.1133:
	s_or_saveexec_b64 s[6:7], s[6:7]
	v_mov_b32_e32 v4, s10
	s_xor_b64 exec, exec, s[6:7]
	s_cbranch_execnz .LBB12_3184
.LBB12_1134:
	s_or_b64 exec, exec, s[6:7]
	s_and_saveexec_b64 s[6:7], s[4:5]
	s_cbranch_execz .LBB12_1136
.LBB12_1135:
	v_bfe_u32 v4, v5, 8, 3
	v_ffbh_u32_e32 v7, v4
	v_min_u32_e32 v7, 32, v7
	v_lshrrev_b16_e32 v6, 3, v3
	v_subrev_u32_e32 v8, 28, v7
	v_and_b32_e32 v6, 15, v6
	v_lshlrev_b32_e32 v3, v8, v3
	v_sub_u32_e32 v7, 29, v7
	v_and_b32_e32 v3, 7, v3
	v_cmp_eq_u16_e32 vcc, 0, v6
	v_cndmask_b32_e32 v3, v4, v3, vcc
	v_cndmask_b32_e32 v4, v6, v7, vcc
	v_lshlrev_b32_e32 v6, 16, v5
	v_mov_b32_e32 v7, 0x3b800000
	v_lshlrev_b32_e32 v3, 20, v3
	v_and_b32_e32 v6, 0x80000000, v6
	v_lshl_add_u32 v4, v4, 23, v7
	v_or3_b32 v4, v6, v4, v3
.LBB12_1136:
	s_or_b64 exec, exec, s[6:7]
	s_nop 0
	v_mfma_f32_16x16x4f32 a[0:3], v2, v4, a[0:3]
	s_movk_i32 s4, 0xff
	v_and_b32_sdwa v3, v9, s4 dst_sel:DWORD dst_unused:UNUSED_PAD src0_sel:WORD_1 src1_sel:DWORD
	s_movk_i32 s4, 0x7f
	v_cmp_lt_i16_e32 vcc, s4, v3
	s_mov_b64 s[4:5], 0
                                        ; implicit-def: $sgpr10
	s_and_saveexec_b64 s[6:7], vcc
	s_xor_b64 s[6:7], exec, s[6:7]
	s_cbranch_execnz .LBB12_3185
; %bb.1137:
	s_or_saveexec_b64 s[6:7], s[6:7]
	v_mov_b32_e32 v2, s10
	s_xor_b64 exec, exec, s[6:7]
	s_cbranch_execnz .LBB12_3188
.LBB12_1138:
	s_or_b64 exec, exec, s[6:7]
	s_and_saveexec_b64 s[6:7], s[4:5]
	s_cbranch_execz .LBB12_1140
.LBB12_1139:
	v_bfe_u32 v2, v9, 16, 3
	v_ffbh_u32_e32 v6, v2
	v_min_u32_e32 v6, 32, v6
	v_lshrrev_b32_e32 v3, 19, v9
	v_subrev_u32_e32 v7, 28, v6
	v_and_b32_e32 v3, 15, v3
	v_lshlrev_b32_sdwa v7, v7, v9 dst_sel:DWORD dst_unused:UNUSED_PAD src0_sel:DWORD src1_sel:WORD_1
	v_bfe_u32 v4, v9, 19, 4
	v_sub_u32_e32 v6, 29, v6
	v_and_b32_e32 v7, 7, v7
	v_cmp_eq_u16_e32 vcc, 0, v3
	v_cndmask_b32_e32 v2, v2, v7, vcc
	v_cndmask_b32_e32 v3, v4, v6, vcc
	v_lshlrev_b32_e32 v4, 8, v9
	v_mov_b32_e32 v6, 0x3b800000
	v_lshlrev_b32_e32 v2, 20, v2
	v_and_b32_e32 v4, 0x80000000, v4
	v_lshl_add_u32 v3, v3, 23, v6
	v_or3_b32 v2, v4, v3, v2
.LBB12_1140:
	s_or_b64 exec, exec, s[6:7]
	s_movk_i32 s4, 0xff
	v_and_b32_sdwa v3, v5, s4 dst_sel:DWORD dst_unused:UNUSED_PAD src0_sel:WORD_1 src1_sel:DWORD
	s_movk_i32 s4, 0x7f
	v_cmp_lt_i16_e32 vcc, s4, v3
	s_mov_b64 s[4:5], 0
                                        ; implicit-def: $sgpr10
	s_and_saveexec_b64 s[6:7], vcc
	s_xor_b64 s[6:7], exec, s[6:7]
	s_cbranch_execnz .LBB12_3189
; %bb.1141:
	s_or_saveexec_b64 s[6:7], s[6:7]
	v_mov_b32_e32 v4, s10
	s_xor_b64 exec, exec, s[6:7]
	s_cbranch_execnz .LBB12_3192
.LBB12_1142:
	s_or_b64 exec, exec, s[6:7]
	s_and_saveexec_b64 s[6:7], s[4:5]
	s_cbranch_execz .LBB12_1144
.LBB12_1143:
	v_bfe_u32 v3, v5, 16, 3
	v_ffbh_u32_e32 v7, v3
	v_min_u32_e32 v7, 32, v7
	v_lshrrev_b32_e32 v4, 19, v5
	v_subrev_u32_e32 v8, 28, v7
	v_and_b32_e32 v4, 15, v4
	v_lshlrev_b32_sdwa v8, v8, v5 dst_sel:DWORD dst_unused:UNUSED_PAD src0_sel:DWORD src1_sel:WORD_1
	v_bfe_u32 v6, v5, 19, 4
	v_sub_u32_e32 v7, 29, v7
	v_and_b32_e32 v8, 7, v8
	v_cmp_eq_u16_e32 vcc, 0, v4
	v_cndmask_b32_e32 v3, v3, v8, vcc
	v_cndmask_b32_e32 v4, v6, v7, vcc
	v_lshlrev_b32_e32 v6, 8, v5
	v_mov_b32_e32 v7, 0x3b800000
	v_lshlrev_b32_e32 v3, 20, v3
	v_and_b32_e32 v6, 0x80000000, v6
	v_lshl_add_u32 v4, v4, 23, v7
	v_or3_b32 v4, v6, v4, v3
.LBB12_1144:
	s_or_b64 exec, exec, s[6:7]
	s_nop 0
	v_mfma_f32_16x16x4f32 a[0:3], v2, v4, a[0:3]
	s_movk_i32 s4, 0x7f
	v_cmp_gt_i16_sdwa s[6:7], v9, s4 src0_sel:BYTE_3 src1_sel:DWORD
	s_mov_b64 s[4:5], 0
                                        ; implicit-def: $sgpr10
	s_and_saveexec_b64 s[8:9], s[6:7]
	s_xor_b64 s[6:7], exec, s[8:9]
	s_cbranch_execnz .LBB12_3193
; %bb.1145:
	s_or_saveexec_b64 s[6:7], s[6:7]
	v_mov_b32_e32 v2, s10
	s_xor_b64 exec, exec, s[6:7]
	s_cbranch_execnz .LBB12_3196
.LBB12_1146:
	s_or_b64 exec, exec, s[6:7]
	s_and_saveexec_b64 s[6:7], s[4:5]
	s_cbranch_execz .LBB12_1148
.LBB12_1147:
	v_bfe_u32 v2, v9, 24, 3
	v_ffbh_u32_e32 v7, v2
	v_min_u32_e32 v7, 32, v7
	v_lshrrev_b32_e32 v4, 27, v9
	v_subrev_u32_e32 v8, 28, v7
	v_and_b32_e32 v4, 15, v4
	v_lshlrev_b32_sdwa v8, v8, v9 dst_sel:DWORD dst_unused:UNUSED_PAD src0_sel:DWORD src1_sel:BYTE_3
	v_bfe_u32 v6, v9, 27, 4
	v_sub_u32_e32 v7, 29, v7
	v_and_b32_e32 v8, 7, v8
	v_cmp_eq_u16_e32 vcc, 0, v4
	v_cndmask_b32_e32 v2, v2, v8, vcc
	v_cndmask_b32_e32 v4, v6, v7, vcc
	v_mov_b32_e32 v6, 0x3b800000
	v_and_b32_e32 v3, 0x80000000, v9
	v_lshlrev_b32_e32 v2, 20, v2
	v_lshl_add_u32 v4, v4, 23, v6
	v_or3_b32 v2, v3, v4, v2
.LBB12_1148:
	s_or_b64 exec, exec, s[6:7]
	s_movk_i32 s4, 0x7f
	v_cmp_gt_i16_sdwa s[6:7], v5, s4 src0_sel:BYTE_3 src1_sel:DWORD
	s_mov_b64 s[4:5], 0
                                        ; implicit-def: $sgpr10
	s_and_saveexec_b64 s[8:9], s[6:7]
	s_xor_b64 s[6:7], exec, s[8:9]
	s_cbranch_execnz .LBB12_3197
; %bb.1149:
	s_or_saveexec_b64 s[6:7], s[6:7]
	v_mov_b32_e32 v3, s10
	s_xor_b64 exec, exec, s[6:7]
	s_cbranch_execnz .LBB12_3200
.LBB12_1150:
	s_or_b64 exec, exec, s[6:7]
	s_and_saveexec_b64 s[6:7], s[4:5]
	s_cbranch_execz .LBB12_1152
.LBB12_1151:
	v_bfe_u32 v3, v5, 24, 3
	v_ffbh_u32_e32 v8, v3
	v_min_u32_e32 v8, 32, v8
	v_lshrrev_b32_e32 v6, 27, v5
	v_subrev_u32_e32 v9, 28, v8
	v_and_b32_e32 v4, 0x80000000, v5
	v_and_b32_e32 v6, 15, v6
	v_bfe_u32 v7, v5, 27, 4
	v_lshlrev_b32_sdwa v5, v9, v5 dst_sel:DWORD dst_unused:UNUSED_PAD src0_sel:DWORD src1_sel:BYTE_3
	v_sub_u32_e32 v8, 29, v8
	v_and_b32_e32 v5, 7, v5
	v_cmp_eq_u16_e32 vcc, 0, v6
	v_cndmask_b32_e32 v3, v3, v5, vcc
	v_cndmask_b32_e32 v5, v7, v8, vcc
	v_mov_b32_e32 v6, 0x3b800000
	v_lshlrev_b32_e32 v3, 20, v3
	v_lshl_add_u32 v5, v5, 23, v6
	v_or3_b32 v3, v4, v5, v3
.LBB12_1152:
	s_or_b64 exec, exec, s[6:7]
	s_nop 0
	v_mfma_f32_16x16x4f32 a[0:3], v2, v3, a[0:3]
	s_movk_i32 s4, 0x7f
                                        ; implicit-def: $sgpr10
	s_nop 7
	s_nop 1
	flat_store_dwordx4 v[10:11], a[0:3] offset:128
	flat_load_dwordx4 v[12:15], v[0:1] offset:8
	s_nop 0
	flat_load_dwordx2 v[10:11], v[0:1] offset:32
	s_waitcnt vmcnt(0) lgkmcnt(0)
	flat_load_dwordx4 v[6:9], v[12:13] offset:64
	flat_load_dwordx4 v[2:5], v[14:15] offset:32
	s_waitcnt vmcnt(0) lgkmcnt(0)
	v_cmp_gt_i16_sdwa s[6:7], v6, s4 src0_sel:BYTE_0 src1_sel:DWORD
	s_mov_b64 s[4:5], 0
	s_and_saveexec_b64 s[8:9], s[6:7]
	s_xor_b64 s[6:7], exec, s[8:9]
	s_cbranch_execnz .LBB12_3201
; %bb.1153:
	s_or_saveexec_b64 s[6:7], s[6:7]
	v_mov_b32_e32 v12, s10
	s_xor_b64 exec, exec, s[6:7]
	s_cbranch_execnz .LBB12_3204
.LBB12_1154:
	s_or_b64 exec, exec, s[6:7]
	s_and_saveexec_b64 s[6:7], s[4:5]
	s_cbranch_execz .LBB12_1156
.LBB12_1155:
	v_and_b32_e32 v12, 7, v6
	v_ffbh_u32_e32 v14, v12
	v_min_u32_e32 v14, 32, v14
	v_lshrrev_b16_e32 v13, 3, v6
	v_subrev_u32_e32 v15, 28, v14
	v_and_b32_e32 v13, 15, v13
	v_lshlrev_b32_e32 v15, v15, v6
	v_sub_u32_e32 v14, 29, v14
	v_and_b32_e32 v15, 7, v15
	v_cmp_eq_u16_e32 vcc, 0, v13
	v_cndmask_b32_e32 v12, v12, v15, vcc
	v_cndmask_b32_e32 v13, v13, v14, vcc
	v_lshlrev_b32_e32 v14, 24, v6
	v_mov_b32_e32 v15, 0x3b800000
	v_lshlrev_b32_e32 v12, 20, v12
	v_and_b32_e32 v14, 0x80000000, v14
	v_lshl_add_u32 v13, v13, 23, v15
	v_or3_b32 v12, v14, v13, v12
.LBB12_1156:
	s_or_b64 exec, exec, s[6:7]
	s_movk_i32 s4, 0x7f
	v_cmp_gt_i16_sdwa s[6:7], v2, s4 src0_sel:BYTE_0 src1_sel:DWORD
	s_mov_b64 s[4:5], 0
                                        ; implicit-def: $sgpr10
	s_and_saveexec_b64 s[8:9], s[6:7]
	s_xor_b64 s[6:7], exec, s[8:9]
	s_cbranch_execnz .LBB12_3205
; %bb.1157:
	s_or_saveexec_b64 s[6:7], s[6:7]
	v_mov_b32_e32 v13, s10
	s_xor_b64 exec, exec, s[6:7]
	s_cbranch_execnz .LBB12_3208
.LBB12_1158:
	s_or_b64 exec, exec, s[6:7]
	s_and_saveexec_b64 s[6:7], s[4:5]
	s_cbranch_execz .LBB12_1160
.LBB12_1159:
	v_and_b32_e32 v13, 7, v2
	v_ffbh_u32_e32 v15, v13
	v_min_u32_e32 v15, 32, v15
	v_lshrrev_b16_e32 v14, 3, v2
	v_subrev_u32_e32 v16, 28, v15
	v_and_b32_e32 v14, 15, v14
	v_lshlrev_b32_e32 v16, v16, v2
	v_sub_u32_e32 v15, 29, v15
	v_and_b32_e32 v16, 7, v16
	v_cmp_eq_u16_e32 vcc, 0, v14
	v_cndmask_b32_e32 v13, v13, v16, vcc
	v_cndmask_b32_e32 v14, v14, v15, vcc
	v_lshlrev_b32_e32 v15, 24, v2
	v_mov_b32_e32 v16, 0x3b800000
	v_lshlrev_b32_e32 v13, 20, v13
	v_and_b32_e32 v15, 0x80000000, v15
	v_lshl_add_u32 v14, v14, 23, v16
	v_or3_b32 v13, v15, v14, v13
.LBB12_1160:
	s_or_b64 exec, exec, s[6:7]
	flat_load_dwordx4 a[0:3], v[10:11] offset:144
	s_movk_i32 s4, 0x7f
                                        ; implicit-def: $sgpr10
	s_waitcnt vmcnt(0) lgkmcnt(0)
	v_mfma_f32_16x16x4f32 a[0:3], v12, v13, a[0:3]
	v_lshrrev_b32_e32 v13, 8, v6
	v_cmp_gt_i16_sdwa s[6:7], v13, s4 src0_sel:BYTE_0 src1_sel:DWORD
	s_mov_b64 s[4:5], 0
	s_and_saveexec_b64 s[8:9], s[6:7]
	s_xor_b64 s[6:7], exec, s[8:9]
	s_cbranch_execnz .LBB12_3209
; %bb.1161:
	s_or_saveexec_b64 s[6:7], s[6:7]
	v_mov_b32_e32 v12, s10
	s_xor_b64 exec, exec, s[6:7]
	s_cbranch_execnz .LBB12_3212
.LBB12_1162:
	s_or_b64 exec, exec, s[6:7]
	s_and_saveexec_b64 s[6:7], s[4:5]
	s_cbranch_execz .LBB12_1164
.LBB12_1163:
	v_bfe_u32 v12, v6, 8, 3
	v_ffbh_u32_e32 v15, v12
	v_min_u32_e32 v15, 32, v15
	v_lshrrev_b16_e32 v14, 3, v13
	v_subrev_u32_e32 v16, 28, v15
	v_and_b32_e32 v14, 15, v14
	v_lshlrev_b32_e32 v13, v16, v13
	v_sub_u32_e32 v15, 29, v15
	v_and_b32_e32 v13, 7, v13
	v_cmp_eq_u16_e32 vcc, 0, v14
	v_cndmask_b32_e32 v12, v12, v13, vcc
	v_cndmask_b32_e32 v13, v14, v15, vcc
	v_lshlrev_b32_e32 v14, 16, v6
	v_mov_b32_e32 v15, 0x3b800000
	v_lshlrev_b32_e32 v12, 20, v12
	v_and_b32_e32 v14, 0x80000000, v14
	v_lshl_add_u32 v13, v13, 23, v15
	v_or3_b32 v12, v14, v13, v12
.LBB12_1164:
	s_or_b64 exec, exec, s[6:7]
	v_lshrrev_b32_e32 v13, 8, v2
	s_movk_i32 s4, 0x7f
	v_cmp_gt_i16_sdwa s[6:7], v13, s4 src0_sel:BYTE_0 src1_sel:DWORD
	s_mov_b64 s[4:5], 0
                                        ; implicit-def: $sgpr10
	s_and_saveexec_b64 s[8:9], s[6:7]
	s_xor_b64 s[6:7], exec, s[8:9]
	s_cbranch_execnz .LBB12_3213
; %bb.1165:
	s_or_saveexec_b64 s[6:7], s[6:7]
	v_mov_b32_e32 v14, s10
	s_xor_b64 exec, exec, s[6:7]
	s_cbranch_execnz .LBB12_3216
.LBB12_1166:
	s_or_b64 exec, exec, s[6:7]
	s_and_saveexec_b64 s[6:7], s[4:5]
	s_cbranch_execz .LBB12_1168
.LBB12_1167:
	v_bfe_u32 v14, v2, 8, 3
	v_ffbh_u32_e32 v16, v14
	v_min_u32_e32 v16, 32, v16
	v_lshrrev_b16_e32 v15, 3, v13
	v_subrev_u32_e32 v17, 28, v16
	v_and_b32_e32 v15, 15, v15
	v_lshlrev_b32_e32 v13, v17, v13
	v_sub_u32_e32 v16, 29, v16
	v_and_b32_e32 v13, 7, v13
	v_cmp_eq_u16_e32 vcc, 0, v15
	v_cndmask_b32_e32 v13, v14, v13, vcc
	v_cndmask_b32_e32 v14, v15, v16, vcc
	v_lshlrev_b32_e32 v15, 16, v2
	v_mov_b32_e32 v16, 0x3b800000
	v_lshlrev_b32_e32 v13, 20, v13
	v_and_b32_e32 v15, 0x80000000, v15
	v_lshl_add_u32 v14, v14, 23, v16
	v_or3_b32 v14, v15, v14, v13
.LBB12_1168:
	s_or_b64 exec, exec, s[6:7]
	s_nop 0
	v_mfma_f32_16x16x4f32 a[0:3], v12, v14, a[0:3]
	s_movk_i32 s4, 0xff
	v_and_b32_sdwa v13, v6, s4 dst_sel:DWORD dst_unused:UNUSED_PAD src0_sel:WORD_1 src1_sel:DWORD
	s_movk_i32 s4, 0x7f
	v_cmp_lt_i16_e32 vcc, s4, v13
	s_mov_b64 s[4:5], 0
                                        ; implicit-def: $sgpr10
	s_and_saveexec_b64 s[6:7], vcc
	s_xor_b64 s[6:7], exec, s[6:7]
	s_cbranch_execnz .LBB12_3217
; %bb.1169:
	s_or_saveexec_b64 s[6:7], s[6:7]
	v_mov_b32_e32 v12, s10
	s_xor_b64 exec, exec, s[6:7]
	s_cbranch_execnz .LBB12_3220
.LBB12_1170:
	s_or_b64 exec, exec, s[6:7]
	s_and_saveexec_b64 s[6:7], s[4:5]
	s_cbranch_execz .LBB12_1172
.LBB12_1171:
	v_bfe_u32 v12, v6, 16, 3
	v_ffbh_u32_e32 v15, v12
	v_min_u32_e32 v15, 32, v15
	v_lshrrev_b32_e32 v13, 19, v6
	v_subrev_u32_e32 v16, 28, v15
	v_and_b32_e32 v13, 15, v13
	v_lshlrev_b32_sdwa v16, v16, v6 dst_sel:DWORD dst_unused:UNUSED_PAD src0_sel:DWORD src1_sel:WORD_1
	v_bfe_u32 v14, v6, 19, 4
	v_sub_u32_e32 v15, 29, v15
	v_and_b32_e32 v16, 7, v16
	v_cmp_eq_u16_e32 vcc, 0, v13
	v_cndmask_b32_e32 v12, v12, v16, vcc
	v_cndmask_b32_e32 v13, v14, v15, vcc
	v_lshlrev_b32_e32 v14, 8, v6
	v_mov_b32_e32 v15, 0x3b800000
	v_lshlrev_b32_e32 v12, 20, v12
	v_and_b32_e32 v14, 0x80000000, v14
	v_lshl_add_u32 v13, v13, 23, v15
	v_or3_b32 v12, v14, v13, v12
.LBB12_1172:
	s_or_b64 exec, exec, s[6:7]
	s_movk_i32 s4, 0xff
	v_and_b32_sdwa v13, v2, s4 dst_sel:DWORD dst_unused:UNUSED_PAD src0_sel:WORD_1 src1_sel:DWORD
	s_movk_i32 s4, 0x7f
	v_cmp_lt_i16_e32 vcc, s4, v13
	s_mov_b64 s[4:5], 0
                                        ; implicit-def: $sgpr10
	s_and_saveexec_b64 s[6:7], vcc
	s_xor_b64 s[6:7], exec, s[6:7]
	s_cbranch_execnz .LBB12_3221
; %bb.1173:
	s_or_saveexec_b64 s[6:7], s[6:7]
	v_mov_b32_e32 v14, s10
	s_xor_b64 exec, exec, s[6:7]
	s_cbranch_execnz .LBB12_3224
.LBB12_1174:
	s_or_b64 exec, exec, s[6:7]
	s_and_saveexec_b64 s[6:7], s[4:5]
	s_cbranch_execz .LBB12_1176
.LBB12_1175:
	v_bfe_u32 v13, v2, 16, 3
	v_ffbh_u32_e32 v16, v13
	v_min_u32_e32 v16, 32, v16
	v_lshrrev_b32_e32 v14, 19, v2
	v_subrev_u32_e32 v17, 28, v16
	v_and_b32_e32 v14, 15, v14
	v_lshlrev_b32_sdwa v17, v17, v2 dst_sel:DWORD dst_unused:UNUSED_PAD src0_sel:DWORD src1_sel:WORD_1
	v_bfe_u32 v15, v2, 19, 4
	v_sub_u32_e32 v16, 29, v16
	v_and_b32_e32 v17, 7, v17
	v_cmp_eq_u16_e32 vcc, 0, v14
	v_cndmask_b32_e32 v13, v13, v17, vcc
	v_cndmask_b32_e32 v14, v15, v16, vcc
	v_lshlrev_b32_e32 v15, 8, v2
	v_mov_b32_e32 v16, 0x3b800000
	v_lshlrev_b32_e32 v13, 20, v13
	v_and_b32_e32 v15, 0x80000000, v15
	v_lshl_add_u32 v14, v14, 23, v16
	v_or3_b32 v14, v15, v14, v13
.LBB12_1176:
	s_or_b64 exec, exec, s[6:7]
	s_nop 0
	v_mfma_f32_16x16x4f32 a[0:3], v12, v14, a[0:3]
	s_movk_i32 s4, 0x7f
	v_cmp_gt_i16_sdwa s[6:7], v6, s4 src0_sel:BYTE_3 src1_sel:DWORD
	s_mov_b64 s[4:5], 0
                                        ; implicit-def: $sgpr10
	s_and_saveexec_b64 s[8:9], s[6:7]
	s_xor_b64 s[6:7], exec, s[8:9]
	s_cbranch_execnz .LBB12_3225
; %bb.1177:
	s_or_saveexec_b64 s[6:7], s[6:7]
	v_mov_b32_e32 v12, s10
	s_xor_b64 exec, exec, s[6:7]
	s_cbranch_execnz .LBB12_3228
.LBB12_1178:
	s_or_b64 exec, exec, s[6:7]
	s_and_saveexec_b64 s[6:7], s[4:5]
	s_cbranch_execz .LBB12_1180
.LBB12_1179:
	v_bfe_u32 v12, v6, 24, 3
	v_ffbh_u32_e32 v16, v12
	v_min_u32_e32 v16, 32, v16
	v_lshrrev_b32_e32 v14, 27, v6
	v_subrev_u32_e32 v17, 28, v16
	v_and_b32_e32 v13, 0x80000000, v6
	v_and_b32_e32 v14, 15, v14
	v_bfe_u32 v15, v6, 27, 4
	v_lshlrev_b32_sdwa v6, v17, v6 dst_sel:DWORD dst_unused:UNUSED_PAD src0_sel:DWORD src1_sel:BYTE_3
	v_sub_u32_e32 v16, 29, v16
	v_and_b32_e32 v6, 7, v6
	v_cmp_eq_u16_e32 vcc, 0, v14
	v_cndmask_b32_e32 v6, v12, v6, vcc
	v_cndmask_b32_e32 v12, v15, v16, vcc
	v_mov_b32_e32 v14, 0x3b800000
	v_lshlrev_b32_e32 v6, 20, v6
	v_lshl_add_u32 v12, v12, 23, v14
	v_or3_b32 v12, v13, v12, v6
.LBB12_1180:
	s_or_b64 exec, exec, s[6:7]
	s_movk_i32 s4, 0x7f
	v_cmp_gt_i16_sdwa s[6:7], v2, s4 src0_sel:BYTE_3 src1_sel:DWORD
	s_mov_b64 s[4:5], 0
                                        ; implicit-def: $sgpr10
	s_and_saveexec_b64 s[8:9], s[6:7]
	s_xor_b64 s[6:7], exec, s[8:9]
	s_cbranch_execnz .LBB12_3229
; %bb.1181:
	s_or_saveexec_b64 s[6:7], s[6:7]
	v_mov_b32_e32 v6, s10
	s_xor_b64 exec, exec, s[6:7]
	s_cbranch_execnz .LBB12_3232
.LBB12_1182:
	s_or_b64 exec, exec, s[6:7]
	s_and_saveexec_b64 s[6:7], s[4:5]
	s_cbranch_execz .LBB12_1184
.LBB12_1183:
	v_bfe_u32 v6, v2, 24, 3
	v_ffbh_u32_e32 v16, v6
	v_min_u32_e32 v16, 32, v16
	v_lshrrev_b32_e32 v14, 27, v2
	v_subrev_u32_e32 v17, 28, v16
	v_and_b32_e32 v13, 0x80000000, v2
	v_and_b32_e32 v14, 15, v14
	v_bfe_u32 v15, v2, 27, 4
	v_lshlrev_b32_sdwa v2, v17, v2 dst_sel:DWORD dst_unused:UNUSED_PAD src0_sel:DWORD src1_sel:BYTE_3
	v_sub_u32_e32 v16, 29, v16
	v_and_b32_e32 v2, 7, v2
	v_cmp_eq_u16_e32 vcc, 0, v14
	v_cndmask_b32_e32 v2, v6, v2, vcc
	v_cndmask_b32_e32 v6, v15, v16, vcc
	v_mov_b32_e32 v14, 0x3b800000
	v_lshlrev_b32_e32 v2, 20, v2
	v_lshl_add_u32 v6, v6, 23, v14
	v_or3_b32 v6, v13, v6, v2
.LBB12_1184:
	s_or_b64 exec, exec, s[6:7]
	s_nop 0
	v_mfma_f32_16x16x4f32 a[0:3], v12, v6, a[0:3]
	s_movk_i32 s4, 0x7f
	v_cmp_gt_i16_sdwa s[6:7], v7, s4 src0_sel:BYTE_0 src1_sel:DWORD
	s_mov_b64 s[4:5], 0
                                        ; implicit-def: $sgpr10
	s_and_saveexec_b64 s[8:9], s[6:7]
	s_xor_b64 s[6:7], exec, s[8:9]
	s_cbranch_execnz .LBB12_3233
; %bb.1185:
	s_or_saveexec_b64 s[6:7], s[6:7]
	v_mov_b32_e32 v2, s10
	s_xor_b64 exec, exec, s[6:7]
	s_cbranch_execnz .LBB12_3236
.LBB12_1186:
	s_or_b64 exec, exec, s[6:7]
	s_and_saveexec_b64 s[6:7], s[4:5]
	s_cbranch_execz .LBB12_1188
.LBB12_1187:
	v_and_b32_e32 v2, 7, v7
	v_ffbh_u32_e32 v12, v2
	v_min_u32_e32 v12, 32, v12
	v_lshrrev_b16_e32 v6, 3, v7
	v_subrev_u32_e32 v13, 28, v12
	v_and_b32_e32 v6, 15, v6
	v_lshlrev_b32_e32 v13, v13, v7
	v_sub_u32_e32 v12, 29, v12
	v_and_b32_e32 v13, 7, v13
	v_cmp_eq_u16_e32 vcc, 0, v6
	v_cndmask_b32_e32 v2, v2, v13, vcc
	v_cndmask_b32_e32 v6, v6, v12, vcc
	v_lshlrev_b32_e32 v12, 24, v7
	v_mov_b32_e32 v13, 0x3b800000
	v_lshlrev_b32_e32 v2, 20, v2
	v_and_b32_e32 v12, 0x80000000, v12
	v_lshl_add_u32 v6, v6, 23, v13
	v_or3_b32 v2, v12, v6, v2
.LBB12_1188:
	s_or_b64 exec, exec, s[6:7]
	s_movk_i32 s4, 0x7f
	v_cmp_gt_i16_sdwa s[6:7], v3, s4 src0_sel:BYTE_0 src1_sel:DWORD
	s_mov_b64 s[4:5], 0
                                        ; implicit-def: $sgpr10
	s_and_saveexec_b64 s[8:9], s[6:7]
	s_xor_b64 s[6:7], exec, s[8:9]
	s_cbranch_execnz .LBB12_3237
; %bb.1189:
	s_or_saveexec_b64 s[6:7], s[6:7]
	v_mov_b32_e32 v6, s10
	s_xor_b64 exec, exec, s[6:7]
	s_cbranch_execnz .LBB12_3240
.LBB12_1190:
	s_or_b64 exec, exec, s[6:7]
	s_and_saveexec_b64 s[6:7], s[4:5]
	s_cbranch_execz .LBB12_1192
.LBB12_1191:
	v_and_b32_e32 v6, 7, v3
	v_ffbh_u32_e32 v13, v6
	v_min_u32_e32 v13, 32, v13
	v_lshrrev_b16_e32 v12, 3, v3
	v_subrev_u32_e32 v14, 28, v13
	v_and_b32_e32 v12, 15, v12
	v_lshlrev_b32_e32 v14, v14, v3
	v_sub_u32_e32 v13, 29, v13
	v_and_b32_e32 v14, 7, v14
	v_cmp_eq_u16_e32 vcc, 0, v12
	v_cndmask_b32_e32 v6, v6, v14, vcc
	v_cndmask_b32_e32 v12, v12, v13, vcc
	v_lshlrev_b32_e32 v13, 24, v3
	v_mov_b32_e32 v14, 0x3b800000
	v_lshlrev_b32_e32 v6, 20, v6
	v_and_b32_e32 v13, 0x80000000, v13
	v_lshl_add_u32 v12, v12, 23, v14
	v_or3_b32 v6, v13, v12, v6
.LBB12_1192:
	s_or_b64 exec, exec, s[6:7]
	s_nop 0
	v_mfma_f32_16x16x4f32 a[0:3], v2, v6, a[0:3]
	v_lshrrev_b32_e32 v6, 8, v7
	s_movk_i32 s4, 0x7f
	v_cmp_gt_i16_sdwa s[6:7], v6, s4 src0_sel:BYTE_0 src1_sel:DWORD
	s_mov_b64 s[4:5], 0
                                        ; implicit-def: $sgpr10
	s_and_saveexec_b64 s[8:9], s[6:7]
	s_xor_b64 s[6:7], exec, s[8:9]
	s_cbranch_execnz .LBB12_3241
; %bb.1193:
	s_or_saveexec_b64 s[6:7], s[6:7]
	v_mov_b32_e32 v2, s10
	s_xor_b64 exec, exec, s[6:7]
	s_cbranch_execnz .LBB12_3244
.LBB12_1194:
	s_or_b64 exec, exec, s[6:7]
	s_and_saveexec_b64 s[6:7], s[4:5]
	s_cbranch_execz .LBB12_1196
.LBB12_1195:
	v_bfe_u32 v2, v7, 8, 3
	v_ffbh_u32_e32 v13, v2
	v_min_u32_e32 v13, 32, v13
	v_lshrrev_b16_e32 v12, 3, v6
	v_subrev_u32_e32 v14, 28, v13
	v_and_b32_e32 v12, 15, v12
	v_lshlrev_b32_e32 v6, v14, v6
	v_sub_u32_e32 v13, 29, v13
	v_and_b32_e32 v6, 7, v6
	v_cmp_eq_u16_e32 vcc, 0, v12
	v_cndmask_b32_e32 v2, v2, v6, vcc
	v_cndmask_b32_e32 v6, v12, v13, vcc
	v_lshlrev_b32_e32 v12, 16, v7
	v_mov_b32_e32 v13, 0x3b800000
	v_lshlrev_b32_e32 v2, 20, v2
	v_and_b32_e32 v12, 0x80000000, v12
	v_lshl_add_u32 v6, v6, 23, v13
	v_or3_b32 v2, v12, v6, v2
.LBB12_1196:
	s_or_b64 exec, exec, s[6:7]
	v_lshrrev_b32_e32 v6, 8, v3
	s_movk_i32 s4, 0x7f
	v_cmp_gt_i16_sdwa s[6:7], v6, s4 src0_sel:BYTE_0 src1_sel:DWORD
	s_mov_b64 s[4:5], 0
                                        ; implicit-def: $sgpr10
	s_and_saveexec_b64 s[8:9], s[6:7]
	s_xor_b64 s[6:7], exec, s[8:9]
	s_cbranch_execnz .LBB12_3245
; %bb.1197:
	s_or_saveexec_b64 s[6:7], s[6:7]
	v_mov_b32_e32 v12, s10
	s_xor_b64 exec, exec, s[6:7]
	s_cbranch_execnz .LBB12_3248
.LBB12_1198:
	s_or_b64 exec, exec, s[6:7]
	s_and_saveexec_b64 s[6:7], s[4:5]
	s_cbranch_execz .LBB12_1200
.LBB12_1199:
	v_bfe_u32 v12, v3, 8, 3
	v_ffbh_u32_e32 v14, v12
	v_min_u32_e32 v14, 32, v14
	v_lshrrev_b16_e32 v13, 3, v6
	v_subrev_u32_e32 v15, 28, v14
	v_and_b32_e32 v13, 15, v13
	v_lshlrev_b32_e32 v6, v15, v6
	v_sub_u32_e32 v14, 29, v14
	v_and_b32_e32 v6, 7, v6
	v_cmp_eq_u16_e32 vcc, 0, v13
	v_cndmask_b32_e32 v6, v12, v6, vcc
	v_cndmask_b32_e32 v12, v13, v14, vcc
	v_lshlrev_b32_e32 v13, 16, v3
	v_mov_b32_e32 v14, 0x3b800000
	v_lshlrev_b32_e32 v6, 20, v6
	v_and_b32_e32 v13, 0x80000000, v13
	v_lshl_add_u32 v12, v12, 23, v14
	v_or3_b32 v12, v13, v12, v6
.LBB12_1200:
	s_or_b64 exec, exec, s[6:7]
	s_nop 0
	v_mfma_f32_16x16x4f32 a[0:3], v2, v12, a[0:3]
	s_movk_i32 s4, 0xff
	v_and_b32_sdwa v6, v7, s4 dst_sel:DWORD dst_unused:UNUSED_PAD src0_sel:WORD_1 src1_sel:DWORD
	s_movk_i32 s4, 0x7f
	v_cmp_lt_i16_e32 vcc, s4, v6
	s_mov_b64 s[4:5], 0
                                        ; implicit-def: $sgpr10
	s_and_saveexec_b64 s[6:7], vcc
	s_xor_b64 s[6:7], exec, s[6:7]
	s_cbranch_execnz .LBB12_3249
; %bb.1201:
	s_or_saveexec_b64 s[6:7], s[6:7]
	v_mov_b32_e32 v2, s10
	s_xor_b64 exec, exec, s[6:7]
	s_cbranch_execnz .LBB12_3252
.LBB12_1202:
	s_or_b64 exec, exec, s[6:7]
	s_and_saveexec_b64 s[6:7], s[4:5]
	s_cbranch_execz .LBB12_1204
.LBB12_1203:
	v_bfe_u32 v2, v7, 16, 3
	v_ffbh_u32_e32 v13, v2
	v_min_u32_e32 v13, 32, v13
	v_lshrrev_b32_e32 v6, 19, v7
	v_subrev_u32_e32 v14, 28, v13
	v_and_b32_e32 v6, 15, v6
	v_lshlrev_b32_sdwa v14, v14, v7 dst_sel:DWORD dst_unused:UNUSED_PAD src0_sel:DWORD src1_sel:WORD_1
	v_bfe_u32 v12, v7, 19, 4
	v_sub_u32_e32 v13, 29, v13
	v_and_b32_e32 v14, 7, v14
	v_cmp_eq_u16_e32 vcc, 0, v6
	v_cndmask_b32_e32 v2, v2, v14, vcc
	v_cndmask_b32_e32 v6, v12, v13, vcc
	v_lshlrev_b32_e32 v12, 8, v7
	v_mov_b32_e32 v13, 0x3b800000
	v_lshlrev_b32_e32 v2, 20, v2
	v_and_b32_e32 v12, 0x80000000, v12
	v_lshl_add_u32 v6, v6, 23, v13
	v_or3_b32 v2, v12, v6, v2
.LBB12_1204:
	s_or_b64 exec, exec, s[6:7]
	s_movk_i32 s4, 0xff
	v_and_b32_sdwa v6, v3, s4 dst_sel:DWORD dst_unused:UNUSED_PAD src0_sel:WORD_1 src1_sel:DWORD
	s_movk_i32 s4, 0x7f
	v_cmp_lt_i16_e32 vcc, s4, v6
	s_mov_b64 s[4:5], 0
                                        ; implicit-def: $sgpr10
	s_and_saveexec_b64 s[6:7], vcc
	s_xor_b64 s[6:7], exec, s[6:7]
	s_cbranch_execnz .LBB12_3253
; %bb.1205:
	s_or_saveexec_b64 s[6:7], s[6:7]
	v_mov_b32_e32 v12, s10
	s_xor_b64 exec, exec, s[6:7]
	s_cbranch_execnz .LBB12_3256
.LBB12_1206:
	s_or_b64 exec, exec, s[6:7]
	s_and_saveexec_b64 s[6:7], s[4:5]
	s_cbranch_execz .LBB12_1208
.LBB12_1207:
	v_bfe_u32 v6, v3, 16, 3
	v_ffbh_u32_e32 v14, v6
	v_min_u32_e32 v14, 32, v14
	v_lshrrev_b32_e32 v12, 19, v3
	v_subrev_u32_e32 v15, 28, v14
	v_and_b32_e32 v12, 15, v12
	v_lshlrev_b32_sdwa v15, v15, v3 dst_sel:DWORD dst_unused:UNUSED_PAD src0_sel:DWORD src1_sel:WORD_1
	v_bfe_u32 v13, v3, 19, 4
	v_sub_u32_e32 v14, 29, v14
	v_and_b32_e32 v15, 7, v15
	v_cmp_eq_u16_e32 vcc, 0, v12
	v_cndmask_b32_e32 v6, v6, v15, vcc
	v_cndmask_b32_e32 v12, v13, v14, vcc
	v_lshlrev_b32_e32 v13, 8, v3
	v_mov_b32_e32 v14, 0x3b800000
	v_lshlrev_b32_e32 v6, 20, v6
	v_and_b32_e32 v13, 0x80000000, v13
	v_lshl_add_u32 v12, v12, 23, v14
	v_or3_b32 v12, v13, v12, v6
.LBB12_1208:
	s_or_b64 exec, exec, s[6:7]
	s_nop 0
	v_mfma_f32_16x16x4f32 a[0:3], v2, v12, a[0:3]
	s_movk_i32 s4, 0x7f
	v_cmp_gt_i16_sdwa s[6:7], v7, s4 src0_sel:BYTE_3 src1_sel:DWORD
	s_mov_b64 s[4:5], 0
                                        ; implicit-def: $sgpr10
	s_and_saveexec_b64 s[8:9], s[6:7]
	s_xor_b64 s[6:7], exec, s[8:9]
	s_cbranch_execnz .LBB12_3257
; %bb.1209:
	s_or_saveexec_b64 s[6:7], s[6:7]
	v_mov_b32_e32 v2, s10
	s_xor_b64 exec, exec, s[6:7]
	s_cbranch_execnz .LBB12_3260
.LBB12_1210:
	s_or_b64 exec, exec, s[6:7]
	s_and_saveexec_b64 s[6:7], s[4:5]
	s_cbranch_execz .LBB12_1212
.LBB12_1211:
	v_bfe_u32 v2, v7, 24, 3
	v_ffbh_u32_e32 v14, v2
	v_min_u32_e32 v14, 32, v14
	v_lshrrev_b32_e32 v12, 27, v7
	v_subrev_u32_e32 v15, 28, v14
	v_and_b32_e32 v6, 0x80000000, v7
	v_and_b32_e32 v12, 15, v12
	v_bfe_u32 v13, v7, 27, 4
	v_lshlrev_b32_sdwa v7, v15, v7 dst_sel:DWORD dst_unused:UNUSED_PAD src0_sel:DWORD src1_sel:BYTE_3
	v_sub_u32_e32 v14, 29, v14
	v_and_b32_e32 v7, 7, v7
	v_cmp_eq_u16_e32 vcc, 0, v12
	v_cndmask_b32_e32 v2, v2, v7, vcc
	v_cndmask_b32_e32 v7, v13, v14, vcc
	v_mov_b32_e32 v12, 0x3b800000
	v_lshlrev_b32_e32 v2, 20, v2
	v_lshl_add_u32 v7, v7, 23, v12
	v_or3_b32 v2, v6, v7, v2
.LBB12_1212:
	s_or_b64 exec, exec, s[6:7]
	s_movk_i32 s4, 0x7f
	v_cmp_gt_i16_sdwa s[6:7], v3, s4 src0_sel:BYTE_3 src1_sel:DWORD
	s_mov_b64 s[4:5], 0
                                        ; implicit-def: $sgpr10
	s_and_saveexec_b64 s[8:9], s[6:7]
	s_xor_b64 s[6:7], exec, s[8:9]
	s_cbranch_execnz .LBB12_3261
; %bb.1213:
	s_or_saveexec_b64 s[6:7], s[6:7]
	v_mov_b32_e32 v6, s10
	s_xor_b64 exec, exec, s[6:7]
	s_cbranch_execnz .LBB12_3264
.LBB12_1214:
	s_or_b64 exec, exec, s[6:7]
	s_and_saveexec_b64 s[6:7], s[4:5]
	s_cbranch_execz .LBB12_1216
.LBB12_1215:
	v_bfe_u32 v6, v3, 24, 3
	v_ffbh_u32_e32 v14, v6
	v_min_u32_e32 v14, 32, v14
	v_lshrrev_b32_e32 v12, 27, v3
	v_subrev_u32_e32 v15, 28, v14
	v_and_b32_e32 v7, 0x80000000, v3
	v_and_b32_e32 v12, 15, v12
	v_bfe_u32 v13, v3, 27, 4
	v_lshlrev_b32_sdwa v3, v15, v3 dst_sel:DWORD dst_unused:UNUSED_PAD src0_sel:DWORD src1_sel:BYTE_3
	v_sub_u32_e32 v14, 29, v14
	v_and_b32_e32 v3, 7, v3
	v_cmp_eq_u16_e32 vcc, 0, v12
	v_cndmask_b32_e32 v3, v6, v3, vcc
	v_cndmask_b32_e32 v6, v13, v14, vcc
	v_mov_b32_e32 v12, 0x3b800000
	v_lshlrev_b32_e32 v3, 20, v3
	v_lshl_add_u32 v6, v6, 23, v12
	v_or3_b32 v6, v7, v6, v3
.LBB12_1216:
	s_or_b64 exec, exec, s[6:7]
	s_nop 0
	v_mfma_f32_16x16x4f32 a[0:3], v2, v6, a[0:3]
	s_movk_i32 s4, 0x7f
	v_cmp_gt_i16_sdwa s[6:7], v8, s4 src0_sel:BYTE_0 src1_sel:DWORD
	s_mov_b64 s[4:5], 0
                                        ; implicit-def: $sgpr10
	s_and_saveexec_b64 s[8:9], s[6:7]
	s_xor_b64 s[6:7], exec, s[8:9]
	s_cbranch_execnz .LBB12_3265
; %bb.1217:
	s_or_saveexec_b64 s[6:7], s[6:7]
	v_mov_b32_e32 v2, s10
	s_xor_b64 exec, exec, s[6:7]
	s_cbranch_execnz .LBB12_3268
.LBB12_1218:
	s_or_b64 exec, exec, s[6:7]
	s_and_saveexec_b64 s[6:7], s[4:5]
	s_cbranch_execz .LBB12_1220
.LBB12_1219:
	v_and_b32_e32 v2, 7, v8
	v_ffbh_u32_e32 v6, v2
	v_min_u32_e32 v6, 32, v6
	v_lshrrev_b16_e32 v3, 3, v8
	v_subrev_u32_e32 v7, 28, v6
	v_and_b32_e32 v3, 15, v3
	v_lshlrev_b32_e32 v7, v7, v8
	v_sub_u32_e32 v6, 29, v6
	v_and_b32_e32 v7, 7, v7
	v_cmp_eq_u16_e32 vcc, 0, v3
	v_cndmask_b32_e32 v2, v2, v7, vcc
	v_cndmask_b32_e32 v3, v3, v6, vcc
	v_lshlrev_b32_e32 v6, 24, v8
	v_mov_b32_e32 v7, 0x3b800000
	v_lshlrev_b32_e32 v2, 20, v2
	v_and_b32_e32 v6, 0x80000000, v6
	v_lshl_add_u32 v3, v3, 23, v7
	v_or3_b32 v2, v6, v3, v2
.LBB12_1220:
	s_or_b64 exec, exec, s[6:7]
	s_movk_i32 s4, 0x7f
	v_cmp_gt_i16_sdwa s[6:7], v4, s4 src0_sel:BYTE_0 src1_sel:DWORD
	s_mov_b64 s[4:5], 0
                                        ; implicit-def: $sgpr10
	s_and_saveexec_b64 s[8:9], s[6:7]
	s_xor_b64 s[6:7], exec, s[8:9]
	s_cbranch_execnz .LBB12_3269
; %bb.1221:
	s_or_saveexec_b64 s[6:7], s[6:7]
	v_mov_b32_e32 v3, s10
	s_xor_b64 exec, exec, s[6:7]
	s_cbranch_execnz .LBB12_3272
.LBB12_1222:
	s_or_b64 exec, exec, s[6:7]
	s_and_saveexec_b64 s[6:7], s[4:5]
	s_cbranch_execz .LBB12_1224
.LBB12_1223:
	v_and_b32_e32 v3, 7, v4
	v_ffbh_u32_e32 v7, v3
	v_min_u32_e32 v7, 32, v7
	v_lshrrev_b16_e32 v6, 3, v4
	v_subrev_u32_e32 v12, 28, v7
	v_and_b32_e32 v6, 15, v6
	v_lshlrev_b32_e32 v12, v12, v4
	v_sub_u32_e32 v7, 29, v7
	v_and_b32_e32 v12, 7, v12
	v_cmp_eq_u16_e32 vcc, 0, v6
	v_cndmask_b32_e32 v3, v3, v12, vcc
	v_cndmask_b32_e32 v6, v6, v7, vcc
	v_lshlrev_b32_e32 v7, 24, v4
	v_mov_b32_e32 v12, 0x3b800000
	v_lshlrev_b32_e32 v3, 20, v3
	v_and_b32_e32 v7, 0x80000000, v7
	v_lshl_add_u32 v6, v6, 23, v12
	v_or3_b32 v3, v7, v6, v3
.LBB12_1224:
	s_or_b64 exec, exec, s[6:7]
	s_nop 0
	v_mfma_f32_16x16x4f32 a[0:3], v2, v3, a[0:3]
	v_lshrrev_b32_e32 v3, 8, v8
	s_movk_i32 s4, 0x7f
	v_cmp_gt_i16_sdwa s[6:7], v3, s4 src0_sel:BYTE_0 src1_sel:DWORD
	s_mov_b64 s[4:5], 0
                                        ; implicit-def: $sgpr10
	s_and_saveexec_b64 s[8:9], s[6:7]
	s_xor_b64 s[6:7], exec, s[8:9]
	s_cbranch_execnz .LBB12_3273
; %bb.1225:
	s_or_saveexec_b64 s[6:7], s[6:7]
	v_mov_b32_e32 v2, s10
	s_xor_b64 exec, exec, s[6:7]
	s_cbranch_execnz .LBB12_3276
.LBB12_1226:
	s_or_b64 exec, exec, s[6:7]
	s_and_saveexec_b64 s[6:7], s[4:5]
	s_cbranch_execz .LBB12_1228
.LBB12_1227:
	v_bfe_u32 v2, v8, 8, 3
	v_ffbh_u32_e32 v7, v2
	v_min_u32_e32 v7, 32, v7
	v_lshrrev_b16_e32 v6, 3, v3
	v_subrev_u32_e32 v12, 28, v7
	v_and_b32_e32 v6, 15, v6
	v_lshlrev_b32_e32 v3, v12, v3
	v_sub_u32_e32 v7, 29, v7
	v_and_b32_e32 v3, 7, v3
	v_cmp_eq_u16_e32 vcc, 0, v6
	v_cndmask_b32_e32 v2, v2, v3, vcc
	v_cndmask_b32_e32 v3, v6, v7, vcc
	v_lshlrev_b32_e32 v6, 16, v8
	v_mov_b32_e32 v7, 0x3b800000
	v_lshlrev_b32_e32 v2, 20, v2
	v_and_b32_e32 v6, 0x80000000, v6
	v_lshl_add_u32 v3, v3, 23, v7
	v_or3_b32 v2, v6, v3, v2
.LBB12_1228:
	s_or_b64 exec, exec, s[6:7]
	v_lshrrev_b32_e32 v3, 8, v4
	s_movk_i32 s4, 0x7f
	v_cmp_gt_i16_sdwa s[6:7], v3, s4 src0_sel:BYTE_0 src1_sel:DWORD
	s_mov_b64 s[4:5], 0
                                        ; implicit-def: $sgpr10
	s_and_saveexec_b64 s[8:9], s[6:7]
	s_xor_b64 s[6:7], exec, s[8:9]
	s_cbranch_execnz .LBB12_3277
; %bb.1229:
	s_or_saveexec_b64 s[6:7], s[6:7]
	v_mov_b32_e32 v6, s10
	s_xor_b64 exec, exec, s[6:7]
	s_cbranch_execnz .LBB12_3280
.LBB12_1230:
	s_or_b64 exec, exec, s[6:7]
	s_and_saveexec_b64 s[6:7], s[4:5]
	s_cbranch_execz .LBB12_1232
.LBB12_1231:
	v_bfe_u32 v6, v4, 8, 3
	v_ffbh_u32_e32 v12, v6
	v_min_u32_e32 v12, 32, v12
	v_lshrrev_b16_e32 v7, 3, v3
	v_subrev_u32_e32 v13, 28, v12
	v_and_b32_e32 v7, 15, v7
	v_lshlrev_b32_e32 v3, v13, v3
	v_sub_u32_e32 v12, 29, v12
	v_and_b32_e32 v3, 7, v3
	v_cmp_eq_u16_e32 vcc, 0, v7
	v_cndmask_b32_e32 v3, v6, v3, vcc
	v_cndmask_b32_e32 v6, v7, v12, vcc
	v_lshlrev_b32_e32 v7, 16, v4
	v_mov_b32_e32 v12, 0x3b800000
	v_lshlrev_b32_e32 v3, 20, v3
	v_and_b32_e32 v7, 0x80000000, v7
	v_lshl_add_u32 v6, v6, 23, v12
	v_or3_b32 v6, v7, v6, v3
.LBB12_1232:
	s_or_b64 exec, exec, s[6:7]
	s_nop 0
	v_mfma_f32_16x16x4f32 a[0:3], v2, v6, a[0:3]
	s_movk_i32 s4, 0xff
	v_and_b32_sdwa v3, v8, s4 dst_sel:DWORD dst_unused:UNUSED_PAD src0_sel:WORD_1 src1_sel:DWORD
	s_movk_i32 s4, 0x7f
	v_cmp_lt_i16_e32 vcc, s4, v3
	s_mov_b64 s[4:5], 0
                                        ; implicit-def: $sgpr10
	s_and_saveexec_b64 s[6:7], vcc
	s_xor_b64 s[6:7], exec, s[6:7]
	s_cbranch_execnz .LBB12_3281
; %bb.1233:
	s_or_saveexec_b64 s[6:7], s[6:7]
	v_mov_b32_e32 v2, s10
	s_xor_b64 exec, exec, s[6:7]
	s_cbranch_execnz .LBB12_3284
.LBB12_1234:
	s_or_b64 exec, exec, s[6:7]
	s_and_saveexec_b64 s[6:7], s[4:5]
	s_cbranch_execz .LBB12_1236
.LBB12_1235:
	v_bfe_u32 v2, v8, 16, 3
	v_ffbh_u32_e32 v7, v2
	v_min_u32_e32 v7, 32, v7
	v_lshrrev_b32_e32 v3, 19, v8
	v_subrev_u32_e32 v12, 28, v7
	v_and_b32_e32 v3, 15, v3
	v_lshlrev_b32_sdwa v12, v12, v8 dst_sel:DWORD dst_unused:UNUSED_PAD src0_sel:DWORD src1_sel:WORD_1
	v_bfe_u32 v6, v8, 19, 4
	v_sub_u32_e32 v7, 29, v7
	v_and_b32_e32 v12, 7, v12
	v_cmp_eq_u16_e32 vcc, 0, v3
	v_cndmask_b32_e32 v2, v2, v12, vcc
	v_cndmask_b32_e32 v3, v6, v7, vcc
	v_lshlrev_b32_e32 v6, 8, v8
	v_mov_b32_e32 v7, 0x3b800000
	v_lshlrev_b32_e32 v2, 20, v2
	v_and_b32_e32 v6, 0x80000000, v6
	v_lshl_add_u32 v3, v3, 23, v7
	v_or3_b32 v2, v6, v3, v2
.LBB12_1236:
	s_or_b64 exec, exec, s[6:7]
	s_movk_i32 s4, 0xff
	v_and_b32_sdwa v3, v4, s4 dst_sel:DWORD dst_unused:UNUSED_PAD src0_sel:WORD_1 src1_sel:DWORD
	s_movk_i32 s4, 0x7f
	v_cmp_lt_i16_e32 vcc, s4, v3
	s_mov_b64 s[4:5], 0
                                        ; implicit-def: $sgpr10
	s_and_saveexec_b64 s[6:7], vcc
	s_xor_b64 s[6:7], exec, s[6:7]
	s_cbranch_execnz .LBB12_3285
; %bb.1237:
	s_or_saveexec_b64 s[6:7], s[6:7]
	v_mov_b32_e32 v6, s10
	s_xor_b64 exec, exec, s[6:7]
	s_cbranch_execnz .LBB12_3288
.LBB12_1238:
	s_or_b64 exec, exec, s[6:7]
	s_and_saveexec_b64 s[6:7], s[4:5]
	s_cbranch_execz .LBB12_1240
.LBB12_1239:
	v_bfe_u32 v3, v4, 16, 3
	v_ffbh_u32_e32 v12, v3
	v_min_u32_e32 v12, 32, v12
	v_lshrrev_b32_e32 v6, 19, v4
	v_subrev_u32_e32 v13, 28, v12
	v_and_b32_e32 v6, 15, v6
	v_lshlrev_b32_sdwa v13, v13, v4 dst_sel:DWORD dst_unused:UNUSED_PAD src0_sel:DWORD src1_sel:WORD_1
	v_bfe_u32 v7, v4, 19, 4
	v_sub_u32_e32 v12, 29, v12
	v_and_b32_e32 v13, 7, v13
	v_cmp_eq_u16_e32 vcc, 0, v6
	v_cndmask_b32_e32 v3, v3, v13, vcc
	v_cndmask_b32_e32 v6, v7, v12, vcc
	v_lshlrev_b32_e32 v7, 8, v4
	v_mov_b32_e32 v12, 0x3b800000
	v_lshlrev_b32_e32 v3, 20, v3
	v_and_b32_e32 v7, 0x80000000, v7
	v_lshl_add_u32 v6, v6, 23, v12
	v_or3_b32 v6, v7, v6, v3
.LBB12_1240:
	s_or_b64 exec, exec, s[6:7]
	s_nop 0
	v_mfma_f32_16x16x4f32 a[0:3], v2, v6, a[0:3]
	s_movk_i32 s4, 0x7f
	v_cmp_gt_i16_sdwa s[6:7], v8, s4 src0_sel:BYTE_3 src1_sel:DWORD
	s_mov_b64 s[4:5], 0
                                        ; implicit-def: $sgpr10
	s_and_saveexec_b64 s[8:9], s[6:7]
	s_xor_b64 s[6:7], exec, s[8:9]
	s_cbranch_execnz .LBB12_3289
; %bb.1241:
	s_or_saveexec_b64 s[6:7], s[6:7]
	v_mov_b32_e32 v2, s10
	s_xor_b64 exec, exec, s[6:7]
	s_cbranch_execnz .LBB12_3292
.LBB12_1242:
	s_or_b64 exec, exec, s[6:7]
	s_and_saveexec_b64 s[6:7], s[4:5]
	s_cbranch_execz .LBB12_1244
.LBB12_1243:
	v_bfe_u32 v2, v8, 24, 3
	v_ffbh_u32_e32 v12, v2
	v_min_u32_e32 v12, 32, v12
	v_lshrrev_b32_e32 v6, 27, v8
	v_subrev_u32_e32 v13, 28, v12
	v_and_b32_e32 v3, 0x80000000, v8
	v_and_b32_e32 v6, 15, v6
	v_bfe_u32 v7, v8, 27, 4
	v_lshlrev_b32_sdwa v8, v13, v8 dst_sel:DWORD dst_unused:UNUSED_PAD src0_sel:DWORD src1_sel:BYTE_3
	v_sub_u32_e32 v12, 29, v12
	v_and_b32_e32 v8, 7, v8
	v_cmp_eq_u16_e32 vcc, 0, v6
	v_cndmask_b32_e32 v2, v2, v8, vcc
	v_cndmask_b32_e32 v6, v7, v12, vcc
	v_mov_b32_e32 v7, 0x3b800000
	v_lshlrev_b32_e32 v2, 20, v2
	v_lshl_add_u32 v6, v6, 23, v7
	v_or3_b32 v2, v3, v6, v2
.LBB12_1244:
	s_or_b64 exec, exec, s[6:7]
	s_movk_i32 s4, 0x7f
	v_cmp_gt_i16_sdwa s[6:7], v4, s4 src0_sel:BYTE_3 src1_sel:DWORD
	s_mov_b64 s[4:5], 0
                                        ; implicit-def: $sgpr10
	s_and_saveexec_b64 s[8:9], s[6:7]
	s_xor_b64 s[6:7], exec, s[8:9]
	s_cbranch_execnz .LBB12_3293
; %bb.1245:
	s_or_saveexec_b64 s[6:7], s[6:7]
	v_mov_b32_e32 v3, s10
	s_xor_b64 exec, exec, s[6:7]
	s_cbranch_execnz .LBB12_3296
.LBB12_1246:
	s_or_b64 exec, exec, s[6:7]
	s_and_saveexec_b64 s[6:7], s[4:5]
	s_cbranch_execz .LBB12_1248
.LBB12_1247:
	v_bfe_u32 v3, v4, 24, 3
	v_ffbh_u32_e32 v12, v3
	v_min_u32_e32 v12, 32, v12
	v_lshrrev_b32_e32 v7, 27, v4
	v_subrev_u32_e32 v13, 28, v12
	v_and_b32_e32 v6, 0x80000000, v4
	v_and_b32_e32 v7, 15, v7
	v_bfe_u32 v8, v4, 27, 4
	v_lshlrev_b32_sdwa v4, v13, v4 dst_sel:DWORD dst_unused:UNUSED_PAD src0_sel:DWORD src1_sel:BYTE_3
	v_sub_u32_e32 v12, 29, v12
	v_and_b32_e32 v4, 7, v4
	v_cmp_eq_u16_e32 vcc, 0, v7
	v_cndmask_b32_e32 v3, v3, v4, vcc
	v_cndmask_b32_e32 v4, v8, v12, vcc
	v_mov_b32_e32 v7, 0x3b800000
	v_lshlrev_b32_e32 v3, 20, v3
	v_lshl_add_u32 v4, v4, 23, v7
	v_or3_b32 v3, v6, v4, v3
.LBB12_1248:
	s_or_b64 exec, exec, s[6:7]
	s_nop 0
	v_mfma_f32_16x16x4f32 a[0:3], v2, v3, a[0:3]
	s_movk_i32 s4, 0x7f
	v_cmp_gt_i16_sdwa s[6:7], v9, s4 src0_sel:BYTE_0 src1_sel:DWORD
	s_mov_b64 s[4:5], 0
                                        ; implicit-def: $sgpr10
	s_and_saveexec_b64 s[8:9], s[6:7]
	s_xor_b64 s[6:7], exec, s[8:9]
	s_cbranch_execnz .LBB12_3297
; %bb.1249:
	s_or_saveexec_b64 s[6:7], s[6:7]
	v_mov_b32_e32 v2, s10
	s_xor_b64 exec, exec, s[6:7]
	s_cbranch_execnz .LBB12_3300
.LBB12_1250:
	s_or_b64 exec, exec, s[6:7]
	s_and_saveexec_b64 s[6:7], s[4:5]
	s_cbranch_execz .LBB12_1252
.LBB12_1251:
	v_mov_b32_e32 v2, 8
	v_and_b32_e32 v3, 7, v9
	v_lshrrev_b32_sdwa v2, v2, v9 dst_sel:BYTE_1 dst_unused:UNUSED_PAD src0_sel:DWORD src1_sel:DWORD
	v_ffbh_u32_e32 v4, v3
	v_or_b32_sdwa v2, v9, v2 dst_sel:DWORD dst_unused:UNUSED_PAD src0_sel:BYTE_0 src1_sel:DWORD
	v_min_u32_e32 v4, 32, v4
	v_lshrrev_b16_e32 v2, 3, v2
	v_subrev_u32_e32 v6, 28, v4
	v_and_b32_e32 v2, 15, v2
	v_lshlrev_b32_e32 v6, v6, v9
	v_sub_u32_e32 v4, 29, v4
	v_and_b32_e32 v6, 7, v6
	v_cmp_eq_u16_e32 vcc, 0, v2
	v_cndmask_b32_e32 v3, v3, v6, vcc
	v_cndmask_b32_e32 v2, v2, v4, vcc
	v_lshlrev_b32_e32 v4, 24, v9
	v_mov_b32_e32 v6, 0x3b800000
	v_lshlrev_b32_e32 v3, 20, v3
	v_and_b32_e32 v4, 0x80000000, v4
	v_lshl_add_u32 v2, v2, 23, v6
	v_or3_b32 v2, v4, v2, v3
.LBB12_1252:
	s_or_b64 exec, exec, s[6:7]
	s_movk_i32 s4, 0x7f
	v_cmp_gt_i16_sdwa s[6:7], v5, s4 src0_sel:BYTE_0 src1_sel:DWORD
	s_mov_b64 s[4:5], 0
                                        ; implicit-def: $sgpr10
	s_and_saveexec_b64 s[8:9], s[6:7]
	s_xor_b64 s[6:7], exec, s[8:9]
	s_cbranch_execnz .LBB12_3301
; %bb.1253:
	s_or_saveexec_b64 s[6:7], s[6:7]
	v_mov_b32_e32 v3, s10
	s_xor_b64 exec, exec, s[6:7]
	s_cbranch_execnz .LBB12_3304
.LBB12_1254:
	s_or_b64 exec, exec, s[6:7]
	s_and_saveexec_b64 s[6:7], s[4:5]
	s_cbranch_execz .LBB12_1256
.LBB12_1255:
	v_mov_b32_e32 v3, 8
	v_and_b32_e32 v4, 7, v5
	v_lshrrev_b32_sdwa v3, v3, v5 dst_sel:BYTE_1 dst_unused:UNUSED_PAD src0_sel:DWORD src1_sel:DWORD
	v_ffbh_u32_e32 v6, v4
	v_or_b32_sdwa v3, v5, v3 dst_sel:DWORD dst_unused:UNUSED_PAD src0_sel:BYTE_0 src1_sel:DWORD
	v_min_u32_e32 v6, 32, v6
	v_lshrrev_b16_e32 v3, 3, v3
	v_subrev_u32_e32 v7, 28, v6
	v_and_b32_e32 v3, 15, v3
	v_lshlrev_b32_e32 v7, v7, v5
	v_sub_u32_e32 v6, 29, v6
	v_and_b32_e32 v7, 7, v7
	v_cmp_eq_u16_e32 vcc, 0, v3
	v_cndmask_b32_e32 v4, v4, v7, vcc
	v_cndmask_b32_e32 v3, v3, v6, vcc
	v_lshlrev_b32_e32 v6, 24, v5
	v_mov_b32_e32 v7, 0x3b800000
	v_lshlrev_b32_e32 v4, 20, v4
	v_and_b32_e32 v6, 0x80000000, v6
	v_lshl_add_u32 v3, v3, 23, v7
	v_or3_b32 v3, v6, v3, v4
.LBB12_1256:
	s_or_b64 exec, exec, s[6:7]
	s_nop 0
	v_mfma_f32_16x16x4f32 a[0:3], v2, v3, a[0:3]
	v_lshrrev_b32_e32 v3, 8, v9
	s_movk_i32 s4, 0x7f
	v_cmp_gt_i16_sdwa s[6:7], v3, s4 src0_sel:BYTE_0 src1_sel:DWORD
	s_mov_b64 s[4:5], 0
                                        ; implicit-def: $sgpr10
	s_and_saveexec_b64 s[8:9], s[6:7]
	s_xor_b64 s[6:7], exec, s[8:9]
	s_cbranch_execnz .LBB12_3305
; %bb.1257:
	s_or_saveexec_b64 s[6:7], s[6:7]
	v_mov_b32_e32 v2, s10
	s_xor_b64 exec, exec, s[6:7]
	s_cbranch_execnz .LBB12_3308
.LBB12_1258:
	s_or_b64 exec, exec, s[6:7]
	s_and_saveexec_b64 s[6:7], s[4:5]
	s_cbranch_execz .LBB12_1260
.LBB12_1259:
	v_bfe_u32 v2, v9, 8, 3
	v_ffbh_u32_e32 v6, v2
	v_min_u32_e32 v6, 32, v6
	v_lshrrev_b16_e32 v4, 3, v3
	v_subrev_u32_e32 v7, 28, v6
	v_and_b32_e32 v4, 15, v4
	v_lshlrev_b32_e32 v3, v7, v3
	v_sub_u32_e32 v6, 29, v6
	v_and_b32_e32 v3, 7, v3
	v_cmp_eq_u16_e32 vcc, 0, v4
	v_cndmask_b32_e32 v2, v2, v3, vcc
	v_cndmask_b32_e32 v3, v4, v6, vcc
	v_lshlrev_b32_e32 v4, 16, v9
	v_mov_b32_e32 v6, 0x3b800000
	v_lshlrev_b32_e32 v2, 20, v2
	v_and_b32_e32 v4, 0x80000000, v4
	v_lshl_add_u32 v3, v3, 23, v6
	v_or3_b32 v2, v4, v3, v2
.LBB12_1260:
	s_or_b64 exec, exec, s[6:7]
	v_lshrrev_b32_e32 v3, 8, v5
	s_movk_i32 s4, 0x7f
	v_cmp_gt_i16_sdwa s[6:7], v3, s4 src0_sel:BYTE_0 src1_sel:DWORD
	s_mov_b64 s[4:5], 0
                                        ; implicit-def: $sgpr10
	s_and_saveexec_b64 s[8:9], s[6:7]
	s_xor_b64 s[6:7], exec, s[8:9]
	s_cbranch_execnz .LBB12_3309
; %bb.1261:
	s_or_saveexec_b64 s[6:7], s[6:7]
	v_mov_b32_e32 v4, s10
	s_xor_b64 exec, exec, s[6:7]
	s_cbranch_execnz .LBB12_3312
.LBB12_1262:
	s_or_b64 exec, exec, s[6:7]
	s_and_saveexec_b64 s[6:7], s[4:5]
	s_cbranch_execz .LBB12_1264
.LBB12_1263:
	v_bfe_u32 v4, v5, 8, 3
	v_ffbh_u32_e32 v7, v4
	v_min_u32_e32 v7, 32, v7
	v_lshrrev_b16_e32 v6, 3, v3
	v_subrev_u32_e32 v8, 28, v7
	v_and_b32_e32 v6, 15, v6
	v_lshlrev_b32_e32 v3, v8, v3
	v_sub_u32_e32 v7, 29, v7
	v_and_b32_e32 v3, 7, v3
	v_cmp_eq_u16_e32 vcc, 0, v6
	v_cndmask_b32_e32 v3, v4, v3, vcc
	v_cndmask_b32_e32 v4, v6, v7, vcc
	v_lshlrev_b32_e32 v6, 16, v5
	v_mov_b32_e32 v7, 0x3b800000
	v_lshlrev_b32_e32 v3, 20, v3
	v_and_b32_e32 v6, 0x80000000, v6
	v_lshl_add_u32 v4, v4, 23, v7
	v_or3_b32 v4, v6, v4, v3
.LBB12_1264:
	s_or_b64 exec, exec, s[6:7]
	s_nop 0
	v_mfma_f32_16x16x4f32 a[0:3], v2, v4, a[0:3]
	s_movk_i32 s4, 0xff
	v_and_b32_sdwa v3, v9, s4 dst_sel:DWORD dst_unused:UNUSED_PAD src0_sel:WORD_1 src1_sel:DWORD
	s_movk_i32 s4, 0x7f
	v_cmp_lt_i16_e32 vcc, s4, v3
	s_mov_b64 s[4:5], 0
                                        ; implicit-def: $sgpr10
	s_and_saveexec_b64 s[6:7], vcc
	s_xor_b64 s[6:7], exec, s[6:7]
	s_cbranch_execnz .LBB12_3313
; %bb.1265:
	s_or_saveexec_b64 s[6:7], s[6:7]
	v_mov_b32_e32 v2, s10
	s_xor_b64 exec, exec, s[6:7]
	s_cbranch_execnz .LBB12_3316
.LBB12_1266:
	s_or_b64 exec, exec, s[6:7]
	s_and_saveexec_b64 s[6:7], s[4:5]
	s_cbranch_execz .LBB12_1268
.LBB12_1267:
	v_bfe_u32 v2, v9, 16, 3
	v_ffbh_u32_e32 v6, v2
	v_min_u32_e32 v6, 32, v6
	v_lshrrev_b32_e32 v3, 19, v9
	v_subrev_u32_e32 v7, 28, v6
	v_and_b32_e32 v3, 15, v3
	v_lshlrev_b32_sdwa v7, v7, v9 dst_sel:DWORD dst_unused:UNUSED_PAD src0_sel:DWORD src1_sel:WORD_1
	v_bfe_u32 v4, v9, 19, 4
	v_sub_u32_e32 v6, 29, v6
	v_and_b32_e32 v7, 7, v7
	v_cmp_eq_u16_e32 vcc, 0, v3
	v_cndmask_b32_e32 v2, v2, v7, vcc
	v_cndmask_b32_e32 v3, v4, v6, vcc
	v_lshlrev_b32_e32 v4, 8, v9
	v_mov_b32_e32 v6, 0x3b800000
	v_lshlrev_b32_e32 v2, 20, v2
	v_and_b32_e32 v4, 0x80000000, v4
	v_lshl_add_u32 v3, v3, 23, v6
	v_or3_b32 v2, v4, v3, v2
.LBB12_1268:
	s_or_b64 exec, exec, s[6:7]
	s_movk_i32 s4, 0xff
	v_and_b32_sdwa v3, v5, s4 dst_sel:DWORD dst_unused:UNUSED_PAD src0_sel:WORD_1 src1_sel:DWORD
	s_movk_i32 s4, 0x7f
	v_cmp_lt_i16_e32 vcc, s4, v3
	s_mov_b64 s[4:5], 0
                                        ; implicit-def: $sgpr10
	s_and_saveexec_b64 s[6:7], vcc
	s_xor_b64 s[6:7], exec, s[6:7]
	s_cbranch_execnz .LBB12_3317
; %bb.1269:
	s_or_saveexec_b64 s[6:7], s[6:7]
	v_mov_b32_e32 v4, s10
	s_xor_b64 exec, exec, s[6:7]
	s_cbranch_execnz .LBB12_3320
.LBB12_1270:
	s_or_b64 exec, exec, s[6:7]
	s_and_saveexec_b64 s[6:7], s[4:5]
	s_cbranch_execz .LBB12_1272
.LBB12_1271:
	v_bfe_u32 v3, v5, 16, 3
	v_ffbh_u32_e32 v7, v3
	v_min_u32_e32 v7, 32, v7
	v_lshrrev_b32_e32 v4, 19, v5
	v_subrev_u32_e32 v8, 28, v7
	v_and_b32_e32 v4, 15, v4
	v_lshlrev_b32_sdwa v8, v8, v5 dst_sel:DWORD dst_unused:UNUSED_PAD src0_sel:DWORD src1_sel:WORD_1
	v_bfe_u32 v6, v5, 19, 4
	v_sub_u32_e32 v7, 29, v7
	v_and_b32_e32 v8, 7, v8
	v_cmp_eq_u16_e32 vcc, 0, v4
	v_cndmask_b32_e32 v3, v3, v8, vcc
	v_cndmask_b32_e32 v4, v6, v7, vcc
	v_lshlrev_b32_e32 v6, 8, v5
	v_mov_b32_e32 v7, 0x3b800000
	v_lshlrev_b32_e32 v3, 20, v3
	v_and_b32_e32 v6, 0x80000000, v6
	v_lshl_add_u32 v4, v4, 23, v7
	v_or3_b32 v4, v6, v4, v3
.LBB12_1272:
	s_or_b64 exec, exec, s[6:7]
	s_nop 0
	v_mfma_f32_16x16x4f32 a[0:3], v2, v4, a[0:3]
	s_movk_i32 s4, 0x7f
	v_cmp_gt_i16_sdwa s[6:7], v9, s4 src0_sel:BYTE_3 src1_sel:DWORD
	s_mov_b64 s[4:5], 0
                                        ; implicit-def: $sgpr10
	s_and_saveexec_b64 s[8:9], s[6:7]
	s_xor_b64 s[6:7], exec, s[8:9]
	s_cbranch_execnz .LBB12_3321
; %bb.1273:
	s_or_saveexec_b64 s[6:7], s[6:7]
	v_mov_b32_e32 v2, s10
	s_xor_b64 exec, exec, s[6:7]
	s_cbranch_execnz .LBB12_3324
.LBB12_1274:
	s_or_b64 exec, exec, s[6:7]
	s_and_saveexec_b64 s[6:7], s[4:5]
	s_cbranch_execz .LBB12_1276
.LBB12_1275:
	v_bfe_u32 v2, v9, 24, 3
	v_ffbh_u32_e32 v7, v2
	v_min_u32_e32 v7, 32, v7
	v_lshrrev_b32_e32 v4, 27, v9
	v_subrev_u32_e32 v8, 28, v7
	v_and_b32_e32 v4, 15, v4
	v_lshlrev_b32_sdwa v8, v8, v9 dst_sel:DWORD dst_unused:UNUSED_PAD src0_sel:DWORD src1_sel:BYTE_3
	v_bfe_u32 v6, v9, 27, 4
	v_sub_u32_e32 v7, 29, v7
	v_and_b32_e32 v8, 7, v8
	v_cmp_eq_u16_e32 vcc, 0, v4
	v_cndmask_b32_e32 v2, v2, v8, vcc
	v_cndmask_b32_e32 v4, v6, v7, vcc
	v_mov_b32_e32 v6, 0x3b800000
	v_and_b32_e32 v3, 0x80000000, v9
	v_lshlrev_b32_e32 v2, 20, v2
	v_lshl_add_u32 v4, v4, 23, v6
	v_or3_b32 v2, v3, v4, v2
.LBB12_1276:
	s_or_b64 exec, exec, s[6:7]
	s_movk_i32 s4, 0x7f
	v_cmp_gt_i16_sdwa s[6:7], v5, s4 src0_sel:BYTE_3 src1_sel:DWORD
	s_mov_b64 s[4:5], 0
                                        ; implicit-def: $sgpr10
	s_and_saveexec_b64 s[8:9], s[6:7]
	s_xor_b64 s[6:7], exec, s[8:9]
	s_cbranch_execnz .LBB12_3325
; %bb.1277:
	s_or_saveexec_b64 s[6:7], s[6:7]
	v_mov_b32_e32 v3, s10
	s_xor_b64 exec, exec, s[6:7]
	s_cbranch_execnz .LBB12_3328
.LBB12_1278:
	s_or_b64 exec, exec, s[6:7]
	s_and_saveexec_b64 s[6:7], s[4:5]
	s_cbranch_execz .LBB12_1280
.LBB12_1279:
	v_bfe_u32 v3, v5, 24, 3
	v_ffbh_u32_e32 v8, v3
	v_min_u32_e32 v8, 32, v8
	v_lshrrev_b32_e32 v6, 27, v5
	v_subrev_u32_e32 v9, 28, v8
	v_and_b32_e32 v4, 0x80000000, v5
	v_and_b32_e32 v6, 15, v6
	v_bfe_u32 v7, v5, 27, 4
	v_lshlrev_b32_sdwa v5, v9, v5 dst_sel:DWORD dst_unused:UNUSED_PAD src0_sel:DWORD src1_sel:BYTE_3
	v_sub_u32_e32 v8, 29, v8
	v_and_b32_e32 v5, 7, v5
	v_cmp_eq_u16_e32 vcc, 0, v6
	v_cndmask_b32_e32 v3, v3, v5, vcc
	v_cndmask_b32_e32 v5, v7, v8, vcc
	v_mov_b32_e32 v6, 0x3b800000
	v_lshlrev_b32_e32 v3, 20, v3
	v_lshl_add_u32 v5, v5, 23, v6
	v_or3_b32 v3, v4, v5, v3
.LBB12_1280:
	s_or_b64 exec, exec, s[6:7]
	s_nop 0
	v_mfma_f32_16x16x4f32 a[0:3], v2, v3, a[0:3]
	s_movk_i32 s4, 0x7f
                                        ; implicit-def: $sgpr10
	s_nop 7
	s_nop 1
	flat_store_dwordx4 v[10:11], a[0:3] offset:144
	flat_load_dwordx4 v[12:15], v[0:1] offset:8
	s_nop 0
	flat_load_dwordx2 v[10:11], v[0:1] offset:32
	s_waitcnt vmcnt(0) lgkmcnt(0)
	flat_load_dwordx4 v[6:9], v[12:13] offset:64
	flat_load_dwordx4 v[2:5], v[14:15] offset:64
	s_waitcnt vmcnt(0) lgkmcnt(0)
	v_cmp_gt_i16_sdwa s[6:7], v6, s4 src0_sel:BYTE_0 src1_sel:DWORD
	s_mov_b64 s[4:5], 0
	s_and_saveexec_b64 s[8:9], s[6:7]
	s_xor_b64 s[6:7], exec, s[8:9]
	s_cbranch_execnz .LBB12_3329
; %bb.1281:
	s_or_saveexec_b64 s[6:7], s[6:7]
	v_mov_b32_e32 v12, s10
	s_xor_b64 exec, exec, s[6:7]
	s_cbranch_execnz .LBB12_3332
.LBB12_1282:
	s_or_b64 exec, exec, s[6:7]
	s_and_saveexec_b64 s[6:7], s[4:5]
	s_cbranch_execz .LBB12_1284
.LBB12_1283:
	v_and_b32_e32 v12, 7, v6
	v_ffbh_u32_e32 v14, v12
	v_min_u32_e32 v14, 32, v14
	v_lshrrev_b16_e32 v13, 3, v6
	v_subrev_u32_e32 v15, 28, v14
	v_and_b32_e32 v13, 15, v13
	v_lshlrev_b32_e32 v15, v15, v6
	v_sub_u32_e32 v14, 29, v14
	v_and_b32_e32 v15, 7, v15
	v_cmp_eq_u16_e32 vcc, 0, v13
	v_cndmask_b32_e32 v12, v12, v15, vcc
	v_cndmask_b32_e32 v13, v13, v14, vcc
	v_lshlrev_b32_e32 v14, 24, v6
	v_mov_b32_e32 v15, 0x3b800000
	v_lshlrev_b32_e32 v12, 20, v12
	v_and_b32_e32 v14, 0x80000000, v14
	v_lshl_add_u32 v13, v13, 23, v15
	v_or3_b32 v12, v14, v13, v12
.LBB12_1284:
	s_or_b64 exec, exec, s[6:7]
	s_movk_i32 s4, 0x7f
	v_cmp_gt_i16_sdwa s[6:7], v2, s4 src0_sel:BYTE_0 src1_sel:DWORD
	s_mov_b64 s[4:5], 0
                                        ; implicit-def: $sgpr10
	s_and_saveexec_b64 s[8:9], s[6:7]
	s_xor_b64 s[6:7], exec, s[8:9]
	s_cbranch_execnz .LBB12_3333
; %bb.1285:
	s_or_saveexec_b64 s[6:7], s[6:7]
	v_mov_b32_e32 v13, s10
	s_xor_b64 exec, exec, s[6:7]
	s_cbranch_execnz .LBB12_3336
.LBB12_1286:
	s_or_b64 exec, exec, s[6:7]
	s_and_saveexec_b64 s[6:7], s[4:5]
	s_cbranch_execz .LBB12_1288
.LBB12_1287:
	v_and_b32_e32 v13, 7, v2
	v_ffbh_u32_e32 v15, v13
	v_min_u32_e32 v15, 32, v15
	v_lshrrev_b16_e32 v14, 3, v2
	v_subrev_u32_e32 v16, 28, v15
	v_and_b32_e32 v14, 15, v14
	v_lshlrev_b32_e32 v16, v16, v2
	v_sub_u32_e32 v15, 29, v15
	v_and_b32_e32 v16, 7, v16
	v_cmp_eq_u16_e32 vcc, 0, v14
	v_cndmask_b32_e32 v13, v13, v16, vcc
	v_cndmask_b32_e32 v14, v14, v15, vcc
	v_lshlrev_b32_e32 v15, 24, v2
	v_mov_b32_e32 v16, 0x3b800000
	v_lshlrev_b32_e32 v13, 20, v13
	v_and_b32_e32 v15, 0x80000000, v15
	v_lshl_add_u32 v14, v14, 23, v16
	v_or3_b32 v13, v15, v14, v13
.LBB12_1288:
	s_or_b64 exec, exec, s[6:7]
	flat_load_dwordx4 a[0:3], v[10:11] offset:160
	s_movk_i32 s4, 0x7f
                                        ; implicit-def: $sgpr10
	s_waitcnt vmcnt(0) lgkmcnt(0)
	v_mfma_f32_16x16x4f32 a[0:3], v12, v13, a[0:3]
	v_lshrrev_b32_e32 v13, 8, v6
	v_cmp_gt_i16_sdwa s[6:7], v13, s4 src0_sel:BYTE_0 src1_sel:DWORD
	s_mov_b64 s[4:5], 0
	s_and_saveexec_b64 s[8:9], s[6:7]
	s_xor_b64 s[6:7], exec, s[8:9]
	s_cbranch_execnz .LBB12_3337
; %bb.1289:
	s_or_saveexec_b64 s[6:7], s[6:7]
	v_mov_b32_e32 v12, s10
	s_xor_b64 exec, exec, s[6:7]
	s_cbranch_execnz .LBB12_3340
.LBB12_1290:
	s_or_b64 exec, exec, s[6:7]
	s_and_saveexec_b64 s[6:7], s[4:5]
	s_cbranch_execz .LBB12_1292
.LBB12_1291:
	v_bfe_u32 v12, v6, 8, 3
	v_ffbh_u32_e32 v15, v12
	v_min_u32_e32 v15, 32, v15
	v_lshrrev_b16_e32 v14, 3, v13
	v_subrev_u32_e32 v16, 28, v15
	v_and_b32_e32 v14, 15, v14
	v_lshlrev_b32_e32 v13, v16, v13
	v_sub_u32_e32 v15, 29, v15
	v_and_b32_e32 v13, 7, v13
	v_cmp_eq_u16_e32 vcc, 0, v14
	v_cndmask_b32_e32 v12, v12, v13, vcc
	v_cndmask_b32_e32 v13, v14, v15, vcc
	v_lshlrev_b32_e32 v14, 16, v6
	v_mov_b32_e32 v15, 0x3b800000
	v_lshlrev_b32_e32 v12, 20, v12
	v_and_b32_e32 v14, 0x80000000, v14
	v_lshl_add_u32 v13, v13, 23, v15
	v_or3_b32 v12, v14, v13, v12
.LBB12_1292:
	s_or_b64 exec, exec, s[6:7]
	v_lshrrev_b32_e32 v13, 8, v2
	s_movk_i32 s4, 0x7f
	v_cmp_gt_i16_sdwa s[6:7], v13, s4 src0_sel:BYTE_0 src1_sel:DWORD
	s_mov_b64 s[4:5], 0
                                        ; implicit-def: $sgpr10
	s_and_saveexec_b64 s[8:9], s[6:7]
	s_xor_b64 s[6:7], exec, s[8:9]
	s_cbranch_execnz .LBB12_3341
; %bb.1293:
	s_or_saveexec_b64 s[6:7], s[6:7]
	v_mov_b32_e32 v14, s10
	s_xor_b64 exec, exec, s[6:7]
	s_cbranch_execnz .LBB12_3344
.LBB12_1294:
	s_or_b64 exec, exec, s[6:7]
	s_and_saveexec_b64 s[6:7], s[4:5]
	s_cbranch_execz .LBB12_1296
.LBB12_1295:
	v_bfe_u32 v14, v2, 8, 3
	v_ffbh_u32_e32 v16, v14
	v_min_u32_e32 v16, 32, v16
	v_lshrrev_b16_e32 v15, 3, v13
	v_subrev_u32_e32 v17, 28, v16
	v_and_b32_e32 v15, 15, v15
	v_lshlrev_b32_e32 v13, v17, v13
	v_sub_u32_e32 v16, 29, v16
	v_and_b32_e32 v13, 7, v13
	v_cmp_eq_u16_e32 vcc, 0, v15
	v_cndmask_b32_e32 v13, v14, v13, vcc
	v_cndmask_b32_e32 v14, v15, v16, vcc
	v_lshlrev_b32_e32 v15, 16, v2
	v_mov_b32_e32 v16, 0x3b800000
	v_lshlrev_b32_e32 v13, 20, v13
	v_and_b32_e32 v15, 0x80000000, v15
	v_lshl_add_u32 v14, v14, 23, v16
	v_or3_b32 v14, v15, v14, v13
.LBB12_1296:
	s_or_b64 exec, exec, s[6:7]
	s_nop 0
	v_mfma_f32_16x16x4f32 a[0:3], v12, v14, a[0:3]
	s_movk_i32 s4, 0xff
	v_and_b32_sdwa v13, v6, s4 dst_sel:DWORD dst_unused:UNUSED_PAD src0_sel:WORD_1 src1_sel:DWORD
	s_movk_i32 s4, 0x7f
	v_cmp_lt_i16_e32 vcc, s4, v13
	s_mov_b64 s[4:5], 0
                                        ; implicit-def: $sgpr10
	s_and_saveexec_b64 s[6:7], vcc
	s_xor_b64 s[6:7], exec, s[6:7]
	s_cbranch_execnz .LBB12_3345
; %bb.1297:
	s_or_saveexec_b64 s[6:7], s[6:7]
	v_mov_b32_e32 v12, s10
	s_xor_b64 exec, exec, s[6:7]
	s_cbranch_execnz .LBB12_3348
.LBB12_1298:
	s_or_b64 exec, exec, s[6:7]
	s_and_saveexec_b64 s[6:7], s[4:5]
	s_cbranch_execz .LBB12_1300
.LBB12_1299:
	v_bfe_u32 v12, v6, 16, 3
	v_ffbh_u32_e32 v15, v12
	v_min_u32_e32 v15, 32, v15
	v_lshrrev_b32_e32 v13, 19, v6
	v_subrev_u32_e32 v16, 28, v15
	v_and_b32_e32 v13, 15, v13
	v_lshlrev_b32_sdwa v16, v16, v6 dst_sel:DWORD dst_unused:UNUSED_PAD src0_sel:DWORD src1_sel:WORD_1
	v_bfe_u32 v14, v6, 19, 4
	v_sub_u32_e32 v15, 29, v15
	v_and_b32_e32 v16, 7, v16
	v_cmp_eq_u16_e32 vcc, 0, v13
	v_cndmask_b32_e32 v12, v12, v16, vcc
	v_cndmask_b32_e32 v13, v14, v15, vcc
	v_lshlrev_b32_e32 v14, 8, v6
	v_mov_b32_e32 v15, 0x3b800000
	v_lshlrev_b32_e32 v12, 20, v12
	v_and_b32_e32 v14, 0x80000000, v14
	v_lshl_add_u32 v13, v13, 23, v15
	v_or3_b32 v12, v14, v13, v12
.LBB12_1300:
	s_or_b64 exec, exec, s[6:7]
	s_movk_i32 s4, 0xff
	v_and_b32_sdwa v13, v2, s4 dst_sel:DWORD dst_unused:UNUSED_PAD src0_sel:WORD_1 src1_sel:DWORD
	s_movk_i32 s4, 0x7f
	v_cmp_lt_i16_e32 vcc, s4, v13
	s_mov_b64 s[4:5], 0
                                        ; implicit-def: $sgpr10
	s_and_saveexec_b64 s[6:7], vcc
	s_xor_b64 s[6:7], exec, s[6:7]
	s_cbranch_execnz .LBB12_3349
; %bb.1301:
	s_or_saveexec_b64 s[6:7], s[6:7]
	v_mov_b32_e32 v14, s10
	s_xor_b64 exec, exec, s[6:7]
	s_cbranch_execnz .LBB12_3352
.LBB12_1302:
	s_or_b64 exec, exec, s[6:7]
	s_and_saveexec_b64 s[6:7], s[4:5]
	s_cbranch_execz .LBB12_1304
.LBB12_1303:
	v_bfe_u32 v13, v2, 16, 3
	v_ffbh_u32_e32 v16, v13
	v_min_u32_e32 v16, 32, v16
	v_lshrrev_b32_e32 v14, 19, v2
	v_subrev_u32_e32 v17, 28, v16
	v_and_b32_e32 v14, 15, v14
	v_lshlrev_b32_sdwa v17, v17, v2 dst_sel:DWORD dst_unused:UNUSED_PAD src0_sel:DWORD src1_sel:WORD_1
	v_bfe_u32 v15, v2, 19, 4
	v_sub_u32_e32 v16, 29, v16
	v_and_b32_e32 v17, 7, v17
	v_cmp_eq_u16_e32 vcc, 0, v14
	v_cndmask_b32_e32 v13, v13, v17, vcc
	v_cndmask_b32_e32 v14, v15, v16, vcc
	v_lshlrev_b32_e32 v15, 8, v2
	v_mov_b32_e32 v16, 0x3b800000
	v_lshlrev_b32_e32 v13, 20, v13
	v_and_b32_e32 v15, 0x80000000, v15
	v_lshl_add_u32 v14, v14, 23, v16
	v_or3_b32 v14, v15, v14, v13
.LBB12_1304:
	s_or_b64 exec, exec, s[6:7]
	s_nop 0
	v_mfma_f32_16x16x4f32 a[0:3], v12, v14, a[0:3]
	s_movk_i32 s4, 0x7f
	v_cmp_gt_i16_sdwa s[6:7], v6, s4 src0_sel:BYTE_3 src1_sel:DWORD
	s_mov_b64 s[4:5], 0
                                        ; implicit-def: $sgpr10
	s_and_saveexec_b64 s[8:9], s[6:7]
	s_xor_b64 s[6:7], exec, s[8:9]
	s_cbranch_execnz .LBB12_3353
; %bb.1305:
	s_or_saveexec_b64 s[6:7], s[6:7]
	v_mov_b32_e32 v12, s10
	s_xor_b64 exec, exec, s[6:7]
	s_cbranch_execnz .LBB12_3356
.LBB12_1306:
	s_or_b64 exec, exec, s[6:7]
	s_and_saveexec_b64 s[6:7], s[4:5]
	s_cbranch_execz .LBB12_1308
.LBB12_1307:
	v_bfe_u32 v12, v6, 24, 3
	v_ffbh_u32_e32 v16, v12
	v_min_u32_e32 v16, 32, v16
	v_lshrrev_b32_e32 v14, 27, v6
	v_subrev_u32_e32 v17, 28, v16
	v_and_b32_e32 v13, 0x80000000, v6
	v_and_b32_e32 v14, 15, v14
	v_bfe_u32 v15, v6, 27, 4
	v_lshlrev_b32_sdwa v6, v17, v6 dst_sel:DWORD dst_unused:UNUSED_PAD src0_sel:DWORD src1_sel:BYTE_3
	v_sub_u32_e32 v16, 29, v16
	v_and_b32_e32 v6, 7, v6
	v_cmp_eq_u16_e32 vcc, 0, v14
	v_cndmask_b32_e32 v6, v12, v6, vcc
	v_cndmask_b32_e32 v12, v15, v16, vcc
	v_mov_b32_e32 v14, 0x3b800000
	v_lshlrev_b32_e32 v6, 20, v6
	v_lshl_add_u32 v12, v12, 23, v14
	v_or3_b32 v12, v13, v12, v6
.LBB12_1308:
	s_or_b64 exec, exec, s[6:7]
	s_movk_i32 s4, 0x7f
	v_cmp_gt_i16_sdwa s[6:7], v2, s4 src0_sel:BYTE_3 src1_sel:DWORD
	s_mov_b64 s[4:5], 0
                                        ; implicit-def: $sgpr10
	s_and_saveexec_b64 s[8:9], s[6:7]
	s_xor_b64 s[6:7], exec, s[8:9]
	s_cbranch_execnz .LBB12_3357
; %bb.1309:
	s_or_saveexec_b64 s[6:7], s[6:7]
	v_mov_b32_e32 v6, s10
	s_xor_b64 exec, exec, s[6:7]
	s_cbranch_execnz .LBB12_3360
.LBB12_1310:
	s_or_b64 exec, exec, s[6:7]
	s_and_saveexec_b64 s[6:7], s[4:5]
	s_cbranch_execz .LBB12_1312
.LBB12_1311:
	v_bfe_u32 v6, v2, 24, 3
	v_ffbh_u32_e32 v16, v6
	v_min_u32_e32 v16, 32, v16
	v_lshrrev_b32_e32 v14, 27, v2
	v_subrev_u32_e32 v17, 28, v16
	v_and_b32_e32 v13, 0x80000000, v2
	v_and_b32_e32 v14, 15, v14
	v_bfe_u32 v15, v2, 27, 4
	v_lshlrev_b32_sdwa v2, v17, v2 dst_sel:DWORD dst_unused:UNUSED_PAD src0_sel:DWORD src1_sel:BYTE_3
	v_sub_u32_e32 v16, 29, v16
	v_and_b32_e32 v2, 7, v2
	v_cmp_eq_u16_e32 vcc, 0, v14
	v_cndmask_b32_e32 v2, v6, v2, vcc
	v_cndmask_b32_e32 v6, v15, v16, vcc
	v_mov_b32_e32 v14, 0x3b800000
	v_lshlrev_b32_e32 v2, 20, v2
	v_lshl_add_u32 v6, v6, 23, v14
	v_or3_b32 v6, v13, v6, v2
.LBB12_1312:
	s_or_b64 exec, exec, s[6:7]
	s_nop 0
	v_mfma_f32_16x16x4f32 a[0:3], v12, v6, a[0:3]
	s_movk_i32 s4, 0x7f
	v_cmp_gt_i16_sdwa s[6:7], v7, s4 src0_sel:BYTE_0 src1_sel:DWORD
	s_mov_b64 s[4:5], 0
                                        ; implicit-def: $sgpr10
	s_and_saveexec_b64 s[8:9], s[6:7]
	s_xor_b64 s[6:7], exec, s[8:9]
	s_cbranch_execnz .LBB12_3361
; %bb.1313:
	s_or_saveexec_b64 s[6:7], s[6:7]
	v_mov_b32_e32 v2, s10
	s_xor_b64 exec, exec, s[6:7]
	s_cbranch_execnz .LBB12_3364
.LBB12_1314:
	s_or_b64 exec, exec, s[6:7]
	s_and_saveexec_b64 s[6:7], s[4:5]
	s_cbranch_execz .LBB12_1316
.LBB12_1315:
	v_and_b32_e32 v2, 7, v7
	v_ffbh_u32_e32 v12, v2
	v_min_u32_e32 v12, 32, v12
	v_lshrrev_b16_e32 v6, 3, v7
	v_subrev_u32_e32 v13, 28, v12
	v_and_b32_e32 v6, 15, v6
	v_lshlrev_b32_e32 v13, v13, v7
	v_sub_u32_e32 v12, 29, v12
	v_and_b32_e32 v13, 7, v13
	v_cmp_eq_u16_e32 vcc, 0, v6
	v_cndmask_b32_e32 v2, v2, v13, vcc
	v_cndmask_b32_e32 v6, v6, v12, vcc
	v_lshlrev_b32_e32 v12, 24, v7
	v_mov_b32_e32 v13, 0x3b800000
	v_lshlrev_b32_e32 v2, 20, v2
	v_and_b32_e32 v12, 0x80000000, v12
	v_lshl_add_u32 v6, v6, 23, v13
	v_or3_b32 v2, v12, v6, v2
.LBB12_1316:
	s_or_b64 exec, exec, s[6:7]
	s_movk_i32 s4, 0x7f
	v_cmp_gt_i16_sdwa s[6:7], v3, s4 src0_sel:BYTE_0 src1_sel:DWORD
	s_mov_b64 s[4:5], 0
                                        ; implicit-def: $sgpr10
	s_and_saveexec_b64 s[8:9], s[6:7]
	s_xor_b64 s[6:7], exec, s[8:9]
	s_cbranch_execnz .LBB12_3365
; %bb.1317:
	s_or_saveexec_b64 s[6:7], s[6:7]
	v_mov_b32_e32 v6, s10
	s_xor_b64 exec, exec, s[6:7]
	s_cbranch_execnz .LBB12_3368
.LBB12_1318:
	s_or_b64 exec, exec, s[6:7]
	s_and_saveexec_b64 s[6:7], s[4:5]
	s_cbranch_execz .LBB12_1320
.LBB12_1319:
	v_and_b32_e32 v6, 7, v3
	v_ffbh_u32_e32 v13, v6
	v_min_u32_e32 v13, 32, v13
	v_lshrrev_b16_e32 v12, 3, v3
	v_subrev_u32_e32 v14, 28, v13
	v_and_b32_e32 v12, 15, v12
	v_lshlrev_b32_e32 v14, v14, v3
	v_sub_u32_e32 v13, 29, v13
	v_and_b32_e32 v14, 7, v14
	v_cmp_eq_u16_e32 vcc, 0, v12
	v_cndmask_b32_e32 v6, v6, v14, vcc
	v_cndmask_b32_e32 v12, v12, v13, vcc
	v_lshlrev_b32_e32 v13, 24, v3
	v_mov_b32_e32 v14, 0x3b800000
	v_lshlrev_b32_e32 v6, 20, v6
	v_and_b32_e32 v13, 0x80000000, v13
	v_lshl_add_u32 v12, v12, 23, v14
	v_or3_b32 v6, v13, v12, v6
.LBB12_1320:
	s_or_b64 exec, exec, s[6:7]
	s_nop 0
	v_mfma_f32_16x16x4f32 a[0:3], v2, v6, a[0:3]
	v_lshrrev_b32_e32 v6, 8, v7
	s_movk_i32 s4, 0x7f
	v_cmp_gt_i16_sdwa s[6:7], v6, s4 src0_sel:BYTE_0 src1_sel:DWORD
	s_mov_b64 s[4:5], 0
                                        ; implicit-def: $sgpr10
	s_and_saveexec_b64 s[8:9], s[6:7]
	s_xor_b64 s[6:7], exec, s[8:9]
	s_cbranch_execnz .LBB12_3369
; %bb.1321:
	s_or_saveexec_b64 s[6:7], s[6:7]
	v_mov_b32_e32 v2, s10
	s_xor_b64 exec, exec, s[6:7]
	s_cbranch_execnz .LBB12_3372
.LBB12_1322:
	s_or_b64 exec, exec, s[6:7]
	s_and_saveexec_b64 s[6:7], s[4:5]
	s_cbranch_execz .LBB12_1324
.LBB12_1323:
	v_bfe_u32 v2, v7, 8, 3
	v_ffbh_u32_e32 v13, v2
	v_min_u32_e32 v13, 32, v13
	v_lshrrev_b16_e32 v12, 3, v6
	v_subrev_u32_e32 v14, 28, v13
	v_and_b32_e32 v12, 15, v12
	v_lshlrev_b32_e32 v6, v14, v6
	v_sub_u32_e32 v13, 29, v13
	v_and_b32_e32 v6, 7, v6
	v_cmp_eq_u16_e32 vcc, 0, v12
	v_cndmask_b32_e32 v2, v2, v6, vcc
	v_cndmask_b32_e32 v6, v12, v13, vcc
	v_lshlrev_b32_e32 v12, 16, v7
	v_mov_b32_e32 v13, 0x3b800000
	v_lshlrev_b32_e32 v2, 20, v2
	v_and_b32_e32 v12, 0x80000000, v12
	v_lshl_add_u32 v6, v6, 23, v13
	v_or3_b32 v2, v12, v6, v2
.LBB12_1324:
	s_or_b64 exec, exec, s[6:7]
	v_lshrrev_b32_e32 v6, 8, v3
	s_movk_i32 s4, 0x7f
	v_cmp_gt_i16_sdwa s[6:7], v6, s4 src0_sel:BYTE_0 src1_sel:DWORD
	s_mov_b64 s[4:5], 0
                                        ; implicit-def: $sgpr10
	s_and_saveexec_b64 s[8:9], s[6:7]
	s_xor_b64 s[6:7], exec, s[8:9]
	s_cbranch_execnz .LBB12_3373
; %bb.1325:
	s_or_saveexec_b64 s[6:7], s[6:7]
	v_mov_b32_e32 v12, s10
	s_xor_b64 exec, exec, s[6:7]
	s_cbranch_execnz .LBB12_3376
.LBB12_1326:
	s_or_b64 exec, exec, s[6:7]
	s_and_saveexec_b64 s[6:7], s[4:5]
	s_cbranch_execz .LBB12_1328
.LBB12_1327:
	v_bfe_u32 v12, v3, 8, 3
	v_ffbh_u32_e32 v14, v12
	v_min_u32_e32 v14, 32, v14
	v_lshrrev_b16_e32 v13, 3, v6
	v_subrev_u32_e32 v15, 28, v14
	v_and_b32_e32 v13, 15, v13
	v_lshlrev_b32_e32 v6, v15, v6
	v_sub_u32_e32 v14, 29, v14
	v_and_b32_e32 v6, 7, v6
	v_cmp_eq_u16_e32 vcc, 0, v13
	v_cndmask_b32_e32 v6, v12, v6, vcc
	v_cndmask_b32_e32 v12, v13, v14, vcc
	v_lshlrev_b32_e32 v13, 16, v3
	v_mov_b32_e32 v14, 0x3b800000
	v_lshlrev_b32_e32 v6, 20, v6
	v_and_b32_e32 v13, 0x80000000, v13
	v_lshl_add_u32 v12, v12, 23, v14
	v_or3_b32 v12, v13, v12, v6
.LBB12_1328:
	s_or_b64 exec, exec, s[6:7]
	s_nop 0
	v_mfma_f32_16x16x4f32 a[0:3], v2, v12, a[0:3]
	s_movk_i32 s4, 0xff
	v_and_b32_sdwa v6, v7, s4 dst_sel:DWORD dst_unused:UNUSED_PAD src0_sel:WORD_1 src1_sel:DWORD
	s_movk_i32 s4, 0x7f
	v_cmp_lt_i16_e32 vcc, s4, v6
	s_mov_b64 s[4:5], 0
                                        ; implicit-def: $sgpr10
	s_and_saveexec_b64 s[6:7], vcc
	s_xor_b64 s[6:7], exec, s[6:7]
	s_cbranch_execnz .LBB12_3377
; %bb.1329:
	s_or_saveexec_b64 s[6:7], s[6:7]
	v_mov_b32_e32 v2, s10
	s_xor_b64 exec, exec, s[6:7]
	s_cbranch_execnz .LBB12_3380
.LBB12_1330:
	s_or_b64 exec, exec, s[6:7]
	s_and_saveexec_b64 s[6:7], s[4:5]
	s_cbranch_execz .LBB12_1332
.LBB12_1331:
	v_bfe_u32 v2, v7, 16, 3
	v_ffbh_u32_e32 v13, v2
	v_min_u32_e32 v13, 32, v13
	v_lshrrev_b32_e32 v6, 19, v7
	v_subrev_u32_e32 v14, 28, v13
	v_and_b32_e32 v6, 15, v6
	v_lshlrev_b32_sdwa v14, v14, v7 dst_sel:DWORD dst_unused:UNUSED_PAD src0_sel:DWORD src1_sel:WORD_1
	v_bfe_u32 v12, v7, 19, 4
	v_sub_u32_e32 v13, 29, v13
	v_and_b32_e32 v14, 7, v14
	v_cmp_eq_u16_e32 vcc, 0, v6
	v_cndmask_b32_e32 v2, v2, v14, vcc
	v_cndmask_b32_e32 v6, v12, v13, vcc
	v_lshlrev_b32_e32 v12, 8, v7
	v_mov_b32_e32 v13, 0x3b800000
	v_lshlrev_b32_e32 v2, 20, v2
	v_and_b32_e32 v12, 0x80000000, v12
	v_lshl_add_u32 v6, v6, 23, v13
	v_or3_b32 v2, v12, v6, v2
.LBB12_1332:
	s_or_b64 exec, exec, s[6:7]
	s_movk_i32 s4, 0xff
	v_and_b32_sdwa v6, v3, s4 dst_sel:DWORD dst_unused:UNUSED_PAD src0_sel:WORD_1 src1_sel:DWORD
	s_movk_i32 s4, 0x7f
	v_cmp_lt_i16_e32 vcc, s4, v6
	s_mov_b64 s[4:5], 0
                                        ; implicit-def: $sgpr10
	s_and_saveexec_b64 s[6:7], vcc
	s_xor_b64 s[6:7], exec, s[6:7]
	s_cbranch_execnz .LBB12_3381
; %bb.1333:
	s_or_saveexec_b64 s[6:7], s[6:7]
	v_mov_b32_e32 v12, s10
	s_xor_b64 exec, exec, s[6:7]
	s_cbranch_execnz .LBB12_3384
.LBB12_1334:
	s_or_b64 exec, exec, s[6:7]
	s_and_saveexec_b64 s[6:7], s[4:5]
	s_cbranch_execz .LBB12_1336
.LBB12_1335:
	v_bfe_u32 v6, v3, 16, 3
	v_ffbh_u32_e32 v14, v6
	v_min_u32_e32 v14, 32, v14
	v_lshrrev_b32_e32 v12, 19, v3
	v_subrev_u32_e32 v15, 28, v14
	v_and_b32_e32 v12, 15, v12
	v_lshlrev_b32_sdwa v15, v15, v3 dst_sel:DWORD dst_unused:UNUSED_PAD src0_sel:DWORD src1_sel:WORD_1
	v_bfe_u32 v13, v3, 19, 4
	v_sub_u32_e32 v14, 29, v14
	v_and_b32_e32 v15, 7, v15
	v_cmp_eq_u16_e32 vcc, 0, v12
	v_cndmask_b32_e32 v6, v6, v15, vcc
	v_cndmask_b32_e32 v12, v13, v14, vcc
	v_lshlrev_b32_e32 v13, 8, v3
	v_mov_b32_e32 v14, 0x3b800000
	v_lshlrev_b32_e32 v6, 20, v6
	v_and_b32_e32 v13, 0x80000000, v13
	v_lshl_add_u32 v12, v12, 23, v14
	v_or3_b32 v12, v13, v12, v6
.LBB12_1336:
	s_or_b64 exec, exec, s[6:7]
	s_nop 0
	v_mfma_f32_16x16x4f32 a[0:3], v2, v12, a[0:3]
	s_movk_i32 s4, 0x7f
	v_cmp_gt_i16_sdwa s[6:7], v7, s4 src0_sel:BYTE_3 src1_sel:DWORD
	s_mov_b64 s[4:5], 0
                                        ; implicit-def: $sgpr10
	s_and_saveexec_b64 s[8:9], s[6:7]
	s_xor_b64 s[6:7], exec, s[8:9]
	s_cbranch_execnz .LBB12_3385
; %bb.1337:
	s_or_saveexec_b64 s[6:7], s[6:7]
	v_mov_b32_e32 v2, s10
	s_xor_b64 exec, exec, s[6:7]
	s_cbranch_execnz .LBB12_3388
.LBB12_1338:
	s_or_b64 exec, exec, s[6:7]
	s_and_saveexec_b64 s[6:7], s[4:5]
	s_cbranch_execz .LBB12_1340
.LBB12_1339:
	v_bfe_u32 v2, v7, 24, 3
	v_ffbh_u32_e32 v14, v2
	v_min_u32_e32 v14, 32, v14
	v_lshrrev_b32_e32 v12, 27, v7
	v_subrev_u32_e32 v15, 28, v14
	v_and_b32_e32 v6, 0x80000000, v7
	v_and_b32_e32 v12, 15, v12
	v_bfe_u32 v13, v7, 27, 4
	v_lshlrev_b32_sdwa v7, v15, v7 dst_sel:DWORD dst_unused:UNUSED_PAD src0_sel:DWORD src1_sel:BYTE_3
	v_sub_u32_e32 v14, 29, v14
	v_and_b32_e32 v7, 7, v7
	v_cmp_eq_u16_e32 vcc, 0, v12
	v_cndmask_b32_e32 v2, v2, v7, vcc
	v_cndmask_b32_e32 v7, v13, v14, vcc
	v_mov_b32_e32 v12, 0x3b800000
	v_lshlrev_b32_e32 v2, 20, v2
	v_lshl_add_u32 v7, v7, 23, v12
	v_or3_b32 v2, v6, v7, v2
.LBB12_1340:
	s_or_b64 exec, exec, s[6:7]
	s_movk_i32 s4, 0x7f
	v_cmp_gt_i16_sdwa s[6:7], v3, s4 src0_sel:BYTE_3 src1_sel:DWORD
	s_mov_b64 s[4:5], 0
                                        ; implicit-def: $sgpr10
	s_and_saveexec_b64 s[8:9], s[6:7]
	s_xor_b64 s[6:7], exec, s[8:9]
	s_cbranch_execnz .LBB12_3389
; %bb.1341:
	s_or_saveexec_b64 s[6:7], s[6:7]
	v_mov_b32_e32 v6, s10
	s_xor_b64 exec, exec, s[6:7]
	s_cbranch_execnz .LBB12_3392
.LBB12_1342:
	s_or_b64 exec, exec, s[6:7]
	s_and_saveexec_b64 s[6:7], s[4:5]
	s_cbranch_execz .LBB12_1344
.LBB12_1343:
	v_bfe_u32 v6, v3, 24, 3
	v_ffbh_u32_e32 v14, v6
	v_min_u32_e32 v14, 32, v14
	v_lshrrev_b32_e32 v12, 27, v3
	v_subrev_u32_e32 v15, 28, v14
	v_and_b32_e32 v7, 0x80000000, v3
	v_and_b32_e32 v12, 15, v12
	v_bfe_u32 v13, v3, 27, 4
	v_lshlrev_b32_sdwa v3, v15, v3 dst_sel:DWORD dst_unused:UNUSED_PAD src0_sel:DWORD src1_sel:BYTE_3
	v_sub_u32_e32 v14, 29, v14
	v_and_b32_e32 v3, 7, v3
	v_cmp_eq_u16_e32 vcc, 0, v12
	v_cndmask_b32_e32 v3, v6, v3, vcc
	v_cndmask_b32_e32 v6, v13, v14, vcc
	v_mov_b32_e32 v12, 0x3b800000
	v_lshlrev_b32_e32 v3, 20, v3
	v_lshl_add_u32 v6, v6, 23, v12
	v_or3_b32 v6, v7, v6, v3
.LBB12_1344:
	s_or_b64 exec, exec, s[6:7]
	s_nop 0
	v_mfma_f32_16x16x4f32 a[0:3], v2, v6, a[0:3]
	s_movk_i32 s4, 0x7f
	v_cmp_gt_i16_sdwa s[6:7], v8, s4 src0_sel:BYTE_0 src1_sel:DWORD
	s_mov_b64 s[4:5], 0
                                        ; implicit-def: $sgpr10
	s_and_saveexec_b64 s[8:9], s[6:7]
	s_xor_b64 s[6:7], exec, s[8:9]
	s_cbranch_execnz .LBB12_3393
; %bb.1345:
	s_or_saveexec_b64 s[6:7], s[6:7]
	v_mov_b32_e32 v2, s10
	s_xor_b64 exec, exec, s[6:7]
	s_cbranch_execnz .LBB12_3396
.LBB12_1346:
	s_or_b64 exec, exec, s[6:7]
	s_and_saveexec_b64 s[6:7], s[4:5]
	s_cbranch_execz .LBB12_1348
.LBB12_1347:
	v_and_b32_e32 v2, 7, v8
	v_ffbh_u32_e32 v6, v2
	v_min_u32_e32 v6, 32, v6
	v_lshrrev_b16_e32 v3, 3, v8
	v_subrev_u32_e32 v7, 28, v6
	v_and_b32_e32 v3, 15, v3
	v_lshlrev_b32_e32 v7, v7, v8
	v_sub_u32_e32 v6, 29, v6
	v_and_b32_e32 v7, 7, v7
	v_cmp_eq_u16_e32 vcc, 0, v3
	v_cndmask_b32_e32 v2, v2, v7, vcc
	v_cndmask_b32_e32 v3, v3, v6, vcc
	v_lshlrev_b32_e32 v6, 24, v8
	v_mov_b32_e32 v7, 0x3b800000
	v_lshlrev_b32_e32 v2, 20, v2
	v_and_b32_e32 v6, 0x80000000, v6
	v_lshl_add_u32 v3, v3, 23, v7
	v_or3_b32 v2, v6, v3, v2
.LBB12_1348:
	s_or_b64 exec, exec, s[6:7]
	s_movk_i32 s4, 0x7f
	v_cmp_gt_i16_sdwa s[6:7], v4, s4 src0_sel:BYTE_0 src1_sel:DWORD
	s_mov_b64 s[4:5], 0
                                        ; implicit-def: $sgpr10
	s_and_saveexec_b64 s[8:9], s[6:7]
	s_xor_b64 s[6:7], exec, s[8:9]
	s_cbranch_execnz .LBB12_3397
; %bb.1349:
	s_or_saveexec_b64 s[6:7], s[6:7]
	v_mov_b32_e32 v3, s10
	s_xor_b64 exec, exec, s[6:7]
	s_cbranch_execnz .LBB12_3400
.LBB12_1350:
	s_or_b64 exec, exec, s[6:7]
	s_and_saveexec_b64 s[6:7], s[4:5]
	s_cbranch_execz .LBB12_1352
.LBB12_1351:
	v_and_b32_e32 v3, 7, v4
	v_ffbh_u32_e32 v7, v3
	v_min_u32_e32 v7, 32, v7
	v_lshrrev_b16_e32 v6, 3, v4
	v_subrev_u32_e32 v12, 28, v7
	v_and_b32_e32 v6, 15, v6
	v_lshlrev_b32_e32 v12, v12, v4
	v_sub_u32_e32 v7, 29, v7
	v_and_b32_e32 v12, 7, v12
	v_cmp_eq_u16_e32 vcc, 0, v6
	v_cndmask_b32_e32 v3, v3, v12, vcc
	v_cndmask_b32_e32 v6, v6, v7, vcc
	v_lshlrev_b32_e32 v7, 24, v4
	v_mov_b32_e32 v12, 0x3b800000
	v_lshlrev_b32_e32 v3, 20, v3
	v_and_b32_e32 v7, 0x80000000, v7
	v_lshl_add_u32 v6, v6, 23, v12
	v_or3_b32 v3, v7, v6, v3
.LBB12_1352:
	s_or_b64 exec, exec, s[6:7]
	s_nop 0
	v_mfma_f32_16x16x4f32 a[0:3], v2, v3, a[0:3]
	v_lshrrev_b32_e32 v3, 8, v8
	s_movk_i32 s4, 0x7f
	v_cmp_gt_i16_sdwa s[6:7], v3, s4 src0_sel:BYTE_0 src1_sel:DWORD
	s_mov_b64 s[4:5], 0
                                        ; implicit-def: $sgpr10
	s_and_saveexec_b64 s[8:9], s[6:7]
	s_xor_b64 s[6:7], exec, s[8:9]
	s_cbranch_execnz .LBB12_3401
; %bb.1353:
	s_or_saveexec_b64 s[6:7], s[6:7]
	v_mov_b32_e32 v2, s10
	s_xor_b64 exec, exec, s[6:7]
	s_cbranch_execnz .LBB12_3404
.LBB12_1354:
	s_or_b64 exec, exec, s[6:7]
	s_and_saveexec_b64 s[6:7], s[4:5]
	s_cbranch_execz .LBB12_1356
.LBB12_1355:
	v_bfe_u32 v2, v8, 8, 3
	v_ffbh_u32_e32 v7, v2
	v_min_u32_e32 v7, 32, v7
	v_lshrrev_b16_e32 v6, 3, v3
	v_subrev_u32_e32 v12, 28, v7
	v_and_b32_e32 v6, 15, v6
	v_lshlrev_b32_e32 v3, v12, v3
	v_sub_u32_e32 v7, 29, v7
	v_and_b32_e32 v3, 7, v3
	v_cmp_eq_u16_e32 vcc, 0, v6
	v_cndmask_b32_e32 v2, v2, v3, vcc
	v_cndmask_b32_e32 v3, v6, v7, vcc
	v_lshlrev_b32_e32 v6, 16, v8
	v_mov_b32_e32 v7, 0x3b800000
	v_lshlrev_b32_e32 v2, 20, v2
	v_and_b32_e32 v6, 0x80000000, v6
	v_lshl_add_u32 v3, v3, 23, v7
	v_or3_b32 v2, v6, v3, v2
.LBB12_1356:
	s_or_b64 exec, exec, s[6:7]
	v_lshrrev_b32_e32 v3, 8, v4
	s_movk_i32 s4, 0x7f
	v_cmp_gt_i16_sdwa s[6:7], v3, s4 src0_sel:BYTE_0 src1_sel:DWORD
	s_mov_b64 s[4:5], 0
                                        ; implicit-def: $sgpr10
	s_and_saveexec_b64 s[8:9], s[6:7]
	s_xor_b64 s[6:7], exec, s[8:9]
	s_cbranch_execnz .LBB12_3405
; %bb.1357:
	s_or_saveexec_b64 s[6:7], s[6:7]
	v_mov_b32_e32 v6, s10
	s_xor_b64 exec, exec, s[6:7]
	s_cbranch_execnz .LBB12_3408
.LBB12_1358:
	s_or_b64 exec, exec, s[6:7]
	s_and_saveexec_b64 s[6:7], s[4:5]
	s_cbranch_execz .LBB12_1360
.LBB12_1359:
	v_bfe_u32 v6, v4, 8, 3
	v_ffbh_u32_e32 v12, v6
	v_min_u32_e32 v12, 32, v12
	v_lshrrev_b16_e32 v7, 3, v3
	v_subrev_u32_e32 v13, 28, v12
	v_and_b32_e32 v7, 15, v7
	v_lshlrev_b32_e32 v3, v13, v3
	v_sub_u32_e32 v12, 29, v12
	v_and_b32_e32 v3, 7, v3
	v_cmp_eq_u16_e32 vcc, 0, v7
	v_cndmask_b32_e32 v3, v6, v3, vcc
	v_cndmask_b32_e32 v6, v7, v12, vcc
	v_lshlrev_b32_e32 v7, 16, v4
	v_mov_b32_e32 v12, 0x3b800000
	v_lshlrev_b32_e32 v3, 20, v3
	v_and_b32_e32 v7, 0x80000000, v7
	v_lshl_add_u32 v6, v6, 23, v12
	v_or3_b32 v6, v7, v6, v3
.LBB12_1360:
	s_or_b64 exec, exec, s[6:7]
	s_nop 0
	v_mfma_f32_16x16x4f32 a[0:3], v2, v6, a[0:3]
	s_movk_i32 s4, 0xff
	v_and_b32_sdwa v3, v8, s4 dst_sel:DWORD dst_unused:UNUSED_PAD src0_sel:WORD_1 src1_sel:DWORD
	s_movk_i32 s4, 0x7f
	v_cmp_lt_i16_e32 vcc, s4, v3
	s_mov_b64 s[4:5], 0
                                        ; implicit-def: $sgpr10
	s_and_saveexec_b64 s[6:7], vcc
	s_xor_b64 s[6:7], exec, s[6:7]
	s_cbranch_execnz .LBB12_3409
; %bb.1361:
	s_or_saveexec_b64 s[6:7], s[6:7]
	v_mov_b32_e32 v2, s10
	s_xor_b64 exec, exec, s[6:7]
	s_cbranch_execnz .LBB12_3412
.LBB12_1362:
	s_or_b64 exec, exec, s[6:7]
	s_and_saveexec_b64 s[6:7], s[4:5]
	s_cbranch_execz .LBB12_1364
.LBB12_1363:
	v_bfe_u32 v2, v8, 16, 3
	v_ffbh_u32_e32 v7, v2
	v_min_u32_e32 v7, 32, v7
	v_lshrrev_b32_e32 v3, 19, v8
	v_subrev_u32_e32 v12, 28, v7
	v_and_b32_e32 v3, 15, v3
	v_lshlrev_b32_sdwa v12, v12, v8 dst_sel:DWORD dst_unused:UNUSED_PAD src0_sel:DWORD src1_sel:WORD_1
	v_bfe_u32 v6, v8, 19, 4
	v_sub_u32_e32 v7, 29, v7
	v_and_b32_e32 v12, 7, v12
	v_cmp_eq_u16_e32 vcc, 0, v3
	v_cndmask_b32_e32 v2, v2, v12, vcc
	v_cndmask_b32_e32 v3, v6, v7, vcc
	v_lshlrev_b32_e32 v6, 8, v8
	v_mov_b32_e32 v7, 0x3b800000
	v_lshlrev_b32_e32 v2, 20, v2
	v_and_b32_e32 v6, 0x80000000, v6
	v_lshl_add_u32 v3, v3, 23, v7
	v_or3_b32 v2, v6, v3, v2
.LBB12_1364:
	s_or_b64 exec, exec, s[6:7]
	s_movk_i32 s4, 0xff
	v_and_b32_sdwa v3, v4, s4 dst_sel:DWORD dst_unused:UNUSED_PAD src0_sel:WORD_1 src1_sel:DWORD
	s_movk_i32 s4, 0x7f
	v_cmp_lt_i16_e32 vcc, s4, v3
	s_mov_b64 s[4:5], 0
                                        ; implicit-def: $sgpr10
	s_and_saveexec_b64 s[6:7], vcc
	s_xor_b64 s[6:7], exec, s[6:7]
	s_cbranch_execnz .LBB12_3413
; %bb.1365:
	s_or_saveexec_b64 s[6:7], s[6:7]
	v_mov_b32_e32 v6, s10
	s_xor_b64 exec, exec, s[6:7]
	s_cbranch_execnz .LBB12_3416
.LBB12_1366:
	s_or_b64 exec, exec, s[6:7]
	s_and_saveexec_b64 s[6:7], s[4:5]
	s_cbranch_execz .LBB12_1368
.LBB12_1367:
	v_bfe_u32 v3, v4, 16, 3
	v_ffbh_u32_e32 v12, v3
	v_min_u32_e32 v12, 32, v12
	v_lshrrev_b32_e32 v6, 19, v4
	v_subrev_u32_e32 v13, 28, v12
	v_and_b32_e32 v6, 15, v6
	v_lshlrev_b32_sdwa v13, v13, v4 dst_sel:DWORD dst_unused:UNUSED_PAD src0_sel:DWORD src1_sel:WORD_1
	v_bfe_u32 v7, v4, 19, 4
	v_sub_u32_e32 v12, 29, v12
	v_and_b32_e32 v13, 7, v13
	v_cmp_eq_u16_e32 vcc, 0, v6
	v_cndmask_b32_e32 v3, v3, v13, vcc
	v_cndmask_b32_e32 v6, v7, v12, vcc
	v_lshlrev_b32_e32 v7, 8, v4
	v_mov_b32_e32 v12, 0x3b800000
	v_lshlrev_b32_e32 v3, 20, v3
	v_and_b32_e32 v7, 0x80000000, v7
	v_lshl_add_u32 v6, v6, 23, v12
	v_or3_b32 v6, v7, v6, v3
.LBB12_1368:
	s_or_b64 exec, exec, s[6:7]
	s_nop 0
	v_mfma_f32_16x16x4f32 a[0:3], v2, v6, a[0:3]
	s_movk_i32 s4, 0x7f
	v_cmp_gt_i16_sdwa s[6:7], v8, s4 src0_sel:BYTE_3 src1_sel:DWORD
	s_mov_b64 s[4:5], 0
                                        ; implicit-def: $sgpr10
	s_and_saveexec_b64 s[8:9], s[6:7]
	s_xor_b64 s[6:7], exec, s[8:9]
	s_cbranch_execnz .LBB12_3417
; %bb.1369:
	s_or_saveexec_b64 s[6:7], s[6:7]
	v_mov_b32_e32 v2, s10
	s_xor_b64 exec, exec, s[6:7]
	s_cbranch_execnz .LBB12_3420
.LBB12_1370:
	s_or_b64 exec, exec, s[6:7]
	s_and_saveexec_b64 s[6:7], s[4:5]
	s_cbranch_execz .LBB12_1372
.LBB12_1371:
	v_bfe_u32 v2, v8, 24, 3
	v_ffbh_u32_e32 v12, v2
	v_min_u32_e32 v12, 32, v12
	v_lshrrev_b32_e32 v6, 27, v8
	v_subrev_u32_e32 v13, 28, v12
	v_and_b32_e32 v3, 0x80000000, v8
	v_and_b32_e32 v6, 15, v6
	v_bfe_u32 v7, v8, 27, 4
	v_lshlrev_b32_sdwa v8, v13, v8 dst_sel:DWORD dst_unused:UNUSED_PAD src0_sel:DWORD src1_sel:BYTE_3
	v_sub_u32_e32 v12, 29, v12
	v_and_b32_e32 v8, 7, v8
	v_cmp_eq_u16_e32 vcc, 0, v6
	v_cndmask_b32_e32 v2, v2, v8, vcc
	v_cndmask_b32_e32 v6, v7, v12, vcc
	v_mov_b32_e32 v7, 0x3b800000
	v_lshlrev_b32_e32 v2, 20, v2
	v_lshl_add_u32 v6, v6, 23, v7
	v_or3_b32 v2, v3, v6, v2
.LBB12_1372:
	s_or_b64 exec, exec, s[6:7]
	s_movk_i32 s4, 0x7f
	v_cmp_gt_i16_sdwa s[6:7], v4, s4 src0_sel:BYTE_3 src1_sel:DWORD
	s_mov_b64 s[4:5], 0
                                        ; implicit-def: $sgpr10
	s_and_saveexec_b64 s[8:9], s[6:7]
	s_xor_b64 s[6:7], exec, s[8:9]
	s_cbranch_execnz .LBB12_3421
; %bb.1373:
	s_or_saveexec_b64 s[6:7], s[6:7]
	v_mov_b32_e32 v3, s10
	s_xor_b64 exec, exec, s[6:7]
	s_cbranch_execnz .LBB12_3424
.LBB12_1374:
	s_or_b64 exec, exec, s[6:7]
	s_and_saveexec_b64 s[6:7], s[4:5]
	s_cbranch_execz .LBB12_1376
.LBB12_1375:
	v_bfe_u32 v3, v4, 24, 3
	v_ffbh_u32_e32 v12, v3
	v_min_u32_e32 v12, 32, v12
	v_lshrrev_b32_e32 v7, 27, v4
	v_subrev_u32_e32 v13, 28, v12
	v_and_b32_e32 v6, 0x80000000, v4
	v_and_b32_e32 v7, 15, v7
	v_bfe_u32 v8, v4, 27, 4
	v_lshlrev_b32_sdwa v4, v13, v4 dst_sel:DWORD dst_unused:UNUSED_PAD src0_sel:DWORD src1_sel:BYTE_3
	v_sub_u32_e32 v12, 29, v12
	v_and_b32_e32 v4, 7, v4
	v_cmp_eq_u16_e32 vcc, 0, v7
	v_cndmask_b32_e32 v3, v3, v4, vcc
	v_cndmask_b32_e32 v4, v8, v12, vcc
	v_mov_b32_e32 v7, 0x3b800000
	v_lshlrev_b32_e32 v3, 20, v3
	v_lshl_add_u32 v4, v4, 23, v7
	v_or3_b32 v3, v6, v4, v3
.LBB12_1376:
	s_or_b64 exec, exec, s[6:7]
	s_nop 0
	v_mfma_f32_16x16x4f32 a[0:3], v2, v3, a[0:3]
	s_movk_i32 s4, 0x7f
	v_cmp_gt_i16_sdwa s[6:7], v9, s4 src0_sel:BYTE_0 src1_sel:DWORD
	s_mov_b64 s[4:5], 0
                                        ; implicit-def: $sgpr10
	s_and_saveexec_b64 s[8:9], s[6:7]
	s_xor_b64 s[6:7], exec, s[8:9]
	s_cbranch_execnz .LBB12_3425
; %bb.1377:
	s_or_saveexec_b64 s[6:7], s[6:7]
	v_mov_b32_e32 v2, s10
	s_xor_b64 exec, exec, s[6:7]
	s_cbranch_execnz .LBB12_3428
.LBB12_1378:
	s_or_b64 exec, exec, s[6:7]
	s_and_saveexec_b64 s[6:7], s[4:5]
	s_cbranch_execz .LBB12_1380
.LBB12_1379:
	v_mov_b32_e32 v2, 8
	v_and_b32_e32 v3, 7, v9
	v_lshrrev_b32_sdwa v2, v2, v9 dst_sel:BYTE_1 dst_unused:UNUSED_PAD src0_sel:DWORD src1_sel:DWORD
	v_ffbh_u32_e32 v4, v3
	v_or_b32_sdwa v2, v9, v2 dst_sel:DWORD dst_unused:UNUSED_PAD src0_sel:BYTE_0 src1_sel:DWORD
	v_min_u32_e32 v4, 32, v4
	v_lshrrev_b16_e32 v2, 3, v2
	v_subrev_u32_e32 v6, 28, v4
	v_and_b32_e32 v2, 15, v2
	v_lshlrev_b32_e32 v6, v6, v9
	v_sub_u32_e32 v4, 29, v4
	v_and_b32_e32 v6, 7, v6
	v_cmp_eq_u16_e32 vcc, 0, v2
	v_cndmask_b32_e32 v3, v3, v6, vcc
	v_cndmask_b32_e32 v2, v2, v4, vcc
	v_lshlrev_b32_e32 v4, 24, v9
	v_mov_b32_e32 v6, 0x3b800000
	v_lshlrev_b32_e32 v3, 20, v3
	v_and_b32_e32 v4, 0x80000000, v4
	v_lshl_add_u32 v2, v2, 23, v6
	v_or3_b32 v2, v4, v2, v3
.LBB12_1380:
	s_or_b64 exec, exec, s[6:7]
	s_movk_i32 s4, 0x7f
	v_cmp_gt_i16_sdwa s[6:7], v5, s4 src0_sel:BYTE_0 src1_sel:DWORD
	s_mov_b64 s[4:5], 0
                                        ; implicit-def: $sgpr10
	s_and_saveexec_b64 s[8:9], s[6:7]
	s_xor_b64 s[6:7], exec, s[8:9]
	s_cbranch_execnz .LBB12_3429
; %bb.1381:
	s_or_saveexec_b64 s[6:7], s[6:7]
	v_mov_b32_e32 v3, s10
	s_xor_b64 exec, exec, s[6:7]
	s_cbranch_execnz .LBB12_3432
.LBB12_1382:
	s_or_b64 exec, exec, s[6:7]
	s_and_saveexec_b64 s[6:7], s[4:5]
	s_cbranch_execz .LBB12_1384
.LBB12_1383:
	v_mov_b32_e32 v3, 8
	v_and_b32_e32 v4, 7, v5
	v_lshrrev_b32_sdwa v3, v3, v5 dst_sel:BYTE_1 dst_unused:UNUSED_PAD src0_sel:DWORD src1_sel:DWORD
	v_ffbh_u32_e32 v6, v4
	v_or_b32_sdwa v3, v5, v3 dst_sel:DWORD dst_unused:UNUSED_PAD src0_sel:BYTE_0 src1_sel:DWORD
	v_min_u32_e32 v6, 32, v6
	v_lshrrev_b16_e32 v3, 3, v3
	v_subrev_u32_e32 v7, 28, v6
	v_and_b32_e32 v3, 15, v3
	v_lshlrev_b32_e32 v7, v7, v5
	v_sub_u32_e32 v6, 29, v6
	v_and_b32_e32 v7, 7, v7
	v_cmp_eq_u16_e32 vcc, 0, v3
	v_cndmask_b32_e32 v4, v4, v7, vcc
	v_cndmask_b32_e32 v3, v3, v6, vcc
	v_lshlrev_b32_e32 v6, 24, v5
	v_mov_b32_e32 v7, 0x3b800000
	v_lshlrev_b32_e32 v4, 20, v4
	v_and_b32_e32 v6, 0x80000000, v6
	v_lshl_add_u32 v3, v3, 23, v7
	v_or3_b32 v3, v6, v3, v4
.LBB12_1384:
	s_or_b64 exec, exec, s[6:7]
	s_nop 0
	v_mfma_f32_16x16x4f32 a[0:3], v2, v3, a[0:3]
	v_lshrrev_b32_e32 v3, 8, v9
	s_movk_i32 s4, 0x7f
	v_cmp_gt_i16_sdwa s[6:7], v3, s4 src0_sel:BYTE_0 src1_sel:DWORD
	s_mov_b64 s[4:5], 0
                                        ; implicit-def: $sgpr10
	s_and_saveexec_b64 s[8:9], s[6:7]
	s_xor_b64 s[6:7], exec, s[8:9]
	s_cbranch_execnz .LBB12_3433
; %bb.1385:
	s_or_saveexec_b64 s[6:7], s[6:7]
	v_mov_b32_e32 v2, s10
	s_xor_b64 exec, exec, s[6:7]
	s_cbranch_execnz .LBB12_3436
.LBB12_1386:
	s_or_b64 exec, exec, s[6:7]
	s_and_saveexec_b64 s[6:7], s[4:5]
	s_cbranch_execz .LBB12_1388
.LBB12_1387:
	v_bfe_u32 v2, v9, 8, 3
	v_ffbh_u32_e32 v6, v2
	v_min_u32_e32 v6, 32, v6
	v_lshrrev_b16_e32 v4, 3, v3
	v_subrev_u32_e32 v7, 28, v6
	v_and_b32_e32 v4, 15, v4
	v_lshlrev_b32_e32 v3, v7, v3
	v_sub_u32_e32 v6, 29, v6
	v_and_b32_e32 v3, 7, v3
	v_cmp_eq_u16_e32 vcc, 0, v4
	v_cndmask_b32_e32 v2, v2, v3, vcc
	v_cndmask_b32_e32 v3, v4, v6, vcc
	v_lshlrev_b32_e32 v4, 16, v9
	v_mov_b32_e32 v6, 0x3b800000
	v_lshlrev_b32_e32 v2, 20, v2
	v_and_b32_e32 v4, 0x80000000, v4
	v_lshl_add_u32 v3, v3, 23, v6
	v_or3_b32 v2, v4, v3, v2
.LBB12_1388:
	s_or_b64 exec, exec, s[6:7]
	v_lshrrev_b32_e32 v3, 8, v5
	s_movk_i32 s4, 0x7f
	v_cmp_gt_i16_sdwa s[6:7], v3, s4 src0_sel:BYTE_0 src1_sel:DWORD
	s_mov_b64 s[4:5], 0
                                        ; implicit-def: $sgpr10
	s_and_saveexec_b64 s[8:9], s[6:7]
	s_xor_b64 s[6:7], exec, s[8:9]
	s_cbranch_execnz .LBB12_3437
; %bb.1389:
	s_or_saveexec_b64 s[6:7], s[6:7]
	v_mov_b32_e32 v4, s10
	s_xor_b64 exec, exec, s[6:7]
	s_cbranch_execnz .LBB12_3440
.LBB12_1390:
	s_or_b64 exec, exec, s[6:7]
	s_and_saveexec_b64 s[6:7], s[4:5]
	s_cbranch_execz .LBB12_1392
.LBB12_1391:
	v_bfe_u32 v4, v5, 8, 3
	v_ffbh_u32_e32 v7, v4
	v_min_u32_e32 v7, 32, v7
	v_lshrrev_b16_e32 v6, 3, v3
	v_subrev_u32_e32 v8, 28, v7
	v_and_b32_e32 v6, 15, v6
	v_lshlrev_b32_e32 v3, v8, v3
	v_sub_u32_e32 v7, 29, v7
	v_and_b32_e32 v3, 7, v3
	v_cmp_eq_u16_e32 vcc, 0, v6
	v_cndmask_b32_e32 v3, v4, v3, vcc
	v_cndmask_b32_e32 v4, v6, v7, vcc
	v_lshlrev_b32_e32 v6, 16, v5
	v_mov_b32_e32 v7, 0x3b800000
	v_lshlrev_b32_e32 v3, 20, v3
	v_and_b32_e32 v6, 0x80000000, v6
	v_lshl_add_u32 v4, v4, 23, v7
	v_or3_b32 v4, v6, v4, v3
.LBB12_1392:
	s_or_b64 exec, exec, s[6:7]
	s_nop 0
	v_mfma_f32_16x16x4f32 a[0:3], v2, v4, a[0:3]
	s_movk_i32 s4, 0xff
	v_and_b32_sdwa v3, v9, s4 dst_sel:DWORD dst_unused:UNUSED_PAD src0_sel:WORD_1 src1_sel:DWORD
	s_movk_i32 s4, 0x7f
	v_cmp_lt_i16_e32 vcc, s4, v3
	s_mov_b64 s[4:5], 0
                                        ; implicit-def: $sgpr10
	s_and_saveexec_b64 s[6:7], vcc
	s_xor_b64 s[6:7], exec, s[6:7]
	s_cbranch_execnz .LBB12_3441
; %bb.1393:
	s_or_saveexec_b64 s[6:7], s[6:7]
	v_mov_b32_e32 v2, s10
	s_xor_b64 exec, exec, s[6:7]
	s_cbranch_execnz .LBB12_3444
.LBB12_1394:
	s_or_b64 exec, exec, s[6:7]
	s_and_saveexec_b64 s[6:7], s[4:5]
	s_cbranch_execz .LBB12_1396
.LBB12_1395:
	v_bfe_u32 v2, v9, 16, 3
	v_ffbh_u32_e32 v6, v2
	v_min_u32_e32 v6, 32, v6
	v_lshrrev_b32_e32 v3, 19, v9
	v_subrev_u32_e32 v7, 28, v6
	v_and_b32_e32 v3, 15, v3
	v_lshlrev_b32_sdwa v7, v7, v9 dst_sel:DWORD dst_unused:UNUSED_PAD src0_sel:DWORD src1_sel:WORD_1
	v_bfe_u32 v4, v9, 19, 4
	v_sub_u32_e32 v6, 29, v6
	v_and_b32_e32 v7, 7, v7
	v_cmp_eq_u16_e32 vcc, 0, v3
	v_cndmask_b32_e32 v2, v2, v7, vcc
	v_cndmask_b32_e32 v3, v4, v6, vcc
	v_lshlrev_b32_e32 v4, 8, v9
	v_mov_b32_e32 v6, 0x3b800000
	v_lshlrev_b32_e32 v2, 20, v2
	v_and_b32_e32 v4, 0x80000000, v4
	v_lshl_add_u32 v3, v3, 23, v6
	v_or3_b32 v2, v4, v3, v2
.LBB12_1396:
	s_or_b64 exec, exec, s[6:7]
	s_movk_i32 s4, 0xff
	v_and_b32_sdwa v3, v5, s4 dst_sel:DWORD dst_unused:UNUSED_PAD src0_sel:WORD_1 src1_sel:DWORD
	s_movk_i32 s4, 0x7f
	v_cmp_lt_i16_e32 vcc, s4, v3
	s_mov_b64 s[4:5], 0
                                        ; implicit-def: $sgpr10
	s_and_saveexec_b64 s[6:7], vcc
	s_xor_b64 s[6:7], exec, s[6:7]
	s_cbranch_execnz .LBB12_3445
; %bb.1397:
	s_or_saveexec_b64 s[6:7], s[6:7]
	v_mov_b32_e32 v4, s10
	s_xor_b64 exec, exec, s[6:7]
	s_cbranch_execnz .LBB12_3448
.LBB12_1398:
	s_or_b64 exec, exec, s[6:7]
	s_and_saveexec_b64 s[6:7], s[4:5]
	s_cbranch_execz .LBB12_1400
.LBB12_1399:
	v_bfe_u32 v3, v5, 16, 3
	v_ffbh_u32_e32 v7, v3
	v_min_u32_e32 v7, 32, v7
	v_lshrrev_b32_e32 v4, 19, v5
	v_subrev_u32_e32 v8, 28, v7
	v_and_b32_e32 v4, 15, v4
	v_lshlrev_b32_sdwa v8, v8, v5 dst_sel:DWORD dst_unused:UNUSED_PAD src0_sel:DWORD src1_sel:WORD_1
	v_bfe_u32 v6, v5, 19, 4
	v_sub_u32_e32 v7, 29, v7
	v_and_b32_e32 v8, 7, v8
	v_cmp_eq_u16_e32 vcc, 0, v4
	v_cndmask_b32_e32 v3, v3, v8, vcc
	v_cndmask_b32_e32 v4, v6, v7, vcc
	v_lshlrev_b32_e32 v6, 8, v5
	v_mov_b32_e32 v7, 0x3b800000
	v_lshlrev_b32_e32 v3, 20, v3
	v_and_b32_e32 v6, 0x80000000, v6
	v_lshl_add_u32 v4, v4, 23, v7
	v_or3_b32 v4, v6, v4, v3
.LBB12_1400:
	s_or_b64 exec, exec, s[6:7]
	s_nop 0
	v_mfma_f32_16x16x4f32 a[0:3], v2, v4, a[0:3]
	s_movk_i32 s4, 0x7f
	v_cmp_gt_i16_sdwa s[6:7], v9, s4 src0_sel:BYTE_3 src1_sel:DWORD
	s_mov_b64 s[4:5], 0
                                        ; implicit-def: $sgpr10
	s_and_saveexec_b64 s[8:9], s[6:7]
	s_xor_b64 s[6:7], exec, s[8:9]
	s_cbranch_execnz .LBB12_3449
; %bb.1401:
	s_or_saveexec_b64 s[6:7], s[6:7]
	v_mov_b32_e32 v2, s10
	s_xor_b64 exec, exec, s[6:7]
	s_cbranch_execnz .LBB12_3452
.LBB12_1402:
	s_or_b64 exec, exec, s[6:7]
	s_and_saveexec_b64 s[6:7], s[4:5]
	s_cbranch_execz .LBB12_1404
.LBB12_1403:
	v_bfe_u32 v2, v9, 24, 3
	v_ffbh_u32_e32 v7, v2
	v_min_u32_e32 v7, 32, v7
	v_lshrrev_b32_e32 v4, 27, v9
	v_subrev_u32_e32 v8, 28, v7
	v_and_b32_e32 v4, 15, v4
	v_lshlrev_b32_sdwa v8, v8, v9 dst_sel:DWORD dst_unused:UNUSED_PAD src0_sel:DWORD src1_sel:BYTE_3
	v_bfe_u32 v6, v9, 27, 4
	v_sub_u32_e32 v7, 29, v7
	v_and_b32_e32 v8, 7, v8
	v_cmp_eq_u16_e32 vcc, 0, v4
	v_cndmask_b32_e32 v2, v2, v8, vcc
	v_cndmask_b32_e32 v4, v6, v7, vcc
	v_mov_b32_e32 v6, 0x3b800000
	v_and_b32_e32 v3, 0x80000000, v9
	v_lshlrev_b32_e32 v2, 20, v2
	v_lshl_add_u32 v4, v4, 23, v6
	v_or3_b32 v2, v3, v4, v2
.LBB12_1404:
	s_or_b64 exec, exec, s[6:7]
	s_movk_i32 s4, 0x7f
	v_cmp_gt_i16_sdwa s[6:7], v5, s4 src0_sel:BYTE_3 src1_sel:DWORD
	s_mov_b64 s[4:5], 0
                                        ; implicit-def: $sgpr10
	s_and_saveexec_b64 s[8:9], s[6:7]
	s_xor_b64 s[6:7], exec, s[8:9]
	s_cbranch_execnz .LBB12_3453
; %bb.1405:
	s_or_saveexec_b64 s[6:7], s[6:7]
	v_mov_b32_e32 v3, s10
	s_xor_b64 exec, exec, s[6:7]
	s_cbranch_execnz .LBB12_3456
.LBB12_1406:
	s_or_b64 exec, exec, s[6:7]
	s_and_saveexec_b64 s[6:7], s[4:5]
	s_cbranch_execz .LBB12_1408
.LBB12_1407:
	v_bfe_u32 v3, v5, 24, 3
	v_ffbh_u32_e32 v8, v3
	v_min_u32_e32 v8, 32, v8
	v_lshrrev_b32_e32 v6, 27, v5
	v_subrev_u32_e32 v9, 28, v8
	v_and_b32_e32 v4, 0x80000000, v5
	v_and_b32_e32 v6, 15, v6
	v_bfe_u32 v7, v5, 27, 4
	v_lshlrev_b32_sdwa v5, v9, v5 dst_sel:DWORD dst_unused:UNUSED_PAD src0_sel:DWORD src1_sel:BYTE_3
	v_sub_u32_e32 v8, 29, v8
	v_and_b32_e32 v5, 7, v5
	v_cmp_eq_u16_e32 vcc, 0, v6
	v_cndmask_b32_e32 v3, v3, v5, vcc
	v_cndmask_b32_e32 v5, v7, v8, vcc
	v_mov_b32_e32 v6, 0x3b800000
	v_lshlrev_b32_e32 v3, 20, v3
	v_lshl_add_u32 v5, v5, 23, v6
	v_or3_b32 v3, v4, v5, v3
.LBB12_1408:
	s_or_b64 exec, exec, s[6:7]
	s_nop 0
	v_mfma_f32_16x16x4f32 a[0:3], v2, v3, a[0:3]
	s_movk_i32 s4, 0x7f
                                        ; implicit-def: $sgpr10
	s_nop 7
	s_nop 1
	flat_store_dwordx4 v[10:11], a[0:3] offset:160
	flat_load_dwordx4 v[12:15], v[0:1] offset:8
	s_nop 0
	flat_load_dwordx2 v[10:11], v[0:1] offset:32
	s_waitcnt vmcnt(0) lgkmcnt(0)
	flat_load_dwordx4 v[6:9], v[12:13] offset:64
	flat_load_dwordx4 v[2:5], v[14:15] offset:96
	s_waitcnt vmcnt(0) lgkmcnt(0)
	v_cmp_gt_i16_sdwa s[6:7], v6, s4 src0_sel:BYTE_0 src1_sel:DWORD
	s_mov_b64 s[4:5], 0
	s_and_saveexec_b64 s[8:9], s[6:7]
	s_xor_b64 s[6:7], exec, s[8:9]
	s_cbranch_execnz .LBB12_3457
; %bb.1409:
	s_or_saveexec_b64 s[6:7], s[6:7]
	v_mov_b32_e32 v12, s10
	s_xor_b64 exec, exec, s[6:7]
	s_cbranch_execnz .LBB12_3460
.LBB12_1410:
	s_or_b64 exec, exec, s[6:7]
	s_and_saveexec_b64 s[6:7], s[4:5]
	s_cbranch_execz .LBB12_1412
.LBB12_1411:
	v_and_b32_e32 v12, 7, v6
	v_ffbh_u32_e32 v14, v12
	v_min_u32_e32 v14, 32, v14
	v_lshrrev_b16_e32 v13, 3, v6
	v_subrev_u32_e32 v15, 28, v14
	v_and_b32_e32 v13, 15, v13
	v_lshlrev_b32_e32 v15, v15, v6
	v_sub_u32_e32 v14, 29, v14
	v_and_b32_e32 v15, 7, v15
	v_cmp_eq_u16_e32 vcc, 0, v13
	v_cndmask_b32_e32 v12, v12, v15, vcc
	v_cndmask_b32_e32 v13, v13, v14, vcc
	v_lshlrev_b32_e32 v14, 24, v6
	v_mov_b32_e32 v15, 0x3b800000
	v_lshlrev_b32_e32 v12, 20, v12
	v_and_b32_e32 v14, 0x80000000, v14
	v_lshl_add_u32 v13, v13, 23, v15
	v_or3_b32 v12, v14, v13, v12
.LBB12_1412:
	s_or_b64 exec, exec, s[6:7]
	s_movk_i32 s4, 0x7f
	v_cmp_gt_i16_sdwa s[6:7], v2, s4 src0_sel:BYTE_0 src1_sel:DWORD
	s_mov_b64 s[4:5], 0
                                        ; implicit-def: $sgpr10
	s_and_saveexec_b64 s[8:9], s[6:7]
	s_xor_b64 s[6:7], exec, s[8:9]
	s_cbranch_execnz .LBB12_3461
; %bb.1413:
	s_or_saveexec_b64 s[6:7], s[6:7]
	v_mov_b32_e32 v13, s10
	s_xor_b64 exec, exec, s[6:7]
	s_cbranch_execnz .LBB12_3464
.LBB12_1414:
	s_or_b64 exec, exec, s[6:7]
	s_and_saveexec_b64 s[6:7], s[4:5]
	s_cbranch_execz .LBB12_1416
.LBB12_1415:
	v_and_b32_e32 v13, 7, v2
	v_ffbh_u32_e32 v15, v13
	v_min_u32_e32 v15, 32, v15
	v_lshrrev_b16_e32 v14, 3, v2
	v_subrev_u32_e32 v16, 28, v15
	v_and_b32_e32 v14, 15, v14
	v_lshlrev_b32_e32 v16, v16, v2
	v_sub_u32_e32 v15, 29, v15
	v_and_b32_e32 v16, 7, v16
	v_cmp_eq_u16_e32 vcc, 0, v14
	v_cndmask_b32_e32 v13, v13, v16, vcc
	v_cndmask_b32_e32 v14, v14, v15, vcc
	v_lshlrev_b32_e32 v15, 24, v2
	v_mov_b32_e32 v16, 0x3b800000
	v_lshlrev_b32_e32 v13, 20, v13
	v_and_b32_e32 v15, 0x80000000, v15
	v_lshl_add_u32 v14, v14, 23, v16
	v_or3_b32 v13, v15, v14, v13
.LBB12_1416:
	s_or_b64 exec, exec, s[6:7]
	flat_load_dwordx4 a[0:3], v[10:11] offset:176
	s_movk_i32 s4, 0x7f
                                        ; implicit-def: $sgpr10
	s_waitcnt vmcnt(0) lgkmcnt(0)
	v_mfma_f32_16x16x4f32 a[0:3], v12, v13, a[0:3]
	v_lshrrev_b32_e32 v13, 8, v6
	v_cmp_gt_i16_sdwa s[6:7], v13, s4 src0_sel:BYTE_0 src1_sel:DWORD
	s_mov_b64 s[4:5], 0
	s_and_saveexec_b64 s[8:9], s[6:7]
	s_xor_b64 s[6:7], exec, s[8:9]
	s_cbranch_execnz .LBB12_3465
; %bb.1417:
	s_or_saveexec_b64 s[6:7], s[6:7]
	v_mov_b32_e32 v12, s10
	s_xor_b64 exec, exec, s[6:7]
	s_cbranch_execnz .LBB12_3468
.LBB12_1418:
	s_or_b64 exec, exec, s[6:7]
	s_and_saveexec_b64 s[6:7], s[4:5]
	s_cbranch_execz .LBB12_1420
.LBB12_1419:
	v_bfe_u32 v12, v6, 8, 3
	v_ffbh_u32_e32 v15, v12
	v_min_u32_e32 v15, 32, v15
	v_lshrrev_b16_e32 v14, 3, v13
	v_subrev_u32_e32 v16, 28, v15
	v_and_b32_e32 v14, 15, v14
	v_lshlrev_b32_e32 v13, v16, v13
	v_sub_u32_e32 v15, 29, v15
	v_and_b32_e32 v13, 7, v13
	v_cmp_eq_u16_e32 vcc, 0, v14
	v_cndmask_b32_e32 v12, v12, v13, vcc
	v_cndmask_b32_e32 v13, v14, v15, vcc
	v_lshlrev_b32_e32 v14, 16, v6
	v_mov_b32_e32 v15, 0x3b800000
	v_lshlrev_b32_e32 v12, 20, v12
	v_and_b32_e32 v14, 0x80000000, v14
	v_lshl_add_u32 v13, v13, 23, v15
	v_or3_b32 v12, v14, v13, v12
.LBB12_1420:
	s_or_b64 exec, exec, s[6:7]
	v_lshrrev_b32_e32 v13, 8, v2
	s_movk_i32 s4, 0x7f
	v_cmp_gt_i16_sdwa s[6:7], v13, s4 src0_sel:BYTE_0 src1_sel:DWORD
	s_mov_b64 s[4:5], 0
                                        ; implicit-def: $sgpr10
	s_and_saveexec_b64 s[8:9], s[6:7]
	s_xor_b64 s[6:7], exec, s[8:9]
	s_cbranch_execnz .LBB12_3469
; %bb.1421:
	s_or_saveexec_b64 s[6:7], s[6:7]
	v_mov_b32_e32 v14, s10
	s_xor_b64 exec, exec, s[6:7]
	s_cbranch_execnz .LBB12_3472
.LBB12_1422:
	s_or_b64 exec, exec, s[6:7]
	s_and_saveexec_b64 s[6:7], s[4:5]
	s_cbranch_execz .LBB12_1424
.LBB12_1423:
	v_bfe_u32 v14, v2, 8, 3
	v_ffbh_u32_e32 v16, v14
	v_min_u32_e32 v16, 32, v16
	v_lshrrev_b16_e32 v15, 3, v13
	v_subrev_u32_e32 v17, 28, v16
	v_and_b32_e32 v15, 15, v15
	v_lshlrev_b32_e32 v13, v17, v13
	v_sub_u32_e32 v16, 29, v16
	v_and_b32_e32 v13, 7, v13
	v_cmp_eq_u16_e32 vcc, 0, v15
	v_cndmask_b32_e32 v13, v14, v13, vcc
	v_cndmask_b32_e32 v14, v15, v16, vcc
	v_lshlrev_b32_e32 v15, 16, v2
	v_mov_b32_e32 v16, 0x3b800000
	v_lshlrev_b32_e32 v13, 20, v13
	v_and_b32_e32 v15, 0x80000000, v15
	v_lshl_add_u32 v14, v14, 23, v16
	v_or3_b32 v14, v15, v14, v13
.LBB12_1424:
	s_or_b64 exec, exec, s[6:7]
	s_nop 0
	v_mfma_f32_16x16x4f32 a[0:3], v12, v14, a[0:3]
	s_movk_i32 s4, 0xff
	v_and_b32_sdwa v13, v6, s4 dst_sel:DWORD dst_unused:UNUSED_PAD src0_sel:WORD_1 src1_sel:DWORD
	s_movk_i32 s4, 0x7f
	v_cmp_lt_i16_e32 vcc, s4, v13
	s_mov_b64 s[4:5], 0
                                        ; implicit-def: $sgpr10
	s_and_saveexec_b64 s[6:7], vcc
	s_xor_b64 s[6:7], exec, s[6:7]
	s_cbranch_execnz .LBB12_3473
; %bb.1425:
	s_or_saveexec_b64 s[6:7], s[6:7]
	v_mov_b32_e32 v12, s10
	s_xor_b64 exec, exec, s[6:7]
	s_cbranch_execnz .LBB12_3476
.LBB12_1426:
	s_or_b64 exec, exec, s[6:7]
	s_and_saveexec_b64 s[6:7], s[4:5]
	s_cbranch_execz .LBB12_1428
.LBB12_1427:
	v_bfe_u32 v12, v6, 16, 3
	v_ffbh_u32_e32 v15, v12
	v_min_u32_e32 v15, 32, v15
	v_lshrrev_b32_e32 v13, 19, v6
	v_subrev_u32_e32 v16, 28, v15
	v_and_b32_e32 v13, 15, v13
	v_lshlrev_b32_sdwa v16, v16, v6 dst_sel:DWORD dst_unused:UNUSED_PAD src0_sel:DWORD src1_sel:WORD_1
	v_bfe_u32 v14, v6, 19, 4
	v_sub_u32_e32 v15, 29, v15
	v_and_b32_e32 v16, 7, v16
	v_cmp_eq_u16_e32 vcc, 0, v13
	v_cndmask_b32_e32 v12, v12, v16, vcc
	v_cndmask_b32_e32 v13, v14, v15, vcc
	v_lshlrev_b32_e32 v14, 8, v6
	v_mov_b32_e32 v15, 0x3b800000
	v_lshlrev_b32_e32 v12, 20, v12
	v_and_b32_e32 v14, 0x80000000, v14
	v_lshl_add_u32 v13, v13, 23, v15
	v_or3_b32 v12, v14, v13, v12
.LBB12_1428:
	s_or_b64 exec, exec, s[6:7]
	s_movk_i32 s4, 0xff
	v_and_b32_sdwa v13, v2, s4 dst_sel:DWORD dst_unused:UNUSED_PAD src0_sel:WORD_1 src1_sel:DWORD
	s_movk_i32 s4, 0x7f
	v_cmp_lt_i16_e32 vcc, s4, v13
	s_mov_b64 s[4:5], 0
                                        ; implicit-def: $sgpr10
	s_and_saveexec_b64 s[6:7], vcc
	s_xor_b64 s[6:7], exec, s[6:7]
	s_cbranch_execnz .LBB12_3477
; %bb.1429:
	s_or_saveexec_b64 s[6:7], s[6:7]
	v_mov_b32_e32 v14, s10
	s_xor_b64 exec, exec, s[6:7]
	s_cbranch_execnz .LBB12_3480
.LBB12_1430:
	s_or_b64 exec, exec, s[6:7]
	s_and_saveexec_b64 s[6:7], s[4:5]
	s_cbranch_execz .LBB12_1432
.LBB12_1431:
	v_bfe_u32 v13, v2, 16, 3
	v_ffbh_u32_e32 v16, v13
	v_min_u32_e32 v16, 32, v16
	v_lshrrev_b32_e32 v14, 19, v2
	v_subrev_u32_e32 v17, 28, v16
	v_and_b32_e32 v14, 15, v14
	v_lshlrev_b32_sdwa v17, v17, v2 dst_sel:DWORD dst_unused:UNUSED_PAD src0_sel:DWORD src1_sel:WORD_1
	v_bfe_u32 v15, v2, 19, 4
	v_sub_u32_e32 v16, 29, v16
	v_and_b32_e32 v17, 7, v17
	v_cmp_eq_u16_e32 vcc, 0, v14
	v_cndmask_b32_e32 v13, v13, v17, vcc
	v_cndmask_b32_e32 v14, v15, v16, vcc
	v_lshlrev_b32_e32 v15, 8, v2
	v_mov_b32_e32 v16, 0x3b800000
	v_lshlrev_b32_e32 v13, 20, v13
	v_and_b32_e32 v15, 0x80000000, v15
	v_lshl_add_u32 v14, v14, 23, v16
	v_or3_b32 v14, v15, v14, v13
.LBB12_1432:
	s_or_b64 exec, exec, s[6:7]
	s_nop 0
	v_mfma_f32_16x16x4f32 a[0:3], v12, v14, a[0:3]
	s_movk_i32 s4, 0x7f
	v_cmp_gt_i16_sdwa s[6:7], v6, s4 src0_sel:BYTE_3 src1_sel:DWORD
	s_mov_b64 s[4:5], 0
                                        ; implicit-def: $sgpr10
	s_and_saveexec_b64 s[8:9], s[6:7]
	s_xor_b64 s[6:7], exec, s[8:9]
	s_cbranch_execnz .LBB12_3481
; %bb.1433:
	s_or_saveexec_b64 s[6:7], s[6:7]
	v_mov_b32_e32 v12, s10
	s_xor_b64 exec, exec, s[6:7]
	s_cbranch_execnz .LBB12_3484
.LBB12_1434:
	s_or_b64 exec, exec, s[6:7]
	s_and_saveexec_b64 s[6:7], s[4:5]
	s_cbranch_execz .LBB12_1436
.LBB12_1435:
	v_bfe_u32 v12, v6, 24, 3
	v_ffbh_u32_e32 v16, v12
	v_min_u32_e32 v16, 32, v16
	v_lshrrev_b32_e32 v14, 27, v6
	v_subrev_u32_e32 v17, 28, v16
	v_and_b32_e32 v13, 0x80000000, v6
	v_and_b32_e32 v14, 15, v14
	v_bfe_u32 v15, v6, 27, 4
	v_lshlrev_b32_sdwa v6, v17, v6 dst_sel:DWORD dst_unused:UNUSED_PAD src0_sel:DWORD src1_sel:BYTE_3
	v_sub_u32_e32 v16, 29, v16
	v_and_b32_e32 v6, 7, v6
	v_cmp_eq_u16_e32 vcc, 0, v14
	v_cndmask_b32_e32 v6, v12, v6, vcc
	v_cndmask_b32_e32 v12, v15, v16, vcc
	v_mov_b32_e32 v14, 0x3b800000
	v_lshlrev_b32_e32 v6, 20, v6
	v_lshl_add_u32 v12, v12, 23, v14
	v_or3_b32 v12, v13, v12, v6
.LBB12_1436:
	s_or_b64 exec, exec, s[6:7]
	s_movk_i32 s4, 0x7f
	v_cmp_gt_i16_sdwa s[6:7], v2, s4 src0_sel:BYTE_3 src1_sel:DWORD
	s_mov_b64 s[4:5], 0
                                        ; implicit-def: $sgpr10
	s_and_saveexec_b64 s[8:9], s[6:7]
	s_xor_b64 s[6:7], exec, s[8:9]
	s_cbranch_execnz .LBB12_3485
; %bb.1437:
	s_or_saveexec_b64 s[6:7], s[6:7]
	v_mov_b32_e32 v6, s10
	s_xor_b64 exec, exec, s[6:7]
	s_cbranch_execnz .LBB12_3488
.LBB12_1438:
	s_or_b64 exec, exec, s[6:7]
	s_and_saveexec_b64 s[6:7], s[4:5]
	s_cbranch_execz .LBB12_1440
.LBB12_1439:
	v_bfe_u32 v6, v2, 24, 3
	v_ffbh_u32_e32 v16, v6
	v_min_u32_e32 v16, 32, v16
	v_lshrrev_b32_e32 v14, 27, v2
	v_subrev_u32_e32 v17, 28, v16
	v_and_b32_e32 v13, 0x80000000, v2
	v_and_b32_e32 v14, 15, v14
	v_bfe_u32 v15, v2, 27, 4
	v_lshlrev_b32_sdwa v2, v17, v2 dst_sel:DWORD dst_unused:UNUSED_PAD src0_sel:DWORD src1_sel:BYTE_3
	v_sub_u32_e32 v16, 29, v16
	v_and_b32_e32 v2, 7, v2
	v_cmp_eq_u16_e32 vcc, 0, v14
	v_cndmask_b32_e32 v2, v6, v2, vcc
	v_cndmask_b32_e32 v6, v15, v16, vcc
	v_mov_b32_e32 v14, 0x3b800000
	v_lshlrev_b32_e32 v2, 20, v2
	v_lshl_add_u32 v6, v6, 23, v14
	v_or3_b32 v6, v13, v6, v2
.LBB12_1440:
	s_or_b64 exec, exec, s[6:7]
	s_nop 0
	v_mfma_f32_16x16x4f32 a[0:3], v12, v6, a[0:3]
	s_movk_i32 s4, 0x7f
	v_cmp_gt_i16_sdwa s[6:7], v7, s4 src0_sel:BYTE_0 src1_sel:DWORD
	s_mov_b64 s[4:5], 0
                                        ; implicit-def: $sgpr10
	s_and_saveexec_b64 s[8:9], s[6:7]
	s_xor_b64 s[6:7], exec, s[8:9]
	s_cbranch_execnz .LBB12_3489
; %bb.1441:
	s_or_saveexec_b64 s[6:7], s[6:7]
	v_mov_b32_e32 v2, s10
	s_xor_b64 exec, exec, s[6:7]
	s_cbranch_execnz .LBB12_3492
.LBB12_1442:
	s_or_b64 exec, exec, s[6:7]
	s_and_saveexec_b64 s[6:7], s[4:5]
	s_cbranch_execz .LBB12_1444
.LBB12_1443:
	v_and_b32_e32 v2, 7, v7
	v_ffbh_u32_e32 v12, v2
	v_min_u32_e32 v12, 32, v12
	v_lshrrev_b16_e32 v6, 3, v7
	v_subrev_u32_e32 v13, 28, v12
	v_and_b32_e32 v6, 15, v6
	v_lshlrev_b32_e32 v13, v13, v7
	v_sub_u32_e32 v12, 29, v12
	v_and_b32_e32 v13, 7, v13
	v_cmp_eq_u16_e32 vcc, 0, v6
	v_cndmask_b32_e32 v2, v2, v13, vcc
	v_cndmask_b32_e32 v6, v6, v12, vcc
	v_lshlrev_b32_e32 v12, 24, v7
	v_mov_b32_e32 v13, 0x3b800000
	v_lshlrev_b32_e32 v2, 20, v2
	v_and_b32_e32 v12, 0x80000000, v12
	v_lshl_add_u32 v6, v6, 23, v13
	v_or3_b32 v2, v12, v6, v2
.LBB12_1444:
	s_or_b64 exec, exec, s[6:7]
	s_movk_i32 s4, 0x7f
	v_cmp_gt_i16_sdwa s[6:7], v3, s4 src0_sel:BYTE_0 src1_sel:DWORD
	s_mov_b64 s[4:5], 0
                                        ; implicit-def: $sgpr10
	s_and_saveexec_b64 s[8:9], s[6:7]
	s_xor_b64 s[6:7], exec, s[8:9]
	s_cbranch_execnz .LBB12_3493
; %bb.1445:
	s_or_saveexec_b64 s[6:7], s[6:7]
	v_mov_b32_e32 v6, s10
	s_xor_b64 exec, exec, s[6:7]
	s_cbranch_execnz .LBB12_3496
.LBB12_1446:
	s_or_b64 exec, exec, s[6:7]
	s_and_saveexec_b64 s[6:7], s[4:5]
	s_cbranch_execz .LBB12_1448
.LBB12_1447:
	v_and_b32_e32 v6, 7, v3
	v_ffbh_u32_e32 v13, v6
	v_min_u32_e32 v13, 32, v13
	v_lshrrev_b16_e32 v12, 3, v3
	v_subrev_u32_e32 v14, 28, v13
	v_and_b32_e32 v12, 15, v12
	v_lshlrev_b32_e32 v14, v14, v3
	v_sub_u32_e32 v13, 29, v13
	v_and_b32_e32 v14, 7, v14
	v_cmp_eq_u16_e32 vcc, 0, v12
	v_cndmask_b32_e32 v6, v6, v14, vcc
	v_cndmask_b32_e32 v12, v12, v13, vcc
	v_lshlrev_b32_e32 v13, 24, v3
	v_mov_b32_e32 v14, 0x3b800000
	v_lshlrev_b32_e32 v6, 20, v6
	v_and_b32_e32 v13, 0x80000000, v13
	v_lshl_add_u32 v12, v12, 23, v14
	v_or3_b32 v6, v13, v12, v6
.LBB12_1448:
	s_or_b64 exec, exec, s[6:7]
	s_nop 0
	v_mfma_f32_16x16x4f32 a[0:3], v2, v6, a[0:3]
	v_lshrrev_b32_e32 v6, 8, v7
	s_movk_i32 s4, 0x7f
	v_cmp_gt_i16_sdwa s[6:7], v6, s4 src0_sel:BYTE_0 src1_sel:DWORD
	s_mov_b64 s[4:5], 0
                                        ; implicit-def: $sgpr10
	s_and_saveexec_b64 s[8:9], s[6:7]
	s_xor_b64 s[6:7], exec, s[8:9]
	s_cbranch_execnz .LBB12_3497
; %bb.1449:
	s_or_saveexec_b64 s[6:7], s[6:7]
	v_mov_b32_e32 v2, s10
	s_xor_b64 exec, exec, s[6:7]
	s_cbranch_execnz .LBB12_3500
.LBB12_1450:
	s_or_b64 exec, exec, s[6:7]
	s_and_saveexec_b64 s[6:7], s[4:5]
	s_cbranch_execz .LBB12_1452
.LBB12_1451:
	v_bfe_u32 v2, v7, 8, 3
	v_ffbh_u32_e32 v13, v2
	v_min_u32_e32 v13, 32, v13
	v_lshrrev_b16_e32 v12, 3, v6
	v_subrev_u32_e32 v14, 28, v13
	v_and_b32_e32 v12, 15, v12
	v_lshlrev_b32_e32 v6, v14, v6
	v_sub_u32_e32 v13, 29, v13
	v_and_b32_e32 v6, 7, v6
	v_cmp_eq_u16_e32 vcc, 0, v12
	v_cndmask_b32_e32 v2, v2, v6, vcc
	v_cndmask_b32_e32 v6, v12, v13, vcc
	v_lshlrev_b32_e32 v12, 16, v7
	v_mov_b32_e32 v13, 0x3b800000
	v_lshlrev_b32_e32 v2, 20, v2
	v_and_b32_e32 v12, 0x80000000, v12
	v_lshl_add_u32 v6, v6, 23, v13
	v_or3_b32 v2, v12, v6, v2
.LBB12_1452:
	s_or_b64 exec, exec, s[6:7]
	v_lshrrev_b32_e32 v6, 8, v3
	s_movk_i32 s4, 0x7f
	v_cmp_gt_i16_sdwa s[6:7], v6, s4 src0_sel:BYTE_0 src1_sel:DWORD
	s_mov_b64 s[4:5], 0
                                        ; implicit-def: $sgpr10
	s_and_saveexec_b64 s[8:9], s[6:7]
	s_xor_b64 s[6:7], exec, s[8:9]
	s_cbranch_execnz .LBB12_3501
; %bb.1453:
	s_or_saveexec_b64 s[6:7], s[6:7]
	v_mov_b32_e32 v12, s10
	s_xor_b64 exec, exec, s[6:7]
	s_cbranch_execnz .LBB12_3504
.LBB12_1454:
	s_or_b64 exec, exec, s[6:7]
	s_and_saveexec_b64 s[6:7], s[4:5]
	s_cbranch_execz .LBB12_1456
.LBB12_1455:
	v_bfe_u32 v12, v3, 8, 3
	v_ffbh_u32_e32 v14, v12
	v_min_u32_e32 v14, 32, v14
	v_lshrrev_b16_e32 v13, 3, v6
	v_subrev_u32_e32 v15, 28, v14
	v_and_b32_e32 v13, 15, v13
	v_lshlrev_b32_e32 v6, v15, v6
	v_sub_u32_e32 v14, 29, v14
	v_and_b32_e32 v6, 7, v6
	v_cmp_eq_u16_e32 vcc, 0, v13
	v_cndmask_b32_e32 v6, v12, v6, vcc
	v_cndmask_b32_e32 v12, v13, v14, vcc
	v_lshlrev_b32_e32 v13, 16, v3
	v_mov_b32_e32 v14, 0x3b800000
	v_lshlrev_b32_e32 v6, 20, v6
	v_and_b32_e32 v13, 0x80000000, v13
	v_lshl_add_u32 v12, v12, 23, v14
	v_or3_b32 v12, v13, v12, v6
.LBB12_1456:
	s_or_b64 exec, exec, s[6:7]
	s_nop 0
	v_mfma_f32_16x16x4f32 a[0:3], v2, v12, a[0:3]
	s_movk_i32 s4, 0xff
	v_and_b32_sdwa v6, v7, s4 dst_sel:DWORD dst_unused:UNUSED_PAD src0_sel:WORD_1 src1_sel:DWORD
	s_movk_i32 s4, 0x7f
	v_cmp_lt_i16_e32 vcc, s4, v6
	s_mov_b64 s[4:5], 0
                                        ; implicit-def: $sgpr10
	s_and_saveexec_b64 s[6:7], vcc
	s_xor_b64 s[6:7], exec, s[6:7]
	s_cbranch_execnz .LBB12_3505
; %bb.1457:
	s_or_saveexec_b64 s[6:7], s[6:7]
	v_mov_b32_e32 v2, s10
	s_xor_b64 exec, exec, s[6:7]
	s_cbranch_execnz .LBB12_3508
.LBB12_1458:
	s_or_b64 exec, exec, s[6:7]
	s_and_saveexec_b64 s[6:7], s[4:5]
	s_cbranch_execz .LBB12_1460
.LBB12_1459:
	v_bfe_u32 v2, v7, 16, 3
	v_ffbh_u32_e32 v13, v2
	v_min_u32_e32 v13, 32, v13
	v_lshrrev_b32_e32 v6, 19, v7
	v_subrev_u32_e32 v14, 28, v13
	v_and_b32_e32 v6, 15, v6
	v_lshlrev_b32_sdwa v14, v14, v7 dst_sel:DWORD dst_unused:UNUSED_PAD src0_sel:DWORD src1_sel:WORD_1
	v_bfe_u32 v12, v7, 19, 4
	v_sub_u32_e32 v13, 29, v13
	v_and_b32_e32 v14, 7, v14
	v_cmp_eq_u16_e32 vcc, 0, v6
	v_cndmask_b32_e32 v2, v2, v14, vcc
	v_cndmask_b32_e32 v6, v12, v13, vcc
	v_lshlrev_b32_e32 v12, 8, v7
	v_mov_b32_e32 v13, 0x3b800000
	v_lshlrev_b32_e32 v2, 20, v2
	v_and_b32_e32 v12, 0x80000000, v12
	v_lshl_add_u32 v6, v6, 23, v13
	v_or3_b32 v2, v12, v6, v2
.LBB12_1460:
	s_or_b64 exec, exec, s[6:7]
	s_movk_i32 s4, 0xff
	v_and_b32_sdwa v6, v3, s4 dst_sel:DWORD dst_unused:UNUSED_PAD src0_sel:WORD_1 src1_sel:DWORD
	s_movk_i32 s4, 0x7f
	v_cmp_lt_i16_e32 vcc, s4, v6
	s_mov_b64 s[4:5], 0
                                        ; implicit-def: $sgpr10
	s_and_saveexec_b64 s[6:7], vcc
	s_xor_b64 s[6:7], exec, s[6:7]
	s_cbranch_execnz .LBB12_3509
; %bb.1461:
	s_or_saveexec_b64 s[6:7], s[6:7]
	v_mov_b32_e32 v12, s10
	s_xor_b64 exec, exec, s[6:7]
	s_cbranch_execnz .LBB12_3512
.LBB12_1462:
	s_or_b64 exec, exec, s[6:7]
	s_and_saveexec_b64 s[6:7], s[4:5]
	s_cbranch_execz .LBB12_1464
.LBB12_1463:
	v_bfe_u32 v6, v3, 16, 3
	v_ffbh_u32_e32 v14, v6
	v_min_u32_e32 v14, 32, v14
	v_lshrrev_b32_e32 v12, 19, v3
	v_subrev_u32_e32 v15, 28, v14
	v_and_b32_e32 v12, 15, v12
	v_lshlrev_b32_sdwa v15, v15, v3 dst_sel:DWORD dst_unused:UNUSED_PAD src0_sel:DWORD src1_sel:WORD_1
	v_bfe_u32 v13, v3, 19, 4
	v_sub_u32_e32 v14, 29, v14
	v_and_b32_e32 v15, 7, v15
	v_cmp_eq_u16_e32 vcc, 0, v12
	v_cndmask_b32_e32 v6, v6, v15, vcc
	v_cndmask_b32_e32 v12, v13, v14, vcc
	v_lshlrev_b32_e32 v13, 8, v3
	v_mov_b32_e32 v14, 0x3b800000
	v_lshlrev_b32_e32 v6, 20, v6
	v_and_b32_e32 v13, 0x80000000, v13
	v_lshl_add_u32 v12, v12, 23, v14
	v_or3_b32 v12, v13, v12, v6
.LBB12_1464:
	s_or_b64 exec, exec, s[6:7]
	s_nop 0
	v_mfma_f32_16x16x4f32 a[0:3], v2, v12, a[0:3]
	s_movk_i32 s4, 0x7f
	v_cmp_gt_i16_sdwa s[6:7], v7, s4 src0_sel:BYTE_3 src1_sel:DWORD
	s_mov_b64 s[4:5], 0
                                        ; implicit-def: $sgpr10
	s_and_saveexec_b64 s[8:9], s[6:7]
	s_xor_b64 s[6:7], exec, s[8:9]
	s_cbranch_execnz .LBB12_3513
; %bb.1465:
	s_or_saveexec_b64 s[6:7], s[6:7]
	v_mov_b32_e32 v2, s10
	s_xor_b64 exec, exec, s[6:7]
	s_cbranch_execnz .LBB12_3516
.LBB12_1466:
	s_or_b64 exec, exec, s[6:7]
	s_and_saveexec_b64 s[6:7], s[4:5]
	s_cbranch_execz .LBB12_1468
.LBB12_1467:
	v_bfe_u32 v2, v7, 24, 3
	v_ffbh_u32_e32 v14, v2
	v_min_u32_e32 v14, 32, v14
	v_lshrrev_b32_e32 v12, 27, v7
	v_subrev_u32_e32 v15, 28, v14
	v_and_b32_e32 v6, 0x80000000, v7
	v_and_b32_e32 v12, 15, v12
	v_bfe_u32 v13, v7, 27, 4
	v_lshlrev_b32_sdwa v7, v15, v7 dst_sel:DWORD dst_unused:UNUSED_PAD src0_sel:DWORD src1_sel:BYTE_3
	v_sub_u32_e32 v14, 29, v14
	v_and_b32_e32 v7, 7, v7
	v_cmp_eq_u16_e32 vcc, 0, v12
	v_cndmask_b32_e32 v2, v2, v7, vcc
	v_cndmask_b32_e32 v7, v13, v14, vcc
	v_mov_b32_e32 v12, 0x3b800000
	v_lshlrev_b32_e32 v2, 20, v2
	v_lshl_add_u32 v7, v7, 23, v12
	v_or3_b32 v2, v6, v7, v2
.LBB12_1468:
	s_or_b64 exec, exec, s[6:7]
	s_movk_i32 s4, 0x7f
	v_cmp_gt_i16_sdwa s[6:7], v3, s4 src0_sel:BYTE_3 src1_sel:DWORD
	s_mov_b64 s[4:5], 0
                                        ; implicit-def: $sgpr10
	s_and_saveexec_b64 s[8:9], s[6:7]
	s_xor_b64 s[6:7], exec, s[8:9]
	s_cbranch_execnz .LBB12_3517
; %bb.1469:
	s_or_saveexec_b64 s[6:7], s[6:7]
	v_mov_b32_e32 v6, s10
	s_xor_b64 exec, exec, s[6:7]
	s_cbranch_execnz .LBB12_3520
.LBB12_1470:
	s_or_b64 exec, exec, s[6:7]
	s_and_saveexec_b64 s[6:7], s[4:5]
	s_cbranch_execz .LBB12_1472
.LBB12_1471:
	v_bfe_u32 v6, v3, 24, 3
	v_ffbh_u32_e32 v14, v6
	v_min_u32_e32 v14, 32, v14
	v_lshrrev_b32_e32 v12, 27, v3
	v_subrev_u32_e32 v15, 28, v14
	v_and_b32_e32 v7, 0x80000000, v3
	v_and_b32_e32 v12, 15, v12
	v_bfe_u32 v13, v3, 27, 4
	v_lshlrev_b32_sdwa v3, v15, v3 dst_sel:DWORD dst_unused:UNUSED_PAD src0_sel:DWORD src1_sel:BYTE_3
	v_sub_u32_e32 v14, 29, v14
	v_and_b32_e32 v3, 7, v3
	v_cmp_eq_u16_e32 vcc, 0, v12
	v_cndmask_b32_e32 v3, v6, v3, vcc
	v_cndmask_b32_e32 v6, v13, v14, vcc
	v_mov_b32_e32 v12, 0x3b800000
	v_lshlrev_b32_e32 v3, 20, v3
	v_lshl_add_u32 v6, v6, 23, v12
	v_or3_b32 v6, v7, v6, v3
.LBB12_1472:
	s_or_b64 exec, exec, s[6:7]
	s_nop 0
	v_mfma_f32_16x16x4f32 a[0:3], v2, v6, a[0:3]
	s_movk_i32 s4, 0x7f
	v_cmp_gt_i16_sdwa s[6:7], v8, s4 src0_sel:BYTE_0 src1_sel:DWORD
	s_mov_b64 s[4:5], 0
                                        ; implicit-def: $sgpr10
	s_and_saveexec_b64 s[8:9], s[6:7]
	s_xor_b64 s[6:7], exec, s[8:9]
	s_cbranch_execnz .LBB12_3521
; %bb.1473:
	s_or_saveexec_b64 s[6:7], s[6:7]
	v_mov_b32_e32 v2, s10
	s_xor_b64 exec, exec, s[6:7]
	s_cbranch_execnz .LBB12_3524
.LBB12_1474:
	s_or_b64 exec, exec, s[6:7]
	s_and_saveexec_b64 s[6:7], s[4:5]
	s_cbranch_execz .LBB12_1476
.LBB12_1475:
	v_and_b32_e32 v2, 7, v8
	v_ffbh_u32_e32 v6, v2
	v_min_u32_e32 v6, 32, v6
	v_lshrrev_b16_e32 v3, 3, v8
	v_subrev_u32_e32 v7, 28, v6
	v_and_b32_e32 v3, 15, v3
	v_lshlrev_b32_e32 v7, v7, v8
	v_sub_u32_e32 v6, 29, v6
	v_and_b32_e32 v7, 7, v7
	v_cmp_eq_u16_e32 vcc, 0, v3
	v_cndmask_b32_e32 v2, v2, v7, vcc
	v_cndmask_b32_e32 v3, v3, v6, vcc
	v_lshlrev_b32_e32 v6, 24, v8
	v_mov_b32_e32 v7, 0x3b800000
	v_lshlrev_b32_e32 v2, 20, v2
	v_and_b32_e32 v6, 0x80000000, v6
	v_lshl_add_u32 v3, v3, 23, v7
	v_or3_b32 v2, v6, v3, v2
.LBB12_1476:
	s_or_b64 exec, exec, s[6:7]
	s_movk_i32 s4, 0x7f
	v_cmp_gt_i16_sdwa s[6:7], v4, s4 src0_sel:BYTE_0 src1_sel:DWORD
	s_mov_b64 s[4:5], 0
                                        ; implicit-def: $sgpr10
	s_and_saveexec_b64 s[8:9], s[6:7]
	s_xor_b64 s[6:7], exec, s[8:9]
	s_cbranch_execnz .LBB12_3525
; %bb.1477:
	s_or_saveexec_b64 s[6:7], s[6:7]
	v_mov_b32_e32 v3, s10
	s_xor_b64 exec, exec, s[6:7]
	s_cbranch_execnz .LBB12_3528
.LBB12_1478:
	s_or_b64 exec, exec, s[6:7]
	s_and_saveexec_b64 s[6:7], s[4:5]
	s_cbranch_execz .LBB12_1480
.LBB12_1479:
	v_and_b32_e32 v3, 7, v4
	v_ffbh_u32_e32 v7, v3
	v_min_u32_e32 v7, 32, v7
	v_lshrrev_b16_e32 v6, 3, v4
	v_subrev_u32_e32 v12, 28, v7
	v_and_b32_e32 v6, 15, v6
	v_lshlrev_b32_e32 v12, v12, v4
	v_sub_u32_e32 v7, 29, v7
	v_and_b32_e32 v12, 7, v12
	v_cmp_eq_u16_e32 vcc, 0, v6
	v_cndmask_b32_e32 v3, v3, v12, vcc
	v_cndmask_b32_e32 v6, v6, v7, vcc
	v_lshlrev_b32_e32 v7, 24, v4
	v_mov_b32_e32 v12, 0x3b800000
	v_lshlrev_b32_e32 v3, 20, v3
	v_and_b32_e32 v7, 0x80000000, v7
	v_lshl_add_u32 v6, v6, 23, v12
	v_or3_b32 v3, v7, v6, v3
.LBB12_1480:
	s_or_b64 exec, exec, s[6:7]
	s_nop 0
	v_mfma_f32_16x16x4f32 a[0:3], v2, v3, a[0:3]
	v_lshrrev_b32_e32 v3, 8, v8
	s_movk_i32 s4, 0x7f
	v_cmp_gt_i16_sdwa s[6:7], v3, s4 src0_sel:BYTE_0 src1_sel:DWORD
	s_mov_b64 s[4:5], 0
                                        ; implicit-def: $sgpr10
	s_and_saveexec_b64 s[8:9], s[6:7]
	s_xor_b64 s[6:7], exec, s[8:9]
	s_cbranch_execnz .LBB12_3529
; %bb.1481:
	s_or_saveexec_b64 s[6:7], s[6:7]
	v_mov_b32_e32 v2, s10
	s_xor_b64 exec, exec, s[6:7]
	s_cbranch_execnz .LBB12_3532
.LBB12_1482:
	s_or_b64 exec, exec, s[6:7]
	s_and_saveexec_b64 s[6:7], s[4:5]
	s_cbranch_execz .LBB12_1484
.LBB12_1483:
	v_bfe_u32 v2, v8, 8, 3
	v_ffbh_u32_e32 v7, v2
	v_min_u32_e32 v7, 32, v7
	v_lshrrev_b16_e32 v6, 3, v3
	v_subrev_u32_e32 v12, 28, v7
	v_and_b32_e32 v6, 15, v6
	v_lshlrev_b32_e32 v3, v12, v3
	v_sub_u32_e32 v7, 29, v7
	v_and_b32_e32 v3, 7, v3
	v_cmp_eq_u16_e32 vcc, 0, v6
	v_cndmask_b32_e32 v2, v2, v3, vcc
	v_cndmask_b32_e32 v3, v6, v7, vcc
	v_lshlrev_b32_e32 v6, 16, v8
	v_mov_b32_e32 v7, 0x3b800000
	v_lshlrev_b32_e32 v2, 20, v2
	v_and_b32_e32 v6, 0x80000000, v6
	v_lshl_add_u32 v3, v3, 23, v7
	v_or3_b32 v2, v6, v3, v2
.LBB12_1484:
	s_or_b64 exec, exec, s[6:7]
	v_lshrrev_b32_e32 v3, 8, v4
	s_movk_i32 s4, 0x7f
	v_cmp_gt_i16_sdwa s[6:7], v3, s4 src0_sel:BYTE_0 src1_sel:DWORD
	s_mov_b64 s[4:5], 0
                                        ; implicit-def: $sgpr10
	s_and_saveexec_b64 s[8:9], s[6:7]
	s_xor_b64 s[6:7], exec, s[8:9]
	s_cbranch_execnz .LBB12_3533
; %bb.1485:
	s_or_saveexec_b64 s[6:7], s[6:7]
	v_mov_b32_e32 v6, s10
	s_xor_b64 exec, exec, s[6:7]
	s_cbranch_execnz .LBB12_3536
.LBB12_1486:
	s_or_b64 exec, exec, s[6:7]
	s_and_saveexec_b64 s[6:7], s[4:5]
	s_cbranch_execz .LBB12_1488
.LBB12_1487:
	v_bfe_u32 v6, v4, 8, 3
	v_ffbh_u32_e32 v12, v6
	v_min_u32_e32 v12, 32, v12
	v_lshrrev_b16_e32 v7, 3, v3
	v_subrev_u32_e32 v13, 28, v12
	v_and_b32_e32 v7, 15, v7
	v_lshlrev_b32_e32 v3, v13, v3
	v_sub_u32_e32 v12, 29, v12
	v_and_b32_e32 v3, 7, v3
	v_cmp_eq_u16_e32 vcc, 0, v7
	v_cndmask_b32_e32 v3, v6, v3, vcc
	v_cndmask_b32_e32 v6, v7, v12, vcc
	v_lshlrev_b32_e32 v7, 16, v4
	v_mov_b32_e32 v12, 0x3b800000
	v_lshlrev_b32_e32 v3, 20, v3
	v_and_b32_e32 v7, 0x80000000, v7
	v_lshl_add_u32 v6, v6, 23, v12
	v_or3_b32 v6, v7, v6, v3
.LBB12_1488:
	s_or_b64 exec, exec, s[6:7]
	s_nop 0
	v_mfma_f32_16x16x4f32 a[0:3], v2, v6, a[0:3]
	s_movk_i32 s4, 0xff
	v_and_b32_sdwa v3, v8, s4 dst_sel:DWORD dst_unused:UNUSED_PAD src0_sel:WORD_1 src1_sel:DWORD
	s_movk_i32 s4, 0x7f
	v_cmp_lt_i16_e32 vcc, s4, v3
	s_mov_b64 s[4:5], 0
                                        ; implicit-def: $sgpr10
	s_and_saveexec_b64 s[6:7], vcc
	s_xor_b64 s[6:7], exec, s[6:7]
	s_cbranch_execnz .LBB12_3537
; %bb.1489:
	s_or_saveexec_b64 s[6:7], s[6:7]
	v_mov_b32_e32 v2, s10
	s_xor_b64 exec, exec, s[6:7]
	s_cbranch_execnz .LBB12_3540
.LBB12_1490:
	s_or_b64 exec, exec, s[6:7]
	s_and_saveexec_b64 s[6:7], s[4:5]
	s_cbranch_execz .LBB12_1492
.LBB12_1491:
	v_bfe_u32 v2, v8, 16, 3
	v_ffbh_u32_e32 v7, v2
	v_min_u32_e32 v7, 32, v7
	v_lshrrev_b32_e32 v3, 19, v8
	v_subrev_u32_e32 v12, 28, v7
	v_and_b32_e32 v3, 15, v3
	v_lshlrev_b32_sdwa v12, v12, v8 dst_sel:DWORD dst_unused:UNUSED_PAD src0_sel:DWORD src1_sel:WORD_1
	v_bfe_u32 v6, v8, 19, 4
	v_sub_u32_e32 v7, 29, v7
	v_and_b32_e32 v12, 7, v12
	v_cmp_eq_u16_e32 vcc, 0, v3
	v_cndmask_b32_e32 v2, v2, v12, vcc
	v_cndmask_b32_e32 v3, v6, v7, vcc
	v_lshlrev_b32_e32 v6, 8, v8
	v_mov_b32_e32 v7, 0x3b800000
	v_lshlrev_b32_e32 v2, 20, v2
	v_and_b32_e32 v6, 0x80000000, v6
	v_lshl_add_u32 v3, v3, 23, v7
	v_or3_b32 v2, v6, v3, v2
.LBB12_1492:
	s_or_b64 exec, exec, s[6:7]
	s_movk_i32 s4, 0xff
	v_and_b32_sdwa v3, v4, s4 dst_sel:DWORD dst_unused:UNUSED_PAD src0_sel:WORD_1 src1_sel:DWORD
	s_movk_i32 s4, 0x7f
	v_cmp_lt_i16_e32 vcc, s4, v3
	s_mov_b64 s[4:5], 0
                                        ; implicit-def: $sgpr10
	s_and_saveexec_b64 s[6:7], vcc
	s_xor_b64 s[6:7], exec, s[6:7]
	s_cbranch_execnz .LBB12_3541
; %bb.1493:
	s_or_saveexec_b64 s[6:7], s[6:7]
	v_mov_b32_e32 v6, s10
	s_xor_b64 exec, exec, s[6:7]
	s_cbranch_execnz .LBB12_3544
.LBB12_1494:
	s_or_b64 exec, exec, s[6:7]
	s_and_saveexec_b64 s[6:7], s[4:5]
	s_cbranch_execz .LBB12_1496
.LBB12_1495:
	v_bfe_u32 v3, v4, 16, 3
	v_ffbh_u32_e32 v12, v3
	v_min_u32_e32 v12, 32, v12
	v_lshrrev_b32_e32 v6, 19, v4
	v_subrev_u32_e32 v13, 28, v12
	v_and_b32_e32 v6, 15, v6
	v_lshlrev_b32_sdwa v13, v13, v4 dst_sel:DWORD dst_unused:UNUSED_PAD src0_sel:DWORD src1_sel:WORD_1
	v_bfe_u32 v7, v4, 19, 4
	v_sub_u32_e32 v12, 29, v12
	v_and_b32_e32 v13, 7, v13
	v_cmp_eq_u16_e32 vcc, 0, v6
	v_cndmask_b32_e32 v3, v3, v13, vcc
	v_cndmask_b32_e32 v6, v7, v12, vcc
	v_lshlrev_b32_e32 v7, 8, v4
	v_mov_b32_e32 v12, 0x3b800000
	v_lshlrev_b32_e32 v3, 20, v3
	v_and_b32_e32 v7, 0x80000000, v7
	v_lshl_add_u32 v6, v6, 23, v12
	v_or3_b32 v6, v7, v6, v3
.LBB12_1496:
	s_or_b64 exec, exec, s[6:7]
	s_nop 0
	v_mfma_f32_16x16x4f32 a[0:3], v2, v6, a[0:3]
	s_movk_i32 s4, 0x7f
	v_cmp_gt_i16_sdwa s[6:7], v8, s4 src0_sel:BYTE_3 src1_sel:DWORD
	s_mov_b64 s[4:5], 0
                                        ; implicit-def: $sgpr10
	s_and_saveexec_b64 s[8:9], s[6:7]
	s_xor_b64 s[6:7], exec, s[8:9]
	s_cbranch_execnz .LBB12_3545
; %bb.1497:
	s_or_saveexec_b64 s[6:7], s[6:7]
	v_mov_b32_e32 v2, s10
	s_xor_b64 exec, exec, s[6:7]
	s_cbranch_execnz .LBB12_3548
.LBB12_1498:
	s_or_b64 exec, exec, s[6:7]
	s_and_saveexec_b64 s[6:7], s[4:5]
	s_cbranch_execz .LBB12_1500
.LBB12_1499:
	v_bfe_u32 v2, v8, 24, 3
	v_ffbh_u32_e32 v12, v2
	v_min_u32_e32 v12, 32, v12
	v_lshrrev_b32_e32 v6, 27, v8
	v_subrev_u32_e32 v13, 28, v12
	v_and_b32_e32 v3, 0x80000000, v8
	v_and_b32_e32 v6, 15, v6
	v_bfe_u32 v7, v8, 27, 4
	v_lshlrev_b32_sdwa v8, v13, v8 dst_sel:DWORD dst_unused:UNUSED_PAD src0_sel:DWORD src1_sel:BYTE_3
	v_sub_u32_e32 v12, 29, v12
	v_and_b32_e32 v8, 7, v8
	v_cmp_eq_u16_e32 vcc, 0, v6
	v_cndmask_b32_e32 v2, v2, v8, vcc
	v_cndmask_b32_e32 v6, v7, v12, vcc
	v_mov_b32_e32 v7, 0x3b800000
	v_lshlrev_b32_e32 v2, 20, v2
	v_lshl_add_u32 v6, v6, 23, v7
	v_or3_b32 v2, v3, v6, v2
.LBB12_1500:
	s_or_b64 exec, exec, s[6:7]
	s_movk_i32 s4, 0x7f
	v_cmp_gt_i16_sdwa s[6:7], v4, s4 src0_sel:BYTE_3 src1_sel:DWORD
	s_mov_b64 s[4:5], 0
                                        ; implicit-def: $sgpr10
	s_and_saveexec_b64 s[8:9], s[6:7]
	s_xor_b64 s[6:7], exec, s[8:9]
	s_cbranch_execnz .LBB12_3549
; %bb.1501:
	s_or_saveexec_b64 s[6:7], s[6:7]
	v_mov_b32_e32 v3, s10
	s_xor_b64 exec, exec, s[6:7]
	s_cbranch_execnz .LBB12_3552
.LBB12_1502:
	s_or_b64 exec, exec, s[6:7]
	s_and_saveexec_b64 s[6:7], s[4:5]
	s_cbranch_execz .LBB12_1504
.LBB12_1503:
	v_bfe_u32 v3, v4, 24, 3
	v_ffbh_u32_e32 v12, v3
	v_min_u32_e32 v12, 32, v12
	v_lshrrev_b32_e32 v7, 27, v4
	v_subrev_u32_e32 v13, 28, v12
	v_and_b32_e32 v6, 0x80000000, v4
	v_and_b32_e32 v7, 15, v7
	v_bfe_u32 v8, v4, 27, 4
	v_lshlrev_b32_sdwa v4, v13, v4 dst_sel:DWORD dst_unused:UNUSED_PAD src0_sel:DWORD src1_sel:BYTE_3
	v_sub_u32_e32 v12, 29, v12
	v_and_b32_e32 v4, 7, v4
	v_cmp_eq_u16_e32 vcc, 0, v7
	v_cndmask_b32_e32 v3, v3, v4, vcc
	v_cndmask_b32_e32 v4, v8, v12, vcc
	v_mov_b32_e32 v7, 0x3b800000
	v_lshlrev_b32_e32 v3, 20, v3
	v_lshl_add_u32 v4, v4, 23, v7
	v_or3_b32 v3, v6, v4, v3
.LBB12_1504:
	s_or_b64 exec, exec, s[6:7]
	s_nop 0
	v_mfma_f32_16x16x4f32 a[0:3], v2, v3, a[0:3]
	s_movk_i32 s4, 0x7f
	v_cmp_gt_i16_sdwa s[6:7], v9, s4 src0_sel:BYTE_0 src1_sel:DWORD
	s_mov_b64 s[4:5], 0
                                        ; implicit-def: $sgpr10
	s_and_saveexec_b64 s[8:9], s[6:7]
	s_xor_b64 s[6:7], exec, s[8:9]
	s_cbranch_execnz .LBB12_3553
; %bb.1505:
	s_or_saveexec_b64 s[6:7], s[6:7]
	v_mov_b32_e32 v2, s10
	s_xor_b64 exec, exec, s[6:7]
	s_cbranch_execnz .LBB12_3556
.LBB12_1506:
	s_or_b64 exec, exec, s[6:7]
	s_and_saveexec_b64 s[6:7], s[4:5]
	s_cbranch_execz .LBB12_1508
.LBB12_1507:
	v_mov_b32_e32 v2, 8
	v_and_b32_e32 v3, 7, v9
	v_lshrrev_b32_sdwa v2, v2, v9 dst_sel:BYTE_1 dst_unused:UNUSED_PAD src0_sel:DWORD src1_sel:DWORD
	v_ffbh_u32_e32 v4, v3
	v_or_b32_sdwa v2, v9, v2 dst_sel:DWORD dst_unused:UNUSED_PAD src0_sel:BYTE_0 src1_sel:DWORD
	v_min_u32_e32 v4, 32, v4
	v_lshrrev_b16_e32 v2, 3, v2
	v_subrev_u32_e32 v6, 28, v4
	v_and_b32_e32 v2, 15, v2
	v_lshlrev_b32_e32 v6, v6, v9
	v_sub_u32_e32 v4, 29, v4
	v_and_b32_e32 v6, 7, v6
	v_cmp_eq_u16_e32 vcc, 0, v2
	v_cndmask_b32_e32 v3, v3, v6, vcc
	v_cndmask_b32_e32 v2, v2, v4, vcc
	v_lshlrev_b32_e32 v4, 24, v9
	v_mov_b32_e32 v6, 0x3b800000
	v_lshlrev_b32_e32 v3, 20, v3
	v_and_b32_e32 v4, 0x80000000, v4
	v_lshl_add_u32 v2, v2, 23, v6
	v_or3_b32 v2, v4, v2, v3
.LBB12_1508:
	s_or_b64 exec, exec, s[6:7]
	s_movk_i32 s4, 0x7f
	v_cmp_gt_i16_sdwa s[6:7], v5, s4 src0_sel:BYTE_0 src1_sel:DWORD
	s_mov_b64 s[4:5], 0
                                        ; implicit-def: $sgpr10
	s_and_saveexec_b64 s[8:9], s[6:7]
	s_xor_b64 s[6:7], exec, s[8:9]
	s_cbranch_execnz .LBB12_3557
; %bb.1509:
	s_or_saveexec_b64 s[6:7], s[6:7]
	v_mov_b32_e32 v3, s10
	s_xor_b64 exec, exec, s[6:7]
	s_cbranch_execnz .LBB12_3560
.LBB12_1510:
	s_or_b64 exec, exec, s[6:7]
	s_and_saveexec_b64 s[6:7], s[4:5]
	s_cbranch_execz .LBB12_1512
.LBB12_1511:
	v_mov_b32_e32 v3, 8
	v_and_b32_e32 v4, 7, v5
	v_lshrrev_b32_sdwa v3, v3, v5 dst_sel:BYTE_1 dst_unused:UNUSED_PAD src0_sel:DWORD src1_sel:DWORD
	v_ffbh_u32_e32 v6, v4
	v_or_b32_sdwa v3, v5, v3 dst_sel:DWORD dst_unused:UNUSED_PAD src0_sel:BYTE_0 src1_sel:DWORD
	v_min_u32_e32 v6, 32, v6
	v_lshrrev_b16_e32 v3, 3, v3
	v_subrev_u32_e32 v7, 28, v6
	v_and_b32_e32 v3, 15, v3
	v_lshlrev_b32_e32 v7, v7, v5
	v_sub_u32_e32 v6, 29, v6
	v_and_b32_e32 v7, 7, v7
	v_cmp_eq_u16_e32 vcc, 0, v3
	v_cndmask_b32_e32 v4, v4, v7, vcc
	v_cndmask_b32_e32 v3, v3, v6, vcc
	v_lshlrev_b32_e32 v6, 24, v5
	v_mov_b32_e32 v7, 0x3b800000
	v_lshlrev_b32_e32 v4, 20, v4
	v_and_b32_e32 v6, 0x80000000, v6
	v_lshl_add_u32 v3, v3, 23, v7
	v_or3_b32 v3, v6, v3, v4
.LBB12_1512:
	s_or_b64 exec, exec, s[6:7]
	s_nop 0
	v_mfma_f32_16x16x4f32 a[0:3], v2, v3, a[0:3]
	v_lshrrev_b32_e32 v3, 8, v9
	s_movk_i32 s4, 0x7f
	v_cmp_gt_i16_sdwa s[6:7], v3, s4 src0_sel:BYTE_0 src1_sel:DWORD
	s_mov_b64 s[4:5], 0
                                        ; implicit-def: $sgpr10
	s_and_saveexec_b64 s[8:9], s[6:7]
	s_xor_b64 s[6:7], exec, s[8:9]
	s_cbranch_execnz .LBB12_3561
; %bb.1513:
	s_or_saveexec_b64 s[6:7], s[6:7]
	v_mov_b32_e32 v2, s10
	s_xor_b64 exec, exec, s[6:7]
	s_cbranch_execnz .LBB12_3564
.LBB12_1514:
	s_or_b64 exec, exec, s[6:7]
	s_and_saveexec_b64 s[6:7], s[4:5]
	s_cbranch_execz .LBB12_1516
.LBB12_1515:
	v_bfe_u32 v2, v9, 8, 3
	v_ffbh_u32_e32 v6, v2
	v_min_u32_e32 v6, 32, v6
	v_lshrrev_b16_e32 v4, 3, v3
	v_subrev_u32_e32 v7, 28, v6
	v_and_b32_e32 v4, 15, v4
	v_lshlrev_b32_e32 v3, v7, v3
	v_sub_u32_e32 v6, 29, v6
	v_and_b32_e32 v3, 7, v3
	v_cmp_eq_u16_e32 vcc, 0, v4
	v_cndmask_b32_e32 v2, v2, v3, vcc
	v_cndmask_b32_e32 v3, v4, v6, vcc
	v_lshlrev_b32_e32 v4, 16, v9
	v_mov_b32_e32 v6, 0x3b800000
	v_lshlrev_b32_e32 v2, 20, v2
	v_and_b32_e32 v4, 0x80000000, v4
	v_lshl_add_u32 v3, v3, 23, v6
	v_or3_b32 v2, v4, v3, v2
.LBB12_1516:
	s_or_b64 exec, exec, s[6:7]
	v_lshrrev_b32_e32 v3, 8, v5
	s_movk_i32 s4, 0x7f
	v_cmp_gt_i16_sdwa s[6:7], v3, s4 src0_sel:BYTE_0 src1_sel:DWORD
	s_mov_b64 s[4:5], 0
                                        ; implicit-def: $sgpr10
	s_and_saveexec_b64 s[8:9], s[6:7]
	s_xor_b64 s[6:7], exec, s[8:9]
	s_cbranch_execnz .LBB12_3565
; %bb.1517:
	s_or_saveexec_b64 s[6:7], s[6:7]
	v_mov_b32_e32 v4, s10
	s_xor_b64 exec, exec, s[6:7]
	s_cbranch_execnz .LBB12_3568
.LBB12_1518:
	s_or_b64 exec, exec, s[6:7]
	s_and_saveexec_b64 s[6:7], s[4:5]
	s_cbranch_execz .LBB12_1520
.LBB12_1519:
	v_bfe_u32 v4, v5, 8, 3
	v_ffbh_u32_e32 v7, v4
	v_min_u32_e32 v7, 32, v7
	v_lshrrev_b16_e32 v6, 3, v3
	v_subrev_u32_e32 v8, 28, v7
	v_and_b32_e32 v6, 15, v6
	v_lshlrev_b32_e32 v3, v8, v3
	v_sub_u32_e32 v7, 29, v7
	v_and_b32_e32 v3, 7, v3
	v_cmp_eq_u16_e32 vcc, 0, v6
	v_cndmask_b32_e32 v3, v4, v3, vcc
	v_cndmask_b32_e32 v4, v6, v7, vcc
	v_lshlrev_b32_e32 v6, 16, v5
	v_mov_b32_e32 v7, 0x3b800000
	v_lshlrev_b32_e32 v3, 20, v3
	v_and_b32_e32 v6, 0x80000000, v6
	v_lshl_add_u32 v4, v4, 23, v7
	v_or3_b32 v4, v6, v4, v3
.LBB12_1520:
	s_or_b64 exec, exec, s[6:7]
	s_nop 0
	v_mfma_f32_16x16x4f32 a[0:3], v2, v4, a[0:3]
	s_movk_i32 s4, 0xff
	v_and_b32_sdwa v3, v9, s4 dst_sel:DWORD dst_unused:UNUSED_PAD src0_sel:WORD_1 src1_sel:DWORD
	s_movk_i32 s4, 0x7f
	v_cmp_lt_i16_e32 vcc, s4, v3
	s_mov_b64 s[4:5], 0
                                        ; implicit-def: $sgpr10
	s_and_saveexec_b64 s[6:7], vcc
	s_xor_b64 s[6:7], exec, s[6:7]
	s_cbranch_execnz .LBB12_3569
; %bb.1521:
	s_or_saveexec_b64 s[6:7], s[6:7]
	v_mov_b32_e32 v2, s10
	s_xor_b64 exec, exec, s[6:7]
	s_cbranch_execnz .LBB12_3572
.LBB12_1522:
	s_or_b64 exec, exec, s[6:7]
	s_and_saveexec_b64 s[6:7], s[4:5]
	s_cbranch_execz .LBB12_1524
.LBB12_1523:
	v_bfe_u32 v2, v9, 16, 3
	v_ffbh_u32_e32 v6, v2
	v_min_u32_e32 v6, 32, v6
	v_lshrrev_b32_e32 v3, 19, v9
	v_subrev_u32_e32 v7, 28, v6
	v_and_b32_e32 v3, 15, v3
	v_lshlrev_b32_sdwa v7, v7, v9 dst_sel:DWORD dst_unused:UNUSED_PAD src0_sel:DWORD src1_sel:WORD_1
	v_bfe_u32 v4, v9, 19, 4
	v_sub_u32_e32 v6, 29, v6
	v_and_b32_e32 v7, 7, v7
	v_cmp_eq_u16_e32 vcc, 0, v3
	v_cndmask_b32_e32 v2, v2, v7, vcc
	v_cndmask_b32_e32 v3, v4, v6, vcc
	v_lshlrev_b32_e32 v4, 8, v9
	v_mov_b32_e32 v6, 0x3b800000
	v_lshlrev_b32_e32 v2, 20, v2
	v_and_b32_e32 v4, 0x80000000, v4
	v_lshl_add_u32 v3, v3, 23, v6
	v_or3_b32 v2, v4, v3, v2
.LBB12_1524:
	s_or_b64 exec, exec, s[6:7]
	s_movk_i32 s4, 0xff
	v_and_b32_sdwa v3, v5, s4 dst_sel:DWORD dst_unused:UNUSED_PAD src0_sel:WORD_1 src1_sel:DWORD
	s_movk_i32 s4, 0x7f
	v_cmp_lt_i16_e32 vcc, s4, v3
	s_mov_b64 s[4:5], 0
                                        ; implicit-def: $sgpr10
	s_and_saveexec_b64 s[6:7], vcc
	s_xor_b64 s[6:7], exec, s[6:7]
	s_cbranch_execnz .LBB12_3573
; %bb.1525:
	s_or_saveexec_b64 s[6:7], s[6:7]
	v_mov_b32_e32 v4, s10
	s_xor_b64 exec, exec, s[6:7]
	s_cbranch_execnz .LBB12_3576
.LBB12_1526:
	s_or_b64 exec, exec, s[6:7]
	s_and_saveexec_b64 s[6:7], s[4:5]
	s_cbranch_execz .LBB12_1528
.LBB12_1527:
	v_bfe_u32 v3, v5, 16, 3
	v_ffbh_u32_e32 v7, v3
	v_min_u32_e32 v7, 32, v7
	v_lshrrev_b32_e32 v4, 19, v5
	v_subrev_u32_e32 v8, 28, v7
	v_and_b32_e32 v4, 15, v4
	v_lshlrev_b32_sdwa v8, v8, v5 dst_sel:DWORD dst_unused:UNUSED_PAD src0_sel:DWORD src1_sel:WORD_1
	v_bfe_u32 v6, v5, 19, 4
	v_sub_u32_e32 v7, 29, v7
	v_and_b32_e32 v8, 7, v8
	v_cmp_eq_u16_e32 vcc, 0, v4
	v_cndmask_b32_e32 v3, v3, v8, vcc
	v_cndmask_b32_e32 v4, v6, v7, vcc
	v_lshlrev_b32_e32 v6, 8, v5
	v_mov_b32_e32 v7, 0x3b800000
	v_lshlrev_b32_e32 v3, 20, v3
	v_and_b32_e32 v6, 0x80000000, v6
	v_lshl_add_u32 v4, v4, 23, v7
	v_or3_b32 v4, v6, v4, v3
.LBB12_1528:
	s_or_b64 exec, exec, s[6:7]
	s_nop 0
	v_mfma_f32_16x16x4f32 a[0:3], v2, v4, a[0:3]
	s_movk_i32 s4, 0x7f
	v_cmp_gt_i16_sdwa s[6:7], v9, s4 src0_sel:BYTE_3 src1_sel:DWORD
	s_mov_b64 s[4:5], 0
                                        ; implicit-def: $sgpr10
	s_and_saveexec_b64 s[8:9], s[6:7]
	s_xor_b64 s[6:7], exec, s[8:9]
	s_cbranch_execnz .LBB12_3577
; %bb.1529:
	s_or_saveexec_b64 s[6:7], s[6:7]
	v_mov_b32_e32 v2, s10
	s_xor_b64 exec, exec, s[6:7]
	s_cbranch_execnz .LBB12_3580
.LBB12_1530:
	s_or_b64 exec, exec, s[6:7]
	s_and_saveexec_b64 s[6:7], s[4:5]
	s_cbranch_execz .LBB12_1532
.LBB12_1531:
	v_bfe_u32 v2, v9, 24, 3
	v_ffbh_u32_e32 v7, v2
	v_min_u32_e32 v7, 32, v7
	v_lshrrev_b32_e32 v4, 27, v9
	v_subrev_u32_e32 v8, 28, v7
	v_and_b32_e32 v4, 15, v4
	v_lshlrev_b32_sdwa v8, v8, v9 dst_sel:DWORD dst_unused:UNUSED_PAD src0_sel:DWORD src1_sel:BYTE_3
	v_bfe_u32 v6, v9, 27, 4
	v_sub_u32_e32 v7, 29, v7
	v_and_b32_e32 v8, 7, v8
	v_cmp_eq_u16_e32 vcc, 0, v4
	v_cndmask_b32_e32 v2, v2, v8, vcc
	v_cndmask_b32_e32 v4, v6, v7, vcc
	v_mov_b32_e32 v6, 0x3b800000
	v_and_b32_e32 v3, 0x80000000, v9
	v_lshlrev_b32_e32 v2, 20, v2
	v_lshl_add_u32 v4, v4, 23, v6
	v_or3_b32 v2, v3, v4, v2
.LBB12_1532:
	s_or_b64 exec, exec, s[6:7]
	s_movk_i32 s4, 0x7f
	v_cmp_gt_i16_sdwa s[6:7], v5, s4 src0_sel:BYTE_3 src1_sel:DWORD
	s_mov_b64 s[4:5], 0
                                        ; implicit-def: $sgpr10
	s_and_saveexec_b64 s[8:9], s[6:7]
	s_xor_b64 s[6:7], exec, s[8:9]
	s_cbranch_execnz .LBB12_3581
; %bb.1533:
	s_or_saveexec_b64 s[6:7], s[6:7]
	v_mov_b32_e32 v3, s10
	s_xor_b64 exec, exec, s[6:7]
	s_cbranch_execnz .LBB12_3584
.LBB12_1534:
	s_or_b64 exec, exec, s[6:7]
	s_and_saveexec_b64 s[6:7], s[4:5]
	s_cbranch_execz .LBB12_1536
.LBB12_1535:
	v_bfe_u32 v3, v5, 24, 3
	v_ffbh_u32_e32 v8, v3
	v_min_u32_e32 v8, 32, v8
	v_lshrrev_b32_e32 v6, 27, v5
	v_subrev_u32_e32 v9, 28, v8
	v_and_b32_e32 v4, 0x80000000, v5
	v_and_b32_e32 v6, 15, v6
	v_bfe_u32 v7, v5, 27, 4
	v_lshlrev_b32_sdwa v5, v9, v5 dst_sel:DWORD dst_unused:UNUSED_PAD src0_sel:DWORD src1_sel:BYTE_3
	v_sub_u32_e32 v8, 29, v8
	v_and_b32_e32 v5, 7, v5
	v_cmp_eq_u16_e32 vcc, 0, v6
	v_cndmask_b32_e32 v3, v3, v5, vcc
	v_cndmask_b32_e32 v5, v7, v8, vcc
	v_mov_b32_e32 v6, 0x3b800000
	v_lshlrev_b32_e32 v3, 20, v3
	v_lshl_add_u32 v5, v5, 23, v6
	v_or3_b32 v3, v4, v5, v3
.LBB12_1536:
	s_or_b64 exec, exec, s[6:7]
	s_nop 0
	v_mfma_f32_16x16x4f32 a[0:3], v2, v3, a[0:3]
	s_movk_i32 s4, 0x7f
                                        ; implicit-def: $sgpr10
	s_nop 7
	s_nop 1
	flat_store_dwordx4 v[10:11], a[0:3] offset:176
	flat_load_dwordx4 v[12:15], v[0:1] offset:8
	s_nop 0
	flat_load_dwordx2 v[10:11], v[0:1] offset:32
	s_waitcnt vmcnt(0) lgkmcnt(0)
	flat_load_dwordx4 v[6:9], v[12:13] offset:96
	flat_load_dwordx4 v[2:5], v[14:15]
	s_waitcnt vmcnt(0) lgkmcnt(0)
	v_cmp_gt_i16_sdwa s[6:7], v6, s4 src0_sel:BYTE_0 src1_sel:DWORD
	s_mov_b64 s[4:5], 0
	s_and_saveexec_b64 s[8:9], s[6:7]
	s_xor_b64 s[6:7], exec, s[8:9]
	s_cbranch_execnz .LBB12_3585
; %bb.1537:
	s_or_saveexec_b64 s[6:7], s[6:7]
	v_mov_b32_e32 v12, s10
	s_xor_b64 exec, exec, s[6:7]
	s_cbranch_execnz .LBB12_3588
.LBB12_1538:
	s_or_b64 exec, exec, s[6:7]
	s_and_saveexec_b64 s[6:7], s[4:5]
	s_cbranch_execz .LBB12_1540
.LBB12_1539:
	v_and_b32_e32 v12, 7, v6
	v_ffbh_u32_e32 v14, v12
	v_min_u32_e32 v14, 32, v14
	v_lshrrev_b16_e32 v13, 3, v6
	v_subrev_u32_e32 v15, 28, v14
	v_and_b32_e32 v13, 15, v13
	v_lshlrev_b32_e32 v15, v15, v6
	v_sub_u32_e32 v14, 29, v14
	v_and_b32_e32 v15, 7, v15
	v_cmp_eq_u16_e32 vcc, 0, v13
	v_cndmask_b32_e32 v12, v12, v15, vcc
	v_cndmask_b32_e32 v13, v13, v14, vcc
	v_lshlrev_b32_e32 v14, 24, v6
	v_mov_b32_e32 v15, 0x3b800000
	v_lshlrev_b32_e32 v12, 20, v12
	v_and_b32_e32 v14, 0x80000000, v14
	v_lshl_add_u32 v13, v13, 23, v15
	v_or3_b32 v12, v14, v13, v12
.LBB12_1540:
	s_or_b64 exec, exec, s[6:7]
	s_movk_i32 s4, 0x7f
	v_cmp_gt_i16_sdwa s[6:7], v2, s4 src0_sel:BYTE_0 src1_sel:DWORD
	s_mov_b64 s[4:5], 0
                                        ; implicit-def: $sgpr10
	s_and_saveexec_b64 s[8:9], s[6:7]
	s_xor_b64 s[6:7], exec, s[8:9]
	s_cbranch_execnz .LBB12_3589
; %bb.1541:
	s_or_saveexec_b64 s[6:7], s[6:7]
	v_mov_b32_e32 v13, s10
	s_xor_b64 exec, exec, s[6:7]
	s_cbranch_execnz .LBB12_3592
.LBB12_1542:
	s_or_b64 exec, exec, s[6:7]
	s_and_saveexec_b64 s[6:7], s[4:5]
	s_cbranch_execz .LBB12_1544
.LBB12_1543:
	v_and_b32_e32 v13, 7, v2
	v_ffbh_u32_e32 v15, v13
	v_min_u32_e32 v15, 32, v15
	v_lshrrev_b16_e32 v14, 3, v2
	v_subrev_u32_e32 v16, 28, v15
	v_and_b32_e32 v14, 15, v14
	v_lshlrev_b32_e32 v16, v16, v2
	v_sub_u32_e32 v15, 29, v15
	v_and_b32_e32 v16, 7, v16
	v_cmp_eq_u16_e32 vcc, 0, v14
	v_cndmask_b32_e32 v13, v13, v16, vcc
	v_cndmask_b32_e32 v14, v14, v15, vcc
	v_lshlrev_b32_e32 v15, 24, v2
	v_mov_b32_e32 v16, 0x3b800000
	v_lshlrev_b32_e32 v13, 20, v13
	v_and_b32_e32 v15, 0x80000000, v15
	v_lshl_add_u32 v14, v14, 23, v16
	v_or3_b32 v13, v15, v14, v13
.LBB12_1544:
	s_or_b64 exec, exec, s[6:7]
	flat_load_dwordx4 a[0:3], v[10:11] offset:192
	s_movk_i32 s4, 0x7f
                                        ; implicit-def: $sgpr10
	s_waitcnt vmcnt(0) lgkmcnt(0)
	v_mfma_f32_16x16x4f32 a[0:3], v12, v13, a[0:3]
	v_lshrrev_b32_e32 v13, 8, v6
	v_cmp_gt_i16_sdwa s[6:7], v13, s4 src0_sel:BYTE_0 src1_sel:DWORD
	s_mov_b64 s[4:5], 0
	s_and_saveexec_b64 s[8:9], s[6:7]
	s_xor_b64 s[6:7], exec, s[8:9]
	s_cbranch_execnz .LBB12_3593
; %bb.1545:
	s_or_saveexec_b64 s[6:7], s[6:7]
	v_mov_b32_e32 v12, s10
	s_xor_b64 exec, exec, s[6:7]
	s_cbranch_execnz .LBB12_3596
.LBB12_1546:
	s_or_b64 exec, exec, s[6:7]
	s_and_saveexec_b64 s[6:7], s[4:5]
	s_cbranch_execz .LBB12_1548
.LBB12_1547:
	v_bfe_u32 v12, v6, 8, 3
	v_ffbh_u32_e32 v15, v12
	v_min_u32_e32 v15, 32, v15
	v_lshrrev_b16_e32 v14, 3, v13
	v_subrev_u32_e32 v16, 28, v15
	v_and_b32_e32 v14, 15, v14
	v_lshlrev_b32_e32 v13, v16, v13
	v_sub_u32_e32 v15, 29, v15
	v_and_b32_e32 v13, 7, v13
	v_cmp_eq_u16_e32 vcc, 0, v14
	v_cndmask_b32_e32 v12, v12, v13, vcc
	v_cndmask_b32_e32 v13, v14, v15, vcc
	v_lshlrev_b32_e32 v14, 16, v6
	v_mov_b32_e32 v15, 0x3b800000
	v_lshlrev_b32_e32 v12, 20, v12
	v_and_b32_e32 v14, 0x80000000, v14
	v_lshl_add_u32 v13, v13, 23, v15
	v_or3_b32 v12, v14, v13, v12
.LBB12_1548:
	s_or_b64 exec, exec, s[6:7]
	v_lshrrev_b32_e32 v13, 8, v2
	s_movk_i32 s4, 0x7f
	v_cmp_gt_i16_sdwa s[6:7], v13, s4 src0_sel:BYTE_0 src1_sel:DWORD
	s_mov_b64 s[4:5], 0
                                        ; implicit-def: $sgpr10
	s_and_saveexec_b64 s[8:9], s[6:7]
	s_xor_b64 s[6:7], exec, s[8:9]
	s_cbranch_execnz .LBB12_3597
; %bb.1549:
	s_or_saveexec_b64 s[6:7], s[6:7]
	v_mov_b32_e32 v14, s10
	s_xor_b64 exec, exec, s[6:7]
	s_cbranch_execnz .LBB12_3600
.LBB12_1550:
	s_or_b64 exec, exec, s[6:7]
	s_and_saveexec_b64 s[6:7], s[4:5]
	s_cbranch_execz .LBB12_1552
.LBB12_1551:
	v_bfe_u32 v14, v2, 8, 3
	v_ffbh_u32_e32 v16, v14
	v_min_u32_e32 v16, 32, v16
	v_lshrrev_b16_e32 v15, 3, v13
	v_subrev_u32_e32 v17, 28, v16
	v_and_b32_e32 v15, 15, v15
	v_lshlrev_b32_e32 v13, v17, v13
	v_sub_u32_e32 v16, 29, v16
	v_and_b32_e32 v13, 7, v13
	v_cmp_eq_u16_e32 vcc, 0, v15
	v_cndmask_b32_e32 v13, v14, v13, vcc
	v_cndmask_b32_e32 v14, v15, v16, vcc
	v_lshlrev_b32_e32 v15, 16, v2
	v_mov_b32_e32 v16, 0x3b800000
	v_lshlrev_b32_e32 v13, 20, v13
	v_and_b32_e32 v15, 0x80000000, v15
	v_lshl_add_u32 v14, v14, 23, v16
	v_or3_b32 v14, v15, v14, v13
.LBB12_1552:
	s_or_b64 exec, exec, s[6:7]
	s_nop 0
	v_mfma_f32_16x16x4f32 a[0:3], v12, v14, a[0:3]
	s_movk_i32 s4, 0xff
	v_and_b32_sdwa v13, v6, s4 dst_sel:DWORD dst_unused:UNUSED_PAD src0_sel:WORD_1 src1_sel:DWORD
	s_movk_i32 s4, 0x7f
	v_cmp_lt_i16_e32 vcc, s4, v13
	s_mov_b64 s[4:5], 0
                                        ; implicit-def: $sgpr10
	s_and_saveexec_b64 s[6:7], vcc
	s_xor_b64 s[6:7], exec, s[6:7]
	s_cbranch_execnz .LBB12_3601
; %bb.1553:
	s_or_saveexec_b64 s[6:7], s[6:7]
	v_mov_b32_e32 v12, s10
	s_xor_b64 exec, exec, s[6:7]
	s_cbranch_execnz .LBB12_3604
.LBB12_1554:
	s_or_b64 exec, exec, s[6:7]
	s_and_saveexec_b64 s[6:7], s[4:5]
	s_cbranch_execz .LBB12_1556
.LBB12_1555:
	v_bfe_u32 v12, v6, 16, 3
	v_ffbh_u32_e32 v15, v12
	v_min_u32_e32 v15, 32, v15
	v_lshrrev_b32_e32 v13, 19, v6
	v_subrev_u32_e32 v16, 28, v15
	v_and_b32_e32 v13, 15, v13
	v_lshlrev_b32_sdwa v16, v16, v6 dst_sel:DWORD dst_unused:UNUSED_PAD src0_sel:DWORD src1_sel:WORD_1
	v_bfe_u32 v14, v6, 19, 4
	v_sub_u32_e32 v15, 29, v15
	v_and_b32_e32 v16, 7, v16
	v_cmp_eq_u16_e32 vcc, 0, v13
	v_cndmask_b32_e32 v12, v12, v16, vcc
	v_cndmask_b32_e32 v13, v14, v15, vcc
	v_lshlrev_b32_e32 v14, 8, v6
	v_mov_b32_e32 v15, 0x3b800000
	v_lshlrev_b32_e32 v12, 20, v12
	v_and_b32_e32 v14, 0x80000000, v14
	v_lshl_add_u32 v13, v13, 23, v15
	v_or3_b32 v12, v14, v13, v12
.LBB12_1556:
	s_or_b64 exec, exec, s[6:7]
	s_movk_i32 s4, 0xff
	v_and_b32_sdwa v13, v2, s4 dst_sel:DWORD dst_unused:UNUSED_PAD src0_sel:WORD_1 src1_sel:DWORD
	s_movk_i32 s4, 0x7f
	v_cmp_lt_i16_e32 vcc, s4, v13
	s_mov_b64 s[4:5], 0
                                        ; implicit-def: $sgpr10
	s_and_saveexec_b64 s[6:7], vcc
	s_xor_b64 s[6:7], exec, s[6:7]
	s_cbranch_execnz .LBB12_3605
; %bb.1557:
	s_or_saveexec_b64 s[6:7], s[6:7]
	v_mov_b32_e32 v14, s10
	s_xor_b64 exec, exec, s[6:7]
	s_cbranch_execnz .LBB12_3608
.LBB12_1558:
	s_or_b64 exec, exec, s[6:7]
	s_and_saveexec_b64 s[6:7], s[4:5]
	s_cbranch_execz .LBB12_1560
.LBB12_1559:
	v_bfe_u32 v13, v2, 16, 3
	v_ffbh_u32_e32 v16, v13
	v_min_u32_e32 v16, 32, v16
	v_lshrrev_b32_e32 v14, 19, v2
	v_subrev_u32_e32 v17, 28, v16
	v_and_b32_e32 v14, 15, v14
	v_lshlrev_b32_sdwa v17, v17, v2 dst_sel:DWORD dst_unused:UNUSED_PAD src0_sel:DWORD src1_sel:WORD_1
	v_bfe_u32 v15, v2, 19, 4
	v_sub_u32_e32 v16, 29, v16
	v_and_b32_e32 v17, 7, v17
	v_cmp_eq_u16_e32 vcc, 0, v14
	v_cndmask_b32_e32 v13, v13, v17, vcc
	v_cndmask_b32_e32 v14, v15, v16, vcc
	v_lshlrev_b32_e32 v15, 8, v2
	v_mov_b32_e32 v16, 0x3b800000
	v_lshlrev_b32_e32 v13, 20, v13
	v_and_b32_e32 v15, 0x80000000, v15
	v_lshl_add_u32 v14, v14, 23, v16
	v_or3_b32 v14, v15, v14, v13
.LBB12_1560:
	s_or_b64 exec, exec, s[6:7]
	s_nop 0
	v_mfma_f32_16x16x4f32 a[0:3], v12, v14, a[0:3]
	s_movk_i32 s4, 0x7f
	v_cmp_gt_i16_sdwa s[6:7], v6, s4 src0_sel:BYTE_3 src1_sel:DWORD
	s_mov_b64 s[4:5], 0
                                        ; implicit-def: $sgpr10
	s_and_saveexec_b64 s[8:9], s[6:7]
	s_xor_b64 s[6:7], exec, s[8:9]
	s_cbranch_execnz .LBB12_3609
; %bb.1561:
	s_or_saveexec_b64 s[6:7], s[6:7]
	v_mov_b32_e32 v12, s10
	s_xor_b64 exec, exec, s[6:7]
	s_cbranch_execnz .LBB12_3612
.LBB12_1562:
	s_or_b64 exec, exec, s[6:7]
	s_and_saveexec_b64 s[6:7], s[4:5]
	s_cbranch_execz .LBB12_1564
.LBB12_1563:
	v_bfe_u32 v12, v6, 24, 3
	v_ffbh_u32_e32 v16, v12
	v_min_u32_e32 v16, 32, v16
	v_lshrrev_b32_e32 v14, 27, v6
	v_subrev_u32_e32 v17, 28, v16
	v_and_b32_e32 v13, 0x80000000, v6
	v_and_b32_e32 v14, 15, v14
	v_bfe_u32 v15, v6, 27, 4
	v_lshlrev_b32_sdwa v6, v17, v6 dst_sel:DWORD dst_unused:UNUSED_PAD src0_sel:DWORD src1_sel:BYTE_3
	v_sub_u32_e32 v16, 29, v16
	v_and_b32_e32 v6, 7, v6
	v_cmp_eq_u16_e32 vcc, 0, v14
	v_cndmask_b32_e32 v6, v12, v6, vcc
	v_cndmask_b32_e32 v12, v15, v16, vcc
	v_mov_b32_e32 v14, 0x3b800000
	v_lshlrev_b32_e32 v6, 20, v6
	v_lshl_add_u32 v12, v12, 23, v14
	v_or3_b32 v12, v13, v12, v6
.LBB12_1564:
	s_or_b64 exec, exec, s[6:7]
	s_movk_i32 s4, 0x7f
	v_cmp_gt_i16_sdwa s[6:7], v2, s4 src0_sel:BYTE_3 src1_sel:DWORD
	s_mov_b64 s[4:5], 0
                                        ; implicit-def: $sgpr10
	s_and_saveexec_b64 s[8:9], s[6:7]
	s_xor_b64 s[6:7], exec, s[8:9]
	s_cbranch_execnz .LBB12_3613
; %bb.1565:
	s_or_saveexec_b64 s[6:7], s[6:7]
	v_mov_b32_e32 v6, s10
	s_xor_b64 exec, exec, s[6:7]
	s_cbranch_execnz .LBB12_3616
.LBB12_1566:
	s_or_b64 exec, exec, s[6:7]
	s_and_saveexec_b64 s[6:7], s[4:5]
	s_cbranch_execz .LBB12_1568
.LBB12_1567:
	v_bfe_u32 v6, v2, 24, 3
	v_ffbh_u32_e32 v16, v6
	v_min_u32_e32 v16, 32, v16
	v_lshrrev_b32_e32 v14, 27, v2
	v_subrev_u32_e32 v17, 28, v16
	v_and_b32_e32 v13, 0x80000000, v2
	v_and_b32_e32 v14, 15, v14
	v_bfe_u32 v15, v2, 27, 4
	v_lshlrev_b32_sdwa v2, v17, v2 dst_sel:DWORD dst_unused:UNUSED_PAD src0_sel:DWORD src1_sel:BYTE_3
	v_sub_u32_e32 v16, 29, v16
	v_and_b32_e32 v2, 7, v2
	v_cmp_eq_u16_e32 vcc, 0, v14
	v_cndmask_b32_e32 v2, v6, v2, vcc
	v_cndmask_b32_e32 v6, v15, v16, vcc
	v_mov_b32_e32 v14, 0x3b800000
	v_lshlrev_b32_e32 v2, 20, v2
	v_lshl_add_u32 v6, v6, 23, v14
	v_or3_b32 v6, v13, v6, v2
.LBB12_1568:
	s_or_b64 exec, exec, s[6:7]
	s_nop 0
	v_mfma_f32_16x16x4f32 a[0:3], v12, v6, a[0:3]
	s_movk_i32 s4, 0x7f
	v_cmp_gt_i16_sdwa s[6:7], v7, s4 src0_sel:BYTE_0 src1_sel:DWORD
	s_mov_b64 s[4:5], 0
                                        ; implicit-def: $sgpr10
	s_and_saveexec_b64 s[8:9], s[6:7]
	s_xor_b64 s[6:7], exec, s[8:9]
	s_cbranch_execnz .LBB12_3617
; %bb.1569:
	s_or_saveexec_b64 s[6:7], s[6:7]
	v_mov_b32_e32 v2, s10
	s_xor_b64 exec, exec, s[6:7]
	s_cbranch_execnz .LBB12_3620
.LBB12_1570:
	s_or_b64 exec, exec, s[6:7]
	s_and_saveexec_b64 s[6:7], s[4:5]
	s_cbranch_execz .LBB12_1572
.LBB12_1571:
	v_and_b32_e32 v2, 7, v7
	v_ffbh_u32_e32 v12, v2
	v_min_u32_e32 v12, 32, v12
	v_lshrrev_b16_e32 v6, 3, v7
	v_subrev_u32_e32 v13, 28, v12
	v_and_b32_e32 v6, 15, v6
	v_lshlrev_b32_e32 v13, v13, v7
	v_sub_u32_e32 v12, 29, v12
	v_and_b32_e32 v13, 7, v13
	v_cmp_eq_u16_e32 vcc, 0, v6
	v_cndmask_b32_e32 v2, v2, v13, vcc
	v_cndmask_b32_e32 v6, v6, v12, vcc
	v_lshlrev_b32_e32 v12, 24, v7
	v_mov_b32_e32 v13, 0x3b800000
	v_lshlrev_b32_e32 v2, 20, v2
	v_and_b32_e32 v12, 0x80000000, v12
	v_lshl_add_u32 v6, v6, 23, v13
	v_or3_b32 v2, v12, v6, v2
.LBB12_1572:
	s_or_b64 exec, exec, s[6:7]
	s_movk_i32 s4, 0x7f
	v_cmp_gt_i16_sdwa s[6:7], v3, s4 src0_sel:BYTE_0 src1_sel:DWORD
	s_mov_b64 s[4:5], 0
                                        ; implicit-def: $sgpr10
	s_and_saveexec_b64 s[8:9], s[6:7]
	s_xor_b64 s[6:7], exec, s[8:9]
	s_cbranch_execnz .LBB12_3621
; %bb.1573:
	s_or_saveexec_b64 s[6:7], s[6:7]
	v_mov_b32_e32 v6, s10
	s_xor_b64 exec, exec, s[6:7]
	s_cbranch_execnz .LBB12_3624
.LBB12_1574:
	s_or_b64 exec, exec, s[6:7]
	s_and_saveexec_b64 s[6:7], s[4:5]
	s_cbranch_execz .LBB12_1576
.LBB12_1575:
	v_and_b32_e32 v6, 7, v3
	v_ffbh_u32_e32 v13, v6
	v_min_u32_e32 v13, 32, v13
	v_lshrrev_b16_e32 v12, 3, v3
	v_subrev_u32_e32 v14, 28, v13
	v_and_b32_e32 v12, 15, v12
	v_lshlrev_b32_e32 v14, v14, v3
	v_sub_u32_e32 v13, 29, v13
	v_and_b32_e32 v14, 7, v14
	v_cmp_eq_u16_e32 vcc, 0, v12
	v_cndmask_b32_e32 v6, v6, v14, vcc
	v_cndmask_b32_e32 v12, v12, v13, vcc
	v_lshlrev_b32_e32 v13, 24, v3
	v_mov_b32_e32 v14, 0x3b800000
	v_lshlrev_b32_e32 v6, 20, v6
	v_and_b32_e32 v13, 0x80000000, v13
	v_lshl_add_u32 v12, v12, 23, v14
	v_or3_b32 v6, v13, v12, v6
.LBB12_1576:
	s_or_b64 exec, exec, s[6:7]
	s_nop 0
	v_mfma_f32_16x16x4f32 a[0:3], v2, v6, a[0:3]
	v_lshrrev_b32_e32 v6, 8, v7
	s_movk_i32 s4, 0x7f
	v_cmp_gt_i16_sdwa s[6:7], v6, s4 src0_sel:BYTE_0 src1_sel:DWORD
	s_mov_b64 s[4:5], 0
                                        ; implicit-def: $sgpr10
	s_and_saveexec_b64 s[8:9], s[6:7]
	s_xor_b64 s[6:7], exec, s[8:9]
	s_cbranch_execnz .LBB12_3625
; %bb.1577:
	s_or_saveexec_b64 s[6:7], s[6:7]
	v_mov_b32_e32 v2, s10
	s_xor_b64 exec, exec, s[6:7]
	s_cbranch_execnz .LBB12_3628
.LBB12_1578:
	s_or_b64 exec, exec, s[6:7]
	s_and_saveexec_b64 s[6:7], s[4:5]
	s_cbranch_execz .LBB12_1580
.LBB12_1579:
	v_bfe_u32 v2, v7, 8, 3
	v_ffbh_u32_e32 v13, v2
	v_min_u32_e32 v13, 32, v13
	v_lshrrev_b16_e32 v12, 3, v6
	v_subrev_u32_e32 v14, 28, v13
	v_and_b32_e32 v12, 15, v12
	v_lshlrev_b32_e32 v6, v14, v6
	v_sub_u32_e32 v13, 29, v13
	v_and_b32_e32 v6, 7, v6
	v_cmp_eq_u16_e32 vcc, 0, v12
	v_cndmask_b32_e32 v2, v2, v6, vcc
	v_cndmask_b32_e32 v6, v12, v13, vcc
	v_lshlrev_b32_e32 v12, 16, v7
	v_mov_b32_e32 v13, 0x3b800000
	v_lshlrev_b32_e32 v2, 20, v2
	v_and_b32_e32 v12, 0x80000000, v12
	v_lshl_add_u32 v6, v6, 23, v13
	v_or3_b32 v2, v12, v6, v2
.LBB12_1580:
	s_or_b64 exec, exec, s[6:7]
	v_lshrrev_b32_e32 v6, 8, v3
	s_movk_i32 s4, 0x7f
	v_cmp_gt_i16_sdwa s[6:7], v6, s4 src0_sel:BYTE_0 src1_sel:DWORD
	s_mov_b64 s[4:5], 0
                                        ; implicit-def: $sgpr10
	s_and_saveexec_b64 s[8:9], s[6:7]
	s_xor_b64 s[6:7], exec, s[8:9]
	s_cbranch_execnz .LBB12_3629
; %bb.1581:
	s_or_saveexec_b64 s[6:7], s[6:7]
	v_mov_b32_e32 v12, s10
	s_xor_b64 exec, exec, s[6:7]
	s_cbranch_execnz .LBB12_3632
.LBB12_1582:
	s_or_b64 exec, exec, s[6:7]
	s_and_saveexec_b64 s[6:7], s[4:5]
	s_cbranch_execz .LBB12_1584
.LBB12_1583:
	v_bfe_u32 v12, v3, 8, 3
	v_ffbh_u32_e32 v14, v12
	v_min_u32_e32 v14, 32, v14
	v_lshrrev_b16_e32 v13, 3, v6
	v_subrev_u32_e32 v15, 28, v14
	v_and_b32_e32 v13, 15, v13
	v_lshlrev_b32_e32 v6, v15, v6
	v_sub_u32_e32 v14, 29, v14
	v_and_b32_e32 v6, 7, v6
	v_cmp_eq_u16_e32 vcc, 0, v13
	v_cndmask_b32_e32 v6, v12, v6, vcc
	v_cndmask_b32_e32 v12, v13, v14, vcc
	v_lshlrev_b32_e32 v13, 16, v3
	v_mov_b32_e32 v14, 0x3b800000
	v_lshlrev_b32_e32 v6, 20, v6
	v_and_b32_e32 v13, 0x80000000, v13
	v_lshl_add_u32 v12, v12, 23, v14
	v_or3_b32 v12, v13, v12, v6
.LBB12_1584:
	s_or_b64 exec, exec, s[6:7]
	s_nop 0
	v_mfma_f32_16x16x4f32 a[0:3], v2, v12, a[0:3]
	s_movk_i32 s4, 0xff
	v_and_b32_sdwa v6, v7, s4 dst_sel:DWORD dst_unused:UNUSED_PAD src0_sel:WORD_1 src1_sel:DWORD
	s_movk_i32 s4, 0x7f
	v_cmp_lt_i16_e32 vcc, s4, v6
	s_mov_b64 s[4:5], 0
                                        ; implicit-def: $sgpr10
	s_and_saveexec_b64 s[6:7], vcc
	s_xor_b64 s[6:7], exec, s[6:7]
	s_cbranch_execnz .LBB12_3633
; %bb.1585:
	s_or_saveexec_b64 s[6:7], s[6:7]
	v_mov_b32_e32 v2, s10
	s_xor_b64 exec, exec, s[6:7]
	s_cbranch_execnz .LBB12_3636
.LBB12_1586:
	s_or_b64 exec, exec, s[6:7]
	s_and_saveexec_b64 s[6:7], s[4:5]
	s_cbranch_execz .LBB12_1588
.LBB12_1587:
	v_bfe_u32 v2, v7, 16, 3
	v_ffbh_u32_e32 v13, v2
	v_min_u32_e32 v13, 32, v13
	v_lshrrev_b32_e32 v6, 19, v7
	v_subrev_u32_e32 v14, 28, v13
	v_and_b32_e32 v6, 15, v6
	v_lshlrev_b32_sdwa v14, v14, v7 dst_sel:DWORD dst_unused:UNUSED_PAD src0_sel:DWORD src1_sel:WORD_1
	v_bfe_u32 v12, v7, 19, 4
	v_sub_u32_e32 v13, 29, v13
	v_and_b32_e32 v14, 7, v14
	v_cmp_eq_u16_e32 vcc, 0, v6
	v_cndmask_b32_e32 v2, v2, v14, vcc
	v_cndmask_b32_e32 v6, v12, v13, vcc
	v_lshlrev_b32_e32 v12, 8, v7
	v_mov_b32_e32 v13, 0x3b800000
	v_lshlrev_b32_e32 v2, 20, v2
	v_and_b32_e32 v12, 0x80000000, v12
	v_lshl_add_u32 v6, v6, 23, v13
	v_or3_b32 v2, v12, v6, v2
.LBB12_1588:
	s_or_b64 exec, exec, s[6:7]
	s_movk_i32 s4, 0xff
	v_and_b32_sdwa v6, v3, s4 dst_sel:DWORD dst_unused:UNUSED_PAD src0_sel:WORD_1 src1_sel:DWORD
	s_movk_i32 s4, 0x7f
	v_cmp_lt_i16_e32 vcc, s4, v6
	s_mov_b64 s[4:5], 0
                                        ; implicit-def: $sgpr10
	s_and_saveexec_b64 s[6:7], vcc
	s_xor_b64 s[6:7], exec, s[6:7]
	s_cbranch_execnz .LBB12_3637
; %bb.1589:
	s_or_saveexec_b64 s[6:7], s[6:7]
	v_mov_b32_e32 v12, s10
	s_xor_b64 exec, exec, s[6:7]
	s_cbranch_execnz .LBB12_3640
.LBB12_1590:
	s_or_b64 exec, exec, s[6:7]
	s_and_saveexec_b64 s[6:7], s[4:5]
	s_cbranch_execz .LBB12_1592
.LBB12_1591:
	v_bfe_u32 v6, v3, 16, 3
	v_ffbh_u32_e32 v14, v6
	v_min_u32_e32 v14, 32, v14
	v_lshrrev_b32_e32 v12, 19, v3
	v_subrev_u32_e32 v15, 28, v14
	v_and_b32_e32 v12, 15, v12
	v_lshlrev_b32_sdwa v15, v15, v3 dst_sel:DWORD dst_unused:UNUSED_PAD src0_sel:DWORD src1_sel:WORD_1
	v_bfe_u32 v13, v3, 19, 4
	v_sub_u32_e32 v14, 29, v14
	v_and_b32_e32 v15, 7, v15
	v_cmp_eq_u16_e32 vcc, 0, v12
	v_cndmask_b32_e32 v6, v6, v15, vcc
	v_cndmask_b32_e32 v12, v13, v14, vcc
	v_lshlrev_b32_e32 v13, 8, v3
	v_mov_b32_e32 v14, 0x3b800000
	v_lshlrev_b32_e32 v6, 20, v6
	v_and_b32_e32 v13, 0x80000000, v13
	v_lshl_add_u32 v12, v12, 23, v14
	v_or3_b32 v12, v13, v12, v6
.LBB12_1592:
	s_or_b64 exec, exec, s[6:7]
	s_nop 0
	v_mfma_f32_16x16x4f32 a[0:3], v2, v12, a[0:3]
	s_movk_i32 s4, 0x7f
	v_cmp_gt_i16_sdwa s[6:7], v7, s4 src0_sel:BYTE_3 src1_sel:DWORD
	s_mov_b64 s[4:5], 0
                                        ; implicit-def: $sgpr10
	s_and_saveexec_b64 s[8:9], s[6:7]
	s_xor_b64 s[6:7], exec, s[8:9]
	s_cbranch_execnz .LBB12_3641
; %bb.1593:
	s_or_saveexec_b64 s[6:7], s[6:7]
	v_mov_b32_e32 v2, s10
	s_xor_b64 exec, exec, s[6:7]
	s_cbranch_execnz .LBB12_3644
.LBB12_1594:
	s_or_b64 exec, exec, s[6:7]
	s_and_saveexec_b64 s[6:7], s[4:5]
	s_cbranch_execz .LBB12_1596
.LBB12_1595:
	v_bfe_u32 v2, v7, 24, 3
	v_ffbh_u32_e32 v14, v2
	v_min_u32_e32 v14, 32, v14
	v_lshrrev_b32_e32 v12, 27, v7
	v_subrev_u32_e32 v15, 28, v14
	v_and_b32_e32 v6, 0x80000000, v7
	v_and_b32_e32 v12, 15, v12
	v_bfe_u32 v13, v7, 27, 4
	v_lshlrev_b32_sdwa v7, v15, v7 dst_sel:DWORD dst_unused:UNUSED_PAD src0_sel:DWORD src1_sel:BYTE_3
	v_sub_u32_e32 v14, 29, v14
	v_and_b32_e32 v7, 7, v7
	v_cmp_eq_u16_e32 vcc, 0, v12
	v_cndmask_b32_e32 v2, v2, v7, vcc
	v_cndmask_b32_e32 v7, v13, v14, vcc
	v_mov_b32_e32 v12, 0x3b800000
	v_lshlrev_b32_e32 v2, 20, v2
	v_lshl_add_u32 v7, v7, 23, v12
	v_or3_b32 v2, v6, v7, v2
.LBB12_1596:
	s_or_b64 exec, exec, s[6:7]
	s_movk_i32 s4, 0x7f
	v_cmp_gt_i16_sdwa s[6:7], v3, s4 src0_sel:BYTE_3 src1_sel:DWORD
	s_mov_b64 s[4:5], 0
                                        ; implicit-def: $sgpr10
	s_and_saveexec_b64 s[8:9], s[6:7]
	s_xor_b64 s[6:7], exec, s[8:9]
	s_cbranch_execnz .LBB12_3645
; %bb.1597:
	s_or_saveexec_b64 s[6:7], s[6:7]
	v_mov_b32_e32 v6, s10
	s_xor_b64 exec, exec, s[6:7]
	s_cbranch_execnz .LBB12_3648
.LBB12_1598:
	s_or_b64 exec, exec, s[6:7]
	s_and_saveexec_b64 s[6:7], s[4:5]
	s_cbranch_execz .LBB12_1600
.LBB12_1599:
	v_bfe_u32 v6, v3, 24, 3
	v_ffbh_u32_e32 v14, v6
	v_min_u32_e32 v14, 32, v14
	v_lshrrev_b32_e32 v12, 27, v3
	v_subrev_u32_e32 v15, 28, v14
	v_and_b32_e32 v7, 0x80000000, v3
	v_and_b32_e32 v12, 15, v12
	v_bfe_u32 v13, v3, 27, 4
	v_lshlrev_b32_sdwa v3, v15, v3 dst_sel:DWORD dst_unused:UNUSED_PAD src0_sel:DWORD src1_sel:BYTE_3
	v_sub_u32_e32 v14, 29, v14
	v_and_b32_e32 v3, 7, v3
	v_cmp_eq_u16_e32 vcc, 0, v12
	v_cndmask_b32_e32 v3, v6, v3, vcc
	v_cndmask_b32_e32 v6, v13, v14, vcc
	v_mov_b32_e32 v12, 0x3b800000
	v_lshlrev_b32_e32 v3, 20, v3
	v_lshl_add_u32 v6, v6, 23, v12
	v_or3_b32 v6, v7, v6, v3
.LBB12_1600:
	s_or_b64 exec, exec, s[6:7]
	s_nop 0
	v_mfma_f32_16x16x4f32 a[0:3], v2, v6, a[0:3]
	s_movk_i32 s4, 0x7f
	v_cmp_gt_i16_sdwa s[6:7], v8, s4 src0_sel:BYTE_0 src1_sel:DWORD
	s_mov_b64 s[4:5], 0
                                        ; implicit-def: $sgpr10
	s_and_saveexec_b64 s[8:9], s[6:7]
	s_xor_b64 s[6:7], exec, s[8:9]
	s_cbranch_execnz .LBB12_3649
; %bb.1601:
	s_or_saveexec_b64 s[6:7], s[6:7]
	v_mov_b32_e32 v2, s10
	s_xor_b64 exec, exec, s[6:7]
	s_cbranch_execnz .LBB12_3652
.LBB12_1602:
	s_or_b64 exec, exec, s[6:7]
	s_and_saveexec_b64 s[6:7], s[4:5]
	s_cbranch_execz .LBB12_1604
.LBB12_1603:
	v_and_b32_e32 v2, 7, v8
	v_ffbh_u32_e32 v6, v2
	v_min_u32_e32 v6, 32, v6
	v_lshrrev_b16_e32 v3, 3, v8
	v_subrev_u32_e32 v7, 28, v6
	v_and_b32_e32 v3, 15, v3
	v_lshlrev_b32_e32 v7, v7, v8
	v_sub_u32_e32 v6, 29, v6
	v_and_b32_e32 v7, 7, v7
	v_cmp_eq_u16_e32 vcc, 0, v3
	v_cndmask_b32_e32 v2, v2, v7, vcc
	v_cndmask_b32_e32 v3, v3, v6, vcc
	v_lshlrev_b32_e32 v6, 24, v8
	v_mov_b32_e32 v7, 0x3b800000
	v_lshlrev_b32_e32 v2, 20, v2
	v_and_b32_e32 v6, 0x80000000, v6
	v_lshl_add_u32 v3, v3, 23, v7
	v_or3_b32 v2, v6, v3, v2
.LBB12_1604:
	s_or_b64 exec, exec, s[6:7]
	s_movk_i32 s4, 0x7f
	v_cmp_gt_i16_sdwa s[6:7], v4, s4 src0_sel:BYTE_0 src1_sel:DWORD
	s_mov_b64 s[4:5], 0
                                        ; implicit-def: $sgpr10
	s_and_saveexec_b64 s[8:9], s[6:7]
	s_xor_b64 s[6:7], exec, s[8:9]
	s_cbranch_execnz .LBB12_3653
; %bb.1605:
	s_or_saveexec_b64 s[6:7], s[6:7]
	v_mov_b32_e32 v3, s10
	s_xor_b64 exec, exec, s[6:7]
	s_cbranch_execnz .LBB12_3656
.LBB12_1606:
	s_or_b64 exec, exec, s[6:7]
	s_and_saveexec_b64 s[6:7], s[4:5]
	s_cbranch_execz .LBB12_1608
.LBB12_1607:
	v_and_b32_e32 v3, 7, v4
	v_ffbh_u32_e32 v7, v3
	v_min_u32_e32 v7, 32, v7
	v_lshrrev_b16_e32 v6, 3, v4
	v_subrev_u32_e32 v12, 28, v7
	v_and_b32_e32 v6, 15, v6
	v_lshlrev_b32_e32 v12, v12, v4
	v_sub_u32_e32 v7, 29, v7
	v_and_b32_e32 v12, 7, v12
	v_cmp_eq_u16_e32 vcc, 0, v6
	v_cndmask_b32_e32 v3, v3, v12, vcc
	v_cndmask_b32_e32 v6, v6, v7, vcc
	v_lshlrev_b32_e32 v7, 24, v4
	v_mov_b32_e32 v12, 0x3b800000
	v_lshlrev_b32_e32 v3, 20, v3
	v_and_b32_e32 v7, 0x80000000, v7
	v_lshl_add_u32 v6, v6, 23, v12
	v_or3_b32 v3, v7, v6, v3
.LBB12_1608:
	s_or_b64 exec, exec, s[6:7]
	s_nop 0
	v_mfma_f32_16x16x4f32 a[0:3], v2, v3, a[0:3]
	v_lshrrev_b32_e32 v3, 8, v8
	s_movk_i32 s4, 0x7f
	v_cmp_gt_i16_sdwa s[6:7], v3, s4 src0_sel:BYTE_0 src1_sel:DWORD
	s_mov_b64 s[4:5], 0
                                        ; implicit-def: $sgpr10
	s_and_saveexec_b64 s[8:9], s[6:7]
	s_xor_b64 s[6:7], exec, s[8:9]
	s_cbranch_execnz .LBB12_3657
; %bb.1609:
	s_or_saveexec_b64 s[6:7], s[6:7]
	v_mov_b32_e32 v2, s10
	s_xor_b64 exec, exec, s[6:7]
	s_cbranch_execnz .LBB12_3660
.LBB12_1610:
	s_or_b64 exec, exec, s[6:7]
	s_and_saveexec_b64 s[6:7], s[4:5]
	s_cbranch_execz .LBB12_1612
.LBB12_1611:
	v_bfe_u32 v2, v8, 8, 3
	v_ffbh_u32_e32 v7, v2
	v_min_u32_e32 v7, 32, v7
	v_lshrrev_b16_e32 v6, 3, v3
	v_subrev_u32_e32 v12, 28, v7
	v_and_b32_e32 v6, 15, v6
	v_lshlrev_b32_e32 v3, v12, v3
	v_sub_u32_e32 v7, 29, v7
	v_and_b32_e32 v3, 7, v3
	v_cmp_eq_u16_e32 vcc, 0, v6
	v_cndmask_b32_e32 v2, v2, v3, vcc
	v_cndmask_b32_e32 v3, v6, v7, vcc
	v_lshlrev_b32_e32 v6, 16, v8
	v_mov_b32_e32 v7, 0x3b800000
	v_lshlrev_b32_e32 v2, 20, v2
	v_and_b32_e32 v6, 0x80000000, v6
	v_lshl_add_u32 v3, v3, 23, v7
	v_or3_b32 v2, v6, v3, v2
.LBB12_1612:
	s_or_b64 exec, exec, s[6:7]
	v_lshrrev_b32_e32 v3, 8, v4
	s_movk_i32 s4, 0x7f
	v_cmp_gt_i16_sdwa s[6:7], v3, s4 src0_sel:BYTE_0 src1_sel:DWORD
	s_mov_b64 s[4:5], 0
                                        ; implicit-def: $sgpr10
	s_and_saveexec_b64 s[8:9], s[6:7]
	s_xor_b64 s[6:7], exec, s[8:9]
	s_cbranch_execnz .LBB12_3661
; %bb.1613:
	s_or_saveexec_b64 s[6:7], s[6:7]
	v_mov_b32_e32 v6, s10
	s_xor_b64 exec, exec, s[6:7]
	s_cbranch_execnz .LBB12_3664
.LBB12_1614:
	s_or_b64 exec, exec, s[6:7]
	s_and_saveexec_b64 s[6:7], s[4:5]
	s_cbranch_execz .LBB12_1616
.LBB12_1615:
	v_bfe_u32 v6, v4, 8, 3
	v_ffbh_u32_e32 v12, v6
	v_min_u32_e32 v12, 32, v12
	v_lshrrev_b16_e32 v7, 3, v3
	v_subrev_u32_e32 v13, 28, v12
	v_and_b32_e32 v7, 15, v7
	v_lshlrev_b32_e32 v3, v13, v3
	v_sub_u32_e32 v12, 29, v12
	v_and_b32_e32 v3, 7, v3
	v_cmp_eq_u16_e32 vcc, 0, v7
	v_cndmask_b32_e32 v3, v6, v3, vcc
	v_cndmask_b32_e32 v6, v7, v12, vcc
	v_lshlrev_b32_e32 v7, 16, v4
	v_mov_b32_e32 v12, 0x3b800000
	v_lshlrev_b32_e32 v3, 20, v3
	v_and_b32_e32 v7, 0x80000000, v7
	v_lshl_add_u32 v6, v6, 23, v12
	v_or3_b32 v6, v7, v6, v3
.LBB12_1616:
	s_or_b64 exec, exec, s[6:7]
	s_nop 0
	v_mfma_f32_16x16x4f32 a[0:3], v2, v6, a[0:3]
	s_movk_i32 s4, 0xff
	v_and_b32_sdwa v3, v8, s4 dst_sel:DWORD dst_unused:UNUSED_PAD src0_sel:WORD_1 src1_sel:DWORD
	s_movk_i32 s4, 0x7f
	v_cmp_lt_i16_e32 vcc, s4, v3
	s_mov_b64 s[4:5], 0
                                        ; implicit-def: $sgpr10
	s_and_saveexec_b64 s[6:7], vcc
	s_xor_b64 s[6:7], exec, s[6:7]
	s_cbranch_execnz .LBB12_3665
; %bb.1617:
	s_or_saveexec_b64 s[6:7], s[6:7]
	v_mov_b32_e32 v2, s10
	s_xor_b64 exec, exec, s[6:7]
	s_cbranch_execnz .LBB12_3668
.LBB12_1618:
	s_or_b64 exec, exec, s[6:7]
	s_and_saveexec_b64 s[6:7], s[4:5]
	s_cbranch_execz .LBB12_1620
.LBB12_1619:
	v_bfe_u32 v2, v8, 16, 3
	v_ffbh_u32_e32 v7, v2
	v_min_u32_e32 v7, 32, v7
	v_lshrrev_b32_e32 v3, 19, v8
	v_subrev_u32_e32 v12, 28, v7
	v_and_b32_e32 v3, 15, v3
	v_lshlrev_b32_sdwa v12, v12, v8 dst_sel:DWORD dst_unused:UNUSED_PAD src0_sel:DWORD src1_sel:WORD_1
	v_bfe_u32 v6, v8, 19, 4
	v_sub_u32_e32 v7, 29, v7
	v_and_b32_e32 v12, 7, v12
	v_cmp_eq_u16_e32 vcc, 0, v3
	v_cndmask_b32_e32 v2, v2, v12, vcc
	v_cndmask_b32_e32 v3, v6, v7, vcc
	v_lshlrev_b32_e32 v6, 8, v8
	v_mov_b32_e32 v7, 0x3b800000
	v_lshlrev_b32_e32 v2, 20, v2
	v_and_b32_e32 v6, 0x80000000, v6
	v_lshl_add_u32 v3, v3, 23, v7
	v_or3_b32 v2, v6, v3, v2
.LBB12_1620:
	s_or_b64 exec, exec, s[6:7]
	s_movk_i32 s4, 0xff
	v_and_b32_sdwa v3, v4, s4 dst_sel:DWORD dst_unused:UNUSED_PAD src0_sel:WORD_1 src1_sel:DWORD
	s_movk_i32 s4, 0x7f
	v_cmp_lt_i16_e32 vcc, s4, v3
	s_mov_b64 s[4:5], 0
                                        ; implicit-def: $sgpr10
	s_and_saveexec_b64 s[6:7], vcc
	s_xor_b64 s[6:7], exec, s[6:7]
	s_cbranch_execnz .LBB12_3669
; %bb.1621:
	s_or_saveexec_b64 s[6:7], s[6:7]
	v_mov_b32_e32 v6, s10
	s_xor_b64 exec, exec, s[6:7]
	s_cbranch_execnz .LBB12_3672
.LBB12_1622:
	s_or_b64 exec, exec, s[6:7]
	s_and_saveexec_b64 s[6:7], s[4:5]
	s_cbranch_execz .LBB12_1624
.LBB12_1623:
	v_bfe_u32 v3, v4, 16, 3
	v_ffbh_u32_e32 v12, v3
	v_min_u32_e32 v12, 32, v12
	v_lshrrev_b32_e32 v6, 19, v4
	v_subrev_u32_e32 v13, 28, v12
	v_and_b32_e32 v6, 15, v6
	v_lshlrev_b32_sdwa v13, v13, v4 dst_sel:DWORD dst_unused:UNUSED_PAD src0_sel:DWORD src1_sel:WORD_1
	v_bfe_u32 v7, v4, 19, 4
	v_sub_u32_e32 v12, 29, v12
	v_and_b32_e32 v13, 7, v13
	v_cmp_eq_u16_e32 vcc, 0, v6
	v_cndmask_b32_e32 v3, v3, v13, vcc
	v_cndmask_b32_e32 v6, v7, v12, vcc
	v_lshlrev_b32_e32 v7, 8, v4
	v_mov_b32_e32 v12, 0x3b800000
	v_lshlrev_b32_e32 v3, 20, v3
	v_and_b32_e32 v7, 0x80000000, v7
	v_lshl_add_u32 v6, v6, 23, v12
	v_or3_b32 v6, v7, v6, v3
.LBB12_1624:
	s_or_b64 exec, exec, s[6:7]
	s_nop 0
	v_mfma_f32_16x16x4f32 a[0:3], v2, v6, a[0:3]
	s_movk_i32 s4, 0x7f
	v_cmp_gt_i16_sdwa s[6:7], v8, s4 src0_sel:BYTE_3 src1_sel:DWORD
	s_mov_b64 s[4:5], 0
                                        ; implicit-def: $sgpr10
	s_and_saveexec_b64 s[8:9], s[6:7]
	s_xor_b64 s[6:7], exec, s[8:9]
	s_cbranch_execnz .LBB12_3673
; %bb.1625:
	s_or_saveexec_b64 s[6:7], s[6:7]
	v_mov_b32_e32 v2, s10
	s_xor_b64 exec, exec, s[6:7]
	s_cbranch_execnz .LBB12_3676
.LBB12_1626:
	s_or_b64 exec, exec, s[6:7]
	s_and_saveexec_b64 s[6:7], s[4:5]
	s_cbranch_execz .LBB12_1628
.LBB12_1627:
	v_bfe_u32 v2, v8, 24, 3
	v_ffbh_u32_e32 v12, v2
	v_min_u32_e32 v12, 32, v12
	v_lshrrev_b32_e32 v6, 27, v8
	v_subrev_u32_e32 v13, 28, v12
	v_and_b32_e32 v3, 0x80000000, v8
	v_and_b32_e32 v6, 15, v6
	v_bfe_u32 v7, v8, 27, 4
	v_lshlrev_b32_sdwa v8, v13, v8 dst_sel:DWORD dst_unused:UNUSED_PAD src0_sel:DWORD src1_sel:BYTE_3
	v_sub_u32_e32 v12, 29, v12
	v_and_b32_e32 v8, 7, v8
	v_cmp_eq_u16_e32 vcc, 0, v6
	v_cndmask_b32_e32 v2, v2, v8, vcc
	v_cndmask_b32_e32 v6, v7, v12, vcc
	v_mov_b32_e32 v7, 0x3b800000
	v_lshlrev_b32_e32 v2, 20, v2
	v_lshl_add_u32 v6, v6, 23, v7
	v_or3_b32 v2, v3, v6, v2
.LBB12_1628:
	s_or_b64 exec, exec, s[6:7]
	s_movk_i32 s4, 0x7f
	v_cmp_gt_i16_sdwa s[6:7], v4, s4 src0_sel:BYTE_3 src1_sel:DWORD
	s_mov_b64 s[4:5], 0
                                        ; implicit-def: $sgpr10
	s_and_saveexec_b64 s[8:9], s[6:7]
	s_xor_b64 s[6:7], exec, s[8:9]
	s_cbranch_execnz .LBB12_3677
; %bb.1629:
	s_or_saveexec_b64 s[6:7], s[6:7]
	v_mov_b32_e32 v3, s10
	s_xor_b64 exec, exec, s[6:7]
	s_cbranch_execnz .LBB12_3680
.LBB12_1630:
	s_or_b64 exec, exec, s[6:7]
	s_and_saveexec_b64 s[6:7], s[4:5]
	s_cbranch_execz .LBB12_1632
.LBB12_1631:
	v_bfe_u32 v3, v4, 24, 3
	v_ffbh_u32_e32 v12, v3
	v_min_u32_e32 v12, 32, v12
	v_lshrrev_b32_e32 v7, 27, v4
	v_subrev_u32_e32 v13, 28, v12
	v_and_b32_e32 v6, 0x80000000, v4
	v_and_b32_e32 v7, 15, v7
	v_bfe_u32 v8, v4, 27, 4
	v_lshlrev_b32_sdwa v4, v13, v4 dst_sel:DWORD dst_unused:UNUSED_PAD src0_sel:DWORD src1_sel:BYTE_3
	v_sub_u32_e32 v12, 29, v12
	v_and_b32_e32 v4, 7, v4
	v_cmp_eq_u16_e32 vcc, 0, v7
	v_cndmask_b32_e32 v3, v3, v4, vcc
	v_cndmask_b32_e32 v4, v8, v12, vcc
	v_mov_b32_e32 v7, 0x3b800000
	v_lshlrev_b32_e32 v3, 20, v3
	v_lshl_add_u32 v4, v4, 23, v7
	v_or3_b32 v3, v6, v4, v3
.LBB12_1632:
	s_or_b64 exec, exec, s[6:7]
	s_nop 0
	v_mfma_f32_16x16x4f32 a[0:3], v2, v3, a[0:3]
	s_movk_i32 s4, 0x7f
	v_cmp_gt_i16_sdwa s[6:7], v9, s4 src0_sel:BYTE_0 src1_sel:DWORD
	s_mov_b64 s[4:5], 0
                                        ; implicit-def: $sgpr10
	s_and_saveexec_b64 s[8:9], s[6:7]
	s_xor_b64 s[6:7], exec, s[8:9]
	s_cbranch_execnz .LBB12_3681
; %bb.1633:
	s_or_saveexec_b64 s[6:7], s[6:7]
	v_mov_b32_e32 v2, s10
	s_xor_b64 exec, exec, s[6:7]
	s_cbranch_execnz .LBB12_3684
.LBB12_1634:
	s_or_b64 exec, exec, s[6:7]
	s_and_saveexec_b64 s[6:7], s[4:5]
	s_cbranch_execz .LBB12_1636
.LBB12_1635:
	v_mov_b32_e32 v2, 8
	v_and_b32_e32 v3, 7, v9
	v_lshrrev_b32_sdwa v2, v2, v9 dst_sel:BYTE_1 dst_unused:UNUSED_PAD src0_sel:DWORD src1_sel:DWORD
	v_ffbh_u32_e32 v4, v3
	v_or_b32_sdwa v2, v9, v2 dst_sel:DWORD dst_unused:UNUSED_PAD src0_sel:BYTE_0 src1_sel:DWORD
	v_min_u32_e32 v4, 32, v4
	v_lshrrev_b16_e32 v2, 3, v2
	v_subrev_u32_e32 v6, 28, v4
	v_and_b32_e32 v2, 15, v2
	v_lshlrev_b32_e32 v6, v6, v9
	v_sub_u32_e32 v4, 29, v4
	v_and_b32_e32 v6, 7, v6
	v_cmp_eq_u16_e32 vcc, 0, v2
	v_cndmask_b32_e32 v3, v3, v6, vcc
	v_cndmask_b32_e32 v2, v2, v4, vcc
	v_lshlrev_b32_e32 v4, 24, v9
	v_mov_b32_e32 v6, 0x3b800000
	v_lshlrev_b32_e32 v3, 20, v3
	v_and_b32_e32 v4, 0x80000000, v4
	v_lshl_add_u32 v2, v2, 23, v6
	v_or3_b32 v2, v4, v2, v3
.LBB12_1636:
	s_or_b64 exec, exec, s[6:7]
	s_movk_i32 s4, 0x7f
	v_cmp_gt_i16_sdwa s[6:7], v5, s4 src0_sel:BYTE_0 src1_sel:DWORD
	s_mov_b64 s[4:5], 0
                                        ; implicit-def: $sgpr10
	s_and_saveexec_b64 s[8:9], s[6:7]
	s_xor_b64 s[6:7], exec, s[8:9]
	s_cbranch_execnz .LBB12_3685
; %bb.1637:
	s_or_saveexec_b64 s[6:7], s[6:7]
	v_mov_b32_e32 v3, s10
	s_xor_b64 exec, exec, s[6:7]
	s_cbranch_execnz .LBB12_3688
.LBB12_1638:
	s_or_b64 exec, exec, s[6:7]
	s_and_saveexec_b64 s[6:7], s[4:5]
	s_cbranch_execz .LBB12_1640
.LBB12_1639:
	v_mov_b32_e32 v3, 8
	v_and_b32_e32 v4, 7, v5
	v_lshrrev_b32_sdwa v3, v3, v5 dst_sel:BYTE_1 dst_unused:UNUSED_PAD src0_sel:DWORD src1_sel:DWORD
	v_ffbh_u32_e32 v6, v4
	v_or_b32_sdwa v3, v5, v3 dst_sel:DWORD dst_unused:UNUSED_PAD src0_sel:BYTE_0 src1_sel:DWORD
	v_min_u32_e32 v6, 32, v6
	v_lshrrev_b16_e32 v3, 3, v3
	v_subrev_u32_e32 v7, 28, v6
	v_and_b32_e32 v3, 15, v3
	v_lshlrev_b32_e32 v7, v7, v5
	v_sub_u32_e32 v6, 29, v6
	v_and_b32_e32 v7, 7, v7
	v_cmp_eq_u16_e32 vcc, 0, v3
	v_cndmask_b32_e32 v4, v4, v7, vcc
	v_cndmask_b32_e32 v3, v3, v6, vcc
	v_lshlrev_b32_e32 v6, 24, v5
	v_mov_b32_e32 v7, 0x3b800000
	v_lshlrev_b32_e32 v4, 20, v4
	v_and_b32_e32 v6, 0x80000000, v6
	v_lshl_add_u32 v3, v3, 23, v7
	v_or3_b32 v3, v6, v3, v4
.LBB12_1640:
	s_or_b64 exec, exec, s[6:7]
	s_nop 0
	v_mfma_f32_16x16x4f32 a[0:3], v2, v3, a[0:3]
	v_lshrrev_b32_e32 v3, 8, v9
	s_movk_i32 s4, 0x7f
	v_cmp_gt_i16_sdwa s[6:7], v3, s4 src0_sel:BYTE_0 src1_sel:DWORD
	s_mov_b64 s[4:5], 0
                                        ; implicit-def: $sgpr10
	s_and_saveexec_b64 s[8:9], s[6:7]
	s_xor_b64 s[6:7], exec, s[8:9]
	s_cbranch_execnz .LBB12_3689
; %bb.1641:
	s_or_saveexec_b64 s[6:7], s[6:7]
	v_mov_b32_e32 v2, s10
	s_xor_b64 exec, exec, s[6:7]
	s_cbranch_execnz .LBB12_3692
.LBB12_1642:
	s_or_b64 exec, exec, s[6:7]
	s_and_saveexec_b64 s[6:7], s[4:5]
	s_cbranch_execz .LBB12_1644
.LBB12_1643:
	v_bfe_u32 v2, v9, 8, 3
	v_ffbh_u32_e32 v6, v2
	v_min_u32_e32 v6, 32, v6
	v_lshrrev_b16_e32 v4, 3, v3
	v_subrev_u32_e32 v7, 28, v6
	v_and_b32_e32 v4, 15, v4
	v_lshlrev_b32_e32 v3, v7, v3
	v_sub_u32_e32 v6, 29, v6
	v_and_b32_e32 v3, 7, v3
	v_cmp_eq_u16_e32 vcc, 0, v4
	v_cndmask_b32_e32 v2, v2, v3, vcc
	v_cndmask_b32_e32 v3, v4, v6, vcc
	v_lshlrev_b32_e32 v4, 16, v9
	v_mov_b32_e32 v6, 0x3b800000
	v_lshlrev_b32_e32 v2, 20, v2
	v_and_b32_e32 v4, 0x80000000, v4
	v_lshl_add_u32 v3, v3, 23, v6
	v_or3_b32 v2, v4, v3, v2
.LBB12_1644:
	s_or_b64 exec, exec, s[6:7]
	v_lshrrev_b32_e32 v3, 8, v5
	s_movk_i32 s4, 0x7f
	v_cmp_gt_i16_sdwa s[6:7], v3, s4 src0_sel:BYTE_0 src1_sel:DWORD
	s_mov_b64 s[4:5], 0
                                        ; implicit-def: $sgpr10
	s_and_saveexec_b64 s[8:9], s[6:7]
	s_xor_b64 s[6:7], exec, s[8:9]
	s_cbranch_execnz .LBB12_3693
; %bb.1645:
	s_or_saveexec_b64 s[6:7], s[6:7]
	v_mov_b32_e32 v4, s10
	s_xor_b64 exec, exec, s[6:7]
	s_cbranch_execnz .LBB12_3696
.LBB12_1646:
	s_or_b64 exec, exec, s[6:7]
	s_and_saveexec_b64 s[6:7], s[4:5]
	s_cbranch_execz .LBB12_1648
.LBB12_1647:
	v_bfe_u32 v4, v5, 8, 3
	v_ffbh_u32_e32 v7, v4
	v_min_u32_e32 v7, 32, v7
	v_lshrrev_b16_e32 v6, 3, v3
	v_subrev_u32_e32 v8, 28, v7
	v_and_b32_e32 v6, 15, v6
	v_lshlrev_b32_e32 v3, v8, v3
	v_sub_u32_e32 v7, 29, v7
	v_and_b32_e32 v3, 7, v3
	v_cmp_eq_u16_e32 vcc, 0, v6
	v_cndmask_b32_e32 v3, v4, v3, vcc
	v_cndmask_b32_e32 v4, v6, v7, vcc
	v_lshlrev_b32_e32 v6, 16, v5
	v_mov_b32_e32 v7, 0x3b800000
	v_lshlrev_b32_e32 v3, 20, v3
	v_and_b32_e32 v6, 0x80000000, v6
	v_lshl_add_u32 v4, v4, 23, v7
	v_or3_b32 v4, v6, v4, v3
.LBB12_1648:
	s_or_b64 exec, exec, s[6:7]
	s_nop 0
	v_mfma_f32_16x16x4f32 a[0:3], v2, v4, a[0:3]
	s_movk_i32 s4, 0xff
	v_and_b32_sdwa v3, v9, s4 dst_sel:DWORD dst_unused:UNUSED_PAD src0_sel:WORD_1 src1_sel:DWORD
	s_movk_i32 s4, 0x7f
	v_cmp_lt_i16_e32 vcc, s4, v3
	s_mov_b64 s[4:5], 0
                                        ; implicit-def: $sgpr10
	s_and_saveexec_b64 s[6:7], vcc
	s_xor_b64 s[6:7], exec, s[6:7]
	s_cbranch_execnz .LBB12_3697
; %bb.1649:
	s_or_saveexec_b64 s[6:7], s[6:7]
	v_mov_b32_e32 v2, s10
	s_xor_b64 exec, exec, s[6:7]
	s_cbranch_execnz .LBB12_3700
.LBB12_1650:
	s_or_b64 exec, exec, s[6:7]
	s_and_saveexec_b64 s[6:7], s[4:5]
	s_cbranch_execz .LBB12_1652
.LBB12_1651:
	v_bfe_u32 v2, v9, 16, 3
	v_ffbh_u32_e32 v6, v2
	v_min_u32_e32 v6, 32, v6
	v_lshrrev_b32_e32 v3, 19, v9
	v_subrev_u32_e32 v7, 28, v6
	v_and_b32_e32 v3, 15, v3
	v_lshlrev_b32_sdwa v7, v7, v9 dst_sel:DWORD dst_unused:UNUSED_PAD src0_sel:DWORD src1_sel:WORD_1
	v_bfe_u32 v4, v9, 19, 4
	v_sub_u32_e32 v6, 29, v6
	v_and_b32_e32 v7, 7, v7
	v_cmp_eq_u16_e32 vcc, 0, v3
	v_cndmask_b32_e32 v2, v2, v7, vcc
	v_cndmask_b32_e32 v3, v4, v6, vcc
	v_lshlrev_b32_e32 v4, 8, v9
	v_mov_b32_e32 v6, 0x3b800000
	v_lshlrev_b32_e32 v2, 20, v2
	v_and_b32_e32 v4, 0x80000000, v4
	v_lshl_add_u32 v3, v3, 23, v6
	v_or3_b32 v2, v4, v3, v2
.LBB12_1652:
	s_or_b64 exec, exec, s[6:7]
	s_movk_i32 s4, 0xff
	v_and_b32_sdwa v3, v5, s4 dst_sel:DWORD dst_unused:UNUSED_PAD src0_sel:WORD_1 src1_sel:DWORD
	s_movk_i32 s4, 0x7f
	v_cmp_lt_i16_e32 vcc, s4, v3
	s_mov_b64 s[4:5], 0
                                        ; implicit-def: $sgpr10
	s_and_saveexec_b64 s[6:7], vcc
	s_xor_b64 s[6:7], exec, s[6:7]
	s_cbranch_execnz .LBB12_3701
; %bb.1653:
	s_or_saveexec_b64 s[6:7], s[6:7]
	v_mov_b32_e32 v4, s10
	s_xor_b64 exec, exec, s[6:7]
	s_cbranch_execnz .LBB12_3704
.LBB12_1654:
	s_or_b64 exec, exec, s[6:7]
	s_and_saveexec_b64 s[6:7], s[4:5]
	s_cbranch_execz .LBB12_1656
.LBB12_1655:
	v_bfe_u32 v3, v5, 16, 3
	v_ffbh_u32_e32 v7, v3
	v_min_u32_e32 v7, 32, v7
	v_lshrrev_b32_e32 v4, 19, v5
	v_subrev_u32_e32 v8, 28, v7
	v_and_b32_e32 v4, 15, v4
	v_lshlrev_b32_sdwa v8, v8, v5 dst_sel:DWORD dst_unused:UNUSED_PAD src0_sel:DWORD src1_sel:WORD_1
	v_bfe_u32 v6, v5, 19, 4
	v_sub_u32_e32 v7, 29, v7
	v_and_b32_e32 v8, 7, v8
	v_cmp_eq_u16_e32 vcc, 0, v4
	v_cndmask_b32_e32 v3, v3, v8, vcc
	v_cndmask_b32_e32 v4, v6, v7, vcc
	v_lshlrev_b32_e32 v6, 8, v5
	v_mov_b32_e32 v7, 0x3b800000
	v_lshlrev_b32_e32 v3, 20, v3
	v_and_b32_e32 v6, 0x80000000, v6
	v_lshl_add_u32 v4, v4, 23, v7
	v_or3_b32 v4, v6, v4, v3
.LBB12_1656:
	s_or_b64 exec, exec, s[6:7]
	s_nop 0
	v_mfma_f32_16x16x4f32 a[0:3], v2, v4, a[0:3]
	s_movk_i32 s4, 0x7f
	v_cmp_gt_i16_sdwa s[6:7], v9, s4 src0_sel:BYTE_3 src1_sel:DWORD
	s_mov_b64 s[4:5], 0
                                        ; implicit-def: $sgpr10
	s_and_saveexec_b64 s[8:9], s[6:7]
	s_xor_b64 s[6:7], exec, s[8:9]
	s_cbranch_execnz .LBB12_3705
; %bb.1657:
	s_or_saveexec_b64 s[6:7], s[6:7]
	v_mov_b32_e32 v2, s10
	s_xor_b64 exec, exec, s[6:7]
	s_cbranch_execnz .LBB12_3708
.LBB12_1658:
	s_or_b64 exec, exec, s[6:7]
	s_and_saveexec_b64 s[6:7], s[4:5]
	s_cbranch_execz .LBB12_1660
.LBB12_1659:
	v_bfe_u32 v2, v9, 24, 3
	v_ffbh_u32_e32 v7, v2
	v_min_u32_e32 v7, 32, v7
	v_lshrrev_b32_e32 v4, 27, v9
	v_subrev_u32_e32 v8, 28, v7
	v_and_b32_e32 v4, 15, v4
	v_lshlrev_b32_sdwa v8, v8, v9 dst_sel:DWORD dst_unused:UNUSED_PAD src0_sel:DWORD src1_sel:BYTE_3
	v_bfe_u32 v6, v9, 27, 4
	v_sub_u32_e32 v7, 29, v7
	v_and_b32_e32 v8, 7, v8
	v_cmp_eq_u16_e32 vcc, 0, v4
	v_cndmask_b32_e32 v2, v2, v8, vcc
	v_cndmask_b32_e32 v4, v6, v7, vcc
	v_mov_b32_e32 v6, 0x3b800000
	v_and_b32_e32 v3, 0x80000000, v9
	v_lshlrev_b32_e32 v2, 20, v2
	v_lshl_add_u32 v4, v4, 23, v6
	v_or3_b32 v2, v3, v4, v2
.LBB12_1660:
	s_or_b64 exec, exec, s[6:7]
	s_movk_i32 s4, 0x7f
	v_cmp_gt_i16_sdwa s[6:7], v5, s4 src0_sel:BYTE_3 src1_sel:DWORD
	s_mov_b64 s[4:5], 0
                                        ; implicit-def: $sgpr10
	s_and_saveexec_b64 s[8:9], s[6:7]
	s_xor_b64 s[6:7], exec, s[8:9]
	s_cbranch_execnz .LBB12_3709
; %bb.1661:
	s_or_saveexec_b64 s[6:7], s[6:7]
	v_mov_b32_e32 v3, s10
	s_xor_b64 exec, exec, s[6:7]
	s_cbranch_execnz .LBB12_3712
.LBB12_1662:
	s_or_b64 exec, exec, s[6:7]
	s_and_saveexec_b64 s[6:7], s[4:5]
	s_cbranch_execz .LBB12_1664
.LBB12_1663:
	v_bfe_u32 v3, v5, 24, 3
	v_ffbh_u32_e32 v8, v3
	v_min_u32_e32 v8, 32, v8
	v_lshrrev_b32_e32 v6, 27, v5
	v_subrev_u32_e32 v9, 28, v8
	v_and_b32_e32 v4, 0x80000000, v5
	v_and_b32_e32 v6, 15, v6
	v_bfe_u32 v7, v5, 27, 4
	v_lshlrev_b32_sdwa v5, v9, v5 dst_sel:DWORD dst_unused:UNUSED_PAD src0_sel:DWORD src1_sel:BYTE_3
	v_sub_u32_e32 v8, 29, v8
	v_and_b32_e32 v5, 7, v5
	v_cmp_eq_u16_e32 vcc, 0, v6
	v_cndmask_b32_e32 v3, v3, v5, vcc
	v_cndmask_b32_e32 v5, v7, v8, vcc
	v_mov_b32_e32 v6, 0x3b800000
	v_lshlrev_b32_e32 v3, 20, v3
	v_lshl_add_u32 v5, v5, 23, v6
	v_or3_b32 v3, v4, v5, v3
.LBB12_1664:
	s_or_b64 exec, exec, s[6:7]
	s_nop 0
	v_mfma_f32_16x16x4f32 a[0:3], v2, v3, a[0:3]
	s_movk_i32 s4, 0x7f
                                        ; implicit-def: $sgpr10
	s_nop 7
	s_nop 1
	flat_store_dwordx4 v[10:11], a[0:3] offset:192
	flat_load_dwordx4 v[12:15], v[0:1] offset:8
	s_nop 0
	flat_load_dwordx2 v[10:11], v[0:1] offset:32
	s_waitcnt vmcnt(0) lgkmcnt(0)
	flat_load_dwordx4 v[6:9], v[12:13] offset:96
	flat_load_dwordx4 v[2:5], v[14:15] offset:32
	s_waitcnt vmcnt(0) lgkmcnt(0)
	v_cmp_gt_i16_sdwa s[6:7], v6, s4 src0_sel:BYTE_0 src1_sel:DWORD
	s_mov_b64 s[4:5], 0
	s_and_saveexec_b64 s[8:9], s[6:7]
	s_xor_b64 s[6:7], exec, s[8:9]
	s_cbranch_execnz .LBB12_3713
; %bb.1665:
	s_or_saveexec_b64 s[6:7], s[6:7]
	v_mov_b32_e32 v12, s10
	s_xor_b64 exec, exec, s[6:7]
	s_cbranch_execnz .LBB12_3716
.LBB12_1666:
	s_or_b64 exec, exec, s[6:7]
	s_and_saveexec_b64 s[6:7], s[4:5]
	s_cbranch_execz .LBB12_1668
.LBB12_1667:
	v_and_b32_e32 v12, 7, v6
	v_ffbh_u32_e32 v14, v12
	v_min_u32_e32 v14, 32, v14
	v_lshrrev_b16_e32 v13, 3, v6
	v_subrev_u32_e32 v15, 28, v14
	v_and_b32_e32 v13, 15, v13
	v_lshlrev_b32_e32 v15, v15, v6
	v_sub_u32_e32 v14, 29, v14
	v_and_b32_e32 v15, 7, v15
	v_cmp_eq_u16_e32 vcc, 0, v13
	v_cndmask_b32_e32 v12, v12, v15, vcc
	v_cndmask_b32_e32 v13, v13, v14, vcc
	v_lshlrev_b32_e32 v14, 24, v6
	v_mov_b32_e32 v15, 0x3b800000
	v_lshlrev_b32_e32 v12, 20, v12
	v_and_b32_e32 v14, 0x80000000, v14
	v_lshl_add_u32 v13, v13, 23, v15
	v_or3_b32 v12, v14, v13, v12
.LBB12_1668:
	s_or_b64 exec, exec, s[6:7]
	s_movk_i32 s4, 0x7f
	v_cmp_gt_i16_sdwa s[6:7], v2, s4 src0_sel:BYTE_0 src1_sel:DWORD
	s_mov_b64 s[4:5], 0
                                        ; implicit-def: $sgpr10
	s_and_saveexec_b64 s[8:9], s[6:7]
	s_xor_b64 s[6:7], exec, s[8:9]
	s_cbranch_execnz .LBB12_3717
; %bb.1669:
	s_or_saveexec_b64 s[6:7], s[6:7]
	v_mov_b32_e32 v13, s10
	s_xor_b64 exec, exec, s[6:7]
	s_cbranch_execnz .LBB12_3720
.LBB12_1670:
	s_or_b64 exec, exec, s[6:7]
	s_and_saveexec_b64 s[6:7], s[4:5]
	s_cbranch_execz .LBB12_1672
.LBB12_1671:
	v_and_b32_e32 v13, 7, v2
	v_ffbh_u32_e32 v15, v13
	v_min_u32_e32 v15, 32, v15
	v_lshrrev_b16_e32 v14, 3, v2
	v_subrev_u32_e32 v16, 28, v15
	v_and_b32_e32 v14, 15, v14
	v_lshlrev_b32_e32 v16, v16, v2
	v_sub_u32_e32 v15, 29, v15
	v_and_b32_e32 v16, 7, v16
	v_cmp_eq_u16_e32 vcc, 0, v14
	v_cndmask_b32_e32 v13, v13, v16, vcc
	v_cndmask_b32_e32 v14, v14, v15, vcc
	v_lshlrev_b32_e32 v15, 24, v2
	v_mov_b32_e32 v16, 0x3b800000
	v_lshlrev_b32_e32 v13, 20, v13
	v_and_b32_e32 v15, 0x80000000, v15
	v_lshl_add_u32 v14, v14, 23, v16
	v_or3_b32 v13, v15, v14, v13
.LBB12_1672:
	s_or_b64 exec, exec, s[6:7]
	flat_load_dwordx4 a[0:3], v[10:11] offset:208
	s_movk_i32 s4, 0x7f
                                        ; implicit-def: $sgpr10
	s_waitcnt vmcnt(0) lgkmcnt(0)
	v_mfma_f32_16x16x4f32 a[0:3], v12, v13, a[0:3]
	v_lshrrev_b32_e32 v13, 8, v6
	v_cmp_gt_i16_sdwa s[6:7], v13, s4 src0_sel:BYTE_0 src1_sel:DWORD
	s_mov_b64 s[4:5], 0
	s_and_saveexec_b64 s[8:9], s[6:7]
	s_xor_b64 s[6:7], exec, s[8:9]
	s_cbranch_execnz .LBB12_3721
; %bb.1673:
	s_or_saveexec_b64 s[6:7], s[6:7]
	v_mov_b32_e32 v12, s10
	s_xor_b64 exec, exec, s[6:7]
	s_cbranch_execnz .LBB12_3724
.LBB12_1674:
	s_or_b64 exec, exec, s[6:7]
	s_and_saveexec_b64 s[6:7], s[4:5]
	s_cbranch_execz .LBB12_1676
.LBB12_1675:
	v_bfe_u32 v12, v6, 8, 3
	v_ffbh_u32_e32 v15, v12
	v_min_u32_e32 v15, 32, v15
	v_lshrrev_b16_e32 v14, 3, v13
	v_subrev_u32_e32 v16, 28, v15
	v_and_b32_e32 v14, 15, v14
	v_lshlrev_b32_e32 v13, v16, v13
	v_sub_u32_e32 v15, 29, v15
	v_and_b32_e32 v13, 7, v13
	v_cmp_eq_u16_e32 vcc, 0, v14
	v_cndmask_b32_e32 v12, v12, v13, vcc
	v_cndmask_b32_e32 v13, v14, v15, vcc
	v_lshlrev_b32_e32 v14, 16, v6
	v_mov_b32_e32 v15, 0x3b800000
	v_lshlrev_b32_e32 v12, 20, v12
	v_and_b32_e32 v14, 0x80000000, v14
	v_lshl_add_u32 v13, v13, 23, v15
	v_or3_b32 v12, v14, v13, v12
.LBB12_1676:
	s_or_b64 exec, exec, s[6:7]
	v_lshrrev_b32_e32 v13, 8, v2
	s_movk_i32 s4, 0x7f
	v_cmp_gt_i16_sdwa s[6:7], v13, s4 src0_sel:BYTE_0 src1_sel:DWORD
	s_mov_b64 s[4:5], 0
                                        ; implicit-def: $sgpr10
	s_and_saveexec_b64 s[8:9], s[6:7]
	s_xor_b64 s[6:7], exec, s[8:9]
	s_cbranch_execnz .LBB12_3725
; %bb.1677:
	s_or_saveexec_b64 s[6:7], s[6:7]
	v_mov_b32_e32 v14, s10
	s_xor_b64 exec, exec, s[6:7]
	s_cbranch_execnz .LBB12_3728
.LBB12_1678:
	s_or_b64 exec, exec, s[6:7]
	s_and_saveexec_b64 s[6:7], s[4:5]
	s_cbranch_execz .LBB12_1680
.LBB12_1679:
	v_bfe_u32 v14, v2, 8, 3
	v_ffbh_u32_e32 v16, v14
	v_min_u32_e32 v16, 32, v16
	v_lshrrev_b16_e32 v15, 3, v13
	v_subrev_u32_e32 v17, 28, v16
	v_and_b32_e32 v15, 15, v15
	v_lshlrev_b32_e32 v13, v17, v13
	v_sub_u32_e32 v16, 29, v16
	v_and_b32_e32 v13, 7, v13
	v_cmp_eq_u16_e32 vcc, 0, v15
	v_cndmask_b32_e32 v13, v14, v13, vcc
	v_cndmask_b32_e32 v14, v15, v16, vcc
	v_lshlrev_b32_e32 v15, 16, v2
	v_mov_b32_e32 v16, 0x3b800000
	v_lshlrev_b32_e32 v13, 20, v13
	v_and_b32_e32 v15, 0x80000000, v15
	v_lshl_add_u32 v14, v14, 23, v16
	v_or3_b32 v14, v15, v14, v13
.LBB12_1680:
	s_or_b64 exec, exec, s[6:7]
	s_nop 0
	v_mfma_f32_16x16x4f32 a[0:3], v12, v14, a[0:3]
	s_movk_i32 s4, 0xff
	v_and_b32_sdwa v13, v6, s4 dst_sel:DWORD dst_unused:UNUSED_PAD src0_sel:WORD_1 src1_sel:DWORD
	s_movk_i32 s4, 0x7f
	v_cmp_lt_i16_e32 vcc, s4, v13
	s_mov_b64 s[4:5], 0
                                        ; implicit-def: $sgpr10
	s_and_saveexec_b64 s[6:7], vcc
	s_xor_b64 s[6:7], exec, s[6:7]
	s_cbranch_execnz .LBB12_3729
; %bb.1681:
	s_or_saveexec_b64 s[6:7], s[6:7]
	v_mov_b32_e32 v12, s10
	s_xor_b64 exec, exec, s[6:7]
	s_cbranch_execnz .LBB12_3732
.LBB12_1682:
	s_or_b64 exec, exec, s[6:7]
	s_and_saveexec_b64 s[6:7], s[4:5]
	s_cbranch_execz .LBB12_1684
.LBB12_1683:
	v_bfe_u32 v12, v6, 16, 3
	v_ffbh_u32_e32 v15, v12
	v_min_u32_e32 v15, 32, v15
	v_lshrrev_b32_e32 v13, 19, v6
	v_subrev_u32_e32 v16, 28, v15
	v_and_b32_e32 v13, 15, v13
	v_lshlrev_b32_sdwa v16, v16, v6 dst_sel:DWORD dst_unused:UNUSED_PAD src0_sel:DWORD src1_sel:WORD_1
	v_bfe_u32 v14, v6, 19, 4
	v_sub_u32_e32 v15, 29, v15
	v_and_b32_e32 v16, 7, v16
	v_cmp_eq_u16_e32 vcc, 0, v13
	v_cndmask_b32_e32 v12, v12, v16, vcc
	v_cndmask_b32_e32 v13, v14, v15, vcc
	v_lshlrev_b32_e32 v14, 8, v6
	v_mov_b32_e32 v15, 0x3b800000
	v_lshlrev_b32_e32 v12, 20, v12
	v_and_b32_e32 v14, 0x80000000, v14
	v_lshl_add_u32 v13, v13, 23, v15
	v_or3_b32 v12, v14, v13, v12
.LBB12_1684:
	s_or_b64 exec, exec, s[6:7]
	s_movk_i32 s4, 0xff
	v_and_b32_sdwa v13, v2, s4 dst_sel:DWORD dst_unused:UNUSED_PAD src0_sel:WORD_1 src1_sel:DWORD
	s_movk_i32 s4, 0x7f
	v_cmp_lt_i16_e32 vcc, s4, v13
	s_mov_b64 s[4:5], 0
                                        ; implicit-def: $sgpr10
	s_and_saveexec_b64 s[6:7], vcc
	s_xor_b64 s[6:7], exec, s[6:7]
	s_cbranch_execnz .LBB12_3733
; %bb.1685:
	s_or_saveexec_b64 s[6:7], s[6:7]
	v_mov_b32_e32 v14, s10
	s_xor_b64 exec, exec, s[6:7]
	s_cbranch_execnz .LBB12_3736
.LBB12_1686:
	s_or_b64 exec, exec, s[6:7]
	s_and_saveexec_b64 s[6:7], s[4:5]
	s_cbranch_execz .LBB12_1688
.LBB12_1687:
	v_bfe_u32 v13, v2, 16, 3
	v_ffbh_u32_e32 v16, v13
	v_min_u32_e32 v16, 32, v16
	v_lshrrev_b32_e32 v14, 19, v2
	v_subrev_u32_e32 v17, 28, v16
	v_and_b32_e32 v14, 15, v14
	v_lshlrev_b32_sdwa v17, v17, v2 dst_sel:DWORD dst_unused:UNUSED_PAD src0_sel:DWORD src1_sel:WORD_1
	v_bfe_u32 v15, v2, 19, 4
	v_sub_u32_e32 v16, 29, v16
	v_and_b32_e32 v17, 7, v17
	v_cmp_eq_u16_e32 vcc, 0, v14
	v_cndmask_b32_e32 v13, v13, v17, vcc
	v_cndmask_b32_e32 v14, v15, v16, vcc
	v_lshlrev_b32_e32 v15, 8, v2
	v_mov_b32_e32 v16, 0x3b800000
	v_lshlrev_b32_e32 v13, 20, v13
	v_and_b32_e32 v15, 0x80000000, v15
	v_lshl_add_u32 v14, v14, 23, v16
	v_or3_b32 v14, v15, v14, v13
.LBB12_1688:
	s_or_b64 exec, exec, s[6:7]
	s_nop 0
	v_mfma_f32_16x16x4f32 a[0:3], v12, v14, a[0:3]
	s_movk_i32 s4, 0x7f
	v_cmp_gt_i16_sdwa s[6:7], v6, s4 src0_sel:BYTE_3 src1_sel:DWORD
	s_mov_b64 s[4:5], 0
                                        ; implicit-def: $sgpr10
	s_and_saveexec_b64 s[8:9], s[6:7]
	s_xor_b64 s[6:7], exec, s[8:9]
	s_cbranch_execnz .LBB12_3737
; %bb.1689:
	s_or_saveexec_b64 s[6:7], s[6:7]
	v_mov_b32_e32 v12, s10
	s_xor_b64 exec, exec, s[6:7]
	s_cbranch_execnz .LBB12_3740
.LBB12_1690:
	s_or_b64 exec, exec, s[6:7]
	s_and_saveexec_b64 s[6:7], s[4:5]
	s_cbranch_execz .LBB12_1692
.LBB12_1691:
	v_bfe_u32 v12, v6, 24, 3
	v_ffbh_u32_e32 v16, v12
	v_min_u32_e32 v16, 32, v16
	v_lshrrev_b32_e32 v14, 27, v6
	v_subrev_u32_e32 v17, 28, v16
	v_and_b32_e32 v13, 0x80000000, v6
	v_and_b32_e32 v14, 15, v14
	v_bfe_u32 v15, v6, 27, 4
	v_lshlrev_b32_sdwa v6, v17, v6 dst_sel:DWORD dst_unused:UNUSED_PAD src0_sel:DWORD src1_sel:BYTE_3
	v_sub_u32_e32 v16, 29, v16
	v_and_b32_e32 v6, 7, v6
	v_cmp_eq_u16_e32 vcc, 0, v14
	v_cndmask_b32_e32 v6, v12, v6, vcc
	v_cndmask_b32_e32 v12, v15, v16, vcc
	v_mov_b32_e32 v14, 0x3b800000
	v_lshlrev_b32_e32 v6, 20, v6
	v_lshl_add_u32 v12, v12, 23, v14
	v_or3_b32 v12, v13, v12, v6
.LBB12_1692:
	s_or_b64 exec, exec, s[6:7]
	s_movk_i32 s4, 0x7f
	v_cmp_gt_i16_sdwa s[6:7], v2, s4 src0_sel:BYTE_3 src1_sel:DWORD
	s_mov_b64 s[4:5], 0
                                        ; implicit-def: $sgpr10
	s_and_saveexec_b64 s[8:9], s[6:7]
	s_xor_b64 s[6:7], exec, s[8:9]
	s_cbranch_execnz .LBB12_3741
; %bb.1693:
	s_or_saveexec_b64 s[6:7], s[6:7]
	v_mov_b32_e32 v6, s10
	s_xor_b64 exec, exec, s[6:7]
	s_cbranch_execnz .LBB12_3744
.LBB12_1694:
	s_or_b64 exec, exec, s[6:7]
	s_and_saveexec_b64 s[6:7], s[4:5]
	s_cbranch_execz .LBB12_1696
.LBB12_1695:
	v_bfe_u32 v6, v2, 24, 3
	v_ffbh_u32_e32 v16, v6
	v_min_u32_e32 v16, 32, v16
	v_lshrrev_b32_e32 v14, 27, v2
	v_subrev_u32_e32 v17, 28, v16
	v_and_b32_e32 v13, 0x80000000, v2
	v_and_b32_e32 v14, 15, v14
	v_bfe_u32 v15, v2, 27, 4
	v_lshlrev_b32_sdwa v2, v17, v2 dst_sel:DWORD dst_unused:UNUSED_PAD src0_sel:DWORD src1_sel:BYTE_3
	v_sub_u32_e32 v16, 29, v16
	v_and_b32_e32 v2, 7, v2
	v_cmp_eq_u16_e32 vcc, 0, v14
	v_cndmask_b32_e32 v2, v6, v2, vcc
	v_cndmask_b32_e32 v6, v15, v16, vcc
	v_mov_b32_e32 v14, 0x3b800000
	v_lshlrev_b32_e32 v2, 20, v2
	v_lshl_add_u32 v6, v6, 23, v14
	v_or3_b32 v6, v13, v6, v2
.LBB12_1696:
	s_or_b64 exec, exec, s[6:7]
	s_nop 0
	v_mfma_f32_16x16x4f32 a[0:3], v12, v6, a[0:3]
	s_movk_i32 s4, 0x7f
	v_cmp_gt_i16_sdwa s[6:7], v7, s4 src0_sel:BYTE_0 src1_sel:DWORD
	s_mov_b64 s[4:5], 0
                                        ; implicit-def: $sgpr10
	s_and_saveexec_b64 s[8:9], s[6:7]
	s_xor_b64 s[6:7], exec, s[8:9]
	s_cbranch_execnz .LBB12_3745
; %bb.1697:
	s_or_saveexec_b64 s[6:7], s[6:7]
	v_mov_b32_e32 v2, s10
	s_xor_b64 exec, exec, s[6:7]
	s_cbranch_execnz .LBB12_3748
.LBB12_1698:
	s_or_b64 exec, exec, s[6:7]
	s_and_saveexec_b64 s[6:7], s[4:5]
	s_cbranch_execz .LBB12_1700
.LBB12_1699:
	v_and_b32_e32 v2, 7, v7
	v_ffbh_u32_e32 v12, v2
	v_min_u32_e32 v12, 32, v12
	v_lshrrev_b16_e32 v6, 3, v7
	v_subrev_u32_e32 v13, 28, v12
	v_and_b32_e32 v6, 15, v6
	v_lshlrev_b32_e32 v13, v13, v7
	v_sub_u32_e32 v12, 29, v12
	v_and_b32_e32 v13, 7, v13
	v_cmp_eq_u16_e32 vcc, 0, v6
	v_cndmask_b32_e32 v2, v2, v13, vcc
	v_cndmask_b32_e32 v6, v6, v12, vcc
	v_lshlrev_b32_e32 v12, 24, v7
	v_mov_b32_e32 v13, 0x3b800000
	v_lshlrev_b32_e32 v2, 20, v2
	v_and_b32_e32 v12, 0x80000000, v12
	v_lshl_add_u32 v6, v6, 23, v13
	v_or3_b32 v2, v12, v6, v2
.LBB12_1700:
	s_or_b64 exec, exec, s[6:7]
	s_movk_i32 s4, 0x7f
	v_cmp_gt_i16_sdwa s[6:7], v3, s4 src0_sel:BYTE_0 src1_sel:DWORD
	s_mov_b64 s[4:5], 0
                                        ; implicit-def: $sgpr10
	s_and_saveexec_b64 s[8:9], s[6:7]
	s_xor_b64 s[6:7], exec, s[8:9]
	s_cbranch_execnz .LBB12_3749
; %bb.1701:
	s_or_saveexec_b64 s[6:7], s[6:7]
	v_mov_b32_e32 v6, s10
	s_xor_b64 exec, exec, s[6:7]
	s_cbranch_execnz .LBB12_3752
.LBB12_1702:
	s_or_b64 exec, exec, s[6:7]
	s_and_saveexec_b64 s[6:7], s[4:5]
	s_cbranch_execz .LBB12_1704
.LBB12_1703:
	v_and_b32_e32 v6, 7, v3
	v_ffbh_u32_e32 v13, v6
	v_min_u32_e32 v13, 32, v13
	v_lshrrev_b16_e32 v12, 3, v3
	v_subrev_u32_e32 v14, 28, v13
	v_and_b32_e32 v12, 15, v12
	v_lshlrev_b32_e32 v14, v14, v3
	v_sub_u32_e32 v13, 29, v13
	v_and_b32_e32 v14, 7, v14
	v_cmp_eq_u16_e32 vcc, 0, v12
	v_cndmask_b32_e32 v6, v6, v14, vcc
	v_cndmask_b32_e32 v12, v12, v13, vcc
	v_lshlrev_b32_e32 v13, 24, v3
	v_mov_b32_e32 v14, 0x3b800000
	v_lshlrev_b32_e32 v6, 20, v6
	v_and_b32_e32 v13, 0x80000000, v13
	v_lshl_add_u32 v12, v12, 23, v14
	v_or3_b32 v6, v13, v12, v6
.LBB12_1704:
	s_or_b64 exec, exec, s[6:7]
	s_nop 0
	v_mfma_f32_16x16x4f32 a[0:3], v2, v6, a[0:3]
	v_lshrrev_b32_e32 v6, 8, v7
	s_movk_i32 s4, 0x7f
	v_cmp_gt_i16_sdwa s[6:7], v6, s4 src0_sel:BYTE_0 src1_sel:DWORD
	s_mov_b64 s[4:5], 0
                                        ; implicit-def: $sgpr10
	s_and_saveexec_b64 s[8:9], s[6:7]
	s_xor_b64 s[6:7], exec, s[8:9]
	s_cbranch_execnz .LBB12_3753
; %bb.1705:
	s_or_saveexec_b64 s[6:7], s[6:7]
	v_mov_b32_e32 v2, s10
	s_xor_b64 exec, exec, s[6:7]
	s_cbranch_execnz .LBB12_3756
.LBB12_1706:
	s_or_b64 exec, exec, s[6:7]
	s_and_saveexec_b64 s[6:7], s[4:5]
	s_cbranch_execz .LBB12_1708
.LBB12_1707:
	v_bfe_u32 v2, v7, 8, 3
	v_ffbh_u32_e32 v13, v2
	v_min_u32_e32 v13, 32, v13
	v_lshrrev_b16_e32 v12, 3, v6
	v_subrev_u32_e32 v14, 28, v13
	v_and_b32_e32 v12, 15, v12
	v_lshlrev_b32_e32 v6, v14, v6
	v_sub_u32_e32 v13, 29, v13
	v_and_b32_e32 v6, 7, v6
	v_cmp_eq_u16_e32 vcc, 0, v12
	v_cndmask_b32_e32 v2, v2, v6, vcc
	v_cndmask_b32_e32 v6, v12, v13, vcc
	v_lshlrev_b32_e32 v12, 16, v7
	v_mov_b32_e32 v13, 0x3b800000
	v_lshlrev_b32_e32 v2, 20, v2
	v_and_b32_e32 v12, 0x80000000, v12
	v_lshl_add_u32 v6, v6, 23, v13
	v_or3_b32 v2, v12, v6, v2
.LBB12_1708:
	s_or_b64 exec, exec, s[6:7]
	v_lshrrev_b32_e32 v6, 8, v3
	s_movk_i32 s4, 0x7f
	v_cmp_gt_i16_sdwa s[6:7], v6, s4 src0_sel:BYTE_0 src1_sel:DWORD
	s_mov_b64 s[4:5], 0
                                        ; implicit-def: $sgpr10
	s_and_saveexec_b64 s[8:9], s[6:7]
	s_xor_b64 s[6:7], exec, s[8:9]
	s_cbranch_execnz .LBB12_3757
; %bb.1709:
	s_or_saveexec_b64 s[6:7], s[6:7]
	v_mov_b32_e32 v12, s10
	s_xor_b64 exec, exec, s[6:7]
	s_cbranch_execnz .LBB12_3760
.LBB12_1710:
	s_or_b64 exec, exec, s[6:7]
	s_and_saveexec_b64 s[6:7], s[4:5]
	s_cbranch_execz .LBB12_1712
.LBB12_1711:
	v_bfe_u32 v12, v3, 8, 3
	v_ffbh_u32_e32 v14, v12
	v_min_u32_e32 v14, 32, v14
	v_lshrrev_b16_e32 v13, 3, v6
	v_subrev_u32_e32 v15, 28, v14
	v_and_b32_e32 v13, 15, v13
	v_lshlrev_b32_e32 v6, v15, v6
	v_sub_u32_e32 v14, 29, v14
	v_and_b32_e32 v6, 7, v6
	v_cmp_eq_u16_e32 vcc, 0, v13
	v_cndmask_b32_e32 v6, v12, v6, vcc
	v_cndmask_b32_e32 v12, v13, v14, vcc
	v_lshlrev_b32_e32 v13, 16, v3
	v_mov_b32_e32 v14, 0x3b800000
	v_lshlrev_b32_e32 v6, 20, v6
	v_and_b32_e32 v13, 0x80000000, v13
	v_lshl_add_u32 v12, v12, 23, v14
	v_or3_b32 v12, v13, v12, v6
.LBB12_1712:
	s_or_b64 exec, exec, s[6:7]
	s_nop 0
	v_mfma_f32_16x16x4f32 a[0:3], v2, v12, a[0:3]
	s_movk_i32 s4, 0xff
	v_and_b32_sdwa v6, v7, s4 dst_sel:DWORD dst_unused:UNUSED_PAD src0_sel:WORD_1 src1_sel:DWORD
	s_movk_i32 s4, 0x7f
	v_cmp_lt_i16_e32 vcc, s4, v6
	s_mov_b64 s[4:5], 0
                                        ; implicit-def: $sgpr10
	s_and_saveexec_b64 s[6:7], vcc
	s_xor_b64 s[6:7], exec, s[6:7]
	s_cbranch_execnz .LBB12_3761
; %bb.1713:
	s_or_saveexec_b64 s[6:7], s[6:7]
	v_mov_b32_e32 v2, s10
	s_xor_b64 exec, exec, s[6:7]
	s_cbranch_execnz .LBB12_3764
.LBB12_1714:
	s_or_b64 exec, exec, s[6:7]
	s_and_saveexec_b64 s[6:7], s[4:5]
	s_cbranch_execz .LBB12_1716
.LBB12_1715:
	v_bfe_u32 v2, v7, 16, 3
	v_ffbh_u32_e32 v13, v2
	v_min_u32_e32 v13, 32, v13
	v_lshrrev_b32_e32 v6, 19, v7
	v_subrev_u32_e32 v14, 28, v13
	v_and_b32_e32 v6, 15, v6
	v_lshlrev_b32_sdwa v14, v14, v7 dst_sel:DWORD dst_unused:UNUSED_PAD src0_sel:DWORD src1_sel:WORD_1
	v_bfe_u32 v12, v7, 19, 4
	v_sub_u32_e32 v13, 29, v13
	v_and_b32_e32 v14, 7, v14
	v_cmp_eq_u16_e32 vcc, 0, v6
	v_cndmask_b32_e32 v2, v2, v14, vcc
	v_cndmask_b32_e32 v6, v12, v13, vcc
	v_lshlrev_b32_e32 v12, 8, v7
	v_mov_b32_e32 v13, 0x3b800000
	v_lshlrev_b32_e32 v2, 20, v2
	v_and_b32_e32 v12, 0x80000000, v12
	v_lshl_add_u32 v6, v6, 23, v13
	v_or3_b32 v2, v12, v6, v2
.LBB12_1716:
	s_or_b64 exec, exec, s[6:7]
	s_movk_i32 s4, 0xff
	v_and_b32_sdwa v6, v3, s4 dst_sel:DWORD dst_unused:UNUSED_PAD src0_sel:WORD_1 src1_sel:DWORD
	s_movk_i32 s4, 0x7f
	v_cmp_lt_i16_e32 vcc, s4, v6
	s_mov_b64 s[4:5], 0
                                        ; implicit-def: $sgpr10
	s_and_saveexec_b64 s[6:7], vcc
	s_xor_b64 s[6:7], exec, s[6:7]
	s_cbranch_execnz .LBB12_3765
; %bb.1717:
	s_or_saveexec_b64 s[6:7], s[6:7]
	v_mov_b32_e32 v12, s10
	s_xor_b64 exec, exec, s[6:7]
	s_cbranch_execnz .LBB12_3768
.LBB12_1718:
	s_or_b64 exec, exec, s[6:7]
	s_and_saveexec_b64 s[6:7], s[4:5]
	s_cbranch_execz .LBB12_1720
.LBB12_1719:
	v_bfe_u32 v6, v3, 16, 3
	v_ffbh_u32_e32 v14, v6
	v_min_u32_e32 v14, 32, v14
	v_lshrrev_b32_e32 v12, 19, v3
	v_subrev_u32_e32 v15, 28, v14
	v_and_b32_e32 v12, 15, v12
	v_lshlrev_b32_sdwa v15, v15, v3 dst_sel:DWORD dst_unused:UNUSED_PAD src0_sel:DWORD src1_sel:WORD_1
	v_bfe_u32 v13, v3, 19, 4
	v_sub_u32_e32 v14, 29, v14
	v_and_b32_e32 v15, 7, v15
	v_cmp_eq_u16_e32 vcc, 0, v12
	v_cndmask_b32_e32 v6, v6, v15, vcc
	v_cndmask_b32_e32 v12, v13, v14, vcc
	v_lshlrev_b32_e32 v13, 8, v3
	v_mov_b32_e32 v14, 0x3b800000
	v_lshlrev_b32_e32 v6, 20, v6
	v_and_b32_e32 v13, 0x80000000, v13
	v_lshl_add_u32 v12, v12, 23, v14
	v_or3_b32 v12, v13, v12, v6
.LBB12_1720:
	s_or_b64 exec, exec, s[6:7]
	s_nop 0
	v_mfma_f32_16x16x4f32 a[0:3], v2, v12, a[0:3]
	s_movk_i32 s4, 0x7f
	v_cmp_gt_i16_sdwa s[6:7], v7, s4 src0_sel:BYTE_3 src1_sel:DWORD
	s_mov_b64 s[4:5], 0
                                        ; implicit-def: $sgpr10
	s_and_saveexec_b64 s[8:9], s[6:7]
	s_xor_b64 s[6:7], exec, s[8:9]
	s_cbranch_execnz .LBB12_3769
; %bb.1721:
	s_or_saveexec_b64 s[6:7], s[6:7]
	v_mov_b32_e32 v2, s10
	s_xor_b64 exec, exec, s[6:7]
	s_cbranch_execnz .LBB12_3772
.LBB12_1722:
	s_or_b64 exec, exec, s[6:7]
	s_and_saveexec_b64 s[6:7], s[4:5]
	s_cbranch_execz .LBB12_1724
.LBB12_1723:
	v_bfe_u32 v2, v7, 24, 3
	v_ffbh_u32_e32 v14, v2
	v_min_u32_e32 v14, 32, v14
	v_lshrrev_b32_e32 v12, 27, v7
	v_subrev_u32_e32 v15, 28, v14
	v_and_b32_e32 v6, 0x80000000, v7
	v_and_b32_e32 v12, 15, v12
	v_bfe_u32 v13, v7, 27, 4
	v_lshlrev_b32_sdwa v7, v15, v7 dst_sel:DWORD dst_unused:UNUSED_PAD src0_sel:DWORD src1_sel:BYTE_3
	v_sub_u32_e32 v14, 29, v14
	v_and_b32_e32 v7, 7, v7
	v_cmp_eq_u16_e32 vcc, 0, v12
	v_cndmask_b32_e32 v2, v2, v7, vcc
	v_cndmask_b32_e32 v7, v13, v14, vcc
	v_mov_b32_e32 v12, 0x3b800000
	v_lshlrev_b32_e32 v2, 20, v2
	v_lshl_add_u32 v7, v7, 23, v12
	v_or3_b32 v2, v6, v7, v2
.LBB12_1724:
	s_or_b64 exec, exec, s[6:7]
	s_movk_i32 s4, 0x7f
	v_cmp_gt_i16_sdwa s[6:7], v3, s4 src0_sel:BYTE_3 src1_sel:DWORD
	s_mov_b64 s[4:5], 0
                                        ; implicit-def: $sgpr10
	s_and_saveexec_b64 s[8:9], s[6:7]
	s_xor_b64 s[6:7], exec, s[8:9]
	s_cbranch_execnz .LBB12_3773
; %bb.1725:
	s_or_saveexec_b64 s[6:7], s[6:7]
	v_mov_b32_e32 v6, s10
	s_xor_b64 exec, exec, s[6:7]
	s_cbranch_execnz .LBB12_3776
.LBB12_1726:
	s_or_b64 exec, exec, s[6:7]
	s_and_saveexec_b64 s[6:7], s[4:5]
	s_cbranch_execz .LBB12_1728
.LBB12_1727:
	v_bfe_u32 v6, v3, 24, 3
	v_ffbh_u32_e32 v14, v6
	v_min_u32_e32 v14, 32, v14
	v_lshrrev_b32_e32 v12, 27, v3
	v_subrev_u32_e32 v15, 28, v14
	v_and_b32_e32 v7, 0x80000000, v3
	v_and_b32_e32 v12, 15, v12
	v_bfe_u32 v13, v3, 27, 4
	v_lshlrev_b32_sdwa v3, v15, v3 dst_sel:DWORD dst_unused:UNUSED_PAD src0_sel:DWORD src1_sel:BYTE_3
	v_sub_u32_e32 v14, 29, v14
	v_and_b32_e32 v3, 7, v3
	v_cmp_eq_u16_e32 vcc, 0, v12
	v_cndmask_b32_e32 v3, v6, v3, vcc
	v_cndmask_b32_e32 v6, v13, v14, vcc
	v_mov_b32_e32 v12, 0x3b800000
	v_lshlrev_b32_e32 v3, 20, v3
	v_lshl_add_u32 v6, v6, 23, v12
	v_or3_b32 v6, v7, v6, v3
.LBB12_1728:
	s_or_b64 exec, exec, s[6:7]
	s_nop 0
	v_mfma_f32_16x16x4f32 a[0:3], v2, v6, a[0:3]
	s_movk_i32 s4, 0x7f
	v_cmp_gt_i16_sdwa s[6:7], v8, s4 src0_sel:BYTE_0 src1_sel:DWORD
	s_mov_b64 s[4:5], 0
                                        ; implicit-def: $sgpr10
	s_and_saveexec_b64 s[8:9], s[6:7]
	s_xor_b64 s[6:7], exec, s[8:9]
	s_cbranch_execnz .LBB12_3777
; %bb.1729:
	s_or_saveexec_b64 s[6:7], s[6:7]
	v_mov_b32_e32 v2, s10
	s_xor_b64 exec, exec, s[6:7]
	s_cbranch_execnz .LBB12_3780
.LBB12_1730:
	s_or_b64 exec, exec, s[6:7]
	s_and_saveexec_b64 s[6:7], s[4:5]
	s_cbranch_execz .LBB12_1732
.LBB12_1731:
	v_and_b32_e32 v2, 7, v8
	v_ffbh_u32_e32 v6, v2
	v_min_u32_e32 v6, 32, v6
	v_lshrrev_b16_e32 v3, 3, v8
	v_subrev_u32_e32 v7, 28, v6
	v_and_b32_e32 v3, 15, v3
	v_lshlrev_b32_e32 v7, v7, v8
	v_sub_u32_e32 v6, 29, v6
	v_and_b32_e32 v7, 7, v7
	v_cmp_eq_u16_e32 vcc, 0, v3
	v_cndmask_b32_e32 v2, v2, v7, vcc
	v_cndmask_b32_e32 v3, v3, v6, vcc
	v_lshlrev_b32_e32 v6, 24, v8
	v_mov_b32_e32 v7, 0x3b800000
	v_lshlrev_b32_e32 v2, 20, v2
	v_and_b32_e32 v6, 0x80000000, v6
	v_lshl_add_u32 v3, v3, 23, v7
	v_or3_b32 v2, v6, v3, v2
.LBB12_1732:
	s_or_b64 exec, exec, s[6:7]
	s_movk_i32 s4, 0x7f
	v_cmp_gt_i16_sdwa s[6:7], v4, s4 src0_sel:BYTE_0 src1_sel:DWORD
	s_mov_b64 s[4:5], 0
                                        ; implicit-def: $sgpr10
	s_and_saveexec_b64 s[8:9], s[6:7]
	s_xor_b64 s[6:7], exec, s[8:9]
	s_cbranch_execnz .LBB12_3781
; %bb.1733:
	s_or_saveexec_b64 s[6:7], s[6:7]
	v_mov_b32_e32 v3, s10
	s_xor_b64 exec, exec, s[6:7]
	s_cbranch_execnz .LBB12_3784
.LBB12_1734:
	s_or_b64 exec, exec, s[6:7]
	s_and_saveexec_b64 s[6:7], s[4:5]
	s_cbranch_execz .LBB12_1736
.LBB12_1735:
	v_and_b32_e32 v3, 7, v4
	v_ffbh_u32_e32 v7, v3
	v_min_u32_e32 v7, 32, v7
	v_lshrrev_b16_e32 v6, 3, v4
	v_subrev_u32_e32 v12, 28, v7
	v_and_b32_e32 v6, 15, v6
	v_lshlrev_b32_e32 v12, v12, v4
	v_sub_u32_e32 v7, 29, v7
	v_and_b32_e32 v12, 7, v12
	v_cmp_eq_u16_e32 vcc, 0, v6
	v_cndmask_b32_e32 v3, v3, v12, vcc
	v_cndmask_b32_e32 v6, v6, v7, vcc
	v_lshlrev_b32_e32 v7, 24, v4
	v_mov_b32_e32 v12, 0x3b800000
	v_lshlrev_b32_e32 v3, 20, v3
	v_and_b32_e32 v7, 0x80000000, v7
	v_lshl_add_u32 v6, v6, 23, v12
	v_or3_b32 v3, v7, v6, v3
.LBB12_1736:
	s_or_b64 exec, exec, s[6:7]
	s_nop 0
	v_mfma_f32_16x16x4f32 a[0:3], v2, v3, a[0:3]
	v_lshrrev_b32_e32 v3, 8, v8
	s_movk_i32 s4, 0x7f
	v_cmp_gt_i16_sdwa s[6:7], v3, s4 src0_sel:BYTE_0 src1_sel:DWORD
	s_mov_b64 s[4:5], 0
                                        ; implicit-def: $sgpr10
	s_and_saveexec_b64 s[8:9], s[6:7]
	s_xor_b64 s[6:7], exec, s[8:9]
	s_cbranch_execnz .LBB12_3785
; %bb.1737:
	s_or_saveexec_b64 s[6:7], s[6:7]
	v_mov_b32_e32 v2, s10
	s_xor_b64 exec, exec, s[6:7]
	s_cbranch_execnz .LBB12_3788
.LBB12_1738:
	s_or_b64 exec, exec, s[6:7]
	s_and_saveexec_b64 s[6:7], s[4:5]
	s_cbranch_execz .LBB12_1740
.LBB12_1739:
	v_bfe_u32 v2, v8, 8, 3
	v_ffbh_u32_e32 v7, v2
	v_min_u32_e32 v7, 32, v7
	v_lshrrev_b16_e32 v6, 3, v3
	v_subrev_u32_e32 v12, 28, v7
	v_and_b32_e32 v6, 15, v6
	v_lshlrev_b32_e32 v3, v12, v3
	v_sub_u32_e32 v7, 29, v7
	v_and_b32_e32 v3, 7, v3
	v_cmp_eq_u16_e32 vcc, 0, v6
	v_cndmask_b32_e32 v2, v2, v3, vcc
	v_cndmask_b32_e32 v3, v6, v7, vcc
	v_lshlrev_b32_e32 v6, 16, v8
	v_mov_b32_e32 v7, 0x3b800000
	v_lshlrev_b32_e32 v2, 20, v2
	v_and_b32_e32 v6, 0x80000000, v6
	v_lshl_add_u32 v3, v3, 23, v7
	v_or3_b32 v2, v6, v3, v2
.LBB12_1740:
	s_or_b64 exec, exec, s[6:7]
	v_lshrrev_b32_e32 v3, 8, v4
	s_movk_i32 s4, 0x7f
	v_cmp_gt_i16_sdwa s[6:7], v3, s4 src0_sel:BYTE_0 src1_sel:DWORD
	s_mov_b64 s[4:5], 0
                                        ; implicit-def: $sgpr10
	s_and_saveexec_b64 s[8:9], s[6:7]
	s_xor_b64 s[6:7], exec, s[8:9]
	s_cbranch_execnz .LBB12_3789
; %bb.1741:
	s_or_saveexec_b64 s[6:7], s[6:7]
	v_mov_b32_e32 v6, s10
	s_xor_b64 exec, exec, s[6:7]
	s_cbranch_execnz .LBB12_3792
.LBB12_1742:
	s_or_b64 exec, exec, s[6:7]
	s_and_saveexec_b64 s[6:7], s[4:5]
	s_cbranch_execz .LBB12_1744
.LBB12_1743:
	v_bfe_u32 v6, v4, 8, 3
	v_ffbh_u32_e32 v12, v6
	v_min_u32_e32 v12, 32, v12
	v_lshrrev_b16_e32 v7, 3, v3
	v_subrev_u32_e32 v13, 28, v12
	v_and_b32_e32 v7, 15, v7
	v_lshlrev_b32_e32 v3, v13, v3
	v_sub_u32_e32 v12, 29, v12
	v_and_b32_e32 v3, 7, v3
	v_cmp_eq_u16_e32 vcc, 0, v7
	v_cndmask_b32_e32 v3, v6, v3, vcc
	v_cndmask_b32_e32 v6, v7, v12, vcc
	v_lshlrev_b32_e32 v7, 16, v4
	v_mov_b32_e32 v12, 0x3b800000
	v_lshlrev_b32_e32 v3, 20, v3
	v_and_b32_e32 v7, 0x80000000, v7
	v_lshl_add_u32 v6, v6, 23, v12
	v_or3_b32 v6, v7, v6, v3
.LBB12_1744:
	s_or_b64 exec, exec, s[6:7]
	s_nop 0
	v_mfma_f32_16x16x4f32 a[0:3], v2, v6, a[0:3]
	s_movk_i32 s4, 0xff
	v_and_b32_sdwa v3, v8, s4 dst_sel:DWORD dst_unused:UNUSED_PAD src0_sel:WORD_1 src1_sel:DWORD
	s_movk_i32 s4, 0x7f
	v_cmp_lt_i16_e32 vcc, s4, v3
	s_mov_b64 s[4:5], 0
                                        ; implicit-def: $sgpr10
	s_and_saveexec_b64 s[6:7], vcc
	s_xor_b64 s[6:7], exec, s[6:7]
	s_cbranch_execnz .LBB12_3793
; %bb.1745:
	s_or_saveexec_b64 s[6:7], s[6:7]
	v_mov_b32_e32 v2, s10
	s_xor_b64 exec, exec, s[6:7]
	s_cbranch_execnz .LBB12_3796
.LBB12_1746:
	s_or_b64 exec, exec, s[6:7]
	s_and_saveexec_b64 s[6:7], s[4:5]
	s_cbranch_execz .LBB12_1748
.LBB12_1747:
	v_bfe_u32 v2, v8, 16, 3
	v_ffbh_u32_e32 v7, v2
	v_min_u32_e32 v7, 32, v7
	v_lshrrev_b32_e32 v3, 19, v8
	v_subrev_u32_e32 v12, 28, v7
	v_and_b32_e32 v3, 15, v3
	v_lshlrev_b32_sdwa v12, v12, v8 dst_sel:DWORD dst_unused:UNUSED_PAD src0_sel:DWORD src1_sel:WORD_1
	v_bfe_u32 v6, v8, 19, 4
	v_sub_u32_e32 v7, 29, v7
	v_and_b32_e32 v12, 7, v12
	v_cmp_eq_u16_e32 vcc, 0, v3
	v_cndmask_b32_e32 v2, v2, v12, vcc
	v_cndmask_b32_e32 v3, v6, v7, vcc
	v_lshlrev_b32_e32 v6, 8, v8
	v_mov_b32_e32 v7, 0x3b800000
	v_lshlrev_b32_e32 v2, 20, v2
	v_and_b32_e32 v6, 0x80000000, v6
	v_lshl_add_u32 v3, v3, 23, v7
	v_or3_b32 v2, v6, v3, v2
.LBB12_1748:
	s_or_b64 exec, exec, s[6:7]
	s_movk_i32 s4, 0xff
	v_and_b32_sdwa v3, v4, s4 dst_sel:DWORD dst_unused:UNUSED_PAD src0_sel:WORD_1 src1_sel:DWORD
	s_movk_i32 s4, 0x7f
	v_cmp_lt_i16_e32 vcc, s4, v3
	s_mov_b64 s[4:5], 0
                                        ; implicit-def: $sgpr10
	s_and_saveexec_b64 s[6:7], vcc
	s_xor_b64 s[6:7], exec, s[6:7]
	s_cbranch_execnz .LBB12_3797
; %bb.1749:
	s_or_saveexec_b64 s[6:7], s[6:7]
	v_mov_b32_e32 v6, s10
	s_xor_b64 exec, exec, s[6:7]
	s_cbranch_execnz .LBB12_3800
.LBB12_1750:
	s_or_b64 exec, exec, s[6:7]
	s_and_saveexec_b64 s[6:7], s[4:5]
	s_cbranch_execz .LBB12_1752
.LBB12_1751:
	v_bfe_u32 v3, v4, 16, 3
	v_ffbh_u32_e32 v12, v3
	v_min_u32_e32 v12, 32, v12
	v_lshrrev_b32_e32 v6, 19, v4
	v_subrev_u32_e32 v13, 28, v12
	v_and_b32_e32 v6, 15, v6
	v_lshlrev_b32_sdwa v13, v13, v4 dst_sel:DWORD dst_unused:UNUSED_PAD src0_sel:DWORD src1_sel:WORD_1
	v_bfe_u32 v7, v4, 19, 4
	v_sub_u32_e32 v12, 29, v12
	v_and_b32_e32 v13, 7, v13
	v_cmp_eq_u16_e32 vcc, 0, v6
	v_cndmask_b32_e32 v3, v3, v13, vcc
	v_cndmask_b32_e32 v6, v7, v12, vcc
	v_lshlrev_b32_e32 v7, 8, v4
	v_mov_b32_e32 v12, 0x3b800000
	v_lshlrev_b32_e32 v3, 20, v3
	v_and_b32_e32 v7, 0x80000000, v7
	v_lshl_add_u32 v6, v6, 23, v12
	v_or3_b32 v6, v7, v6, v3
.LBB12_1752:
	s_or_b64 exec, exec, s[6:7]
	s_nop 0
	v_mfma_f32_16x16x4f32 a[0:3], v2, v6, a[0:3]
	s_movk_i32 s4, 0x7f
	v_cmp_gt_i16_sdwa s[6:7], v8, s4 src0_sel:BYTE_3 src1_sel:DWORD
	s_mov_b64 s[4:5], 0
                                        ; implicit-def: $sgpr10
	s_and_saveexec_b64 s[8:9], s[6:7]
	s_xor_b64 s[6:7], exec, s[8:9]
	s_cbranch_execnz .LBB12_3801
; %bb.1753:
	s_or_saveexec_b64 s[6:7], s[6:7]
	v_mov_b32_e32 v2, s10
	s_xor_b64 exec, exec, s[6:7]
	s_cbranch_execnz .LBB12_3804
.LBB12_1754:
	s_or_b64 exec, exec, s[6:7]
	s_and_saveexec_b64 s[6:7], s[4:5]
	s_cbranch_execz .LBB12_1756
.LBB12_1755:
	v_bfe_u32 v2, v8, 24, 3
	v_ffbh_u32_e32 v12, v2
	v_min_u32_e32 v12, 32, v12
	v_lshrrev_b32_e32 v6, 27, v8
	v_subrev_u32_e32 v13, 28, v12
	v_and_b32_e32 v3, 0x80000000, v8
	v_and_b32_e32 v6, 15, v6
	v_bfe_u32 v7, v8, 27, 4
	v_lshlrev_b32_sdwa v8, v13, v8 dst_sel:DWORD dst_unused:UNUSED_PAD src0_sel:DWORD src1_sel:BYTE_3
	v_sub_u32_e32 v12, 29, v12
	v_and_b32_e32 v8, 7, v8
	v_cmp_eq_u16_e32 vcc, 0, v6
	v_cndmask_b32_e32 v2, v2, v8, vcc
	v_cndmask_b32_e32 v6, v7, v12, vcc
	v_mov_b32_e32 v7, 0x3b800000
	v_lshlrev_b32_e32 v2, 20, v2
	v_lshl_add_u32 v6, v6, 23, v7
	v_or3_b32 v2, v3, v6, v2
.LBB12_1756:
	s_or_b64 exec, exec, s[6:7]
	s_movk_i32 s4, 0x7f
	v_cmp_gt_i16_sdwa s[6:7], v4, s4 src0_sel:BYTE_3 src1_sel:DWORD
	s_mov_b64 s[4:5], 0
                                        ; implicit-def: $sgpr10
	s_and_saveexec_b64 s[8:9], s[6:7]
	s_xor_b64 s[6:7], exec, s[8:9]
	s_cbranch_execnz .LBB12_3805
; %bb.1757:
	s_or_saveexec_b64 s[6:7], s[6:7]
	v_mov_b32_e32 v3, s10
	s_xor_b64 exec, exec, s[6:7]
	s_cbranch_execnz .LBB12_3808
.LBB12_1758:
	s_or_b64 exec, exec, s[6:7]
	s_and_saveexec_b64 s[6:7], s[4:5]
	s_cbranch_execz .LBB12_1760
.LBB12_1759:
	v_bfe_u32 v3, v4, 24, 3
	v_ffbh_u32_e32 v12, v3
	v_min_u32_e32 v12, 32, v12
	v_lshrrev_b32_e32 v7, 27, v4
	v_subrev_u32_e32 v13, 28, v12
	v_and_b32_e32 v6, 0x80000000, v4
	v_and_b32_e32 v7, 15, v7
	v_bfe_u32 v8, v4, 27, 4
	v_lshlrev_b32_sdwa v4, v13, v4 dst_sel:DWORD dst_unused:UNUSED_PAD src0_sel:DWORD src1_sel:BYTE_3
	v_sub_u32_e32 v12, 29, v12
	v_and_b32_e32 v4, 7, v4
	v_cmp_eq_u16_e32 vcc, 0, v7
	v_cndmask_b32_e32 v3, v3, v4, vcc
	v_cndmask_b32_e32 v4, v8, v12, vcc
	v_mov_b32_e32 v7, 0x3b800000
	v_lshlrev_b32_e32 v3, 20, v3
	v_lshl_add_u32 v4, v4, 23, v7
	v_or3_b32 v3, v6, v4, v3
.LBB12_1760:
	s_or_b64 exec, exec, s[6:7]
	s_nop 0
	v_mfma_f32_16x16x4f32 a[0:3], v2, v3, a[0:3]
	s_movk_i32 s4, 0x7f
	v_cmp_gt_i16_sdwa s[6:7], v9, s4 src0_sel:BYTE_0 src1_sel:DWORD
	s_mov_b64 s[4:5], 0
                                        ; implicit-def: $sgpr10
	s_and_saveexec_b64 s[8:9], s[6:7]
	s_xor_b64 s[6:7], exec, s[8:9]
	s_cbranch_execnz .LBB12_3809
; %bb.1761:
	s_or_saveexec_b64 s[6:7], s[6:7]
	v_mov_b32_e32 v2, s10
	s_xor_b64 exec, exec, s[6:7]
	s_cbranch_execnz .LBB12_3812
.LBB12_1762:
	s_or_b64 exec, exec, s[6:7]
	s_and_saveexec_b64 s[6:7], s[4:5]
	s_cbranch_execz .LBB12_1764
.LBB12_1763:
	v_mov_b32_e32 v2, 8
	v_and_b32_e32 v3, 7, v9
	v_lshrrev_b32_sdwa v2, v2, v9 dst_sel:BYTE_1 dst_unused:UNUSED_PAD src0_sel:DWORD src1_sel:DWORD
	v_ffbh_u32_e32 v4, v3
	v_or_b32_sdwa v2, v9, v2 dst_sel:DWORD dst_unused:UNUSED_PAD src0_sel:BYTE_0 src1_sel:DWORD
	v_min_u32_e32 v4, 32, v4
	v_lshrrev_b16_e32 v2, 3, v2
	v_subrev_u32_e32 v6, 28, v4
	v_and_b32_e32 v2, 15, v2
	v_lshlrev_b32_e32 v6, v6, v9
	v_sub_u32_e32 v4, 29, v4
	v_and_b32_e32 v6, 7, v6
	v_cmp_eq_u16_e32 vcc, 0, v2
	v_cndmask_b32_e32 v3, v3, v6, vcc
	v_cndmask_b32_e32 v2, v2, v4, vcc
	v_lshlrev_b32_e32 v4, 24, v9
	v_mov_b32_e32 v6, 0x3b800000
	v_lshlrev_b32_e32 v3, 20, v3
	v_and_b32_e32 v4, 0x80000000, v4
	v_lshl_add_u32 v2, v2, 23, v6
	v_or3_b32 v2, v4, v2, v3
.LBB12_1764:
	s_or_b64 exec, exec, s[6:7]
	s_movk_i32 s4, 0x7f
	v_cmp_gt_i16_sdwa s[6:7], v5, s4 src0_sel:BYTE_0 src1_sel:DWORD
	s_mov_b64 s[4:5], 0
                                        ; implicit-def: $sgpr10
	s_and_saveexec_b64 s[8:9], s[6:7]
	s_xor_b64 s[6:7], exec, s[8:9]
	s_cbranch_execnz .LBB12_3813
; %bb.1765:
	s_or_saveexec_b64 s[6:7], s[6:7]
	v_mov_b32_e32 v3, s10
	s_xor_b64 exec, exec, s[6:7]
	s_cbranch_execnz .LBB12_3816
.LBB12_1766:
	s_or_b64 exec, exec, s[6:7]
	s_and_saveexec_b64 s[6:7], s[4:5]
	s_cbranch_execz .LBB12_1768
.LBB12_1767:
	v_mov_b32_e32 v3, 8
	v_and_b32_e32 v4, 7, v5
	v_lshrrev_b32_sdwa v3, v3, v5 dst_sel:BYTE_1 dst_unused:UNUSED_PAD src0_sel:DWORD src1_sel:DWORD
	v_ffbh_u32_e32 v6, v4
	v_or_b32_sdwa v3, v5, v3 dst_sel:DWORD dst_unused:UNUSED_PAD src0_sel:BYTE_0 src1_sel:DWORD
	v_min_u32_e32 v6, 32, v6
	v_lshrrev_b16_e32 v3, 3, v3
	v_subrev_u32_e32 v7, 28, v6
	v_and_b32_e32 v3, 15, v3
	v_lshlrev_b32_e32 v7, v7, v5
	v_sub_u32_e32 v6, 29, v6
	v_and_b32_e32 v7, 7, v7
	v_cmp_eq_u16_e32 vcc, 0, v3
	v_cndmask_b32_e32 v4, v4, v7, vcc
	v_cndmask_b32_e32 v3, v3, v6, vcc
	v_lshlrev_b32_e32 v6, 24, v5
	v_mov_b32_e32 v7, 0x3b800000
	v_lshlrev_b32_e32 v4, 20, v4
	v_and_b32_e32 v6, 0x80000000, v6
	v_lshl_add_u32 v3, v3, 23, v7
	v_or3_b32 v3, v6, v3, v4
.LBB12_1768:
	s_or_b64 exec, exec, s[6:7]
	s_nop 0
	v_mfma_f32_16x16x4f32 a[0:3], v2, v3, a[0:3]
	v_lshrrev_b32_e32 v3, 8, v9
	s_movk_i32 s4, 0x7f
	v_cmp_gt_i16_sdwa s[6:7], v3, s4 src0_sel:BYTE_0 src1_sel:DWORD
	s_mov_b64 s[4:5], 0
                                        ; implicit-def: $sgpr10
	s_and_saveexec_b64 s[8:9], s[6:7]
	s_xor_b64 s[6:7], exec, s[8:9]
	s_cbranch_execnz .LBB12_3817
; %bb.1769:
	s_or_saveexec_b64 s[6:7], s[6:7]
	v_mov_b32_e32 v2, s10
	s_xor_b64 exec, exec, s[6:7]
	s_cbranch_execnz .LBB12_3820
.LBB12_1770:
	s_or_b64 exec, exec, s[6:7]
	s_and_saveexec_b64 s[6:7], s[4:5]
	s_cbranch_execz .LBB12_1772
.LBB12_1771:
	v_bfe_u32 v2, v9, 8, 3
	v_ffbh_u32_e32 v6, v2
	v_min_u32_e32 v6, 32, v6
	v_lshrrev_b16_e32 v4, 3, v3
	v_subrev_u32_e32 v7, 28, v6
	v_and_b32_e32 v4, 15, v4
	v_lshlrev_b32_e32 v3, v7, v3
	v_sub_u32_e32 v6, 29, v6
	v_and_b32_e32 v3, 7, v3
	v_cmp_eq_u16_e32 vcc, 0, v4
	v_cndmask_b32_e32 v2, v2, v3, vcc
	v_cndmask_b32_e32 v3, v4, v6, vcc
	v_lshlrev_b32_e32 v4, 16, v9
	v_mov_b32_e32 v6, 0x3b800000
	v_lshlrev_b32_e32 v2, 20, v2
	v_and_b32_e32 v4, 0x80000000, v4
	v_lshl_add_u32 v3, v3, 23, v6
	v_or3_b32 v2, v4, v3, v2
.LBB12_1772:
	s_or_b64 exec, exec, s[6:7]
	v_lshrrev_b32_e32 v3, 8, v5
	s_movk_i32 s4, 0x7f
	v_cmp_gt_i16_sdwa s[6:7], v3, s4 src0_sel:BYTE_0 src1_sel:DWORD
	s_mov_b64 s[4:5], 0
                                        ; implicit-def: $sgpr10
	s_and_saveexec_b64 s[8:9], s[6:7]
	s_xor_b64 s[6:7], exec, s[8:9]
	s_cbranch_execnz .LBB12_3821
; %bb.1773:
	s_or_saveexec_b64 s[6:7], s[6:7]
	v_mov_b32_e32 v4, s10
	s_xor_b64 exec, exec, s[6:7]
	s_cbranch_execnz .LBB12_3824
.LBB12_1774:
	s_or_b64 exec, exec, s[6:7]
	s_and_saveexec_b64 s[6:7], s[4:5]
	s_cbranch_execz .LBB12_1776
.LBB12_1775:
	v_bfe_u32 v4, v5, 8, 3
	v_ffbh_u32_e32 v7, v4
	v_min_u32_e32 v7, 32, v7
	v_lshrrev_b16_e32 v6, 3, v3
	v_subrev_u32_e32 v8, 28, v7
	v_and_b32_e32 v6, 15, v6
	v_lshlrev_b32_e32 v3, v8, v3
	v_sub_u32_e32 v7, 29, v7
	v_and_b32_e32 v3, 7, v3
	v_cmp_eq_u16_e32 vcc, 0, v6
	v_cndmask_b32_e32 v3, v4, v3, vcc
	v_cndmask_b32_e32 v4, v6, v7, vcc
	v_lshlrev_b32_e32 v6, 16, v5
	v_mov_b32_e32 v7, 0x3b800000
	v_lshlrev_b32_e32 v3, 20, v3
	v_and_b32_e32 v6, 0x80000000, v6
	v_lshl_add_u32 v4, v4, 23, v7
	v_or3_b32 v4, v6, v4, v3
.LBB12_1776:
	s_or_b64 exec, exec, s[6:7]
	s_nop 0
	v_mfma_f32_16x16x4f32 a[0:3], v2, v4, a[0:3]
	s_movk_i32 s4, 0xff
	v_and_b32_sdwa v3, v9, s4 dst_sel:DWORD dst_unused:UNUSED_PAD src0_sel:WORD_1 src1_sel:DWORD
	s_movk_i32 s4, 0x7f
	v_cmp_lt_i16_e32 vcc, s4, v3
	s_mov_b64 s[4:5], 0
                                        ; implicit-def: $sgpr10
	s_and_saveexec_b64 s[6:7], vcc
	s_xor_b64 s[6:7], exec, s[6:7]
	s_cbranch_execnz .LBB12_3825
; %bb.1777:
	s_or_saveexec_b64 s[6:7], s[6:7]
	v_mov_b32_e32 v2, s10
	s_xor_b64 exec, exec, s[6:7]
	s_cbranch_execnz .LBB12_3828
.LBB12_1778:
	s_or_b64 exec, exec, s[6:7]
	s_and_saveexec_b64 s[6:7], s[4:5]
	s_cbranch_execz .LBB12_1780
.LBB12_1779:
	v_bfe_u32 v2, v9, 16, 3
	v_ffbh_u32_e32 v6, v2
	v_min_u32_e32 v6, 32, v6
	v_lshrrev_b32_e32 v3, 19, v9
	v_subrev_u32_e32 v7, 28, v6
	v_and_b32_e32 v3, 15, v3
	v_lshlrev_b32_sdwa v7, v7, v9 dst_sel:DWORD dst_unused:UNUSED_PAD src0_sel:DWORD src1_sel:WORD_1
	v_bfe_u32 v4, v9, 19, 4
	v_sub_u32_e32 v6, 29, v6
	v_and_b32_e32 v7, 7, v7
	v_cmp_eq_u16_e32 vcc, 0, v3
	v_cndmask_b32_e32 v2, v2, v7, vcc
	v_cndmask_b32_e32 v3, v4, v6, vcc
	v_lshlrev_b32_e32 v4, 8, v9
	v_mov_b32_e32 v6, 0x3b800000
	v_lshlrev_b32_e32 v2, 20, v2
	v_and_b32_e32 v4, 0x80000000, v4
	v_lshl_add_u32 v3, v3, 23, v6
	v_or3_b32 v2, v4, v3, v2
.LBB12_1780:
	s_or_b64 exec, exec, s[6:7]
	s_movk_i32 s4, 0xff
	v_and_b32_sdwa v3, v5, s4 dst_sel:DWORD dst_unused:UNUSED_PAD src0_sel:WORD_1 src1_sel:DWORD
	s_movk_i32 s4, 0x7f
	v_cmp_lt_i16_e32 vcc, s4, v3
	s_mov_b64 s[4:5], 0
                                        ; implicit-def: $sgpr10
	s_and_saveexec_b64 s[6:7], vcc
	s_xor_b64 s[6:7], exec, s[6:7]
	s_cbranch_execnz .LBB12_3829
; %bb.1781:
	s_or_saveexec_b64 s[6:7], s[6:7]
	v_mov_b32_e32 v4, s10
	s_xor_b64 exec, exec, s[6:7]
	s_cbranch_execnz .LBB12_3832
.LBB12_1782:
	s_or_b64 exec, exec, s[6:7]
	s_and_saveexec_b64 s[6:7], s[4:5]
	s_cbranch_execz .LBB12_1784
.LBB12_1783:
	v_bfe_u32 v3, v5, 16, 3
	v_ffbh_u32_e32 v7, v3
	v_min_u32_e32 v7, 32, v7
	v_lshrrev_b32_e32 v4, 19, v5
	v_subrev_u32_e32 v8, 28, v7
	v_and_b32_e32 v4, 15, v4
	v_lshlrev_b32_sdwa v8, v8, v5 dst_sel:DWORD dst_unused:UNUSED_PAD src0_sel:DWORD src1_sel:WORD_1
	v_bfe_u32 v6, v5, 19, 4
	v_sub_u32_e32 v7, 29, v7
	v_and_b32_e32 v8, 7, v8
	v_cmp_eq_u16_e32 vcc, 0, v4
	v_cndmask_b32_e32 v3, v3, v8, vcc
	v_cndmask_b32_e32 v4, v6, v7, vcc
	v_lshlrev_b32_e32 v6, 8, v5
	v_mov_b32_e32 v7, 0x3b800000
	v_lshlrev_b32_e32 v3, 20, v3
	v_and_b32_e32 v6, 0x80000000, v6
	v_lshl_add_u32 v4, v4, 23, v7
	v_or3_b32 v4, v6, v4, v3
.LBB12_1784:
	s_or_b64 exec, exec, s[6:7]
	s_nop 0
	v_mfma_f32_16x16x4f32 a[0:3], v2, v4, a[0:3]
	s_movk_i32 s4, 0x7f
	v_cmp_gt_i16_sdwa s[6:7], v9, s4 src0_sel:BYTE_3 src1_sel:DWORD
	s_mov_b64 s[4:5], 0
                                        ; implicit-def: $sgpr10
	s_and_saveexec_b64 s[8:9], s[6:7]
	s_xor_b64 s[6:7], exec, s[8:9]
	s_cbranch_execnz .LBB12_3833
; %bb.1785:
	s_or_saveexec_b64 s[6:7], s[6:7]
	v_mov_b32_e32 v2, s10
	s_xor_b64 exec, exec, s[6:7]
	s_cbranch_execnz .LBB12_3836
.LBB12_1786:
	s_or_b64 exec, exec, s[6:7]
	s_and_saveexec_b64 s[6:7], s[4:5]
	s_cbranch_execz .LBB12_1788
.LBB12_1787:
	v_bfe_u32 v2, v9, 24, 3
	v_ffbh_u32_e32 v7, v2
	v_min_u32_e32 v7, 32, v7
	v_lshrrev_b32_e32 v4, 27, v9
	v_subrev_u32_e32 v8, 28, v7
	v_and_b32_e32 v4, 15, v4
	v_lshlrev_b32_sdwa v8, v8, v9 dst_sel:DWORD dst_unused:UNUSED_PAD src0_sel:DWORD src1_sel:BYTE_3
	v_bfe_u32 v6, v9, 27, 4
	v_sub_u32_e32 v7, 29, v7
	v_and_b32_e32 v8, 7, v8
	v_cmp_eq_u16_e32 vcc, 0, v4
	v_cndmask_b32_e32 v2, v2, v8, vcc
	v_cndmask_b32_e32 v4, v6, v7, vcc
	v_mov_b32_e32 v6, 0x3b800000
	v_and_b32_e32 v3, 0x80000000, v9
	v_lshlrev_b32_e32 v2, 20, v2
	v_lshl_add_u32 v4, v4, 23, v6
	v_or3_b32 v2, v3, v4, v2
.LBB12_1788:
	s_or_b64 exec, exec, s[6:7]
	s_movk_i32 s4, 0x7f
	v_cmp_gt_i16_sdwa s[6:7], v5, s4 src0_sel:BYTE_3 src1_sel:DWORD
	s_mov_b64 s[4:5], 0
                                        ; implicit-def: $sgpr10
	s_and_saveexec_b64 s[8:9], s[6:7]
	s_xor_b64 s[6:7], exec, s[8:9]
	s_cbranch_execnz .LBB12_3837
; %bb.1789:
	s_or_saveexec_b64 s[6:7], s[6:7]
	v_mov_b32_e32 v3, s10
	s_xor_b64 exec, exec, s[6:7]
	s_cbranch_execnz .LBB12_3840
.LBB12_1790:
	s_or_b64 exec, exec, s[6:7]
	s_and_saveexec_b64 s[6:7], s[4:5]
	s_cbranch_execz .LBB12_1792
.LBB12_1791:
	v_bfe_u32 v3, v5, 24, 3
	v_ffbh_u32_e32 v8, v3
	v_min_u32_e32 v8, 32, v8
	v_lshrrev_b32_e32 v6, 27, v5
	v_subrev_u32_e32 v9, 28, v8
	v_and_b32_e32 v4, 0x80000000, v5
	v_and_b32_e32 v6, 15, v6
	v_bfe_u32 v7, v5, 27, 4
	v_lshlrev_b32_sdwa v5, v9, v5 dst_sel:DWORD dst_unused:UNUSED_PAD src0_sel:DWORD src1_sel:BYTE_3
	v_sub_u32_e32 v8, 29, v8
	v_and_b32_e32 v5, 7, v5
	v_cmp_eq_u16_e32 vcc, 0, v6
	v_cndmask_b32_e32 v3, v3, v5, vcc
	v_cndmask_b32_e32 v5, v7, v8, vcc
	v_mov_b32_e32 v6, 0x3b800000
	v_lshlrev_b32_e32 v3, 20, v3
	v_lshl_add_u32 v5, v5, 23, v6
	v_or3_b32 v3, v4, v5, v3
.LBB12_1792:
	s_or_b64 exec, exec, s[6:7]
	s_nop 0
	v_mfma_f32_16x16x4f32 a[0:3], v2, v3, a[0:3]
	s_movk_i32 s4, 0x7f
                                        ; implicit-def: $sgpr10
	s_nop 7
	s_nop 1
	flat_store_dwordx4 v[10:11], a[0:3] offset:208
	flat_load_dwordx4 v[12:15], v[0:1] offset:8
	s_nop 0
	flat_load_dwordx2 v[10:11], v[0:1] offset:32
	s_waitcnt vmcnt(0) lgkmcnt(0)
	flat_load_dwordx4 v[6:9], v[12:13] offset:96
	flat_load_dwordx4 v[2:5], v[14:15] offset:64
	s_waitcnt vmcnt(0) lgkmcnt(0)
	v_cmp_gt_i16_sdwa s[6:7], v6, s4 src0_sel:BYTE_0 src1_sel:DWORD
	s_mov_b64 s[4:5], 0
	s_and_saveexec_b64 s[8:9], s[6:7]
	s_xor_b64 s[6:7], exec, s[8:9]
	s_cbranch_execnz .LBB12_3841
; %bb.1793:
	s_or_saveexec_b64 s[6:7], s[6:7]
	v_mov_b32_e32 v12, s10
	s_xor_b64 exec, exec, s[6:7]
	s_cbranch_execnz .LBB12_3844
.LBB12_1794:
	s_or_b64 exec, exec, s[6:7]
	s_and_saveexec_b64 s[6:7], s[4:5]
	s_cbranch_execz .LBB12_1796
.LBB12_1795:
	v_and_b32_e32 v12, 7, v6
	v_ffbh_u32_e32 v14, v12
	v_min_u32_e32 v14, 32, v14
	v_lshrrev_b16_e32 v13, 3, v6
	v_subrev_u32_e32 v15, 28, v14
	v_and_b32_e32 v13, 15, v13
	v_lshlrev_b32_e32 v15, v15, v6
	v_sub_u32_e32 v14, 29, v14
	v_and_b32_e32 v15, 7, v15
	v_cmp_eq_u16_e32 vcc, 0, v13
	v_cndmask_b32_e32 v12, v12, v15, vcc
	v_cndmask_b32_e32 v13, v13, v14, vcc
	v_lshlrev_b32_e32 v14, 24, v6
	v_mov_b32_e32 v15, 0x3b800000
	v_lshlrev_b32_e32 v12, 20, v12
	v_and_b32_e32 v14, 0x80000000, v14
	v_lshl_add_u32 v13, v13, 23, v15
	v_or3_b32 v12, v14, v13, v12
.LBB12_1796:
	s_or_b64 exec, exec, s[6:7]
	s_movk_i32 s4, 0x7f
	v_cmp_gt_i16_sdwa s[6:7], v2, s4 src0_sel:BYTE_0 src1_sel:DWORD
	s_mov_b64 s[4:5], 0
                                        ; implicit-def: $sgpr10
	s_and_saveexec_b64 s[8:9], s[6:7]
	s_xor_b64 s[6:7], exec, s[8:9]
	s_cbranch_execnz .LBB12_3845
; %bb.1797:
	s_or_saveexec_b64 s[6:7], s[6:7]
	v_mov_b32_e32 v13, s10
	s_xor_b64 exec, exec, s[6:7]
	s_cbranch_execnz .LBB12_3848
.LBB12_1798:
	s_or_b64 exec, exec, s[6:7]
	s_and_saveexec_b64 s[6:7], s[4:5]
	s_cbranch_execz .LBB12_1800
.LBB12_1799:
	v_and_b32_e32 v13, 7, v2
	v_ffbh_u32_e32 v15, v13
	v_min_u32_e32 v15, 32, v15
	v_lshrrev_b16_e32 v14, 3, v2
	v_subrev_u32_e32 v16, 28, v15
	v_and_b32_e32 v14, 15, v14
	v_lshlrev_b32_e32 v16, v16, v2
	v_sub_u32_e32 v15, 29, v15
	v_and_b32_e32 v16, 7, v16
	v_cmp_eq_u16_e32 vcc, 0, v14
	v_cndmask_b32_e32 v13, v13, v16, vcc
	v_cndmask_b32_e32 v14, v14, v15, vcc
	v_lshlrev_b32_e32 v15, 24, v2
	v_mov_b32_e32 v16, 0x3b800000
	v_lshlrev_b32_e32 v13, 20, v13
	v_and_b32_e32 v15, 0x80000000, v15
	v_lshl_add_u32 v14, v14, 23, v16
	v_or3_b32 v13, v15, v14, v13
.LBB12_1800:
	s_or_b64 exec, exec, s[6:7]
	flat_load_dwordx4 a[0:3], v[10:11] offset:224
	s_movk_i32 s4, 0x7f
                                        ; implicit-def: $sgpr10
	s_waitcnt vmcnt(0) lgkmcnt(0)
	v_mfma_f32_16x16x4f32 a[0:3], v12, v13, a[0:3]
	v_lshrrev_b32_e32 v13, 8, v6
	v_cmp_gt_i16_sdwa s[6:7], v13, s4 src0_sel:BYTE_0 src1_sel:DWORD
	s_mov_b64 s[4:5], 0
	s_and_saveexec_b64 s[8:9], s[6:7]
	s_xor_b64 s[6:7], exec, s[8:9]
	s_cbranch_execnz .LBB12_3849
; %bb.1801:
	s_or_saveexec_b64 s[6:7], s[6:7]
	v_mov_b32_e32 v12, s10
	s_xor_b64 exec, exec, s[6:7]
	s_cbranch_execnz .LBB12_3852
.LBB12_1802:
	s_or_b64 exec, exec, s[6:7]
	s_and_saveexec_b64 s[6:7], s[4:5]
	s_cbranch_execz .LBB12_1804
.LBB12_1803:
	v_bfe_u32 v12, v6, 8, 3
	v_ffbh_u32_e32 v15, v12
	v_min_u32_e32 v15, 32, v15
	v_lshrrev_b16_e32 v14, 3, v13
	v_subrev_u32_e32 v16, 28, v15
	v_and_b32_e32 v14, 15, v14
	v_lshlrev_b32_e32 v13, v16, v13
	v_sub_u32_e32 v15, 29, v15
	v_and_b32_e32 v13, 7, v13
	v_cmp_eq_u16_e32 vcc, 0, v14
	v_cndmask_b32_e32 v12, v12, v13, vcc
	v_cndmask_b32_e32 v13, v14, v15, vcc
	v_lshlrev_b32_e32 v14, 16, v6
	v_mov_b32_e32 v15, 0x3b800000
	v_lshlrev_b32_e32 v12, 20, v12
	v_and_b32_e32 v14, 0x80000000, v14
	v_lshl_add_u32 v13, v13, 23, v15
	v_or3_b32 v12, v14, v13, v12
.LBB12_1804:
	s_or_b64 exec, exec, s[6:7]
	v_lshrrev_b32_e32 v13, 8, v2
	s_movk_i32 s4, 0x7f
	v_cmp_gt_i16_sdwa s[6:7], v13, s4 src0_sel:BYTE_0 src1_sel:DWORD
	s_mov_b64 s[4:5], 0
                                        ; implicit-def: $sgpr10
	s_and_saveexec_b64 s[8:9], s[6:7]
	s_xor_b64 s[6:7], exec, s[8:9]
	s_cbranch_execnz .LBB12_3853
; %bb.1805:
	s_or_saveexec_b64 s[6:7], s[6:7]
	v_mov_b32_e32 v14, s10
	s_xor_b64 exec, exec, s[6:7]
	s_cbranch_execnz .LBB12_3856
.LBB12_1806:
	s_or_b64 exec, exec, s[6:7]
	s_and_saveexec_b64 s[6:7], s[4:5]
	s_cbranch_execz .LBB12_1808
.LBB12_1807:
	v_bfe_u32 v14, v2, 8, 3
	v_ffbh_u32_e32 v16, v14
	v_min_u32_e32 v16, 32, v16
	v_lshrrev_b16_e32 v15, 3, v13
	v_subrev_u32_e32 v17, 28, v16
	v_and_b32_e32 v15, 15, v15
	v_lshlrev_b32_e32 v13, v17, v13
	v_sub_u32_e32 v16, 29, v16
	v_and_b32_e32 v13, 7, v13
	v_cmp_eq_u16_e32 vcc, 0, v15
	v_cndmask_b32_e32 v13, v14, v13, vcc
	v_cndmask_b32_e32 v14, v15, v16, vcc
	v_lshlrev_b32_e32 v15, 16, v2
	v_mov_b32_e32 v16, 0x3b800000
	v_lshlrev_b32_e32 v13, 20, v13
	v_and_b32_e32 v15, 0x80000000, v15
	v_lshl_add_u32 v14, v14, 23, v16
	v_or3_b32 v14, v15, v14, v13
.LBB12_1808:
	s_or_b64 exec, exec, s[6:7]
	s_nop 0
	v_mfma_f32_16x16x4f32 a[0:3], v12, v14, a[0:3]
	s_movk_i32 s4, 0xff
	v_and_b32_sdwa v13, v6, s4 dst_sel:DWORD dst_unused:UNUSED_PAD src0_sel:WORD_1 src1_sel:DWORD
	s_movk_i32 s4, 0x7f
	v_cmp_lt_i16_e32 vcc, s4, v13
	s_mov_b64 s[4:5], 0
                                        ; implicit-def: $sgpr10
	s_and_saveexec_b64 s[6:7], vcc
	s_xor_b64 s[6:7], exec, s[6:7]
	s_cbranch_execnz .LBB12_3857
; %bb.1809:
	s_or_saveexec_b64 s[6:7], s[6:7]
	v_mov_b32_e32 v12, s10
	s_xor_b64 exec, exec, s[6:7]
	s_cbranch_execnz .LBB12_3860
.LBB12_1810:
	s_or_b64 exec, exec, s[6:7]
	s_and_saveexec_b64 s[6:7], s[4:5]
	s_cbranch_execz .LBB12_1812
.LBB12_1811:
	v_bfe_u32 v12, v6, 16, 3
	v_ffbh_u32_e32 v15, v12
	v_min_u32_e32 v15, 32, v15
	v_lshrrev_b32_e32 v13, 19, v6
	v_subrev_u32_e32 v16, 28, v15
	v_and_b32_e32 v13, 15, v13
	v_lshlrev_b32_sdwa v16, v16, v6 dst_sel:DWORD dst_unused:UNUSED_PAD src0_sel:DWORD src1_sel:WORD_1
	v_bfe_u32 v14, v6, 19, 4
	v_sub_u32_e32 v15, 29, v15
	v_and_b32_e32 v16, 7, v16
	v_cmp_eq_u16_e32 vcc, 0, v13
	v_cndmask_b32_e32 v12, v12, v16, vcc
	v_cndmask_b32_e32 v13, v14, v15, vcc
	v_lshlrev_b32_e32 v14, 8, v6
	v_mov_b32_e32 v15, 0x3b800000
	v_lshlrev_b32_e32 v12, 20, v12
	v_and_b32_e32 v14, 0x80000000, v14
	v_lshl_add_u32 v13, v13, 23, v15
	v_or3_b32 v12, v14, v13, v12
.LBB12_1812:
	s_or_b64 exec, exec, s[6:7]
	s_movk_i32 s4, 0xff
	v_and_b32_sdwa v13, v2, s4 dst_sel:DWORD dst_unused:UNUSED_PAD src0_sel:WORD_1 src1_sel:DWORD
	s_movk_i32 s4, 0x7f
	v_cmp_lt_i16_e32 vcc, s4, v13
	s_mov_b64 s[4:5], 0
                                        ; implicit-def: $sgpr10
	s_and_saveexec_b64 s[6:7], vcc
	s_xor_b64 s[6:7], exec, s[6:7]
	s_cbranch_execnz .LBB12_3861
; %bb.1813:
	s_or_saveexec_b64 s[6:7], s[6:7]
	v_mov_b32_e32 v14, s10
	s_xor_b64 exec, exec, s[6:7]
	s_cbranch_execnz .LBB12_3864
.LBB12_1814:
	s_or_b64 exec, exec, s[6:7]
	s_and_saveexec_b64 s[6:7], s[4:5]
	s_cbranch_execz .LBB12_1816
.LBB12_1815:
	v_bfe_u32 v13, v2, 16, 3
	v_ffbh_u32_e32 v16, v13
	v_min_u32_e32 v16, 32, v16
	v_lshrrev_b32_e32 v14, 19, v2
	v_subrev_u32_e32 v17, 28, v16
	v_and_b32_e32 v14, 15, v14
	v_lshlrev_b32_sdwa v17, v17, v2 dst_sel:DWORD dst_unused:UNUSED_PAD src0_sel:DWORD src1_sel:WORD_1
	v_bfe_u32 v15, v2, 19, 4
	v_sub_u32_e32 v16, 29, v16
	v_and_b32_e32 v17, 7, v17
	v_cmp_eq_u16_e32 vcc, 0, v14
	v_cndmask_b32_e32 v13, v13, v17, vcc
	v_cndmask_b32_e32 v14, v15, v16, vcc
	v_lshlrev_b32_e32 v15, 8, v2
	v_mov_b32_e32 v16, 0x3b800000
	v_lshlrev_b32_e32 v13, 20, v13
	v_and_b32_e32 v15, 0x80000000, v15
	v_lshl_add_u32 v14, v14, 23, v16
	v_or3_b32 v14, v15, v14, v13
.LBB12_1816:
	s_or_b64 exec, exec, s[6:7]
	s_nop 0
	v_mfma_f32_16x16x4f32 a[0:3], v12, v14, a[0:3]
	s_movk_i32 s4, 0x7f
	v_cmp_gt_i16_sdwa s[6:7], v6, s4 src0_sel:BYTE_3 src1_sel:DWORD
	s_mov_b64 s[4:5], 0
                                        ; implicit-def: $sgpr10
	s_and_saveexec_b64 s[8:9], s[6:7]
	s_xor_b64 s[6:7], exec, s[8:9]
	s_cbranch_execnz .LBB12_3865
; %bb.1817:
	s_or_saveexec_b64 s[6:7], s[6:7]
	v_mov_b32_e32 v12, s10
	s_xor_b64 exec, exec, s[6:7]
	s_cbranch_execnz .LBB12_3868
.LBB12_1818:
	s_or_b64 exec, exec, s[6:7]
	s_and_saveexec_b64 s[6:7], s[4:5]
	s_cbranch_execz .LBB12_1820
.LBB12_1819:
	v_bfe_u32 v12, v6, 24, 3
	v_ffbh_u32_e32 v16, v12
	v_min_u32_e32 v16, 32, v16
	v_lshrrev_b32_e32 v14, 27, v6
	v_subrev_u32_e32 v17, 28, v16
	v_and_b32_e32 v13, 0x80000000, v6
	v_and_b32_e32 v14, 15, v14
	v_bfe_u32 v15, v6, 27, 4
	v_lshlrev_b32_sdwa v6, v17, v6 dst_sel:DWORD dst_unused:UNUSED_PAD src0_sel:DWORD src1_sel:BYTE_3
	v_sub_u32_e32 v16, 29, v16
	v_and_b32_e32 v6, 7, v6
	v_cmp_eq_u16_e32 vcc, 0, v14
	v_cndmask_b32_e32 v6, v12, v6, vcc
	v_cndmask_b32_e32 v12, v15, v16, vcc
	v_mov_b32_e32 v14, 0x3b800000
	v_lshlrev_b32_e32 v6, 20, v6
	v_lshl_add_u32 v12, v12, 23, v14
	v_or3_b32 v12, v13, v12, v6
.LBB12_1820:
	s_or_b64 exec, exec, s[6:7]
	s_movk_i32 s4, 0x7f
	v_cmp_gt_i16_sdwa s[6:7], v2, s4 src0_sel:BYTE_3 src1_sel:DWORD
	s_mov_b64 s[4:5], 0
                                        ; implicit-def: $sgpr10
	s_and_saveexec_b64 s[8:9], s[6:7]
	s_xor_b64 s[6:7], exec, s[8:9]
	s_cbranch_execnz .LBB12_3869
; %bb.1821:
	s_or_saveexec_b64 s[6:7], s[6:7]
	v_mov_b32_e32 v6, s10
	s_xor_b64 exec, exec, s[6:7]
	s_cbranch_execnz .LBB12_3872
.LBB12_1822:
	s_or_b64 exec, exec, s[6:7]
	s_and_saveexec_b64 s[6:7], s[4:5]
	s_cbranch_execz .LBB12_1824
.LBB12_1823:
	v_bfe_u32 v6, v2, 24, 3
	v_ffbh_u32_e32 v16, v6
	v_min_u32_e32 v16, 32, v16
	v_lshrrev_b32_e32 v14, 27, v2
	v_subrev_u32_e32 v17, 28, v16
	v_and_b32_e32 v13, 0x80000000, v2
	v_and_b32_e32 v14, 15, v14
	v_bfe_u32 v15, v2, 27, 4
	v_lshlrev_b32_sdwa v2, v17, v2 dst_sel:DWORD dst_unused:UNUSED_PAD src0_sel:DWORD src1_sel:BYTE_3
	v_sub_u32_e32 v16, 29, v16
	v_and_b32_e32 v2, 7, v2
	v_cmp_eq_u16_e32 vcc, 0, v14
	v_cndmask_b32_e32 v2, v6, v2, vcc
	v_cndmask_b32_e32 v6, v15, v16, vcc
	v_mov_b32_e32 v14, 0x3b800000
	v_lshlrev_b32_e32 v2, 20, v2
	v_lshl_add_u32 v6, v6, 23, v14
	v_or3_b32 v6, v13, v6, v2
.LBB12_1824:
	s_or_b64 exec, exec, s[6:7]
	s_nop 0
	v_mfma_f32_16x16x4f32 a[0:3], v12, v6, a[0:3]
	s_movk_i32 s4, 0x7f
	v_cmp_gt_i16_sdwa s[6:7], v7, s4 src0_sel:BYTE_0 src1_sel:DWORD
	s_mov_b64 s[4:5], 0
                                        ; implicit-def: $sgpr10
	s_and_saveexec_b64 s[8:9], s[6:7]
	s_xor_b64 s[6:7], exec, s[8:9]
	s_cbranch_execnz .LBB12_3873
; %bb.1825:
	s_or_saveexec_b64 s[6:7], s[6:7]
	v_mov_b32_e32 v2, s10
	s_xor_b64 exec, exec, s[6:7]
	s_cbranch_execnz .LBB12_3876
.LBB12_1826:
	s_or_b64 exec, exec, s[6:7]
	s_and_saveexec_b64 s[6:7], s[4:5]
	s_cbranch_execz .LBB12_1828
.LBB12_1827:
	v_and_b32_e32 v2, 7, v7
	v_ffbh_u32_e32 v12, v2
	v_min_u32_e32 v12, 32, v12
	v_lshrrev_b16_e32 v6, 3, v7
	v_subrev_u32_e32 v13, 28, v12
	v_and_b32_e32 v6, 15, v6
	v_lshlrev_b32_e32 v13, v13, v7
	v_sub_u32_e32 v12, 29, v12
	v_and_b32_e32 v13, 7, v13
	v_cmp_eq_u16_e32 vcc, 0, v6
	v_cndmask_b32_e32 v2, v2, v13, vcc
	v_cndmask_b32_e32 v6, v6, v12, vcc
	v_lshlrev_b32_e32 v12, 24, v7
	v_mov_b32_e32 v13, 0x3b800000
	v_lshlrev_b32_e32 v2, 20, v2
	v_and_b32_e32 v12, 0x80000000, v12
	v_lshl_add_u32 v6, v6, 23, v13
	v_or3_b32 v2, v12, v6, v2
.LBB12_1828:
	s_or_b64 exec, exec, s[6:7]
	s_movk_i32 s4, 0x7f
	v_cmp_gt_i16_sdwa s[6:7], v3, s4 src0_sel:BYTE_0 src1_sel:DWORD
	s_mov_b64 s[4:5], 0
                                        ; implicit-def: $sgpr10
	s_and_saveexec_b64 s[8:9], s[6:7]
	s_xor_b64 s[6:7], exec, s[8:9]
	s_cbranch_execnz .LBB12_3877
; %bb.1829:
	s_or_saveexec_b64 s[6:7], s[6:7]
	v_mov_b32_e32 v6, s10
	s_xor_b64 exec, exec, s[6:7]
	s_cbranch_execnz .LBB12_3880
.LBB12_1830:
	s_or_b64 exec, exec, s[6:7]
	s_and_saveexec_b64 s[6:7], s[4:5]
	s_cbranch_execz .LBB12_1832
.LBB12_1831:
	v_and_b32_e32 v6, 7, v3
	v_ffbh_u32_e32 v13, v6
	v_min_u32_e32 v13, 32, v13
	v_lshrrev_b16_e32 v12, 3, v3
	v_subrev_u32_e32 v14, 28, v13
	v_and_b32_e32 v12, 15, v12
	v_lshlrev_b32_e32 v14, v14, v3
	v_sub_u32_e32 v13, 29, v13
	v_and_b32_e32 v14, 7, v14
	v_cmp_eq_u16_e32 vcc, 0, v12
	v_cndmask_b32_e32 v6, v6, v14, vcc
	v_cndmask_b32_e32 v12, v12, v13, vcc
	v_lshlrev_b32_e32 v13, 24, v3
	v_mov_b32_e32 v14, 0x3b800000
	v_lshlrev_b32_e32 v6, 20, v6
	v_and_b32_e32 v13, 0x80000000, v13
	v_lshl_add_u32 v12, v12, 23, v14
	v_or3_b32 v6, v13, v12, v6
.LBB12_1832:
	s_or_b64 exec, exec, s[6:7]
	s_nop 0
	v_mfma_f32_16x16x4f32 a[0:3], v2, v6, a[0:3]
	v_lshrrev_b32_e32 v6, 8, v7
	s_movk_i32 s4, 0x7f
	v_cmp_gt_i16_sdwa s[6:7], v6, s4 src0_sel:BYTE_0 src1_sel:DWORD
	s_mov_b64 s[4:5], 0
                                        ; implicit-def: $sgpr10
	s_and_saveexec_b64 s[8:9], s[6:7]
	s_xor_b64 s[6:7], exec, s[8:9]
	s_cbranch_execnz .LBB12_3881
; %bb.1833:
	s_or_saveexec_b64 s[6:7], s[6:7]
	v_mov_b32_e32 v2, s10
	s_xor_b64 exec, exec, s[6:7]
	s_cbranch_execnz .LBB12_3884
.LBB12_1834:
	s_or_b64 exec, exec, s[6:7]
	s_and_saveexec_b64 s[6:7], s[4:5]
	s_cbranch_execz .LBB12_1836
.LBB12_1835:
	v_bfe_u32 v2, v7, 8, 3
	v_ffbh_u32_e32 v13, v2
	v_min_u32_e32 v13, 32, v13
	v_lshrrev_b16_e32 v12, 3, v6
	v_subrev_u32_e32 v14, 28, v13
	v_and_b32_e32 v12, 15, v12
	v_lshlrev_b32_e32 v6, v14, v6
	v_sub_u32_e32 v13, 29, v13
	v_and_b32_e32 v6, 7, v6
	v_cmp_eq_u16_e32 vcc, 0, v12
	v_cndmask_b32_e32 v2, v2, v6, vcc
	v_cndmask_b32_e32 v6, v12, v13, vcc
	v_lshlrev_b32_e32 v12, 16, v7
	v_mov_b32_e32 v13, 0x3b800000
	v_lshlrev_b32_e32 v2, 20, v2
	v_and_b32_e32 v12, 0x80000000, v12
	v_lshl_add_u32 v6, v6, 23, v13
	v_or3_b32 v2, v12, v6, v2
.LBB12_1836:
	s_or_b64 exec, exec, s[6:7]
	v_lshrrev_b32_e32 v6, 8, v3
	s_movk_i32 s4, 0x7f
	v_cmp_gt_i16_sdwa s[6:7], v6, s4 src0_sel:BYTE_0 src1_sel:DWORD
	s_mov_b64 s[4:5], 0
                                        ; implicit-def: $sgpr10
	s_and_saveexec_b64 s[8:9], s[6:7]
	s_xor_b64 s[6:7], exec, s[8:9]
	s_cbranch_execnz .LBB12_3885
; %bb.1837:
	s_or_saveexec_b64 s[6:7], s[6:7]
	v_mov_b32_e32 v12, s10
	s_xor_b64 exec, exec, s[6:7]
	s_cbranch_execnz .LBB12_3888
.LBB12_1838:
	s_or_b64 exec, exec, s[6:7]
	s_and_saveexec_b64 s[6:7], s[4:5]
	s_cbranch_execz .LBB12_1840
.LBB12_1839:
	v_bfe_u32 v12, v3, 8, 3
	v_ffbh_u32_e32 v14, v12
	v_min_u32_e32 v14, 32, v14
	v_lshrrev_b16_e32 v13, 3, v6
	v_subrev_u32_e32 v15, 28, v14
	v_and_b32_e32 v13, 15, v13
	v_lshlrev_b32_e32 v6, v15, v6
	v_sub_u32_e32 v14, 29, v14
	v_and_b32_e32 v6, 7, v6
	v_cmp_eq_u16_e32 vcc, 0, v13
	v_cndmask_b32_e32 v6, v12, v6, vcc
	v_cndmask_b32_e32 v12, v13, v14, vcc
	v_lshlrev_b32_e32 v13, 16, v3
	v_mov_b32_e32 v14, 0x3b800000
	v_lshlrev_b32_e32 v6, 20, v6
	v_and_b32_e32 v13, 0x80000000, v13
	v_lshl_add_u32 v12, v12, 23, v14
	v_or3_b32 v12, v13, v12, v6
.LBB12_1840:
	s_or_b64 exec, exec, s[6:7]
	s_nop 0
	v_mfma_f32_16x16x4f32 a[0:3], v2, v12, a[0:3]
	s_movk_i32 s4, 0xff
	v_and_b32_sdwa v6, v7, s4 dst_sel:DWORD dst_unused:UNUSED_PAD src0_sel:WORD_1 src1_sel:DWORD
	s_movk_i32 s4, 0x7f
	v_cmp_lt_i16_e32 vcc, s4, v6
	s_mov_b64 s[4:5], 0
                                        ; implicit-def: $sgpr10
	s_and_saveexec_b64 s[6:7], vcc
	s_xor_b64 s[6:7], exec, s[6:7]
	s_cbranch_execnz .LBB12_3889
; %bb.1841:
	s_or_saveexec_b64 s[6:7], s[6:7]
	v_mov_b32_e32 v2, s10
	s_xor_b64 exec, exec, s[6:7]
	s_cbranch_execnz .LBB12_3892
.LBB12_1842:
	s_or_b64 exec, exec, s[6:7]
	s_and_saveexec_b64 s[6:7], s[4:5]
	s_cbranch_execz .LBB12_1844
.LBB12_1843:
	v_bfe_u32 v2, v7, 16, 3
	v_ffbh_u32_e32 v13, v2
	v_min_u32_e32 v13, 32, v13
	v_lshrrev_b32_e32 v6, 19, v7
	v_subrev_u32_e32 v14, 28, v13
	v_and_b32_e32 v6, 15, v6
	v_lshlrev_b32_sdwa v14, v14, v7 dst_sel:DWORD dst_unused:UNUSED_PAD src0_sel:DWORD src1_sel:WORD_1
	v_bfe_u32 v12, v7, 19, 4
	v_sub_u32_e32 v13, 29, v13
	v_and_b32_e32 v14, 7, v14
	v_cmp_eq_u16_e32 vcc, 0, v6
	v_cndmask_b32_e32 v2, v2, v14, vcc
	v_cndmask_b32_e32 v6, v12, v13, vcc
	v_lshlrev_b32_e32 v12, 8, v7
	v_mov_b32_e32 v13, 0x3b800000
	v_lshlrev_b32_e32 v2, 20, v2
	v_and_b32_e32 v12, 0x80000000, v12
	v_lshl_add_u32 v6, v6, 23, v13
	v_or3_b32 v2, v12, v6, v2
.LBB12_1844:
	s_or_b64 exec, exec, s[6:7]
	s_movk_i32 s4, 0xff
	v_and_b32_sdwa v6, v3, s4 dst_sel:DWORD dst_unused:UNUSED_PAD src0_sel:WORD_1 src1_sel:DWORD
	s_movk_i32 s4, 0x7f
	v_cmp_lt_i16_e32 vcc, s4, v6
	s_mov_b64 s[4:5], 0
                                        ; implicit-def: $sgpr10
	s_and_saveexec_b64 s[6:7], vcc
	s_xor_b64 s[6:7], exec, s[6:7]
	s_cbranch_execnz .LBB12_3893
; %bb.1845:
	s_or_saveexec_b64 s[6:7], s[6:7]
	v_mov_b32_e32 v12, s10
	s_xor_b64 exec, exec, s[6:7]
	s_cbranch_execnz .LBB12_3896
.LBB12_1846:
	s_or_b64 exec, exec, s[6:7]
	s_and_saveexec_b64 s[6:7], s[4:5]
	s_cbranch_execz .LBB12_1848
.LBB12_1847:
	v_bfe_u32 v6, v3, 16, 3
	v_ffbh_u32_e32 v14, v6
	v_min_u32_e32 v14, 32, v14
	v_lshrrev_b32_e32 v12, 19, v3
	v_subrev_u32_e32 v15, 28, v14
	v_and_b32_e32 v12, 15, v12
	v_lshlrev_b32_sdwa v15, v15, v3 dst_sel:DWORD dst_unused:UNUSED_PAD src0_sel:DWORD src1_sel:WORD_1
	v_bfe_u32 v13, v3, 19, 4
	v_sub_u32_e32 v14, 29, v14
	v_and_b32_e32 v15, 7, v15
	v_cmp_eq_u16_e32 vcc, 0, v12
	v_cndmask_b32_e32 v6, v6, v15, vcc
	v_cndmask_b32_e32 v12, v13, v14, vcc
	v_lshlrev_b32_e32 v13, 8, v3
	v_mov_b32_e32 v14, 0x3b800000
	v_lshlrev_b32_e32 v6, 20, v6
	v_and_b32_e32 v13, 0x80000000, v13
	v_lshl_add_u32 v12, v12, 23, v14
	v_or3_b32 v12, v13, v12, v6
.LBB12_1848:
	s_or_b64 exec, exec, s[6:7]
	s_nop 0
	v_mfma_f32_16x16x4f32 a[0:3], v2, v12, a[0:3]
	s_movk_i32 s4, 0x7f
	v_cmp_gt_i16_sdwa s[6:7], v7, s4 src0_sel:BYTE_3 src1_sel:DWORD
	s_mov_b64 s[4:5], 0
                                        ; implicit-def: $sgpr10
	s_and_saveexec_b64 s[8:9], s[6:7]
	s_xor_b64 s[6:7], exec, s[8:9]
	s_cbranch_execnz .LBB12_3897
; %bb.1849:
	s_or_saveexec_b64 s[6:7], s[6:7]
	v_mov_b32_e32 v2, s10
	s_xor_b64 exec, exec, s[6:7]
	s_cbranch_execnz .LBB12_3900
.LBB12_1850:
	s_or_b64 exec, exec, s[6:7]
	s_and_saveexec_b64 s[6:7], s[4:5]
	s_cbranch_execz .LBB12_1852
.LBB12_1851:
	v_bfe_u32 v2, v7, 24, 3
	v_ffbh_u32_e32 v14, v2
	v_min_u32_e32 v14, 32, v14
	v_lshrrev_b32_e32 v12, 27, v7
	v_subrev_u32_e32 v15, 28, v14
	v_and_b32_e32 v6, 0x80000000, v7
	v_and_b32_e32 v12, 15, v12
	v_bfe_u32 v13, v7, 27, 4
	v_lshlrev_b32_sdwa v7, v15, v7 dst_sel:DWORD dst_unused:UNUSED_PAD src0_sel:DWORD src1_sel:BYTE_3
	v_sub_u32_e32 v14, 29, v14
	v_and_b32_e32 v7, 7, v7
	v_cmp_eq_u16_e32 vcc, 0, v12
	v_cndmask_b32_e32 v2, v2, v7, vcc
	v_cndmask_b32_e32 v7, v13, v14, vcc
	v_mov_b32_e32 v12, 0x3b800000
	v_lshlrev_b32_e32 v2, 20, v2
	v_lshl_add_u32 v7, v7, 23, v12
	v_or3_b32 v2, v6, v7, v2
.LBB12_1852:
	s_or_b64 exec, exec, s[6:7]
	s_movk_i32 s4, 0x7f
	v_cmp_gt_i16_sdwa s[6:7], v3, s4 src0_sel:BYTE_3 src1_sel:DWORD
	s_mov_b64 s[4:5], 0
                                        ; implicit-def: $sgpr10
	s_and_saveexec_b64 s[8:9], s[6:7]
	s_xor_b64 s[6:7], exec, s[8:9]
	s_cbranch_execnz .LBB12_3901
; %bb.1853:
	s_or_saveexec_b64 s[6:7], s[6:7]
	v_mov_b32_e32 v6, s10
	s_xor_b64 exec, exec, s[6:7]
	s_cbranch_execnz .LBB12_3904
.LBB12_1854:
	s_or_b64 exec, exec, s[6:7]
	s_and_saveexec_b64 s[6:7], s[4:5]
	s_cbranch_execz .LBB12_1856
.LBB12_1855:
	v_bfe_u32 v6, v3, 24, 3
	v_ffbh_u32_e32 v14, v6
	v_min_u32_e32 v14, 32, v14
	v_lshrrev_b32_e32 v12, 27, v3
	v_subrev_u32_e32 v15, 28, v14
	v_and_b32_e32 v7, 0x80000000, v3
	v_and_b32_e32 v12, 15, v12
	v_bfe_u32 v13, v3, 27, 4
	v_lshlrev_b32_sdwa v3, v15, v3 dst_sel:DWORD dst_unused:UNUSED_PAD src0_sel:DWORD src1_sel:BYTE_3
	v_sub_u32_e32 v14, 29, v14
	v_and_b32_e32 v3, 7, v3
	v_cmp_eq_u16_e32 vcc, 0, v12
	v_cndmask_b32_e32 v3, v6, v3, vcc
	v_cndmask_b32_e32 v6, v13, v14, vcc
	v_mov_b32_e32 v12, 0x3b800000
	v_lshlrev_b32_e32 v3, 20, v3
	v_lshl_add_u32 v6, v6, 23, v12
	v_or3_b32 v6, v7, v6, v3
.LBB12_1856:
	s_or_b64 exec, exec, s[6:7]
	s_nop 0
	v_mfma_f32_16x16x4f32 a[0:3], v2, v6, a[0:3]
	s_movk_i32 s4, 0x7f
	v_cmp_gt_i16_sdwa s[6:7], v8, s4 src0_sel:BYTE_0 src1_sel:DWORD
	s_mov_b64 s[4:5], 0
                                        ; implicit-def: $sgpr10
	s_and_saveexec_b64 s[8:9], s[6:7]
	s_xor_b64 s[6:7], exec, s[8:9]
	s_cbranch_execnz .LBB12_3905
; %bb.1857:
	s_or_saveexec_b64 s[6:7], s[6:7]
	v_mov_b32_e32 v2, s10
	s_xor_b64 exec, exec, s[6:7]
	s_cbranch_execnz .LBB12_3908
.LBB12_1858:
	s_or_b64 exec, exec, s[6:7]
	s_and_saveexec_b64 s[6:7], s[4:5]
	s_cbranch_execz .LBB12_1860
.LBB12_1859:
	v_and_b32_e32 v2, 7, v8
	v_ffbh_u32_e32 v6, v2
	v_min_u32_e32 v6, 32, v6
	v_lshrrev_b16_e32 v3, 3, v8
	v_subrev_u32_e32 v7, 28, v6
	v_and_b32_e32 v3, 15, v3
	v_lshlrev_b32_e32 v7, v7, v8
	v_sub_u32_e32 v6, 29, v6
	v_and_b32_e32 v7, 7, v7
	v_cmp_eq_u16_e32 vcc, 0, v3
	v_cndmask_b32_e32 v2, v2, v7, vcc
	v_cndmask_b32_e32 v3, v3, v6, vcc
	v_lshlrev_b32_e32 v6, 24, v8
	v_mov_b32_e32 v7, 0x3b800000
	v_lshlrev_b32_e32 v2, 20, v2
	v_and_b32_e32 v6, 0x80000000, v6
	v_lshl_add_u32 v3, v3, 23, v7
	v_or3_b32 v2, v6, v3, v2
.LBB12_1860:
	s_or_b64 exec, exec, s[6:7]
	s_movk_i32 s4, 0x7f
	v_cmp_gt_i16_sdwa s[6:7], v4, s4 src0_sel:BYTE_0 src1_sel:DWORD
	s_mov_b64 s[4:5], 0
                                        ; implicit-def: $sgpr10
	s_and_saveexec_b64 s[8:9], s[6:7]
	s_xor_b64 s[6:7], exec, s[8:9]
	s_cbranch_execnz .LBB12_3909
; %bb.1861:
	s_or_saveexec_b64 s[6:7], s[6:7]
	v_mov_b32_e32 v3, s10
	s_xor_b64 exec, exec, s[6:7]
	s_cbranch_execnz .LBB12_3912
.LBB12_1862:
	s_or_b64 exec, exec, s[6:7]
	s_and_saveexec_b64 s[6:7], s[4:5]
	s_cbranch_execz .LBB12_1864
.LBB12_1863:
	v_and_b32_e32 v3, 7, v4
	v_ffbh_u32_e32 v7, v3
	v_min_u32_e32 v7, 32, v7
	v_lshrrev_b16_e32 v6, 3, v4
	v_subrev_u32_e32 v12, 28, v7
	v_and_b32_e32 v6, 15, v6
	v_lshlrev_b32_e32 v12, v12, v4
	v_sub_u32_e32 v7, 29, v7
	v_and_b32_e32 v12, 7, v12
	v_cmp_eq_u16_e32 vcc, 0, v6
	v_cndmask_b32_e32 v3, v3, v12, vcc
	v_cndmask_b32_e32 v6, v6, v7, vcc
	v_lshlrev_b32_e32 v7, 24, v4
	v_mov_b32_e32 v12, 0x3b800000
	v_lshlrev_b32_e32 v3, 20, v3
	v_and_b32_e32 v7, 0x80000000, v7
	v_lshl_add_u32 v6, v6, 23, v12
	v_or3_b32 v3, v7, v6, v3
.LBB12_1864:
	s_or_b64 exec, exec, s[6:7]
	s_nop 0
	v_mfma_f32_16x16x4f32 a[0:3], v2, v3, a[0:3]
	v_lshrrev_b32_e32 v3, 8, v8
	s_movk_i32 s4, 0x7f
	v_cmp_gt_i16_sdwa s[6:7], v3, s4 src0_sel:BYTE_0 src1_sel:DWORD
	s_mov_b64 s[4:5], 0
                                        ; implicit-def: $sgpr10
	s_and_saveexec_b64 s[8:9], s[6:7]
	s_xor_b64 s[6:7], exec, s[8:9]
	s_cbranch_execnz .LBB12_3913
; %bb.1865:
	s_or_saveexec_b64 s[6:7], s[6:7]
	v_mov_b32_e32 v2, s10
	s_xor_b64 exec, exec, s[6:7]
	s_cbranch_execnz .LBB12_3916
.LBB12_1866:
	s_or_b64 exec, exec, s[6:7]
	s_and_saveexec_b64 s[6:7], s[4:5]
	s_cbranch_execz .LBB12_1868
.LBB12_1867:
	v_bfe_u32 v2, v8, 8, 3
	v_ffbh_u32_e32 v7, v2
	v_min_u32_e32 v7, 32, v7
	v_lshrrev_b16_e32 v6, 3, v3
	v_subrev_u32_e32 v12, 28, v7
	v_and_b32_e32 v6, 15, v6
	v_lshlrev_b32_e32 v3, v12, v3
	v_sub_u32_e32 v7, 29, v7
	v_and_b32_e32 v3, 7, v3
	v_cmp_eq_u16_e32 vcc, 0, v6
	v_cndmask_b32_e32 v2, v2, v3, vcc
	v_cndmask_b32_e32 v3, v6, v7, vcc
	v_lshlrev_b32_e32 v6, 16, v8
	v_mov_b32_e32 v7, 0x3b800000
	v_lshlrev_b32_e32 v2, 20, v2
	v_and_b32_e32 v6, 0x80000000, v6
	v_lshl_add_u32 v3, v3, 23, v7
	v_or3_b32 v2, v6, v3, v2
.LBB12_1868:
	s_or_b64 exec, exec, s[6:7]
	v_lshrrev_b32_e32 v3, 8, v4
	s_movk_i32 s4, 0x7f
	v_cmp_gt_i16_sdwa s[6:7], v3, s4 src0_sel:BYTE_0 src1_sel:DWORD
	s_mov_b64 s[4:5], 0
                                        ; implicit-def: $sgpr10
	s_and_saveexec_b64 s[8:9], s[6:7]
	s_xor_b64 s[6:7], exec, s[8:9]
	s_cbranch_execnz .LBB12_3917
; %bb.1869:
	s_or_saveexec_b64 s[6:7], s[6:7]
	v_mov_b32_e32 v6, s10
	s_xor_b64 exec, exec, s[6:7]
	s_cbranch_execnz .LBB12_3920
.LBB12_1870:
	s_or_b64 exec, exec, s[6:7]
	s_and_saveexec_b64 s[6:7], s[4:5]
	s_cbranch_execz .LBB12_1872
.LBB12_1871:
	v_bfe_u32 v6, v4, 8, 3
	v_ffbh_u32_e32 v12, v6
	v_min_u32_e32 v12, 32, v12
	v_lshrrev_b16_e32 v7, 3, v3
	v_subrev_u32_e32 v13, 28, v12
	v_and_b32_e32 v7, 15, v7
	v_lshlrev_b32_e32 v3, v13, v3
	v_sub_u32_e32 v12, 29, v12
	v_and_b32_e32 v3, 7, v3
	v_cmp_eq_u16_e32 vcc, 0, v7
	v_cndmask_b32_e32 v3, v6, v3, vcc
	v_cndmask_b32_e32 v6, v7, v12, vcc
	v_lshlrev_b32_e32 v7, 16, v4
	v_mov_b32_e32 v12, 0x3b800000
	v_lshlrev_b32_e32 v3, 20, v3
	v_and_b32_e32 v7, 0x80000000, v7
	v_lshl_add_u32 v6, v6, 23, v12
	v_or3_b32 v6, v7, v6, v3
.LBB12_1872:
	s_or_b64 exec, exec, s[6:7]
	s_nop 0
	v_mfma_f32_16x16x4f32 a[0:3], v2, v6, a[0:3]
	s_movk_i32 s4, 0xff
	v_and_b32_sdwa v3, v8, s4 dst_sel:DWORD dst_unused:UNUSED_PAD src0_sel:WORD_1 src1_sel:DWORD
	s_movk_i32 s4, 0x7f
	v_cmp_lt_i16_e32 vcc, s4, v3
	s_mov_b64 s[4:5], 0
                                        ; implicit-def: $sgpr10
	s_and_saveexec_b64 s[6:7], vcc
	s_xor_b64 s[6:7], exec, s[6:7]
	s_cbranch_execnz .LBB12_3921
; %bb.1873:
	s_or_saveexec_b64 s[6:7], s[6:7]
	v_mov_b32_e32 v2, s10
	s_xor_b64 exec, exec, s[6:7]
	s_cbranch_execnz .LBB12_3924
.LBB12_1874:
	s_or_b64 exec, exec, s[6:7]
	s_and_saveexec_b64 s[6:7], s[4:5]
	s_cbranch_execz .LBB12_1876
.LBB12_1875:
	v_bfe_u32 v2, v8, 16, 3
	v_ffbh_u32_e32 v7, v2
	v_min_u32_e32 v7, 32, v7
	v_lshrrev_b32_e32 v3, 19, v8
	v_subrev_u32_e32 v12, 28, v7
	v_and_b32_e32 v3, 15, v3
	v_lshlrev_b32_sdwa v12, v12, v8 dst_sel:DWORD dst_unused:UNUSED_PAD src0_sel:DWORD src1_sel:WORD_1
	v_bfe_u32 v6, v8, 19, 4
	v_sub_u32_e32 v7, 29, v7
	v_and_b32_e32 v12, 7, v12
	v_cmp_eq_u16_e32 vcc, 0, v3
	v_cndmask_b32_e32 v2, v2, v12, vcc
	v_cndmask_b32_e32 v3, v6, v7, vcc
	v_lshlrev_b32_e32 v6, 8, v8
	v_mov_b32_e32 v7, 0x3b800000
	v_lshlrev_b32_e32 v2, 20, v2
	v_and_b32_e32 v6, 0x80000000, v6
	v_lshl_add_u32 v3, v3, 23, v7
	v_or3_b32 v2, v6, v3, v2
.LBB12_1876:
	s_or_b64 exec, exec, s[6:7]
	s_movk_i32 s4, 0xff
	v_and_b32_sdwa v3, v4, s4 dst_sel:DWORD dst_unused:UNUSED_PAD src0_sel:WORD_1 src1_sel:DWORD
	s_movk_i32 s4, 0x7f
	v_cmp_lt_i16_e32 vcc, s4, v3
	s_mov_b64 s[4:5], 0
                                        ; implicit-def: $sgpr10
	s_and_saveexec_b64 s[6:7], vcc
	s_xor_b64 s[6:7], exec, s[6:7]
	s_cbranch_execnz .LBB12_3925
; %bb.1877:
	s_or_saveexec_b64 s[6:7], s[6:7]
	v_mov_b32_e32 v6, s10
	s_xor_b64 exec, exec, s[6:7]
	s_cbranch_execnz .LBB12_3928
.LBB12_1878:
	s_or_b64 exec, exec, s[6:7]
	s_and_saveexec_b64 s[6:7], s[4:5]
	s_cbranch_execz .LBB12_1880
.LBB12_1879:
	v_bfe_u32 v3, v4, 16, 3
	v_ffbh_u32_e32 v12, v3
	v_min_u32_e32 v12, 32, v12
	v_lshrrev_b32_e32 v6, 19, v4
	v_subrev_u32_e32 v13, 28, v12
	v_and_b32_e32 v6, 15, v6
	v_lshlrev_b32_sdwa v13, v13, v4 dst_sel:DWORD dst_unused:UNUSED_PAD src0_sel:DWORD src1_sel:WORD_1
	v_bfe_u32 v7, v4, 19, 4
	v_sub_u32_e32 v12, 29, v12
	v_and_b32_e32 v13, 7, v13
	v_cmp_eq_u16_e32 vcc, 0, v6
	v_cndmask_b32_e32 v3, v3, v13, vcc
	v_cndmask_b32_e32 v6, v7, v12, vcc
	v_lshlrev_b32_e32 v7, 8, v4
	v_mov_b32_e32 v12, 0x3b800000
	v_lshlrev_b32_e32 v3, 20, v3
	v_and_b32_e32 v7, 0x80000000, v7
	v_lshl_add_u32 v6, v6, 23, v12
	v_or3_b32 v6, v7, v6, v3
.LBB12_1880:
	s_or_b64 exec, exec, s[6:7]
	s_nop 0
	v_mfma_f32_16x16x4f32 a[0:3], v2, v6, a[0:3]
	s_movk_i32 s4, 0x7f
	v_cmp_gt_i16_sdwa s[6:7], v8, s4 src0_sel:BYTE_3 src1_sel:DWORD
	s_mov_b64 s[4:5], 0
                                        ; implicit-def: $sgpr10
	s_and_saveexec_b64 s[8:9], s[6:7]
	s_xor_b64 s[6:7], exec, s[8:9]
	s_cbranch_execnz .LBB12_3929
; %bb.1881:
	s_or_saveexec_b64 s[6:7], s[6:7]
	v_mov_b32_e32 v2, s10
	s_xor_b64 exec, exec, s[6:7]
	s_cbranch_execnz .LBB12_3932
.LBB12_1882:
	s_or_b64 exec, exec, s[6:7]
	s_and_saveexec_b64 s[6:7], s[4:5]
	s_cbranch_execz .LBB12_1884
.LBB12_1883:
	v_bfe_u32 v2, v8, 24, 3
	v_ffbh_u32_e32 v12, v2
	v_min_u32_e32 v12, 32, v12
	v_lshrrev_b32_e32 v6, 27, v8
	v_subrev_u32_e32 v13, 28, v12
	v_and_b32_e32 v3, 0x80000000, v8
	v_and_b32_e32 v6, 15, v6
	v_bfe_u32 v7, v8, 27, 4
	v_lshlrev_b32_sdwa v8, v13, v8 dst_sel:DWORD dst_unused:UNUSED_PAD src0_sel:DWORD src1_sel:BYTE_3
	v_sub_u32_e32 v12, 29, v12
	v_and_b32_e32 v8, 7, v8
	v_cmp_eq_u16_e32 vcc, 0, v6
	v_cndmask_b32_e32 v2, v2, v8, vcc
	v_cndmask_b32_e32 v6, v7, v12, vcc
	v_mov_b32_e32 v7, 0x3b800000
	v_lshlrev_b32_e32 v2, 20, v2
	v_lshl_add_u32 v6, v6, 23, v7
	v_or3_b32 v2, v3, v6, v2
.LBB12_1884:
	s_or_b64 exec, exec, s[6:7]
	s_movk_i32 s4, 0x7f
	v_cmp_gt_i16_sdwa s[6:7], v4, s4 src0_sel:BYTE_3 src1_sel:DWORD
	s_mov_b64 s[4:5], 0
                                        ; implicit-def: $sgpr10
	s_and_saveexec_b64 s[8:9], s[6:7]
	s_xor_b64 s[6:7], exec, s[8:9]
	s_cbranch_execnz .LBB12_3933
; %bb.1885:
	s_or_saveexec_b64 s[6:7], s[6:7]
	v_mov_b32_e32 v3, s10
	s_xor_b64 exec, exec, s[6:7]
	s_cbranch_execnz .LBB12_3936
.LBB12_1886:
	s_or_b64 exec, exec, s[6:7]
	s_and_saveexec_b64 s[6:7], s[4:5]
	s_cbranch_execz .LBB12_1888
.LBB12_1887:
	v_bfe_u32 v3, v4, 24, 3
	v_ffbh_u32_e32 v12, v3
	v_min_u32_e32 v12, 32, v12
	v_lshrrev_b32_e32 v7, 27, v4
	v_subrev_u32_e32 v13, 28, v12
	v_and_b32_e32 v6, 0x80000000, v4
	v_and_b32_e32 v7, 15, v7
	v_bfe_u32 v8, v4, 27, 4
	v_lshlrev_b32_sdwa v4, v13, v4 dst_sel:DWORD dst_unused:UNUSED_PAD src0_sel:DWORD src1_sel:BYTE_3
	v_sub_u32_e32 v12, 29, v12
	v_and_b32_e32 v4, 7, v4
	v_cmp_eq_u16_e32 vcc, 0, v7
	v_cndmask_b32_e32 v3, v3, v4, vcc
	v_cndmask_b32_e32 v4, v8, v12, vcc
	v_mov_b32_e32 v7, 0x3b800000
	v_lshlrev_b32_e32 v3, 20, v3
	v_lshl_add_u32 v4, v4, 23, v7
	v_or3_b32 v3, v6, v4, v3
.LBB12_1888:
	s_or_b64 exec, exec, s[6:7]
	s_nop 0
	v_mfma_f32_16x16x4f32 a[0:3], v2, v3, a[0:3]
	s_movk_i32 s4, 0x7f
	v_cmp_gt_i16_sdwa s[6:7], v9, s4 src0_sel:BYTE_0 src1_sel:DWORD
	s_mov_b64 s[4:5], 0
                                        ; implicit-def: $sgpr10
	s_and_saveexec_b64 s[8:9], s[6:7]
	s_xor_b64 s[6:7], exec, s[8:9]
	s_cbranch_execnz .LBB12_3937
; %bb.1889:
	s_or_saveexec_b64 s[6:7], s[6:7]
	v_mov_b32_e32 v2, s10
	s_xor_b64 exec, exec, s[6:7]
	s_cbranch_execnz .LBB12_3940
.LBB12_1890:
	s_or_b64 exec, exec, s[6:7]
	s_and_saveexec_b64 s[6:7], s[4:5]
	s_cbranch_execz .LBB12_1892
.LBB12_1891:
	v_mov_b32_e32 v2, 8
	v_and_b32_e32 v3, 7, v9
	v_lshrrev_b32_sdwa v2, v2, v9 dst_sel:BYTE_1 dst_unused:UNUSED_PAD src0_sel:DWORD src1_sel:DWORD
	v_ffbh_u32_e32 v4, v3
	v_or_b32_sdwa v2, v9, v2 dst_sel:DWORD dst_unused:UNUSED_PAD src0_sel:BYTE_0 src1_sel:DWORD
	v_min_u32_e32 v4, 32, v4
	v_lshrrev_b16_e32 v2, 3, v2
	v_subrev_u32_e32 v6, 28, v4
	v_and_b32_e32 v2, 15, v2
	v_lshlrev_b32_e32 v6, v6, v9
	v_sub_u32_e32 v4, 29, v4
	v_and_b32_e32 v6, 7, v6
	v_cmp_eq_u16_e32 vcc, 0, v2
	v_cndmask_b32_e32 v3, v3, v6, vcc
	v_cndmask_b32_e32 v2, v2, v4, vcc
	v_lshlrev_b32_e32 v4, 24, v9
	v_mov_b32_e32 v6, 0x3b800000
	v_lshlrev_b32_e32 v3, 20, v3
	v_and_b32_e32 v4, 0x80000000, v4
	v_lshl_add_u32 v2, v2, 23, v6
	v_or3_b32 v2, v4, v2, v3
.LBB12_1892:
	s_or_b64 exec, exec, s[6:7]
	s_movk_i32 s4, 0x7f
	v_cmp_gt_i16_sdwa s[6:7], v5, s4 src0_sel:BYTE_0 src1_sel:DWORD
	s_mov_b64 s[4:5], 0
                                        ; implicit-def: $sgpr10
	s_and_saveexec_b64 s[8:9], s[6:7]
	s_xor_b64 s[6:7], exec, s[8:9]
	s_cbranch_execnz .LBB12_3941
; %bb.1893:
	s_or_saveexec_b64 s[6:7], s[6:7]
	v_mov_b32_e32 v3, s10
	s_xor_b64 exec, exec, s[6:7]
	s_cbranch_execnz .LBB12_3944
.LBB12_1894:
	s_or_b64 exec, exec, s[6:7]
	s_and_saveexec_b64 s[6:7], s[4:5]
	s_cbranch_execz .LBB12_1896
.LBB12_1895:
	v_mov_b32_e32 v3, 8
	v_and_b32_e32 v4, 7, v5
	v_lshrrev_b32_sdwa v3, v3, v5 dst_sel:BYTE_1 dst_unused:UNUSED_PAD src0_sel:DWORD src1_sel:DWORD
	v_ffbh_u32_e32 v6, v4
	v_or_b32_sdwa v3, v5, v3 dst_sel:DWORD dst_unused:UNUSED_PAD src0_sel:BYTE_0 src1_sel:DWORD
	v_min_u32_e32 v6, 32, v6
	v_lshrrev_b16_e32 v3, 3, v3
	v_subrev_u32_e32 v7, 28, v6
	v_and_b32_e32 v3, 15, v3
	v_lshlrev_b32_e32 v7, v7, v5
	v_sub_u32_e32 v6, 29, v6
	v_and_b32_e32 v7, 7, v7
	v_cmp_eq_u16_e32 vcc, 0, v3
	v_cndmask_b32_e32 v4, v4, v7, vcc
	v_cndmask_b32_e32 v3, v3, v6, vcc
	v_lshlrev_b32_e32 v6, 24, v5
	v_mov_b32_e32 v7, 0x3b800000
	v_lshlrev_b32_e32 v4, 20, v4
	v_and_b32_e32 v6, 0x80000000, v6
	v_lshl_add_u32 v3, v3, 23, v7
	v_or3_b32 v3, v6, v3, v4
.LBB12_1896:
	s_or_b64 exec, exec, s[6:7]
	s_nop 0
	v_mfma_f32_16x16x4f32 a[0:3], v2, v3, a[0:3]
	v_lshrrev_b32_e32 v3, 8, v9
	s_movk_i32 s4, 0x7f
	v_cmp_gt_i16_sdwa s[6:7], v3, s4 src0_sel:BYTE_0 src1_sel:DWORD
	s_mov_b64 s[4:5], 0
                                        ; implicit-def: $sgpr10
	s_and_saveexec_b64 s[8:9], s[6:7]
	s_xor_b64 s[6:7], exec, s[8:9]
	s_cbranch_execnz .LBB12_3945
; %bb.1897:
	s_or_saveexec_b64 s[6:7], s[6:7]
	v_mov_b32_e32 v2, s10
	s_xor_b64 exec, exec, s[6:7]
	s_cbranch_execnz .LBB12_3948
.LBB12_1898:
	s_or_b64 exec, exec, s[6:7]
	s_and_saveexec_b64 s[6:7], s[4:5]
	s_cbranch_execz .LBB12_1900
.LBB12_1899:
	v_bfe_u32 v2, v9, 8, 3
	v_ffbh_u32_e32 v6, v2
	v_min_u32_e32 v6, 32, v6
	v_lshrrev_b16_e32 v4, 3, v3
	v_subrev_u32_e32 v7, 28, v6
	v_and_b32_e32 v4, 15, v4
	v_lshlrev_b32_e32 v3, v7, v3
	v_sub_u32_e32 v6, 29, v6
	v_and_b32_e32 v3, 7, v3
	v_cmp_eq_u16_e32 vcc, 0, v4
	v_cndmask_b32_e32 v2, v2, v3, vcc
	v_cndmask_b32_e32 v3, v4, v6, vcc
	v_lshlrev_b32_e32 v4, 16, v9
	v_mov_b32_e32 v6, 0x3b800000
	v_lshlrev_b32_e32 v2, 20, v2
	v_and_b32_e32 v4, 0x80000000, v4
	v_lshl_add_u32 v3, v3, 23, v6
	v_or3_b32 v2, v4, v3, v2
.LBB12_1900:
	s_or_b64 exec, exec, s[6:7]
	v_lshrrev_b32_e32 v3, 8, v5
	s_movk_i32 s4, 0x7f
	v_cmp_gt_i16_sdwa s[6:7], v3, s4 src0_sel:BYTE_0 src1_sel:DWORD
	s_mov_b64 s[4:5], 0
                                        ; implicit-def: $sgpr10
	s_and_saveexec_b64 s[8:9], s[6:7]
	s_xor_b64 s[6:7], exec, s[8:9]
	s_cbranch_execnz .LBB12_3949
; %bb.1901:
	s_or_saveexec_b64 s[6:7], s[6:7]
	v_mov_b32_e32 v4, s10
	s_xor_b64 exec, exec, s[6:7]
	s_cbranch_execnz .LBB12_3952
.LBB12_1902:
	s_or_b64 exec, exec, s[6:7]
	s_and_saveexec_b64 s[6:7], s[4:5]
	s_cbranch_execz .LBB12_1904
.LBB12_1903:
	v_bfe_u32 v4, v5, 8, 3
	v_ffbh_u32_e32 v7, v4
	v_min_u32_e32 v7, 32, v7
	v_lshrrev_b16_e32 v6, 3, v3
	v_subrev_u32_e32 v8, 28, v7
	v_and_b32_e32 v6, 15, v6
	v_lshlrev_b32_e32 v3, v8, v3
	v_sub_u32_e32 v7, 29, v7
	v_and_b32_e32 v3, 7, v3
	v_cmp_eq_u16_e32 vcc, 0, v6
	v_cndmask_b32_e32 v3, v4, v3, vcc
	v_cndmask_b32_e32 v4, v6, v7, vcc
	v_lshlrev_b32_e32 v6, 16, v5
	v_mov_b32_e32 v7, 0x3b800000
	v_lshlrev_b32_e32 v3, 20, v3
	v_and_b32_e32 v6, 0x80000000, v6
	v_lshl_add_u32 v4, v4, 23, v7
	v_or3_b32 v4, v6, v4, v3
.LBB12_1904:
	s_or_b64 exec, exec, s[6:7]
	s_nop 0
	v_mfma_f32_16x16x4f32 a[0:3], v2, v4, a[0:3]
	s_movk_i32 s4, 0xff
	v_and_b32_sdwa v3, v9, s4 dst_sel:DWORD dst_unused:UNUSED_PAD src0_sel:WORD_1 src1_sel:DWORD
	s_movk_i32 s4, 0x7f
	v_cmp_lt_i16_e32 vcc, s4, v3
	s_mov_b64 s[4:5], 0
                                        ; implicit-def: $sgpr10
	s_and_saveexec_b64 s[6:7], vcc
	s_xor_b64 s[6:7], exec, s[6:7]
	s_cbranch_execnz .LBB12_3953
; %bb.1905:
	s_or_saveexec_b64 s[6:7], s[6:7]
	v_mov_b32_e32 v2, s10
	s_xor_b64 exec, exec, s[6:7]
	s_cbranch_execnz .LBB12_3956
.LBB12_1906:
	s_or_b64 exec, exec, s[6:7]
	s_and_saveexec_b64 s[6:7], s[4:5]
	s_cbranch_execz .LBB12_1908
.LBB12_1907:
	v_bfe_u32 v2, v9, 16, 3
	v_ffbh_u32_e32 v6, v2
	v_min_u32_e32 v6, 32, v6
	v_lshrrev_b32_e32 v3, 19, v9
	v_subrev_u32_e32 v7, 28, v6
	v_and_b32_e32 v3, 15, v3
	v_lshlrev_b32_sdwa v7, v7, v9 dst_sel:DWORD dst_unused:UNUSED_PAD src0_sel:DWORD src1_sel:WORD_1
	v_bfe_u32 v4, v9, 19, 4
	v_sub_u32_e32 v6, 29, v6
	v_and_b32_e32 v7, 7, v7
	v_cmp_eq_u16_e32 vcc, 0, v3
	v_cndmask_b32_e32 v2, v2, v7, vcc
	v_cndmask_b32_e32 v3, v4, v6, vcc
	v_lshlrev_b32_e32 v4, 8, v9
	v_mov_b32_e32 v6, 0x3b800000
	v_lshlrev_b32_e32 v2, 20, v2
	v_and_b32_e32 v4, 0x80000000, v4
	v_lshl_add_u32 v3, v3, 23, v6
	v_or3_b32 v2, v4, v3, v2
.LBB12_1908:
	s_or_b64 exec, exec, s[6:7]
	s_movk_i32 s4, 0xff
	v_and_b32_sdwa v3, v5, s4 dst_sel:DWORD dst_unused:UNUSED_PAD src0_sel:WORD_1 src1_sel:DWORD
	s_movk_i32 s4, 0x7f
	v_cmp_lt_i16_e32 vcc, s4, v3
	s_mov_b64 s[4:5], 0
                                        ; implicit-def: $sgpr10
	s_and_saveexec_b64 s[6:7], vcc
	s_xor_b64 s[6:7], exec, s[6:7]
	s_cbranch_execnz .LBB12_3957
; %bb.1909:
	s_or_saveexec_b64 s[6:7], s[6:7]
	v_mov_b32_e32 v4, s10
	s_xor_b64 exec, exec, s[6:7]
	s_cbranch_execnz .LBB12_3960
.LBB12_1910:
	s_or_b64 exec, exec, s[6:7]
	s_and_saveexec_b64 s[6:7], s[4:5]
	s_cbranch_execz .LBB12_1912
.LBB12_1911:
	v_bfe_u32 v3, v5, 16, 3
	v_ffbh_u32_e32 v7, v3
	v_min_u32_e32 v7, 32, v7
	v_lshrrev_b32_e32 v4, 19, v5
	v_subrev_u32_e32 v8, 28, v7
	v_and_b32_e32 v4, 15, v4
	v_lshlrev_b32_sdwa v8, v8, v5 dst_sel:DWORD dst_unused:UNUSED_PAD src0_sel:DWORD src1_sel:WORD_1
	v_bfe_u32 v6, v5, 19, 4
	v_sub_u32_e32 v7, 29, v7
	v_and_b32_e32 v8, 7, v8
	v_cmp_eq_u16_e32 vcc, 0, v4
	v_cndmask_b32_e32 v3, v3, v8, vcc
	v_cndmask_b32_e32 v4, v6, v7, vcc
	v_lshlrev_b32_e32 v6, 8, v5
	v_mov_b32_e32 v7, 0x3b800000
	v_lshlrev_b32_e32 v3, 20, v3
	v_and_b32_e32 v6, 0x80000000, v6
	v_lshl_add_u32 v4, v4, 23, v7
	v_or3_b32 v4, v6, v4, v3
.LBB12_1912:
	s_or_b64 exec, exec, s[6:7]
	s_nop 0
	v_mfma_f32_16x16x4f32 a[0:3], v2, v4, a[0:3]
	s_movk_i32 s4, 0x7f
	v_cmp_gt_i16_sdwa s[6:7], v9, s4 src0_sel:BYTE_3 src1_sel:DWORD
	s_mov_b64 s[4:5], 0
                                        ; implicit-def: $sgpr10
	s_and_saveexec_b64 s[8:9], s[6:7]
	s_xor_b64 s[6:7], exec, s[8:9]
	s_cbranch_execnz .LBB12_3961
; %bb.1913:
	s_or_saveexec_b64 s[6:7], s[6:7]
	v_mov_b32_e32 v2, s10
	s_xor_b64 exec, exec, s[6:7]
	s_cbranch_execnz .LBB12_3964
.LBB12_1914:
	s_or_b64 exec, exec, s[6:7]
	s_and_saveexec_b64 s[6:7], s[4:5]
	s_cbranch_execz .LBB12_1916
.LBB12_1915:
	v_bfe_u32 v2, v9, 24, 3
	v_ffbh_u32_e32 v7, v2
	v_min_u32_e32 v7, 32, v7
	v_lshrrev_b32_e32 v4, 27, v9
	v_subrev_u32_e32 v8, 28, v7
	v_and_b32_e32 v4, 15, v4
	v_lshlrev_b32_sdwa v8, v8, v9 dst_sel:DWORD dst_unused:UNUSED_PAD src0_sel:DWORD src1_sel:BYTE_3
	v_bfe_u32 v6, v9, 27, 4
	v_sub_u32_e32 v7, 29, v7
	v_and_b32_e32 v8, 7, v8
	v_cmp_eq_u16_e32 vcc, 0, v4
	v_cndmask_b32_e32 v2, v2, v8, vcc
	v_cndmask_b32_e32 v4, v6, v7, vcc
	v_mov_b32_e32 v6, 0x3b800000
	v_and_b32_e32 v3, 0x80000000, v9
	v_lshlrev_b32_e32 v2, 20, v2
	v_lshl_add_u32 v4, v4, 23, v6
	v_or3_b32 v2, v3, v4, v2
.LBB12_1916:
	s_or_b64 exec, exec, s[6:7]
	s_movk_i32 s4, 0x7f
	v_cmp_gt_i16_sdwa s[6:7], v5, s4 src0_sel:BYTE_3 src1_sel:DWORD
	s_mov_b64 s[4:5], 0
                                        ; implicit-def: $sgpr10
	s_and_saveexec_b64 s[8:9], s[6:7]
	s_xor_b64 s[6:7], exec, s[8:9]
	s_cbranch_execnz .LBB12_3965
; %bb.1917:
	s_or_saveexec_b64 s[6:7], s[6:7]
	v_mov_b32_e32 v3, s10
	s_xor_b64 exec, exec, s[6:7]
	s_cbranch_execnz .LBB12_3968
.LBB12_1918:
	s_or_b64 exec, exec, s[6:7]
	s_and_saveexec_b64 s[6:7], s[4:5]
	s_cbranch_execz .LBB12_1920
.LBB12_1919:
	v_bfe_u32 v3, v5, 24, 3
	v_ffbh_u32_e32 v8, v3
	v_min_u32_e32 v8, 32, v8
	v_lshrrev_b32_e32 v6, 27, v5
	v_subrev_u32_e32 v9, 28, v8
	v_and_b32_e32 v4, 0x80000000, v5
	v_and_b32_e32 v6, 15, v6
	v_bfe_u32 v7, v5, 27, 4
	v_lshlrev_b32_sdwa v5, v9, v5 dst_sel:DWORD dst_unused:UNUSED_PAD src0_sel:DWORD src1_sel:BYTE_3
	v_sub_u32_e32 v8, 29, v8
	v_and_b32_e32 v5, 7, v5
	v_cmp_eq_u16_e32 vcc, 0, v6
	v_cndmask_b32_e32 v3, v3, v5, vcc
	v_cndmask_b32_e32 v5, v7, v8, vcc
	v_mov_b32_e32 v6, 0x3b800000
	v_lshlrev_b32_e32 v3, 20, v3
	v_lshl_add_u32 v5, v5, 23, v6
	v_or3_b32 v3, v4, v5, v3
.LBB12_1920:
	s_or_b64 exec, exec, s[6:7]
	s_nop 0
	v_mfma_f32_16x16x4f32 a[0:3], v2, v3, a[0:3]
	s_movk_i32 s4, 0x7f
                                        ; implicit-def: $sgpr10
	s_nop 7
	s_nop 1
	flat_store_dwordx4 v[10:11], a[0:3] offset:224
	flat_load_dwordx4 v[10:13], v[0:1] offset:8
	s_nop 0
	flat_load_dwordx2 v[8:9], v[0:1] offset:32
	s_waitcnt vmcnt(0) lgkmcnt(0)
	flat_load_dwordx4 v[4:7], v[10:11] offset:96
	flat_load_dwordx4 v[0:3], v[12:13] offset:96
	s_waitcnt vmcnt(0) lgkmcnt(0)
	v_cmp_gt_i16_sdwa s[6:7], v4, s4 src0_sel:BYTE_0 src1_sel:DWORD
	s_mov_b64 s[4:5], 0
	s_and_saveexec_b64 s[8:9], s[6:7]
	s_xor_b64 s[6:7], exec, s[8:9]
	s_cbranch_execnz .LBB12_3969
; %bb.1921:
	s_or_saveexec_b64 s[6:7], s[6:7]
	v_mov_b32_e32 v10, s10
	s_xor_b64 exec, exec, s[6:7]
	s_cbranch_execnz .LBB12_3972
.LBB12_1922:
	s_or_b64 exec, exec, s[6:7]
	s_and_saveexec_b64 s[6:7], s[4:5]
	s_cbranch_execz .LBB12_1924
.LBB12_1923:
	v_and_b32_e32 v10, 7, v4
	v_ffbh_u32_e32 v12, v10
	v_min_u32_e32 v12, 32, v12
	v_lshrrev_b16_e32 v11, 3, v4
	v_subrev_u32_e32 v13, 28, v12
	v_and_b32_e32 v11, 15, v11
	v_lshlrev_b32_e32 v13, v13, v4
	v_sub_u32_e32 v12, 29, v12
	v_and_b32_e32 v13, 7, v13
	v_cmp_eq_u16_e32 vcc, 0, v11
	v_cndmask_b32_e32 v10, v10, v13, vcc
	v_cndmask_b32_e32 v11, v11, v12, vcc
	v_lshlrev_b32_e32 v12, 24, v4
	v_mov_b32_e32 v13, 0x3b800000
	v_lshlrev_b32_e32 v10, 20, v10
	v_and_b32_e32 v12, 0x80000000, v12
	v_lshl_add_u32 v11, v11, 23, v13
	v_or3_b32 v10, v12, v11, v10
.LBB12_1924:
	s_or_b64 exec, exec, s[6:7]
	s_movk_i32 s4, 0x7f
	v_cmp_gt_i16_sdwa s[6:7], v0, s4 src0_sel:BYTE_0 src1_sel:DWORD
	s_mov_b64 s[4:5], 0
                                        ; implicit-def: $sgpr10
	s_and_saveexec_b64 s[8:9], s[6:7]
	s_xor_b64 s[6:7], exec, s[8:9]
	s_cbranch_execnz .LBB12_3973
; %bb.1925:
	s_or_saveexec_b64 s[6:7], s[6:7]
	v_mov_b32_e32 v11, s10
	s_xor_b64 exec, exec, s[6:7]
	s_cbranch_execnz .LBB12_3976
.LBB12_1926:
	s_or_b64 exec, exec, s[6:7]
	s_and_saveexec_b64 s[6:7], s[4:5]
	s_cbranch_execz .LBB12_1928
.LBB12_1927:
	v_and_b32_e32 v11, 7, v0
	v_ffbh_u32_e32 v13, v11
	v_min_u32_e32 v13, 32, v13
	v_lshrrev_b16_e32 v12, 3, v0
	v_subrev_u32_e32 v14, 28, v13
	v_and_b32_e32 v12, 15, v12
	v_lshlrev_b32_e32 v14, v14, v0
	v_sub_u32_e32 v13, 29, v13
	v_and_b32_e32 v14, 7, v14
	v_cmp_eq_u16_e32 vcc, 0, v12
	v_cndmask_b32_e32 v11, v11, v14, vcc
	v_cndmask_b32_e32 v12, v12, v13, vcc
	v_lshlrev_b32_e32 v13, 24, v0
	v_mov_b32_e32 v14, 0x3b800000
	v_lshlrev_b32_e32 v11, 20, v11
	v_and_b32_e32 v13, 0x80000000, v13
	v_lshl_add_u32 v12, v12, 23, v14
	v_or3_b32 v11, v13, v12, v11
.LBB12_1928:
	s_or_b64 exec, exec, s[6:7]
	flat_load_dwordx4 a[0:3], v[8:9] offset:240
	s_movk_i32 s4, 0x7f
                                        ; implicit-def: $sgpr10
	s_waitcnt vmcnt(0) lgkmcnt(0)
	v_mfma_f32_16x16x4f32 a[0:3], v10, v11, a[0:3]
	v_lshrrev_b32_e32 v11, 8, v4
	v_cmp_gt_i16_sdwa s[6:7], v11, s4 src0_sel:BYTE_0 src1_sel:DWORD
	s_mov_b64 s[4:5], 0
	s_and_saveexec_b64 s[8:9], s[6:7]
	s_xor_b64 s[6:7], exec, s[8:9]
	s_cbranch_execnz .LBB12_3977
; %bb.1929:
	s_or_saveexec_b64 s[6:7], s[6:7]
	v_mov_b32_e32 v10, s10
	s_xor_b64 exec, exec, s[6:7]
	s_cbranch_execnz .LBB12_3980
.LBB12_1930:
	s_or_b64 exec, exec, s[6:7]
	s_and_saveexec_b64 s[6:7], s[4:5]
	s_cbranch_execz .LBB12_1932
.LBB12_1931:
	v_bfe_u32 v10, v4, 8, 3
	v_ffbh_u32_e32 v13, v10
	v_min_u32_e32 v13, 32, v13
	v_lshrrev_b16_e32 v12, 3, v11
	v_subrev_u32_e32 v14, 28, v13
	v_and_b32_e32 v12, 15, v12
	v_lshlrev_b32_e32 v11, v14, v11
	v_sub_u32_e32 v13, 29, v13
	v_and_b32_e32 v11, 7, v11
	v_cmp_eq_u16_e32 vcc, 0, v12
	v_cndmask_b32_e32 v10, v10, v11, vcc
	v_cndmask_b32_e32 v11, v12, v13, vcc
	v_lshlrev_b32_e32 v12, 16, v4
	v_mov_b32_e32 v13, 0x3b800000
	v_lshlrev_b32_e32 v10, 20, v10
	v_and_b32_e32 v12, 0x80000000, v12
	v_lshl_add_u32 v11, v11, 23, v13
	v_or3_b32 v10, v12, v11, v10
.LBB12_1932:
	s_or_b64 exec, exec, s[6:7]
	v_lshrrev_b32_e32 v11, 8, v0
	s_movk_i32 s4, 0x7f
	v_cmp_gt_i16_sdwa s[6:7], v11, s4 src0_sel:BYTE_0 src1_sel:DWORD
	s_mov_b64 s[4:5], 0
                                        ; implicit-def: $sgpr10
	s_and_saveexec_b64 s[8:9], s[6:7]
	s_xor_b64 s[6:7], exec, s[8:9]
	s_cbranch_execnz .LBB12_3981
; %bb.1933:
	s_or_saveexec_b64 s[6:7], s[6:7]
	v_mov_b32_e32 v12, s10
	s_xor_b64 exec, exec, s[6:7]
	s_cbranch_execnz .LBB12_3984
.LBB12_1934:
	s_or_b64 exec, exec, s[6:7]
	s_and_saveexec_b64 s[6:7], s[4:5]
	s_cbranch_execz .LBB12_1936
.LBB12_1935:
	v_bfe_u32 v12, v0, 8, 3
	v_ffbh_u32_e32 v14, v12
	v_min_u32_e32 v14, 32, v14
	v_lshrrev_b16_e32 v13, 3, v11
	v_subrev_u32_e32 v15, 28, v14
	v_and_b32_e32 v13, 15, v13
	v_lshlrev_b32_e32 v11, v15, v11
	v_sub_u32_e32 v14, 29, v14
	v_and_b32_e32 v11, 7, v11
	v_cmp_eq_u16_e32 vcc, 0, v13
	v_cndmask_b32_e32 v11, v12, v11, vcc
	v_cndmask_b32_e32 v12, v13, v14, vcc
	v_lshlrev_b32_e32 v13, 16, v0
	v_mov_b32_e32 v14, 0x3b800000
	v_lshlrev_b32_e32 v11, 20, v11
	v_and_b32_e32 v13, 0x80000000, v13
	v_lshl_add_u32 v12, v12, 23, v14
	v_or3_b32 v12, v13, v12, v11
.LBB12_1936:
	s_or_b64 exec, exec, s[6:7]
	s_nop 0
	v_mfma_f32_16x16x4f32 a[0:3], v10, v12, a[0:3]
	s_movk_i32 s4, 0xff
	v_and_b32_sdwa v11, v4, s4 dst_sel:DWORD dst_unused:UNUSED_PAD src0_sel:WORD_1 src1_sel:DWORD
	s_movk_i32 s4, 0x7f
	v_cmp_lt_i16_e32 vcc, s4, v11
	s_mov_b64 s[4:5], 0
                                        ; implicit-def: $sgpr10
	s_and_saveexec_b64 s[6:7], vcc
	s_xor_b64 s[6:7], exec, s[6:7]
	s_cbranch_execnz .LBB12_3985
; %bb.1937:
	s_or_saveexec_b64 s[6:7], s[6:7]
	v_mov_b32_e32 v10, s10
	s_xor_b64 exec, exec, s[6:7]
	s_cbranch_execnz .LBB12_3988
.LBB12_1938:
	s_or_b64 exec, exec, s[6:7]
	s_and_saveexec_b64 s[6:7], s[4:5]
	s_cbranch_execz .LBB12_1940
.LBB12_1939:
	v_bfe_u32 v10, v4, 16, 3
	v_ffbh_u32_e32 v13, v10
	v_min_u32_e32 v13, 32, v13
	v_lshrrev_b32_e32 v11, 19, v4
	v_subrev_u32_e32 v14, 28, v13
	v_and_b32_e32 v11, 15, v11
	v_lshlrev_b32_sdwa v14, v14, v4 dst_sel:DWORD dst_unused:UNUSED_PAD src0_sel:DWORD src1_sel:WORD_1
	v_bfe_u32 v12, v4, 19, 4
	v_sub_u32_e32 v13, 29, v13
	v_and_b32_e32 v14, 7, v14
	v_cmp_eq_u16_e32 vcc, 0, v11
	v_cndmask_b32_e32 v10, v10, v14, vcc
	v_cndmask_b32_e32 v11, v12, v13, vcc
	v_lshlrev_b32_e32 v12, 8, v4
	v_mov_b32_e32 v13, 0x3b800000
	v_lshlrev_b32_e32 v10, 20, v10
	v_and_b32_e32 v12, 0x80000000, v12
	v_lshl_add_u32 v11, v11, 23, v13
	v_or3_b32 v10, v12, v11, v10
.LBB12_1940:
	s_or_b64 exec, exec, s[6:7]
	s_movk_i32 s4, 0xff
	v_and_b32_sdwa v11, v0, s4 dst_sel:DWORD dst_unused:UNUSED_PAD src0_sel:WORD_1 src1_sel:DWORD
	s_movk_i32 s4, 0x7f
	v_cmp_lt_i16_e32 vcc, s4, v11
	s_mov_b64 s[4:5], 0
                                        ; implicit-def: $sgpr10
	s_and_saveexec_b64 s[6:7], vcc
	s_xor_b64 s[6:7], exec, s[6:7]
	s_cbranch_execnz .LBB12_3989
; %bb.1941:
	s_or_saveexec_b64 s[6:7], s[6:7]
	v_mov_b32_e32 v12, s10
	s_xor_b64 exec, exec, s[6:7]
	s_cbranch_execnz .LBB12_3992
.LBB12_1942:
	s_or_b64 exec, exec, s[6:7]
	s_and_saveexec_b64 s[6:7], s[4:5]
	s_cbranch_execz .LBB12_1944
.LBB12_1943:
	v_bfe_u32 v11, v0, 16, 3
	v_ffbh_u32_e32 v14, v11
	v_min_u32_e32 v14, 32, v14
	v_lshrrev_b32_e32 v12, 19, v0
	v_subrev_u32_e32 v15, 28, v14
	v_and_b32_e32 v12, 15, v12
	v_lshlrev_b32_sdwa v15, v15, v0 dst_sel:DWORD dst_unused:UNUSED_PAD src0_sel:DWORD src1_sel:WORD_1
	v_bfe_u32 v13, v0, 19, 4
	v_sub_u32_e32 v14, 29, v14
	v_and_b32_e32 v15, 7, v15
	v_cmp_eq_u16_e32 vcc, 0, v12
	v_cndmask_b32_e32 v11, v11, v15, vcc
	v_cndmask_b32_e32 v12, v13, v14, vcc
	v_lshlrev_b32_e32 v13, 8, v0
	v_mov_b32_e32 v14, 0x3b800000
	v_lshlrev_b32_e32 v11, 20, v11
	v_and_b32_e32 v13, 0x80000000, v13
	v_lshl_add_u32 v12, v12, 23, v14
	v_or3_b32 v12, v13, v12, v11
.LBB12_1944:
	s_or_b64 exec, exec, s[6:7]
	s_nop 0
	v_mfma_f32_16x16x4f32 a[0:3], v10, v12, a[0:3]
	s_movk_i32 s4, 0x7f
	v_cmp_gt_i16_sdwa s[6:7], v4, s4 src0_sel:BYTE_3 src1_sel:DWORD
	s_mov_b64 s[4:5], 0
                                        ; implicit-def: $sgpr10
	s_and_saveexec_b64 s[8:9], s[6:7]
	s_xor_b64 s[6:7], exec, s[8:9]
	s_cbranch_execnz .LBB12_3993
; %bb.1945:
	s_or_saveexec_b64 s[6:7], s[6:7]
	v_mov_b32_e32 v10, s10
	s_xor_b64 exec, exec, s[6:7]
	s_cbranch_execnz .LBB12_3996
.LBB12_1946:
	s_or_b64 exec, exec, s[6:7]
	s_and_saveexec_b64 s[6:7], s[4:5]
	s_cbranch_execz .LBB12_1948
.LBB12_1947:
	v_bfe_u32 v10, v4, 24, 3
	v_ffbh_u32_e32 v14, v10
	v_min_u32_e32 v14, 32, v14
	v_lshrrev_b32_e32 v12, 27, v4
	v_subrev_u32_e32 v15, 28, v14
	v_and_b32_e32 v11, 0x80000000, v4
	v_and_b32_e32 v12, 15, v12
	v_bfe_u32 v13, v4, 27, 4
	v_lshlrev_b32_sdwa v4, v15, v4 dst_sel:DWORD dst_unused:UNUSED_PAD src0_sel:DWORD src1_sel:BYTE_3
	v_sub_u32_e32 v14, 29, v14
	v_and_b32_e32 v4, 7, v4
	v_cmp_eq_u16_e32 vcc, 0, v12
	v_cndmask_b32_e32 v4, v10, v4, vcc
	v_cndmask_b32_e32 v10, v13, v14, vcc
	v_mov_b32_e32 v12, 0x3b800000
	v_lshlrev_b32_e32 v4, 20, v4
	v_lshl_add_u32 v10, v10, 23, v12
	v_or3_b32 v10, v11, v10, v4
.LBB12_1948:
	s_or_b64 exec, exec, s[6:7]
	s_movk_i32 s4, 0x7f
	v_cmp_gt_i16_sdwa s[6:7], v0, s4 src0_sel:BYTE_3 src1_sel:DWORD
	s_mov_b64 s[4:5], 0
                                        ; implicit-def: $sgpr10
	s_and_saveexec_b64 s[8:9], s[6:7]
	s_xor_b64 s[6:7], exec, s[8:9]
	s_cbranch_execnz .LBB12_3997
; %bb.1949:
	s_or_saveexec_b64 s[6:7], s[6:7]
	v_mov_b32_e32 v4, s10
	s_xor_b64 exec, exec, s[6:7]
	s_cbranch_execnz .LBB12_4000
.LBB12_1950:
	s_or_b64 exec, exec, s[6:7]
	s_and_saveexec_b64 s[6:7], s[4:5]
	s_cbranch_execz .LBB12_1952
.LBB12_1951:
	v_bfe_u32 v4, v0, 24, 3
	v_ffbh_u32_e32 v14, v4
	v_min_u32_e32 v14, 32, v14
	v_lshrrev_b32_e32 v12, 27, v0
	v_subrev_u32_e32 v15, 28, v14
	v_and_b32_e32 v11, 0x80000000, v0
	v_and_b32_e32 v12, 15, v12
	v_bfe_u32 v13, v0, 27, 4
	v_lshlrev_b32_sdwa v0, v15, v0 dst_sel:DWORD dst_unused:UNUSED_PAD src0_sel:DWORD src1_sel:BYTE_3
	v_sub_u32_e32 v14, 29, v14
	v_and_b32_e32 v0, 7, v0
	v_cmp_eq_u16_e32 vcc, 0, v12
	v_cndmask_b32_e32 v0, v4, v0, vcc
	v_cndmask_b32_e32 v4, v13, v14, vcc
	v_mov_b32_e32 v12, 0x3b800000
	v_lshlrev_b32_e32 v0, 20, v0
	v_lshl_add_u32 v4, v4, 23, v12
	v_or3_b32 v4, v11, v4, v0
.LBB12_1952:
	s_or_b64 exec, exec, s[6:7]
	s_nop 0
	v_mfma_f32_16x16x4f32 a[0:3], v10, v4, a[0:3]
	s_movk_i32 s4, 0x7f
	v_cmp_gt_i16_sdwa s[6:7], v5, s4 src0_sel:BYTE_0 src1_sel:DWORD
	s_mov_b64 s[4:5], 0
                                        ; implicit-def: $sgpr10
	s_and_saveexec_b64 s[8:9], s[6:7]
	s_xor_b64 s[6:7], exec, s[8:9]
	s_cbranch_execnz .LBB12_4001
; %bb.1953:
	s_or_saveexec_b64 s[6:7], s[6:7]
	v_mov_b32_e32 v0, s10
	s_xor_b64 exec, exec, s[6:7]
	s_cbranch_execnz .LBB12_4004
.LBB12_1954:
	s_or_b64 exec, exec, s[6:7]
	s_and_saveexec_b64 s[6:7], s[4:5]
	s_cbranch_execz .LBB12_1956
.LBB12_1955:
	v_and_b32_e32 v0, 7, v5
	v_ffbh_u32_e32 v10, v0
	v_min_u32_e32 v10, 32, v10
	v_lshrrev_b16_e32 v4, 3, v5
	v_subrev_u32_e32 v11, 28, v10
	v_and_b32_e32 v4, 15, v4
	v_lshlrev_b32_e32 v11, v11, v5
	v_sub_u32_e32 v10, 29, v10
	v_and_b32_e32 v11, 7, v11
	v_cmp_eq_u16_e32 vcc, 0, v4
	v_cndmask_b32_e32 v0, v0, v11, vcc
	v_cndmask_b32_e32 v4, v4, v10, vcc
	v_lshlrev_b32_e32 v10, 24, v5
	v_mov_b32_e32 v11, 0x3b800000
	v_lshlrev_b32_e32 v0, 20, v0
	v_and_b32_e32 v10, 0x80000000, v10
	v_lshl_add_u32 v4, v4, 23, v11
	v_or3_b32 v0, v10, v4, v0
.LBB12_1956:
	s_or_b64 exec, exec, s[6:7]
	s_movk_i32 s4, 0x7f
	v_cmp_gt_i16_sdwa s[6:7], v1, s4 src0_sel:BYTE_0 src1_sel:DWORD
	s_mov_b64 s[4:5], 0
                                        ; implicit-def: $sgpr10
	s_and_saveexec_b64 s[8:9], s[6:7]
	s_xor_b64 s[6:7], exec, s[8:9]
	s_cbranch_execnz .LBB12_4005
; %bb.1957:
	s_or_saveexec_b64 s[6:7], s[6:7]
	v_mov_b32_e32 v4, s10
	s_xor_b64 exec, exec, s[6:7]
	s_cbranch_execnz .LBB12_4008
.LBB12_1958:
	s_or_b64 exec, exec, s[6:7]
	s_and_saveexec_b64 s[6:7], s[4:5]
	s_cbranch_execz .LBB12_1960
.LBB12_1959:
	v_and_b32_e32 v4, 7, v1
	v_ffbh_u32_e32 v11, v4
	v_min_u32_e32 v11, 32, v11
	v_lshrrev_b16_e32 v10, 3, v1
	v_subrev_u32_e32 v12, 28, v11
	v_and_b32_e32 v10, 15, v10
	v_lshlrev_b32_e32 v12, v12, v1
	v_sub_u32_e32 v11, 29, v11
	v_and_b32_e32 v12, 7, v12
	v_cmp_eq_u16_e32 vcc, 0, v10
	v_cndmask_b32_e32 v4, v4, v12, vcc
	v_cndmask_b32_e32 v10, v10, v11, vcc
	v_lshlrev_b32_e32 v11, 24, v1
	v_mov_b32_e32 v12, 0x3b800000
	v_lshlrev_b32_e32 v4, 20, v4
	v_and_b32_e32 v11, 0x80000000, v11
	v_lshl_add_u32 v10, v10, 23, v12
	v_or3_b32 v4, v11, v10, v4
.LBB12_1960:
	s_or_b64 exec, exec, s[6:7]
	s_nop 0
	v_mfma_f32_16x16x4f32 a[0:3], v0, v4, a[0:3]
	v_lshrrev_b32_e32 v4, 8, v5
	s_movk_i32 s4, 0x7f
	v_cmp_gt_i16_sdwa s[6:7], v4, s4 src0_sel:BYTE_0 src1_sel:DWORD
	s_mov_b64 s[4:5], 0
                                        ; implicit-def: $sgpr10
	s_and_saveexec_b64 s[8:9], s[6:7]
	s_xor_b64 s[6:7], exec, s[8:9]
	s_cbranch_execnz .LBB12_4009
; %bb.1961:
	s_or_saveexec_b64 s[6:7], s[6:7]
	v_mov_b32_e32 v0, s10
	s_xor_b64 exec, exec, s[6:7]
	s_cbranch_execnz .LBB12_4012
.LBB12_1962:
	s_or_b64 exec, exec, s[6:7]
	s_and_saveexec_b64 s[6:7], s[4:5]
	s_cbranch_execz .LBB12_1964
.LBB12_1963:
	v_bfe_u32 v0, v5, 8, 3
	v_ffbh_u32_e32 v11, v0
	v_min_u32_e32 v11, 32, v11
	v_lshrrev_b16_e32 v10, 3, v4
	v_subrev_u32_e32 v12, 28, v11
	v_and_b32_e32 v10, 15, v10
	v_lshlrev_b32_e32 v4, v12, v4
	v_sub_u32_e32 v11, 29, v11
	v_and_b32_e32 v4, 7, v4
	v_cmp_eq_u16_e32 vcc, 0, v10
	v_cndmask_b32_e32 v0, v0, v4, vcc
	v_cndmask_b32_e32 v4, v10, v11, vcc
	v_lshlrev_b32_e32 v10, 16, v5
	v_mov_b32_e32 v11, 0x3b800000
	v_lshlrev_b32_e32 v0, 20, v0
	v_and_b32_e32 v10, 0x80000000, v10
	v_lshl_add_u32 v4, v4, 23, v11
	v_or3_b32 v0, v10, v4, v0
.LBB12_1964:
	s_or_b64 exec, exec, s[6:7]
	v_lshrrev_b32_e32 v4, 8, v1
	s_movk_i32 s4, 0x7f
	v_cmp_gt_i16_sdwa s[6:7], v4, s4 src0_sel:BYTE_0 src1_sel:DWORD
	s_mov_b64 s[4:5], 0
                                        ; implicit-def: $sgpr10
	s_and_saveexec_b64 s[8:9], s[6:7]
	s_xor_b64 s[6:7], exec, s[8:9]
	s_cbranch_execnz .LBB12_4013
; %bb.1965:
	s_or_saveexec_b64 s[6:7], s[6:7]
	v_mov_b32_e32 v10, s10
	s_xor_b64 exec, exec, s[6:7]
	s_cbranch_execnz .LBB12_4016
.LBB12_1966:
	s_or_b64 exec, exec, s[6:7]
	s_and_saveexec_b64 s[6:7], s[4:5]
	s_cbranch_execz .LBB12_1968
.LBB12_1967:
	v_bfe_u32 v10, v1, 8, 3
	v_ffbh_u32_e32 v12, v10
	v_min_u32_e32 v12, 32, v12
	v_lshrrev_b16_e32 v11, 3, v4
	v_subrev_u32_e32 v13, 28, v12
	v_and_b32_e32 v11, 15, v11
	v_lshlrev_b32_e32 v4, v13, v4
	v_sub_u32_e32 v12, 29, v12
	v_and_b32_e32 v4, 7, v4
	v_cmp_eq_u16_e32 vcc, 0, v11
	v_cndmask_b32_e32 v4, v10, v4, vcc
	v_cndmask_b32_e32 v10, v11, v12, vcc
	v_lshlrev_b32_e32 v11, 16, v1
	v_mov_b32_e32 v12, 0x3b800000
	v_lshlrev_b32_e32 v4, 20, v4
	v_and_b32_e32 v11, 0x80000000, v11
	v_lshl_add_u32 v10, v10, 23, v12
	v_or3_b32 v10, v11, v10, v4
.LBB12_1968:
	s_or_b64 exec, exec, s[6:7]
	s_nop 0
	v_mfma_f32_16x16x4f32 a[0:3], v0, v10, a[0:3]
	s_movk_i32 s4, 0xff
	v_and_b32_sdwa v4, v5, s4 dst_sel:DWORD dst_unused:UNUSED_PAD src0_sel:WORD_1 src1_sel:DWORD
	s_movk_i32 s4, 0x7f
	v_cmp_lt_i16_e32 vcc, s4, v4
	s_mov_b64 s[4:5], 0
                                        ; implicit-def: $sgpr10
	s_and_saveexec_b64 s[6:7], vcc
	s_xor_b64 s[6:7], exec, s[6:7]
	s_cbranch_execnz .LBB12_4017
; %bb.1969:
	s_or_saveexec_b64 s[6:7], s[6:7]
	v_mov_b32_e32 v0, s10
	s_xor_b64 exec, exec, s[6:7]
	s_cbranch_execnz .LBB12_4020
.LBB12_1970:
	s_or_b64 exec, exec, s[6:7]
	s_and_saveexec_b64 s[6:7], s[4:5]
	s_cbranch_execz .LBB12_1972
.LBB12_1971:
	v_bfe_u32 v0, v5, 16, 3
	v_ffbh_u32_e32 v11, v0
	v_min_u32_e32 v11, 32, v11
	v_lshrrev_b32_e32 v4, 19, v5
	v_subrev_u32_e32 v12, 28, v11
	v_and_b32_e32 v4, 15, v4
	v_lshlrev_b32_sdwa v12, v12, v5 dst_sel:DWORD dst_unused:UNUSED_PAD src0_sel:DWORD src1_sel:WORD_1
	v_bfe_u32 v10, v5, 19, 4
	v_sub_u32_e32 v11, 29, v11
	v_and_b32_e32 v12, 7, v12
	v_cmp_eq_u16_e32 vcc, 0, v4
	v_cndmask_b32_e32 v0, v0, v12, vcc
	v_cndmask_b32_e32 v4, v10, v11, vcc
	v_lshlrev_b32_e32 v10, 8, v5
	v_mov_b32_e32 v11, 0x3b800000
	v_lshlrev_b32_e32 v0, 20, v0
	v_and_b32_e32 v10, 0x80000000, v10
	v_lshl_add_u32 v4, v4, 23, v11
	v_or3_b32 v0, v10, v4, v0
.LBB12_1972:
	s_or_b64 exec, exec, s[6:7]
	s_movk_i32 s4, 0xff
	v_and_b32_sdwa v4, v1, s4 dst_sel:DWORD dst_unused:UNUSED_PAD src0_sel:WORD_1 src1_sel:DWORD
	s_movk_i32 s4, 0x7f
	v_cmp_lt_i16_e32 vcc, s4, v4
	s_mov_b64 s[4:5], 0
                                        ; implicit-def: $sgpr10
	s_and_saveexec_b64 s[6:7], vcc
	s_xor_b64 s[6:7], exec, s[6:7]
	s_cbranch_execnz .LBB12_4021
; %bb.1973:
	s_or_saveexec_b64 s[6:7], s[6:7]
	v_mov_b32_e32 v10, s10
	s_xor_b64 exec, exec, s[6:7]
	s_cbranch_execnz .LBB12_4024
.LBB12_1974:
	s_or_b64 exec, exec, s[6:7]
	s_and_saveexec_b64 s[6:7], s[4:5]
	s_cbranch_execz .LBB12_1976
.LBB12_1975:
	v_bfe_u32 v4, v1, 16, 3
	v_ffbh_u32_e32 v12, v4
	v_min_u32_e32 v12, 32, v12
	v_lshrrev_b32_e32 v10, 19, v1
	v_subrev_u32_e32 v13, 28, v12
	v_and_b32_e32 v10, 15, v10
	v_lshlrev_b32_sdwa v13, v13, v1 dst_sel:DWORD dst_unused:UNUSED_PAD src0_sel:DWORD src1_sel:WORD_1
	v_bfe_u32 v11, v1, 19, 4
	v_sub_u32_e32 v12, 29, v12
	v_and_b32_e32 v13, 7, v13
	v_cmp_eq_u16_e32 vcc, 0, v10
	v_cndmask_b32_e32 v4, v4, v13, vcc
	v_cndmask_b32_e32 v10, v11, v12, vcc
	v_lshlrev_b32_e32 v11, 8, v1
	v_mov_b32_e32 v12, 0x3b800000
	v_lshlrev_b32_e32 v4, 20, v4
	v_and_b32_e32 v11, 0x80000000, v11
	v_lshl_add_u32 v10, v10, 23, v12
	v_or3_b32 v10, v11, v10, v4
.LBB12_1976:
	s_or_b64 exec, exec, s[6:7]
	s_nop 0
	v_mfma_f32_16x16x4f32 a[0:3], v0, v10, a[0:3]
	s_movk_i32 s4, 0x7f
	v_cmp_gt_i16_sdwa s[6:7], v5, s4 src0_sel:BYTE_3 src1_sel:DWORD
	s_mov_b64 s[4:5], 0
                                        ; implicit-def: $sgpr10
	s_and_saveexec_b64 s[8:9], s[6:7]
	s_xor_b64 s[6:7], exec, s[8:9]
	s_cbranch_execnz .LBB12_4025
; %bb.1977:
	s_or_saveexec_b64 s[6:7], s[6:7]
	v_mov_b32_e32 v0, s10
	s_xor_b64 exec, exec, s[6:7]
	s_cbranch_execnz .LBB12_4028
.LBB12_1978:
	s_or_b64 exec, exec, s[6:7]
	s_and_saveexec_b64 s[6:7], s[4:5]
	s_cbranch_execz .LBB12_1980
.LBB12_1979:
	v_bfe_u32 v0, v5, 24, 3
	v_ffbh_u32_e32 v12, v0
	v_min_u32_e32 v12, 32, v12
	v_lshrrev_b32_e32 v10, 27, v5
	v_subrev_u32_e32 v13, 28, v12
	v_and_b32_e32 v4, 0x80000000, v5
	v_and_b32_e32 v10, 15, v10
	v_bfe_u32 v11, v5, 27, 4
	v_lshlrev_b32_sdwa v5, v13, v5 dst_sel:DWORD dst_unused:UNUSED_PAD src0_sel:DWORD src1_sel:BYTE_3
	v_sub_u32_e32 v12, 29, v12
	v_and_b32_e32 v5, 7, v5
	v_cmp_eq_u16_e32 vcc, 0, v10
	v_cndmask_b32_e32 v0, v0, v5, vcc
	v_cndmask_b32_e32 v5, v11, v12, vcc
	v_mov_b32_e32 v10, 0x3b800000
	v_lshlrev_b32_e32 v0, 20, v0
	v_lshl_add_u32 v5, v5, 23, v10
	v_or3_b32 v0, v4, v5, v0
.LBB12_1980:
	s_or_b64 exec, exec, s[6:7]
	s_movk_i32 s4, 0x7f
	v_cmp_gt_i16_sdwa s[6:7], v1, s4 src0_sel:BYTE_3 src1_sel:DWORD
	s_mov_b64 s[4:5], 0
                                        ; implicit-def: $sgpr10
	s_and_saveexec_b64 s[8:9], s[6:7]
	s_xor_b64 s[6:7], exec, s[8:9]
	s_cbranch_execnz .LBB12_4029
; %bb.1981:
	s_or_saveexec_b64 s[6:7], s[6:7]
	v_mov_b32_e32 v4, s10
	s_xor_b64 exec, exec, s[6:7]
	s_cbranch_execnz .LBB12_4032
.LBB12_1982:
	s_or_b64 exec, exec, s[6:7]
	s_and_saveexec_b64 s[6:7], s[4:5]
	s_cbranch_execz .LBB12_1984
.LBB12_1983:
	v_bfe_u32 v4, v1, 24, 3
	v_ffbh_u32_e32 v12, v4
	v_min_u32_e32 v12, 32, v12
	v_lshrrev_b32_e32 v10, 27, v1
	v_subrev_u32_e32 v13, 28, v12
	v_and_b32_e32 v5, 0x80000000, v1
	v_and_b32_e32 v10, 15, v10
	v_bfe_u32 v11, v1, 27, 4
	v_lshlrev_b32_sdwa v1, v13, v1 dst_sel:DWORD dst_unused:UNUSED_PAD src0_sel:DWORD src1_sel:BYTE_3
	v_sub_u32_e32 v12, 29, v12
	v_and_b32_e32 v1, 7, v1
	v_cmp_eq_u16_e32 vcc, 0, v10
	v_cndmask_b32_e32 v1, v4, v1, vcc
	v_cndmask_b32_e32 v4, v11, v12, vcc
	v_mov_b32_e32 v10, 0x3b800000
	v_lshlrev_b32_e32 v1, 20, v1
	v_lshl_add_u32 v4, v4, 23, v10
	v_or3_b32 v4, v5, v4, v1
.LBB12_1984:
	s_or_b64 exec, exec, s[6:7]
	s_nop 0
	v_mfma_f32_16x16x4f32 a[0:3], v0, v4, a[0:3]
	s_movk_i32 s4, 0x7f
	v_cmp_gt_i16_sdwa s[6:7], v6, s4 src0_sel:BYTE_0 src1_sel:DWORD
	s_mov_b64 s[4:5], 0
                                        ; implicit-def: $sgpr10
	s_and_saveexec_b64 s[8:9], s[6:7]
	s_xor_b64 s[6:7], exec, s[8:9]
	s_cbranch_execnz .LBB12_4033
; %bb.1985:
	s_or_saveexec_b64 s[6:7], s[6:7]
	v_mov_b32_e32 v0, s10
	s_xor_b64 exec, exec, s[6:7]
	s_cbranch_execnz .LBB12_4036
.LBB12_1986:
	s_or_b64 exec, exec, s[6:7]
	s_and_saveexec_b64 s[6:7], s[4:5]
	s_cbranch_execz .LBB12_1988
.LBB12_1987:
	v_and_b32_e32 v0, 7, v6
	v_ffbh_u32_e32 v4, v0
	v_min_u32_e32 v4, 32, v4
	v_lshrrev_b16_e32 v1, 3, v6
	v_subrev_u32_e32 v5, 28, v4
	v_and_b32_e32 v1, 15, v1
	v_lshlrev_b32_e32 v5, v5, v6
	v_sub_u32_e32 v4, 29, v4
	v_and_b32_e32 v5, 7, v5
	v_cmp_eq_u16_e32 vcc, 0, v1
	v_cndmask_b32_e32 v0, v0, v5, vcc
	v_cndmask_b32_e32 v1, v1, v4, vcc
	v_lshlrev_b32_e32 v4, 24, v6
	v_mov_b32_e32 v5, 0x3b800000
	v_lshlrev_b32_e32 v0, 20, v0
	v_and_b32_e32 v4, 0x80000000, v4
	v_lshl_add_u32 v1, v1, 23, v5
	v_or3_b32 v0, v4, v1, v0
.LBB12_1988:
	s_or_b64 exec, exec, s[6:7]
	s_movk_i32 s4, 0x7f
	v_cmp_gt_i16_sdwa s[6:7], v2, s4 src0_sel:BYTE_0 src1_sel:DWORD
	s_mov_b64 s[4:5], 0
                                        ; implicit-def: $sgpr10
	s_and_saveexec_b64 s[8:9], s[6:7]
	s_xor_b64 s[6:7], exec, s[8:9]
	s_cbranch_execnz .LBB12_4037
; %bb.1989:
	s_or_saveexec_b64 s[6:7], s[6:7]
	v_mov_b32_e32 v1, s10
	s_xor_b64 exec, exec, s[6:7]
	s_cbranch_execnz .LBB12_4040
.LBB12_1990:
	s_or_b64 exec, exec, s[6:7]
	s_and_saveexec_b64 s[6:7], s[4:5]
	s_cbranch_execz .LBB12_1992
.LBB12_1991:
	v_and_b32_e32 v1, 7, v2
	v_ffbh_u32_e32 v5, v1
	v_min_u32_e32 v5, 32, v5
	v_lshrrev_b16_e32 v4, 3, v2
	v_subrev_u32_e32 v10, 28, v5
	v_and_b32_e32 v4, 15, v4
	v_lshlrev_b32_e32 v10, v10, v2
	v_sub_u32_e32 v5, 29, v5
	v_and_b32_e32 v10, 7, v10
	v_cmp_eq_u16_e32 vcc, 0, v4
	v_cndmask_b32_e32 v1, v1, v10, vcc
	v_cndmask_b32_e32 v4, v4, v5, vcc
	v_lshlrev_b32_e32 v5, 24, v2
	v_mov_b32_e32 v10, 0x3b800000
	v_lshlrev_b32_e32 v1, 20, v1
	v_and_b32_e32 v5, 0x80000000, v5
	v_lshl_add_u32 v4, v4, 23, v10
	v_or3_b32 v1, v5, v4, v1
.LBB12_1992:
	s_or_b64 exec, exec, s[6:7]
	s_nop 0
	v_mfma_f32_16x16x4f32 a[0:3], v0, v1, a[0:3]
	v_lshrrev_b32_e32 v1, 8, v6
	s_movk_i32 s4, 0x7f
	v_cmp_gt_i16_sdwa s[6:7], v1, s4 src0_sel:BYTE_0 src1_sel:DWORD
	s_mov_b64 s[4:5], 0
                                        ; implicit-def: $sgpr10
	s_and_saveexec_b64 s[8:9], s[6:7]
	s_xor_b64 s[6:7], exec, s[8:9]
	s_cbranch_execnz .LBB12_4041
; %bb.1993:
	s_or_saveexec_b64 s[6:7], s[6:7]
	v_mov_b32_e32 v0, s10
	s_xor_b64 exec, exec, s[6:7]
	s_cbranch_execnz .LBB12_4044
.LBB12_1994:
	s_or_b64 exec, exec, s[6:7]
	s_and_saveexec_b64 s[6:7], s[4:5]
	s_cbranch_execz .LBB12_1996
.LBB12_1995:
	v_bfe_u32 v0, v6, 8, 3
	v_ffbh_u32_e32 v5, v0
	v_min_u32_e32 v5, 32, v5
	v_lshrrev_b16_e32 v4, 3, v1
	v_subrev_u32_e32 v10, 28, v5
	v_and_b32_e32 v4, 15, v4
	v_lshlrev_b32_e32 v1, v10, v1
	v_sub_u32_e32 v5, 29, v5
	v_and_b32_e32 v1, 7, v1
	v_cmp_eq_u16_e32 vcc, 0, v4
	v_cndmask_b32_e32 v0, v0, v1, vcc
	v_cndmask_b32_e32 v1, v4, v5, vcc
	v_lshlrev_b32_e32 v4, 16, v6
	v_mov_b32_e32 v5, 0x3b800000
	v_lshlrev_b32_e32 v0, 20, v0
	v_and_b32_e32 v4, 0x80000000, v4
	v_lshl_add_u32 v1, v1, 23, v5
	v_or3_b32 v0, v4, v1, v0
.LBB12_1996:
	s_or_b64 exec, exec, s[6:7]
	v_lshrrev_b32_e32 v1, 8, v2
	s_movk_i32 s4, 0x7f
	v_cmp_gt_i16_sdwa s[6:7], v1, s4 src0_sel:BYTE_0 src1_sel:DWORD
	s_mov_b64 s[4:5], 0
                                        ; implicit-def: $sgpr10
	s_and_saveexec_b64 s[8:9], s[6:7]
	s_xor_b64 s[6:7], exec, s[8:9]
	s_cbranch_execnz .LBB12_4045
; %bb.1997:
	s_or_saveexec_b64 s[6:7], s[6:7]
	v_mov_b32_e32 v4, s10
	s_xor_b64 exec, exec, s[6:7]
	s_cbranch_execnz .LBB12_4048
.LBB12_1998:
	s_or_b64 exec, exec, s[6:7]
	s_and_saveexec_b64 s[6:7], s[4:5]
	s_cbranch_execz .LBB12_2000
.LBB12_1999:
	v_bfe_u32 v4, v2, 8, 3
	v_ffbh_u32_e32 v10, v4
	v_min_u32_e32 v10, 32, v10
	v_lshrrev_b16_e32 v5, 3, v1
	v_subrev_u32_e32 v11, 28, v10
	v_and_b32_e32 v5, 15, v5
	v_lshlrev_b32_e32 v1, v11, v1
	v_sub_u32_e32 v10, 29, v10
	v_and_b32_e32 v1, 7, v1
	v_cmp_eq_u16_e32 vcc, 0, v5
	v_cndmask_b32_e32 v1, v4, v1, vcc
	v_cndmask_b32_e32 v4, v5, v10, vcc
	v_lshlrev_b32_e32 v5, 16, v2
	v_mov_b32_e32 v10, 0x3b800000
	v_lshlrev_b32_e32 v1, 20, v1
	v_and_b32_e32 v5, 0x80000000, v5
	v_lshl_add_u32 v4, v4, 23, v10
	v_or3_b32 v4, v5, v4, v1
.LBB12_2000:
	s_or_b64 exec, exec, s[6:7]
	s_nop 0
	v_mfma_f32_16x16x4f32 a[0:3], v0, v4, a[0:3]
	s_movk_i32 s4, 0xff
	v_and_b32_sdwa v1, v6, s4 dst_sel:DWORD dst_unused:UNUSED_PAD src0_sel:WORD_1 src1_sel:DWORD
	s_movk_i32 s4, 0x7f
	v_cmp_lt_i16_e32 vcc, s4, v1
	s_mov_b64 s[4:5], 0
                                        ; implicit-def: $sgpr10
	s_and_saveexec_b64 s[6:7], vcc
	s_xor_b64 s[6:7], exec, s[6:7]
	s_cbranch_execnz .LBB12_4049
; %bb.2001:
	s_or_saveexec_b64 s[6:7], s[6:7]
	v_mov_b32_e32 v0, s10
	s_xor_b64 exec, exec, s[6:7]
	s_cbranch_execnz .LBB12_4052
.LBB12_2002:
	s_or_b64 exec, exec, s[6:7]
	s_and_saveexec_b64 s[6:7], s[4:5]
	s_cbranch_execz .LBB12_2004
.LBB12_2003:
	v_bfe_u32 v0, v6, 16, 3
	v_ffbh_u32_e32 v5, v0
	v_min_u32_e32 v5, 32, v5
	v_lshrrev_b32_e32 v1, 19, v6
	v_subrev_u32_e32 v10, 28, v5
	v_and_b32_e32 v1, 15, v1
	v_lshlrev_b32_sdwa v10, v10, v6 dst_sel:DWORD dst_unused:UNUSED_PAD src0_sel:DWORD src1_sel:WORD_1
	v_bfe_u32 v4, v6, 19, 4
	v_sub_u32_e32 v5, 29, v5
	v_and_b32_e32 v10, 7, v10
	v_cmp_eq_u16_e32 vcc, 0, v1
	v_cndmask_b32_e32 v0, v0, v10, vcc
	v_cndmask_b32_e32 v1, v4, v5, vcc
	v_lshlrev_b32_e32 v4, 8, v6
	v_mov_b32_e32 v5, 0x3b800000
	v_lshlrev_b32_e32 v0, 20, v0
	v_and_b32_e32 v4, 0x80000000, v4
	v_lshl_add_u32 v1, v1, 23, v5
	v_or3_b32 v0, v4, v1, v0
.LBB12_2004:
	s_or_b64 exec, exec, s[6:7]
	s_movk_i32 s4, 0xff
	v_and_b32_sdwa v1, v2, s4 dst_sel:DWORD dst_unused:UNUSED_PAD src0_sel:WORD_1 src1_sel:DWORD
	s_movk_i32 s4, 0x7f
	v_cmp_lt_i16_e32 vcc, s4, v1
	s_mov_b64 s[4:5], 0
                                        ; implicit-def: $sgpr10
	s_and_saveexec_b64 s[6:7], vcc
	s_xor_b64 s[6:7], exec, s[6:7]
	s_cbranch_execnz .LBB12_4053
; %bb.2005:
	s_or_saveexec_b64 s[6:7], s[6:7]
	v_mov_b32_e32 v4, s10
	s_xor_b64 exec, exec, s[6:7]
	s_cbranch_execnz .LBB12_4056
.LBB12_2006:
	s_or_b64 exec, exec, s[6:7]
	s_and_saveexec_b64 s[6:7], s[4:5]
	s_cbranch_execz .LBB12_2008
.LBB12_2007:
	v_bfe_u32 v1, v2, 16, 3
	v_ffbh_u32_e32 v10, v1
	v_min_u32_e32 v10, 32, v10
	v_lshrrev_b32_e32 v4, 19, v2
	v_subrev_u32_e32 v11, 28, v10
	v_and_b32_e32 v4, 15, v4
	v_lshlrev_b32_sdwa v11, v11, v2 dst_sel:DWORD dst_unused:UNUSED_PAD src0_sel:DWORD src1_sel:WORD_1
	v_bfe_u32 v5, v2, 19, 4
	v_sub_u32_e32 v10, 29, v10
	v_and_b32_e32 v11, 7, v11
	v_cmp_eq_u16_e32 vcc, 0, v4
	v_cndmask_b32_e32 v1, v1, v11, vcc
	v_cndmask_b32_e32 v4, v5, v10, vcc
	v_lshlrev_b32_e32 v5, 8, v2
	v_mov_b32_e32 v10, 0x3b800000
	v_lshlrev_b32_e32 v1, 20, v1
	v_and_b32_e32 v5, 0x80000000, v5
	v_lshl_add_u32 v4, v4, 23, v10
	v_or3_b32 v4, v5, v4, v1
.LBB12_2008:
	s_or_b64 exec, exec, s[6:7]
	s_nop 0
	v_mfma_f32_16x16x4f32 a[0:3], v0, v4, a[0:3]
	s_movk_i32 s4, 0x7f
	v_cmp_gt_i16_sdwa s[6:7], v6, s4 src0_sel:BYTE_3 src1_sel:DWORD
	s_mov_b64 s[4:5], 0
                                        ; implicit-def: $sgpr10
	s_and_saveexec_b64 s[8:9], s[6:7]
	s_xor_b64 s[6:7], exec, s[8:9]
	s_cbranch_execnz .LBB12_4057
; %bb.2009:
	s_or_saveexec_b64 s[6:7], s[6:7]
	v_mov_b32_e32 v0, s10
	s_xor_b64 exec, exec, s[6:7]
	s_cbranch_execnz .LBB12_4060
.LBB12_2010:
	s_or_b64 exec, exec, s[6:7]
	s_and_saveexec_b64 s[6:7], s[4:5]
	s_cbranch_execz .LBB12_2012
.LBB12_2011:
	v_bfe_u32 v0, v6, 24, 3
	v_ffbh_u32_e32 v10, v0
	v_min_u32_e32 v10, 32, v10
	v_lshrrev_b32_e32 v4, 27, v6
	v_subrev_u32_e32 v11, 28, v10
	v_and_b32_e32 v1, 0x80000000, v6
	v_and_b32_e32 v4, 15, v4
	v_bfe_u32 v5, v6, 27, 4
	v_lshlrev_b32_sdwa v6, v11, v6 dst_sel:DWORD dst_unused:UNUSED_PAD src0_sel:DWORD src1_sel:BYTE_3
	v_sub_u32_e32 v10, 29, v10
	v_and_b32_e32 v6, 7, v6
	v_cmp_eq_u16_e32 vcc, 0, v4
	v_cndmask_b32_e32 v0, v0, v6, vcc
	v_cndmask_b32_e32 v4, v5, v10, vcc
	v_mov_b32_e32 v5, 0x3b800000
	v_lshlrev_b32_e32 v0, 20, v0
	v_lshl_add_u32 v4, v4, 23, v5
	v_or3_b32 v0, v1, v4, v0
.LBB12_2012:
	s_or_b64 exec, exec, s[6:7]
	s_movk_i32 s4, 0x7f
	v_cmp_gt_i16_sdwa s[6:7], v2, s4 src0_sel:BYTE_3 src1_sel:DWORD
	s_mov_b64 s[4:5], 0
                                        ; implicit-def: $sgpr10
	s_and_saveexec_b64 s[8:9], s[6:7]
	s_xor_b64 s[6:7], exec, s[8:9]
	s_cbranch_execnz .LBB12_4061
; %bb.2013:
	s_or_saveexec_b64 s[6:7], s[6:7]
	v_mov_b32_e32 v1, s10
	s_xor_b64 exec, exec, s[6:7]
	s_cbranch_execnz .LBB12_4064
.LBB12_2014:
	s_or_b64 exec, exec, s[6:7]
	s_and_saveexec_b64 s[6:7], s[4:5]
	s_cbranch_execz .LBB12_2016
.LBB12_2015:
	v_bfe_u32 v1, v2, 24, 3
	v_ffbh_u32_e32 v10, v1
	v_min_u32_e32 v10, 32, v10
	v_lshrrev_b32_e32 v5, 27, v2
	v_subrev_u32_e32 v11, 28, v10
	v_and_b32_e32 v4, 0x80000000, v2
	v_and_b32_e32 v5, 15, v5
	v_bfe_u32 v6, v2, 27, 4
	v_lshlrev_b32_sdwa v2, v11, v2 dst_sel:DWORD dst_unused:UNUSED_PAD src0_sel:DWORD src1_sel:BYTE_3
	v_sub_u32_e32 v10, 29, v10
	v_and_b32_e32 v2, 7, v2
	v_cmp_eq_u16_e32 vcc, 0, v5
	v_cndmask_b32_e32 v1, v1, v2, vcc
	v_cndmask_b32_e32 v2, v6, v10, vcc
	v_mov_b32_e32 v5, 0x3b800000
	v_lshlrev_b32_e32 v1, 20, v1
	v_lshl_add_u32 v2, v2, 23, v5
	v_or3_b32 v1, v4, v2, v1
.LBB12_2016:
	s_or_b64 exec, exec, s[6:7]
	s_nop 0
	v_mfma_f32_16x16x4f32 a[0:3], v0, v1, a[0:3]
	s_movk_i32 s4, 0x7f
	v_cmp_gt_i16_sdwa s[6:7], v7, s4 src0_sel:BYTE_0 src1_sel:DWORD
	s_mov_b64 s[4:5], 0
                                        ; implicit-def: $sgpr10
	s_and_saveexec_b64 s[8:9], s[6:7]
	s_xor_b64 s[6:7], exec, s[8:9]
	s_cbranch_execnz .LBB12_4065
; %bb.2017:
	s_or_saveexec_b64 s[6:7], s[6:7]
	v_mov_b32_e32 v0, s10
	s_xor_b64 exec, exec, s[6:7]
	s_cbranch_execnz .LBB12_4068
.LBB12_2018:
	s_or_b64 exec, exec, s[6:7]
	s_and_saveexec_b64 s[6:7], s[4:5]
	s_cbranch_execz .LBB12_2020
.LBB12_2019:
	v_mov_b32_e32 v0, 8
	v_and_b32_e32 v1, 7, v7
	v_lshrrev_b32_sdwa v0, v0, v7 dst_sel:BYTE_1 dst_unused:UNUSED_PAD src0_sel:DWORD src1_sel:DWORD
	v_ffbh_u32_e32 v2, v1
	v_or_b32_sdwa v0, v7, v0 dst_sel:DWORD dst_unused:UNUSED_PAD src0_sel:BYTE_0 src1_sel:DWORD
	v_min_u32_e32 v2, 32, v2
	v_lshrrev_b16_e32 v0, 3, v0
	v_subrev_u32_e32 v4, 28, v2
	v_and_b32_e32 v0, 15, v0
	v_lshlrev_b32_e32 v4, v4, v7
	v_sub_u32_e32 v2, 29, v2
	v_and_b32_e32 v4, 7, v4
	v_cmp_eq_u16_e32 vcc, 0, v0
	v_cndmask_b32_e32 v1, v1, v4, vcc
	v_cndmask_b32_e32 v0, v0, v2, vcc
	v_lshlrev_b32_e32 v2, 24, v7
	v_mov_b32_e32 v4, 0x3b800000
	v_lshlrev_b32_e32 v1, 20, v1
	v_and_b32_e32 v2, 0x80000000, v2
	v_lshl_add_u32 v0, v0, 23, v4
	v_or3_b32 v0, v2, v0, v1
.LBB12_2020:
	s_or_b64 exec, exec, s[6:7]
	s_movk_i32 s4, 0x7f
	v_cmp_gt_i16_sdwa s[6:7], v3, s4 src0_sel:BYTE_0 src1_sel:DWORD
	s_mov_b64 s[4:5], 0
                                        ; implicit-def: $sgpr10
	s_and_saveexec_b64 s[8:9], s[6:7]
	s_xor_b64 s[6:7], exec, s[8:9]
	s_cbranch_execnz .LBB12_4069
; %bb.2021:
	s_or_saveexec_b64 s[6:7], s[6:7]
	v_mov_b32_e32 v1, s10
	s_xor_b64 exec, exec, s[6:7]
	s_cbranch_execnz .LBB12_4072
.LBB12_2022:
	s_or_b64 exec, exec, s[6:7]
	s_and_saveexec_b64 s[6:7], s[4:5]
	s_cbranch_execz .LBB12_2024
.LBB12_2023:
	v_mov_b32_e32 v1, 8
	v_and_b32_e32 v2, 7, v3
	v_lshrrev_b32_sdwa v1, v1, v3 dst_sel:BYTE_1 dst_unused:UNUSED_PAD src0_sel:DWORD src1_sel:DWORD
	v_ffbh_u32_e32 v4, v2
	v_or_b32_sdwa v1, v3, v1 dst_sel:DWORD dst_unused:UNUSED_PAD src0_sel:BYTE_0 src1_sel:DWORD
	v_min_u32_e32 v4, 32, v4
	v_lshrrev_b16_e32 v1, 3, v1
	v_subrev_u32_e32 v5, 28, v4
	v_and_b32_e32 v1, 15, v1
	v_lshlrev_b32_e32 v5, v5, v3
	v_sub_u32_e32 v4, 29, v4
	v_and_b32_e32 v5, 7, v5
	v_cmp_eq_u16_e32 vcc, 0, v1
	v_cndmask_b32_e32 v2, v2, v5, vcc
	v_cndmask_b32_e32 v1, v1, v4, vcc
	v_lshlrev_b32_e32 v4, 24, v3
	v_mov_b32_e32 v5, 0x3b800000
	v_lshlrev_b32_e32 v2, 20, v2
	v_and_b32_e32 v4, 0x80000000, v4
	v_lshl_add_u32 v1, v1, 23, v5
	v_or3_b32 v1, v4, v1, v2
.LBB12_2024:
	s_or_b64 exec, exec, s[6:7]
	s_nop 0
	v_mfma_f32_16x16x4f32 a[0:3], v0, v1, a[0:3]
	v_lshrrev_b32_e32 v1, 8, v7
	s_movk_i32 s4, 0x7f
	v_cmp_gt_i16_sdwa s[6:7], v1, s4 src0_sel:BYTE_0 src1_sel:DWORD
	s_mov_b64 s[4:5], 0
                                        ; implicit-def: $sgpr10
	s_and_saveexec_b64 s[8:9], s[6:7]
	s_xor_b64 s[6:7], exec, s[8:9]
	s_cbranch_execnz .LBB12_4073
; %bb.2025:
	s_or_saveexec_b64 s[6:7], s[6:7]
	v_mov_b32_e32 v0, s10
	s_xor_b64 exec, exec, s[6:7]
	s_cbranch_execnz .LBB12_4076
.LBB12_2026:
	s_or_b64 exec, exec, s[6:7]
	s_and_saveexec_b64 s[6:7], s[4:5]
	s_cbranch_execz .LBB12_2028
.LBB12_2027:
	v_bfe_u32 v0, v7, 8, 3
	v_ffbh_u32_e32 v4, v0
	v_min_u32_e32 v4, 32, v4
	v_lshrrev_b16_e32 v2, 3, v1
	v_subrev_u32_e32 v5, 28, v4
	v_and_b32_e32 v2, 15, v2
	v_lshlrev_b32_e32 v1, v5, v1
	v_sub_u32_e32 v4, 29, v4
	v_and_b32_e32 v1, 7, v1
	v_cmp_eq_u16_e32 vcc, 0, v2
	v_cndmask_b32_e32 v0, v0, v1, vcc
	v_cndmask_b32_e32 v1, v2, v4, vcc
	v_lshlrev_b32_e32 v2, 16, v7
	v_mov_b32_e32 v4, 0x3b800000
	v_lshlrev_b32_e32 v0, 20, v0
	v_and_b32_e32 v2, 0x80000000, v2
	v_lshl_add_u32 v1, v1, 23, v4
	v_or3_b32 v0, v2, v1, v0
.LBB12_2028:
	s_or_b64 exec, exec, s[6:7]
	v_lshrrev_b32_e32 v1, 8, v3
	s_movk_i32 s4, 0x7f
	v_cmp_gt_i16_sdwa s[6:7], v1, s4 src0_sel:BYTE_0 src1_sel:DWORD
	s_mov_b64 s[4:5], 0
                                        ; implicit-def: $sgpr10
	s_and_saveexec_b64 s[8:9], s[6:7]
	s_xor_b64 s[6:7], exec, s[8:9]
	s_cbranch_execnz .LBB12_4077
; %bb.2029:
	s_or_saveexec_b64 s[6:7], s[6:7]
	v_mov_b32_e32 v2, s10
	s_xor_b64 exec, exec, s[6:7]
	s_cbranch_execnz .LBB12_4080
.LBB12_2030:
	s_or_b64 exec, exec, s[6:7]
	s_and_saveexec_b64 s[6:7], s[4:5]
	s_cbranch_execz .LBB12_2032
.LBB12_2031:
	v_bfe_u32 v2, v3, 8, 3
	v_ffbh_u32_e32 v5, v2
	v_min_u32_e32 v5, 32, v5
	v_lshrrev_b16_e32 v4, 3, v1
	v_subrev_u32_e32 v6, 28, v5
	v_and_b32_e32 v4, 15, v4
	v_lshlrev_b32_e32 v1, v6, v1
	v_sub_u32_e32 v5, 29, v5
	v_and_b32_e32 v1, 7, v1
	v_cmp_eq_u16_e32 vcc, 0, v4
	v_cndmask_b32_e32 v1, v2, v1, vcc
	v_cndmask_b32_e32 v2, v4, v5, vcc
	v_lshlrev_b32_e32 v4, 16, v3
	v_mov_b32_e32 v5, 0x3b800000
	v_lshlrev_b32_e32 v1, 20, v1
	v_and_b32_e32 v4, 0x80000000, v4
	v_lshl_add_u32 v2, v2, 23, v5
	v_or3_b32 v2, v4, v2, v1
.LBB12_2032:
	s_or_b64 exec, exec, s[6:7]
	s_nop 0
	v_mfma_f32_16x16x4f32 a[0:3], v0, v2, a[0:3]
	s_movk_i32 s4, 0xff
	v_and_b32_sdwa v1, v7, s4 dst_sel:DWORD dst_unused:UNUSED_PAD src0_sel:WORD_1 src1_sel:DWORD
	s_movk_i32 s4, 0x7f
	v_cmp_lt_i16_e32 vcc, s4, v1
	s_mov_b64 s[4:5], 0
                                        ; implicit-def: $sgpr10
	s_and_saveexec_b64 s[6:7], vcc
	s_xor_b64 s[6:7], exec, s[6:7]
	s_cbranch_execnz .LBB12_4081
; %bb.2033:
	s_or_saveexec_b64 s[6:7], s[6:7]
	v_mov_b32_e32 v0, s10
	s_xor_b64 exec, exec, s[6:7]
	s_cbranch_execnz .LBB12_4084
.LBB12_2034:
	s_or_b64 exec, exec, s[6:7]
	s_and_saveexec_b64 s[6:7], s[4:5]
	s_cbranch_execz .LBB12_2036
.LBB12_2035:
	v_bfe_u32 v0, v7, 16, 3
	v_ffbh_u32_e32 v4, v0
	v_min_u32_e32 v4, 32, v4
	v_lshrrev_b32_e32 v1, 19, v7
	v_subrev_u32_e32 v5, 28, v4
	v_and_b32_e32 v1, 15, v1
	v_lshlrev_b32_sdwa v5, v5, v7 dst_sel:DWORD dst_unused:UNUSED_PAD src0_sel:DWORD src1_sel:WORD_1
	v_bfe_u32 v2, v7, 19, 4
	v_sub_u32_e32 v4, 29, v4
	v_and_b32_e32 v5, 7, v5
	v_cmp_eq_u16_e32 vcc, 0, v1
	v_cndmask_b32_e32 v0, v0, v5, vcc
	v_cndmask_b32_e32 v1, v2, v4, vcc
	v_lshlrev_b32_e32 v2, 8, v7
	v_mov_b32_e32 v4, 0x3b800000
	v_lshlrev_b32_e32 v0, 20, v0
	v_and_b32_e32 v2, 0x80000000, v2
	v_lshl_add_u32 v1, v1, 23, v4
	v_or3_b32 v0, v2, v1, v0
.LBB12_2036:
	s_or_b64 exec, exec, s[6:7]
	s_movk_i32 s4, 0xff
	v_and_b32_sdwa v1, v3, s4 dst_sel:DWORD dst_unused:UNUSED_PAD src0_sel:WORD_1 src1_sel:DWORD
	s_movk_i32 s4, 0x7f
	v_cmp_lt_i16_e32 vcc, s4, v1
	s_mov_b64 s[4:5], 0
                                        ; implicit-def: $sgpr10
	s_and_saveexec_b64 s[6:7], vcc
	s_xor_b64 s[6:7], exec, s[6:7]
	s_cbranch_execnz .LBB12_4085
; %bb.2037:
	s_or_saveexec_b64 s[6:7], s[6:7]
	v_mov_b32_e32 v2, s10
	s_xor_b64 exec, exec, s[6:7]
	s_cbranch_execnz .LBB12_4088
.LBB12_2038:
	s_or_b64 exec, exec, s[6:7]
	s_and_saveexec_b64 s[6:7], s[4:5]
	s_cbranch_execz .LBB12_2040
.LBB12_2039:
	v_bfe_u32 v1, v3, 16, 3
	v_ffbh_u32_e32 v5, v1
	v_min_u32_e32 v5, 32, v5
	v_lshrrev_b32_e32 v2, 19, v3
	v_subrev_u32_e32 v6, 28, v5
	v_and_b32_e32 v2, 15, v2
	v_lshlrev_b32_sdwa v6, v6, v3 dst_sel:DWORD dst_unused:UNUSED_PAD src0_sel:DWORD src1_sel:WORD_1
	v_bfe_u32 v4, v3, 19, 4
	v_sub_u32_e32 v5, 29, v5
	v_and_b32_e32 v6, 7, v6
	v_cmp_eq_u16_e32 vcc, 0, v2
	v_cndmask_b32_e32 v1, v1, v6, vcc
	v_cndmask_b32_e32 v2, v4, v5, vcc
	v_lshlrev_b32_e32 v4, 8, v3
	v_mov_b32_e32 v5, 0x3b800000
	v_lshlrev_b32_e32 v1, 20, v1
	v_and_b32_e32 v4, 0x80000000, v4
	v_lshl_add_u32 v2, v2, 23, v5
	v_or3_b32 v2, v4, v2, v1
.LBB12_2040:
	s_or_b64 exec, exec, s[6:7]
	s_nop 0
	v_mfma_f32_16x16x4f32 a[0:3], v0, v2, a[0:3]
	s_movk_i32 s4, 0x7f
	v_cmp_gt_i16_sdwa s[6:7], v7, s4 src0_sel:BYTE_3 src1_sel:DWORD
	s_mov_b64 s[4:5], 0
                                        ; implicit-def: $sgpr10
	s_and_saveexec_b64 s[8:9], s[6:7]
	s_xor_b64 s[6:7], exec, s[8:9]
	s_cbranch_execnz .LBB12_4089
; %bb.2041:
	s_or_saveexec_b64 s[6:7], s[6:7]
	v_mov_b32_e32 v0, s10
	s_xor_b64 exec, exec, s[6:7]
	s_cbranch_execnz .LBB12_4092
.LBB12_2042:
	s_or_b64 exec, exec, s[6:7]
	s_and_saveexec_b64 s[6:7], s[4:5]
	s_cbranch_execz .LBB12_2044
.LBB12_2043:
	v_bfe_u32 v0, v7, 24, 3
	v_ffbh_u32_e32 v5, v0
	v_min_u32_e32 v5, 32, v5
	v_lshrrev_b32_e32 v2, 27, v7
	v_subrev_u32_e32 v6, 28, v5
	v_and_b32_e32 v2, 15, v2
	v_lshlrev_b32_sdwa v6, v6, v7 dst_sel:DWORD dst_unused:UNUSED_PAD src0_sel:DWORD src1_sel:BYTE_3
	v_bfe_u32 v4, v7, 27, 4
	v_sub_u32_e32 v5, 29, v5
	v_and_b32_e32 v6, 7, v6
	v_cmp_eq_u16_e32 vcc, 0, v2
	v_cndmask_b32_e32 v0, v0, v6, vcc
	v_cndmask_b32_e32 v2, v4, v5, vcc
	v_mov_b32_e32 v4, 0x3b800000
	v_and_b32_e32 v1, 0x80000000, v7
	v_lshlrev_b32_e32 v0, 20, v0
	v_lshl_add_u32 v2, v2, 23, v4
	v_or3_b32 v0, v1, v2, v0
.LBB12_2044:
	s_or_b64 exec, exec, s[6:7]
	s_movk_i32 s4, 0x7f
	v_cmp_gt_i16_sdwa s[6:7], v3, s4 src0_sel:BYTE_3 src1_sel:DWORD
	s_mov_b64 s[4:5], 0
                                        ; implicit-def: $sgpr10
	s_and_saveexec_b64 s[8:9], s[6:7]
	s_xor_b64 s[6:7], exec, s[8:9]
	s_cbranch_execnz .LBB12_4093
; %bb.2045:
	s_or_saveexec_b64 s[6:7], s[6:7]
	v_mov_b32_e32 v1, s10
	s_xor_b64 exec, exec, s[6:7]
	s_cbranch_execnz .LBB12_4096
.LBB12_2046:
	s_or_b64 exec, exec, s[6:7]
	s_and_saveexec_b64 s[6:7], s[4:5]
	s_cbranch_execz .LBB12_2048
.LBB12_2047:
	v_bfe_u32 v1, v3, 24, 3
	v_ffbh_u32_e32 v6, v1
	v_min_u32_e32 v6, 32, v6
	v_lshrrev_b32_e32 v4, 27, v3
	v_subrev_u32_e32 v7, 28, v6
	v_and_b32_e32 v2, 0x80000000, v3
	v_and_b32_e32 v4, 15, v4
	v_bfe_u32 v5, v3, 27, 4
	v_lshlrev_b32_sdwa v3, v7, v3 dst_sel:DWORD dst_unused:UNUSED_PAD src0_sel:DWORD src1_sel:BYTE_3
	v_sub_u32_e32 v6, 29, v6
	v_and_b32_e32 v3, 7, v3
	v_cmp_eq_u16_e32 vcc, 0, v4
	v_cndmask_b32_e32 v1, v1, v3, vcc
	v_cndmask_b32_e32 v3, v5, v6, vcc
	v_mov_b32_e32 v4, 0x3b800000
	v_lshlrev_b32_e32 v1, 20, v1
	v_lshl_add_u32 v3, v3, 23, v4
	v_or3_b32 v1, v2, v3, v1
.LBB12_2048:
	s_or_b64 exec, exec, s[6:7]
	s_nop 0
	v_mfma_f32_16x16x4f32 a[0:3], v0, v1, a[0:3]
	s_nop 7
	s_nop 2
	flat_store_dwordx4 v[8:9], a[0:3] offset:240
	s_waitcnt vmcnt(0) lgkmcnt(0)
	s_setpc_b64 s[30:31]
.LBB12_2049:
	s_movk_i32 s4, 0x80
	v_cmp_eq_u16_sdwa s[12:13], v6, s4 src0_sel:BYTE_0 src1_sel:DWORD
	s_mov_b64 s[4:5], -1
                                        ; implicit-def: $sgpr10
	s_and_saveexec_b64 s[8:9], s[12:13]
; %bb.2050:
	s_mov_b32 s10, 0x7f800001
	s_xor_b64 s[4:5], exec, -1
; %bb.2051:
	s_or_b64 exec, exec, s[8:9]
	s_and_b64 s[4:5], s[4:5], exec
	s_or_saveexec_b64 s[6:7], s[6:7]
	v_mov_b32_e32 v12, s10
	s_xor_b64 exec, exec, s[6:7]
	s_cbranch_execz .LBB12_2
.LBB12_2052:
	v_mov_b32_e32 v12, 0
	v_cmp_ne_u16_sdwa s[8:9], v6, v12 src0_sel:BYTE_0 src1_sel:DWORD
	s_andn2_b64 s[4:5], s[4:5], exec
	s_and_b64 s[8:9], s[8:9], exec
	s_or_b64 s[4:5], s[4:5], s[8:9]
	s_or_b64 exec, exec, s[6:7]
	s_and_saveexec_b64 s[6:7], s[4:5]
	s_cbranch_execnz .LBB12_3
	s_branch .LBB12_4
.LBB12_2053:
	s_movk_i32 s4, 0x80
	v_cmp_eq_u16_sdwa s[12:13], v2, s4 src0_sel:BYTE_0 src1_sel:DWORD
	s_mov_b64 s[4:5], -1
                                        ; implicit-def: $sgpr10
	s_and_saveexec_b64 s[8:9], s[12:13]
; %bb.2054:
	s_mov_b32 s10, 0x7f800001
	s_xor_b64 s[4:5], exec, -1
; %bb.2055:
	s_or_b64 exec, exec, s[8:9]
	s_and_b64 s[4:5], s[4:5], exec
	s_or_saveexec_b64 s[6:7], s[6:7]
	v_mov_b32_e32 v13, s10
	s_xor_b64 exec, exec, s[6:7]
	s_cbranch_execz .LBB12_6
.LBB12_2056:
	v_mov_b32_e32 v13, 0
	v_cmp_ne_u16_sdwa s[8:9], v2, v13 src0_sel:BYTE_0 src1_sel:DWORD
	s_andn2_b64 s[4:5], s[4:5], exec
	s_and_b64 s[8:9], s[8:9], exec
	s_or_b64 s[4:5], s[4:5], s[8:9]
	s_or_b64 exec, exec, s[6:7]
	s_and_saveexec_b64 s[6:7], s[4:5]
	s_cbranch_execnz .LBB12_7
	s_branch .LBB12_8
.LBB12_2057:
	s_movk_i32 s4, 0x80
	v_cmp_eq_u16_sdwa s[12:13], v13, s4 src0_sel:BYTE_0 src1_sel:DWORD
	s_mov_b64 s[4:5], -1
                                        ; implicit-def: $sgpr10
	s_and_saveexec_b64 s[8:9], s[12:13]
; %bb.2058:
	s_mov_b32 s10, 0x7f800001
	s_xor_b64 s[4:5], exec, -1
; %bb.2059:
	s_or_b64 exec, exec, s[8:9]
	s_and_b64 s[4:5], s[4:5], exec
	s_or_saveexec_b64 s[6:7], s[6:7]
	v_mov_b32_e32 v12, s10
	s_xor_b64 exec, exec, s[6:7]
	s_cbranch_execz .LBB12_10
.LBB12_2060:
	v_mov_b32_e32 v12, 0
	v_cmp_ne_u16_sdwa s[8:9], v13, v12 src0_sel:BYTE_0 src1_sel:DWORD
	s_andn2_b64 s[4:5], s[4:5], exec
	s_and_b64 s[8:9], s[8:9], exec
	s_or_b64 s[4:5], s[4:5], s[8:9]
	s_or_b64 exec, exec, s[6:7]
	s_and_saveexec_b64 s[6:7], s[4:5]
	s_cbranch_execnz .LBB12_11
	s_branch .LBB12_12
.LBB12_2061:
	s_movk_i32 s4, 0x80
	v_cmp_eq_u16_sdwa s[12:13], v13, s4 src0_sel:BYTE_0 src1_sel:DWORD
	s_mov_b64 s[4:5], -1
                                        ; implicit-def: $sgpr10
	s_and_saveexec_b64 s[8:9], s[12:13]
; %bb.2062:
	s_mov_b32 s10, 0x7f800001
	s_xor_b64 s[4:5], exec, -1
; %bb.2063:
	s_or_b64 exec, exec, s[8:9]
	s_and_b64 s[4:5], s[4:5], exec
	s_or_saveexec_b64 s[6:7], s[6:7]
	v_mov_b32_e32 v14, s10
	s_xor_b64 exec, exec, s[6:7]
	s_cbranch_execz .LBB12_14
.LBB12_2064:
	v_mov_b32_e32 v14, 0
	v_cmp_ne_u16_sdwa s[8:9], v13, v14 src0_sel:BYTE_0 src1_sel:DWORD
	s_andn2_b64 s[4:5], s[4:5], exec
	s_and_b64 s[8:9], s[8:9], exec
	s_or_b64 s[4:5], s[4:5], s[8:9]
	s_or_b64 exec, exec, s[6:7]
	s_and_saveexec_b64 s[6:7], s[4:5]
	s_cbranch_execnz .LBB12_15
	s_branch .LBB12_16
.LBB12_2065:
	s_movk_i32 s4, 0x80
	v_cmp_eq_u16_e32 vcc, s4, v13
	s_mov_b64 s[4:5], -1
                                        ; implicit-def: $sgpr10
	s_and_saveexec_b64 s[8:9], vcc
; %bb.2066:
	s_mov_b32 s10, 0x7f800001
	s_xor_b64 s[4:5], exec, -1
; %bb.2067:
	s_or_b64 exec, exec, s[8:9]
	s_and_b64 s[4:5], s[4:5], exec
                                        ; implicit-def: $vgpr13
	s_or_saveexec_b64 s[6:7], s[6:7]
	v_mov_b32_e32 v12, s10
	s_xor_b64 exec, exec, s[6:7]
	s_cbranch_execz .LBB12_18
.LBB12_2068:
	v_cmp_ne_u16_e32 vcc, 0, v13
	s_andn2_b64 s[4:5], s[4:5], exec
	s_and_b64 s[8:9], vcc, exec
	v_mov_b32_e32 v12, 0
	s_or_b64 s[4:5], s[4:5], s[8:9]
	s_or_b64 exec, exec, s[6:7]
	s_and_saveexec_b64 s[6:7], s[4:5]
	s_cbranch_execnz .LBB12_19
	s_branch .LBB12_20
.LBB12_2069:
	s_movk_i32 s4, 0x80
	v_cmp_eq_u16_e32 vcc, s4, v13
	s_mov_b64 s[4:5], -1
                                        ; implicit-def: $sgpr10
	s_and_saveexec_b64 s[8:9], vcc
; %bb.2070:
	s_mov_b32 s10, 0x7f800001
	s_xor_b64 s[4:5], exec, -1
; %bb.2071:
	s_or_b64 exec, exec, s[8:9]
	s_and_b64 s[4:5], s[4:5], exec
                                        ; implicit-def: $vgpr13
	s_or_saveexec_b64 s[6:7], s[6:7]
	v_mov_b32_e32 v14, s10
	s_xor_b64 exec, exec, s[6:7]
	s_cbranch_execz .LBB12_22
.LBB12_2072:
	v_cmp_ne_u16_e32 vcc, 0, v13
	s_andn2_b64 s[4:5], s[4:5], exec
	s_and_b64 s[8:9], vcc, exec
	v_mov_b32_e32 v14, 0
	s_or_b64 s[4:5], s[4:5], s[8:9]
	s_or_b64 exec, exec, s[6:7]
	s_and_saveexec_b64 s[6:7], s[4:5]
	s_cbranch_execnz .LBB12_23
	s_branch .LBB12_24
.LBB12_2073:
	s_movk_i32 s4, 0x80
	v_cmp_eq_u16_sdwa s[12:13], v6, s4 src0_sel:BYTE_3 src1_sel:DWORD
	s_mov_b64 s[4:5], -1
                                        ; implicit-def: $sgpr10
	s_and_saveexec_b64 s[8:9], s[12:13]
; %bb.2074:
	s_mov_b32 s10, 0x7f800001
	s_xor_b64 s[4:5], exec, -1
; %bb.2075:
	s_or_b64 exec, exec, s[8:9]
	s_and_b64 s[4:5], s[4:5], exec
	s_or_saveexec_b64 s[6:7], s[6:7]
	v_mov_b32_e32 v12, s10
	s_xor_b64 exec, exec, s[6:7]
	s_cbranch_execz .LBB12_26
.LBB12_2076:
	v_mov_b32_e32 v12, 0
	v_cmp_ne_u16_sdwa s[8:9], v6, v12 src0_sel:BYTE_3 src1_sel:DWORD
	s_andn2_b64 s[4:5], s[4:5], exec
	s_and_b64 s[8:9], s[8:9], exec
	s_or_b64 s[4:5], s[4:5], s[8:9]
	s_or_b64 exec, exec, s[6:7]
	s_and_saveexec_b64 s[6:7], s[4:5]
	s_cbranch_execnz .LBB12_27
	s_branch .LBB12_28
.LBB12_2077:
	s_movk_i32 s4, 0x80
	v_cmp_eq_u16_sdwa s[12:13], v2, s4 src0_sel:BYTE_3 src1_sel:DWORD
	s_mov_b64 s[4:5], -1
                                        ; implicit-def: $sgpr10
	s_and_saveexec_b64 s[8:9], s[12:13]
; %bb.2078:
	s_mov_b32 s10, 0x7f800001
	s_xor_b64 s[4:5], exec, -1
; %bb.2079:
	s_or_b64 exec, exec, s[8:9]
	s_and_b64 s[4:5], s[4:5], exec
	s_or_saveexec_b64 s[6:7], s[6:7]
	v_mov_b32_e32 v6, s10
	s_xor_b64 exec, exec, s[6:7]
	s_cbranch_execz .LBB12_30
.LBB12_2080:
	v_mov_b32_e32 v6, 0
	v_cmp_ne_u16_sdwa s[8:9], v2, v6 src0_sel:BYTE_3 src1_sel:DWORD
	s_andn2_b64 s[4:5], s[4:5], exec
	s_and_b64 s[8:9], s[8:9], exec
	s_or_b64 s[4:5], s[4:5], s[8:9]
	s_or_b64 exec, exec, s[6:7]
	s_and_saveexec_b64 s[6:7], s[4:5]
	s_cbranch_execnz .LBB12_31
	s_branch .LBB12_32
.LBB12_2081:
	s_movk_i32 s4, 0x80
	v_cmp_eq_u16_sdwa s[12:13], v7, s4 src0_sel:BYTE_0 src1_sel:DWORD
	s_mov_b64 s[4:5], -1
                                        ; implicit-def: $sgpr10
	s_and_saveexec_b64 s[8:9], s[12:13]
; %bb.2082:
	s_mov_b32 s10, 0x7f800001
	s_xor_b64 s[4:5], exec, -1
; %bb.2083:
	s_or_b64 exec, exec, s[8:9]
	s_and_b64 s[4:5], s[4:5], exec
	s_or_saveexec_b64 s[6:7], s[6:7]
	v_mov_b32_e32 v2, s10
	s_xor_b64 exec, exec, s[6:7]
	s_cbranch_execz .LBB12_34
.LBB12_2084:
	v_mov_b32_e32 v2, 0
	v_cmp_ne_u16_sdwa s[8:9], v7, v2 src0_sel:BYTE_0 src1_sel:DWORD
	s_andn2_b64 s[4:5], s[4:5], exec
	s_and_b64 s[8:9], s[8:9], exec
	s_or_b64 s[4:5], s[4:5], s[8:9]
	s_or_b64 exec, exec, s[6:7]
	s_and_saveexec_b64 s[6:7], s[4:5]
	s_cbranch_execnz .LBB12_35
	s_branch .LBB12_36
.LBB12_2085:
	s_movk_i32 s4, 0x80
	v_cmp_eq_u16_sdwa s[12:13], v3, s4 src0_sel:BYTE_0 src1_sel:DWORD
	s_mov_b64 s[4:5], -1
                                        ; implicit-def: $sgpr10
	s_and_saveexec_b64 s[8:9], s[12:13]
; %bb.2086:
	s_mov_b32 s10, 0x7f800001
	s_xor_b64 s[4:5], exec, -1
; %bb.2087:
	s_or_b64 exec, exec, s[8:9]
	s_and_b64 s[4:5], s[4:5], exec
	s_or_saveexec_b64 s[6:7], s[6:7]
	v_mov_b32_e32 v6, s10
	s_xor_b64 exec, exec, s[6:7]
	s_cbranch_execz .LBB12_38
.LBB12_2088:
	v_mov_b32_e32 v6, 0
	v_cmp_ne_u16_sdwa s[8:9], v3, v6 src0_sel:BYTE_0 src1_sel:DWORD
	s_andn2_b64 s[4:5], s[4:5], exec
	s_and_b64 s[8:9], s[8:9], exec
	s_or_b64 s[4:5], s[4:5], s[8:9]
	s_or_b64 exec, exec, s[6:7]
	s_and_saveexec_b64 s[6:7], s[4:5]
	s_cbranch_execnz .LBB12_39
	s_branch .LBB12_40
.LBB12_2089:
	s_movk_i32 s4, 0x80
	v_cmp_eq_u16_sdwa s[12:13], v6, s4 src0_sel:BYTE_0 src1_sel:DWORD
	s_mov_b64 s[4:5], -1
                                        ; implicit-def: $sgpr10
	s_and_saveexec_b64 s[8:9], s[12:13]
; %bb.2090:
	s_mov_b32 s10, 0x7f800001
	s_xor_b64 s[4:5], exec, -1
; %bb.2091:
	s_or_b64 exec, exec, s[8:9]
	s_and_b64 s[4:5], s[4:5], exec
	s_or_saveexec_b64 s[6:7], s[6:7]
	v_mov_b32_e32 v2, s10
	s_xor_b64 exec, exec, s[6:7]
	s_cbranch_execz .LBB12_42
.LBB12_2092:
	v_mov_b32_e32 v2, 0
	v_cmp_ne_u16_sdwa s[8:9], v6, v2 src0_sel:BYTE_0 src1_sel:DWORD
	s_andn2_b64 s[4:5], s[4:5], exec
	s_and_b64 s[8:9], s[8:9], exec
	s_or_b64 s[4:5], s[4:5], s[8:9]
	s_or_b64 exec, exec, s[6:7]
	s_and_saveexec_b64 s[6:7], s[4:5]
	s_cbranch_execnz .LBB12_43
	s_branch .LBB12_44
.LBB12_2093:
	s_movk_i32 s4, 0x80
	v_cmp_eq_u16_sdwa s[12:13], v6, s4 src0_sel:BYTE_0 src1_sel:DWORD
	s_mov_b64 s[4:5], -1
                                        ; implicit-def: $sgpr10
	s_and_saveexec_b64 s[8:9], s[12:13]
; %bb.2094:
	s_mov_b32 s10, 0x7f800001
	s_xor_b64 s[4:5], exec, -1
; %bb.2095:
	s_or_b64 exec, exec, s[8:9]
	s_and_b64 s[4:5], s[4:5], exec
	s_or_saveexec_b64 s[6:7], s[6:7]
	v_mov_b32_e32 v12, s10
	s_xor_b64 exec, exec, s[6:7]
	s_cbranch_execz .LBB12_46
.LBB12_2096:
	v_mov_b32_e32 v12, 0
	v_cmp_ne_u16_sdwa s[8:9], v6, v12 src0_sel:BYTE_0 src1_sel:DWORD
	s_andn2_b64 s[4:5], s[4:5], exec
	s_and_b64 s[8:9], s[8:9], exec
	s_or_b64 s[4:5], s[4:5], s[8:9]
	s_or_b64 exec, exec, s[6:7]
	s_and_saveexec_b64 s[6:7], s[4:5]
	s_cbranch_execnz .LBB12_47
	s_branch .LBB12_48
.LBB12_2097:
	s_movk_i32 s4, 0x80
	v_cmp_eq_u16_e32 vcc, s4, v6
	s_mov_b64 s[4:5], -1
                                        ; implicit-def: $sgpr10
	s_and_saveexec_b64 s[8:9], vcc
; %bb.2098:
	s_mov_b32 s10, 0x7f800001
	s_xor_b64 s[4:5], exec, -1
; %bb.2099:
	s_or_b64 exec, exec, s[8:9]
	s_and_b64 s[4:5], s[4:5], exec
                                        ; implicit-def: $vgpr6
	s_or_saveexec_b64 s[6:7], s[6:7]
	v_mov_b32_e32 v2, s10
	s_xor_b64 exec, exec, s[6:7]
	s_cbranch_execz .LBB12_50
.LBB12_2100:
	v_cmp_ne_u16_e32 vcc, 0, v6
	s_andn2_b64 s[4:5], s[4:5], exec
	s_and_b64 s[8:9], vcc, exec
	v_mov_b32_e32 v2, 0
	s_or_b64 s[4:5], s[4:5], s[8:9]
	s_or_b64 exec, exec, s[6:7]
	s_and_saveexec_b64 s[6:7], s[4:5]
	s_cbranch_execnz .LBB12_51
	s_branch .LBB12_52
.LBB12_2101:
	s_movk_i32 s4, 0x80
	v_cmp_eq_u16_e32 vcc, s4, v6
	s_mov_b64 s[4:5], -1
                                        ; implicit-def: $sgpr10
	s_and_saveexec_b64 s[8:9], vcc
; %bb.2102:
	s_mov_b32 s10, 0x7f800001
	s_xor_b64 s[4:5], exec, -1
; %bb.2103:
	s_or_b64 exec, exec, s[8:9]
	s_and_b64 s[4:5], s[4:5], exec
                                        ; implicit-def: $vgpr6
	s_or_saveexec_b64 s[6:7], s[6:7]
	v_mov_b32_e32 v12, s10
	s_xor_b64 exec, exec, s[6:7]
	s_cbranch_execz .LBB12_54
.LBB12_2104:
	v_cmp_ne_u16_e32 vcc, 0, v6
	s_andn2_b64 s[4:5], s[4:5], exec
	s_and_b64 s[8:9], vcc, exec
	v_mov_b32_e32 v12, 0
	s_or_b64 s[4:5], s[4:5], s[8:9]
	s_or_b64 exec, exec, s[6:7]
	s_and_saveexec_b64 s[6:7], s[4:5]
	s_cbranch_execnz .LBB12_55
	s_branch .LBB12_56
.LBB12_2105:
	s_movk_i32 s4, 0x80
	v_cmp_eq_u16_sdwa s[12:13], v7, s4 src0_sel:BYTE_3 src1_sel:DWORD
	s_mov_b64 s[4:5], -1
                                        ; implicit-def: $sgpr10
	s_and_saveexec_b64 s[8:9], s[12:13]
; %bb.2106:
	s_mov_b32 s10, 0x7f800001
	s_xor_b64 s[4:5], exec, -1
; %bb.2107:
	s_or_b64 exec, exec, s[8:9]
	s_and_b64 s[4:5], s[4:5], exec
	s_or_saveexec_b64 s[6:7], s[6:7]
	v_mov_b32_e32 v2, s10
	s_xor_b64 exec, exec, s[6:7]
	s_cbranch_execz .LBB12_58
.LBB12_2108:
	v_mov_b32_e32 v2, 0
	v_cmp_ne_u16_sdwa s[8:9], v7, v2 src0_sel:BYTE_3 src1_sel:DWORD
	s_andn2_b64 s[4:5], s[4:5], exec
	s_and_b64 s[8:9], s[8:9], exec
	s_or_b64 s[4:5], s[4:5], s[8:9]
	s_or_b64 exec, exec, s[6:7]
	s_and_saveexec_b64 s[6:7], s[4:5]
	s_cbranch_execnz .LBB12_59
	s_branch .LBB12_60
.LBB12_2109:
	s_movk_i32 s4, 0x80
	v_cmp_eq_u16_sdwa s[12:13], v3, s4 src0_sel:BYTE_3 src1_sel:DWORD
	s_mov_b64 s[4:5], -1
                                        ; implicit-def: $sgpr10
	s_and_saveexec_b64 s[8:9], s[12:13]
; %bb.2110:
	s_mov_b32 s10, 0x7f800001
	s_xor_b64 s[4:5], exec, -1
; %bb.2111:
	s_or_b64 exec, exec, s[8:9]
	s_and_b64 s[4:5], s[4:5], exec
	s_or_saveexec_b64 s[6:7], s[6:7]
	v_mov_b32_e32 v6, s10
	s_xor_b64 exec, exec, s[6:7]
	s_cbranch_execz .LBB12_62
.LBB12_2112:
	v_mov_b32_e32 v6, 0
	v_cmp_ne_u16_sdwa s[8:9], v3, v6 src0_sel:BYTE_3 src1_sel:DWORD
	s_andn2_b64 s[4:5], s[4:5], exec
	s_and_b64 s[8:9], s[8:9], exec
	s_or_b64 s[4:5], s[4:5], s[8:9]
	s_or_b64 exec, exec, s[6:7]
	s_and_saveexec_b64 s[6:7], s[4:5]
	s_cbranch_execnz .LBB12_63
	s_branch .LBB12_64
.LBB12_2113:
	s_movk_i32 s4, 0x80
	v_cmp_eq_u16_sdwa s[12:13], v8, s4 src0_sel:BYTE_0 src1_sel:DWORD
	s_mov_b64 s[4:5], -1
                                        ; implicit-def: $sgpr10
	s_and_saveexec_b64 s[8:9], s[12:13]
; %bb.2114:
	s_mov_b32 s10, 0x7f800001
	s_xor_b64 s[4:5], exec, -1
; %bb.2115:
	s_or_b64 exec, exec, s[8:9]
	s_and_b64 s[4:5], s[4:5], exec
	s_or_saveexec_b64 s[6:7], s[6:7]
	v_mov_b32_e32 v2, s10
	s_xor_b64 exec, exec, s[6:7]
	s_cbranch_execz .LBB12_66
.LBB12_2116:
	v_mov_b32_e32 v2, 0
	v_cmp_ne_u16_sdwa s[8:9], v8, v2 src0_sel:BYTE_0 src1_sel:DWORD
	s_andn2_b64 s[4:5], s[4:5], exec
	s_and_b64 s[8:9], s[8:9], exec
	s_or_b64 s[4:5], s[4:5], s[8:9]
	s_or_b64 exec, exec, s[6:7]
	s_and_saveexec_b64 s[6:7], s[4:5]
	s_cbranch_execnz .LBB12_67
	s_branch .LBB12_68
.LBB12_2117:
	s_movk_i32 s4, 0x80
	v_cmp_eq_u16_sdwa s[12:13], v4, s4 src0_sel:BYTE_0 src1_sel:DWORD
	s_mov_b64 s[4:5], -1
                                        ; implicit-def: $sgpr10
	s_and_saveexec_b64 s[8:9], s[12:13]
; %bb.2118:
	s_mov_b32 s10, 0x7f800001
	s_xor_b64 s[4:5], exec, -1
; %bb.2119:
	s_or_b64 exec, exec, s[8:9]
	s_and_b64 s[4:5], s[4:5], exec
	s_or_saveexec_b64 s[6:7], s[6:7]
	v_mov_b32_e32 v3, s10
	s_xor_b64 exec, exec, s[6:7]
	s_cbranch_execz .LBB12_70
.LBB12_2120:
	v_mov_b32_e32 v3, 0
	v_cmp_ne_u16_sdwa s[8:9], v4, v3 src0_sel:BYTE_0 src1_sel:DWORD
	s_andn2_b64 s[4:5], s[4:5], exec
	s_and_b64 s[8:9], s[8:9], exec
	s_or_b64 s[4:5], s[4:5], s[8:9]
	s_or_b64 exec, exec, s[6:7]
	s_and_saveexec_b64 s[6:7], s[4:5]
	s_cbranch_execnz .LBB12_71
	s_branch .LBB12_72
.LBB12_2121:
	s_movk_i32 s4, 0x80
	v_cmp_eq_u16_sdwa s[12:13], v3, s4 src0_sel:BYTE_0 src1_sel:DWORD
	s_mov_b64 s[4:5], -1
                                        ; implicit-def: $sgpr10
	s_and_saveexec_b64 s[8:9], s[12:13]
; %bb.2122:
	s_mov_b32 s10, 0x7f800001
	s_xor_b64 s[4:5], exec, -1
; %bb.2123:
	s_or_b64 exec, exec, s[8:9]
	s_and_b64 s[4:5], s[4:5], exec
	s_or_saveexec_b64 s[6:7], s[6:7]
	v_mov_b32_e32 v2, s10
	s_xor_b64 exec, exec, s[6:7]
	s_cbranch_execz .LBB12_74
.LBB12_2124:
	v_mov_b32_e32 v2, 0
	v_cmp_ne_u16_sdwa s[8:9], v3, v2 src0_sel:BYTE_0 src1_sel:DWORD
	s_andn2_b64 s[4:5], s[4:5], exec
	s_and_b64 s[8:9], s[8:9], exec
	s_or_b64 s[4:5], s[4:5], s[8:9]
	s_or_b64 exec, exec, s[6:7]
	s_and_saveexec_b64 s[6:7], s[4:5]
	s_cbranch_execnz .LBB12_75
	s_branch .LBB12_76
.LBB12_2125:
	s_movk_i32 s4, 0x80
	v_cmp_eq_u16_sdwa s[12:13], v3, s4 src0_sel:BYTE_0 src1_sel:DWORD
	s_mov_b64 s[4:5], -1
                                        ; implicit-def: $sgpr10
	s_and_saveexec_b64 s[8:9], s[12:13]
; %bb.2126:
	s_mov_b32 s10, 0x7f800001
	s_xor_b64 s[4:5], exec, -1
; %bb.2127:
	s_or_b64 exec, exec, s[8:9]
	s_and_b64 s[4:5], s[4:5], exec
	s_or_saveexec_b64 s[6:7], s[6:7]
	v_mov_b32_e32 v6, s10
	s_xor_b64 exec, exec, s[6:7]
	s_cbranch_execz .LBB12_78
.LBB12_2128:
	v_mov_b32_e32 v6, 0
	v_cmp_ne_u16_sdwa s[8:9], v3, v6 src0_sel:BYTE_0 src1_sel:DWORD
	s_andn2_b64 s[4:5], s[4:5], exec
	s_and_b64 s[8:9], s[8:9], exec
	s_or_b64 s[4:5], s[4:5], s[8:9]
	s_or_b64 exec, exec, s[6:7]
	s_and_saveexec_b64 s[6:7], s[4:5]
	s_cbranch_execnz .LBB12_79
	s_branch .LBB12_80
.LBB12_2129:
	s_movk_i32 s4, 0x80
	v_cmp_eq_u16_e32 vcc, s4, v3
	s_mov_b64 s[4:5], -1
                                        ; implicit-def: $sgpr10
	s_and_saveexec_b64 s[8:9], vcc
; %bb.2130:
	s_mov_b32 s10, 0x7f800001
	s_xor_b64 s[4:5], exec, -1
; %bb.2131:
	s_or_b64 exec, exec, s[8:9]
	s_and_b64 s[4:5], s[4:5], exec
                                        ; implicit-def: $vgpr3
	s_or_saveexec_b64 s[6:7], s[6:7]
	v_mov_b32_e32 v2, s10
	s_xor_b64 exec, exec, s[6:7]
	s_cbranch_execz .LBB12_82
.LBB12_2132:
	v_cmp_ne_u16_e32 vcc, 0, v3
	s_andn2_b64 s[4:5], s[4:5], exec
	s_and_b64 s[8:9], vcc, exec
	v_mov_b32_e32 v2, 0
	s_or_b64 s[4:5], s[4:5], s[8:9]
	s_or_b64 exec, exec, s[6:7]
	s_and_saveexec_b64 s[6:7], s[4:5]
	s_cbranch_execnz .LBB12_83
	s_branch .LBB12_84
.LBB12_2133:
	s_movk_i32 s4, 0x80
	v_cmp_eq_u16_e32 vcc, s4, v3
	s_mov_b64 s[4:5], -1
                                        ; implicit-def: $sgpr10
	s_and_saveexec_b64 s[8:9], vcc
; %bb.2134:
	s_mov_b32 s10, 0x7f800001
	s_xor_b64 s[4:5], exec, -1
; %bb.2135:
	s_or_b64 exec, exec, s[8:9]
	s_and_b64 s[4:5], s[4:5], exec
                                        ; implicit-def: $vgpr3
	s_or_saveexec_b64 s[6:7], s[6:7]
	v_mov_b32_e32 v6, s10
	s_xor_b64 exec, exec, s[6:7]
	s_cbranch_execz .LBB12_86
.LBB12_2136:
	v_cmp_ne_u16_e32 vcc, 0, v3
	s_andn2_b64 s[4:5], s[4:5], exec
	s_and_b64 s[8:9], vcc, exec
	v_mov_b32_e32 v6, 0
	s_or_b64 s[4:5], s[4:5], s[8:9]
	s_or_b64 exec, exec, s[6:7]
	s_and_saveexec_b64 s[6:7], s[4:5]
	s_cbranch_execnz .LBB12_87
	s_branch .LBB12_88
.LBB12_2137:
	s_movk_i32 s4, 0x80
	v_cmp_eq_u16_sdwa s[12:13], v8, s4 src0_sel:BYTE_3 src1_sel:DWORD
	s_mov_b64 s[4:5], -1
                                        ; implicit-def: $sgpr10
	s_and_saveexec_b64 s[8:9], s[12:13]
; %bb.2138:
	s_mov_b32 s10, 0x7f800001
	s_xor_b64 s[4:5], exec, -1
; %bb.2139:
	s_or_b64 exec, exec, s[8:9]
	s_and_b64 s[4:5], s[4:5], exec
	s_or_saveexec_b64 s[6:7], s[6:7]
	v_mov_b32_e32 v2, s10
	s_xor_b64 exec, exec, s[6:7]
	s_cbranch_execz .LBB12_90
.LBB12_2140:
	v_mov_b32_e32 v2, 0
	v_cmp_ne_u16_sdwa s[8:9], v8, v2 src0_sel:BYTE_3 src1_sel:DWORD
	s_andn2_b64 s[4:5], s[4:5], exec
	s_and_b64 s[8:9], s[8:9], exec
	s_or_b64 s[4:5], s[4:5], s[8:9]
	s_or_b64 exec, exec, s[6:7]
	s_and_saveexec_b64 s[6:7], s[4:5]
	s_cbranch_execnz .LBB12_91
	s_branch .LBB12_92
.LBB12_2141:
	s_movk_i32 s4, 0x80
	v_cmp_eq_u16_sdwa s[12:13], v4, s4 src0_sel:BYTE_3 src1_sel:DWORD
	s_mov_b64 s[4:5], -1
                                        ; implicit-def: $sgpr10
	s_and_saveexec_b64 s[8:9], s[12:13]
; %bb.2142:
	s_mov_b32 s10, 0x7f800001
	s_xor_b64 s[4:5], exec, -1
; %bb.2143:
	s_or_b64 exec, exec, s[8:9]
	s_and_b64 s[4:5], s[4:5], exec
	s_or_saveexec_b64 s[6:7], s[6:7]
	v_mov_b32_e32 v3, s10
	s_xor_b64 exec, exec, s[6:7]
	s_cbranch_execz .LBB12_94
.LBB12_2144:
	v_mov_b32_e32 v3, 0
	v_cmp_ne_u16_sdwa s[8:9], v4, v3 src0_sel:BYTE_3 src1_sel:DWORD
	s_andn2_b64 s[4:5], s[4:5], exec
	s_and_b64 s[8:9], s[8:9], exec
	s_or_b64 s[4:5], s[4:5], s[8:9]
	s_or_b64 exec, exec, s[6:7]
	s_and_saveexec_b64 s[6:7], s[4:5]
	s_cbranch_execnz .LBB12_95
	s_branch .LBB12_96
.LBB12_2145:
	s_movk_i32 s4, 0x80
	v_cmp_eq_u16_sdwa s[12:13], v9, s4 src0_sel:BYTE_0 src1_sel:DWORD
	s_mov_b64 s[4:5], -1
                                        ; implicit-def: $sgpr10
	s_and_saveexec_b64 s[8:9], s[12:13]
; %bb.2146:
	s_mov_b32 s10, 0x7f800001
	s_xor_b64 s[4:5], exec, -1
; %bb.2147:
	s_or_b64 exec, exec, s[8:9]
	s_and_b64 s[4:5], s[4:5], exec
	s_or_saveexec_b64 s[6:7], s[6:7]
	v_mov_b32_e32 v2, s10
	s_xor_b64 exec, exec, s[6:7]
	s_cbranch_execz .LBB12_98
.LBB12_2148:
	v_mov_b32_e32 v2, 0
	v_cmp_ne_u16_sdwa s[8:9], v9, v2 src0_sel:BYTE_0 src1_sel:DWORD
	s_andn2_b64 s[4:5], s[4:5], exec
	s_and_b64 s[8:9], s[8:9], exec
	s_or_b64 s[4:5], s[4:5], s[8:9]
	s_or_b64 exec, exec, s[6:7]
	s_and_saveexec_b64 s[6:7], s[4:5]
	s_cbranch_execnz .LBB12_99
	s_branch .LBB12_100
.LBB12_2149:
	s_movk_i32 s4, 0x80
	v_cmp_eq_u16_sdwa s[12:13], v5, s4 src0_sel:BYTE_0 src1_sel:DWORD
	s_mov_b64 s[4:5], -1
                                        ; implicit-def: $sgpr10
	s_and_saveexec_b64 s[8:9], s[12:13]
; %bb.2150:
	s_mov_b32 s10, 0x7f800001
	s_xor_b64 s[4:5], exec, -1
; %bb.2151:
	s_or_b64 exec, exec, s[8:9]
	s_and_b64 s[4:5], s[4:5], exec
	s_or_saveexec_b64 s[6:7], s[6:7]
	v_mov_b32_e32 v3, s10
	s_xor_b64 exec, exec, s[6:7]
	s_cbranch_execz .LBB12_102
.LBB12_2152:
	v_mov_b32_e32 v3, 0
	v_cmp_ne_u16_sdwa s[8:9], v5, v3 src0_sel:BYTE_0 src1_sel:DWORD
	s_andn2_b64 s[4:5], s[4:5], exec
	s_and_b64 s[8:9], s[8:9], exec
	s_or_b64 s[4:5], s[4:5], s[8:9]
	s_or_b64 exec, exec, s[6:7]
	s_and_saveexec_b64 s[6:7], s[4:5]
	s_cbranch_execnz .LBB12_103
	s_branch .LBB12_104
.LBB12_2153:
	s_movk_i32 s4, 0x80
	v_cmp_eq_u16_sdwa s[12:13], v3, s4 src0_sel:BYTE_0 src1_sel:DWORD
	s_mov_b64 s[4:5], -1
                                        ; implicit-def: $sgpr10
	s_and_saveexec_b64 s[8:9], s[12:13]
; %bb.2154:
	s_mov_b32 s10, 0x7f800001
	s_xor_b64 s[4:5], exec, -1
; %bb.2155:
	s_or_b64 exec, exec, s[8:9]
	s_and_b64 s[4:5], s[4:5], exec
	s_or_saveexec_b64 s[6:7], s[6:7]
	v_mov_b32_e32 v2, s10
	s_xor_b64 exec, exec, s[6:7]
	s_cbranch_execz .LBB12_106
.LBB12_2156:
	v_mov_b32_e32 v2, 0
	v_cmp_ne_u16_sdwa s[8:9], v3, v2 src0_sel:BYTE_0 src1_sel:DWORD
	s_andn2_b64 s[4:5], s[4:5], exec
	s_and_b64 s[8:9], s[8:9], exec
	s_or_b64 s[4:5], s[4:5], s[8:9]
	s_or_b64 exec, exec, s[6:7]
	s_and_saveexec_b64 s[6:7], s[4:5]
	s_cbranch_execnz .LBB12_107
	s_branch .LBB12_108
.LBB12_2157:
	s_movk_i32 s4, 0x80
	v_cmp_eq_u16_sdwa s[12:13], v3, s4 src0_sel:BYTE_0 src1_sel:DWORD
	s_mov_b64 s[4:5], -1
                                        ; implicit-def: $sgpr10
	s_and_saveexec_b64 s[8:9], s[12:13]
; %bb.2158:
	s_mov_b32 s10, 0x7f800001
	s_xor_b64 s[4:5], exec, -1
; %bb.2159:
	s_or_b64 exec, exec, s[8:9]
	s_and_b64 s[4:5], s[4:5], exec
	s_or_saveexec_b64 s[6:7], s[6:7]
	v_mov_b32_e32 v4, s10
	s_xor_b64 exec, exec, s[6:7]
	s_cbranch_execz .LBB12_110
.LBB12_2160:
	v_mov_b32_e32 v4, 0
	v_cmp_ne_u16_sdwa s[8:9], v3, v4 src0_sel:BYTE_0 src1_sel:DWORD
	s_andn2_b64 s[4:5], s[4:5], exec
	s_and_b64 s[8:9], s[8:9], exec
	s_or_b64 s[4:5], s[4:5], s[8:9]
	s_or_b64 exec, exec, s[6:7]
	s_and_saveexec_b64 s[6:7], s[4:5]
	s_cbranch_execnz .LBB12_111
	s_branch .LBB12_112
.LBB12_2161:
	s_movk_i32 s4, 0x80
	v_cmp_eq_u16_e32 vcc, s4, v3
	s_mov_b64 s[4:5], -1
                                        ; implicit-def: $sgpr10
	s_and_saveexec_b64 s[8:9], vcc
; %bb.2162:
	s_mov_b32 s10, 0x7f800001
	s_xor_b64 s[4:5], exec, -1
; %bb.2163:
	s_or_b64 exec, exec, s[8:9]
	s_and_b64 s[4:5], s[4:5], exec
                                        ; implicit-def: $vgpr3
	s_or_saveexec_b64 s[6:7], s[6:7]
	v_mov_b32_e32 v2, s10
	s_xor_b64 exec, exec, s[6:7]
	s_cbranch_execz .LBB12_114
.LBB12_2164:
	v_cmp_ne_u16_e32 vcc, 0, v3
	s_andn2_b64 s[4:5], s[4:5], exec
	s_and_b64 s[8:9], vcc, exec
	v_mov_b32_e32 v2, 0
	s_or_b64 s[4:5], s[4:5], s[8:9]
	s_or_b64 exec, exec, s[6:7]
	s_and_saveexec_b64 s[6:7], s[4:5]
	s_cbranch_execnz .LBB12_115
	s_branch .LBB12_116
.LBB12_2165:
	s_movk_i32 s4, 0x80
	v_cmp_eq_u16_e32 vcc, s4, v3
	s_mov_b64 s[4:5], -1
                                        ; implicit-def: $sgpr10
	s_and_saveexec_b64 s[8:9], vcc
; %bb.2166:
	s_mov_b32 s10, 0x7f800001
	s_xor_b64 s[4:5], exec, -1
; %bb.2167:
	s_or_b64 exec, exec, s[8:9]
	s_and_b64 s[4:5], s[4:5], exec
                                        ; implicit-def: $vgpr3
	s_or_saveexec_b64 s[6:7], s[6:7]
	v_mov_b32_e32 v4, s10
	s_xor_b64 exec, exec, s[6:7]
	s_cbranch_execz .LBB12_118
.LBB12_2168:
	v_cmp_ne_u16_e32 vcc, 0, v3
	s_andn2_b64 s[4:5], s[4:5], exec
	s_and_b64 s[8:9], vcc, exec
	v_mov_b32_e32 v4, 0
	s_or_b64 s[4:5], s[4:5], s[8:9]
	s_or_b64 exec, exec, s[6:7]
	s_and_saveexec_b64 s[6:7], s[4:5]
	s_cbranch_execnz .LBB12_119
	s_branch .LBB12_120
.LBB12_2169:
	s_movk_i32 s4, 0x80
	v_cmp_eq_u16_sdwa s[12:13], v9, s4 src0_sel:BYTE_3 src1_sel:DWORD
	s_mov_b64 s[4:5], -1
                                        ; implicit-def: $sgpr10
	s_and_saveexec_b64 s[8:9], s[12:13]
; %bb.2170:
	s_mov_b32 s10, 0x7f800001
	s_xor_b64 s[4:5], exec, -1
; %bb.2171:
	s_or_b64 exec, exec, s[8:9]
	s_and_b64 s[4:5], s[4:5], exec
	s_or_saveexec_b64 s[6:7], s[6:7]
	v_mov_b32_e32 v2, s10
	s_xor_b64 exec, exec, s[6:7]
	s_cbranch_execz .LBB12_122
.LBB12_2172:
	v_mov_b32_e32 v2, 0
	v_cmp_ne_u16_sdwa s[8:9], v9, v2 src0_sel:BYTE_3 src1_sel:DWORD
	s_andn2_b64 s[4:5], s[4:5], exec
	s_and_b64 s[8:9], s[8:9], exec
	s_or_b64 s[4:5], s[4:5], s[8:9]
	s_or_b64 exec, exec, s[6:7]
	s_and_saveexec_b64 s[6:7], s[4:5]
	s_cbranch_execnz .LBB12_123
	s_branch .LBB12_124
.LBB12_2173:
	s_movk_i32 s4, 0x80
	v_cmp_eq_u16_sdwa s[12:13], v5, s4 src0_sel:BYTE_3 src1_sel:DWORD
	s_mov_b64 s[4:5], -1
                                        ; implicit-def: $sgpr10
	s_and_saveexec_b64 s[8:9], s[12:13]
; %bb.2174:
	s_mov_b32 s10, 0x7f800001
	s_xor_b64 s[4:5], exec, -1
; %bb.2175:
	s_or_b64 exec, exec, s[8:9]
	s_and_b64 s[4:5], s[4:5], exec
	s_or_saveexec_b64 s[6:7], s[6:7]
	v_mov_b32_e32 v3, s10
	s_xor_b64 exec, exec, s[6:7]
	s_cbranch_execz .LBB12_126
.LBB12_2176:
	v_mov_b32_e32 v3, 0
	v_cmp_ne_u16_sdwa s[8:9], v5, v3 src0_sel:BYTE_3 src1_sel:DWORD
	s_andn2_b64 s[4:5], s[4:5], exec
	s_and_b64 s[8:9], s[8:9], exec
	s_or_b64 s[4:5], s[4:5], s[8:9]
	s_or_b64 exec, exec, s[6:7]
	s_and_saveexec_b64 s[6:7], s[4:5]
	s_cbranch_execnz .LBB12_127
	s_branch .LBB12_128
.LBB12_2177:
	s_movk_i32 s4, 0x80
	v_cmp_eq_u16_sdwa s[12:13], v6, s4 src0_sel:BYTE_0 src1_sel:DWORD
	s_mov_b64 s[4:5], -1
                                        ; implicit-def: $sgpr10
	s_and_saveexec_b64 s[8:9], s[12:13]
; %bb.2178:
	s_mov_b32 s10, 0x7f800001
	s_xor_b64 s[4:5], exec, -1
; %bb.2179:
	s_or_b64 exec, exec, s[8:9]
	s_and_b64 s[4:5], s[4:5], exec
	s_or_saveexec_b64 s[6:7], s[6:7]
	v_mov_b32_e32 v12, s10
	s_xor_b64 exec, exec, s[6:7]
	s_cbranch_execz .LBB12_130
.LBB12_2180:
	v_mov_b32_e32 v12, 0
	v_cmp_ne_u16_sdwa s[8:9], v6, v12 src0_sel:BYTE_0 src1_sel:DWORD
	s_andn2_b64 s[4:5], s[4:5], exec
	s_and_b64 s[8:9], s[8:9], exec
	s_or_b64 s[4:5], s[4:5], s[8:9]
	s_or_b64 exec, exec, s[6:7]
	s_and_saveexec_b64 s[6:7], s[4:5]
	s_cbranch_execnz .LBB12_131
	s_branch .LBB12_132
.LBB12_2181:
	s_movk_i32 s4, 0x80
	v_cmp_eq_u16_sdwa s[12:13], v2, s4 src0_sel:BYTE_0 src1_sel:DWORD
	s_mov_b64 s[4:5], -1
                                        ; implicit-def: $sgpr10
	s_and_saveexec_b64 s[8:9], s[12:13]
; %bb.2182:
	s_mov_b32 s10, 0x7f800001
	s_xor_b64 s[4:5], exec, -1
; %bb.2183:
	s_or_b64 exec, exec, s[8:9]
	s_and_b64 s[4:5], s[4:5], exec
	s_or_saveexec_b64 s[6:7], s[6:7]
	v_mov_b32_e32 v13, s10
	s_xor_b64 exec, exec, s[6:7]
	s_cbranch_execz .LBB12_134
.LBB12_2184:
	v_mov_b32_e32 v13, 0
	v_cmp_ne_u16_sdwa s[8:9], v2, v13 src0_sel:BYTE_0 src1_sel:DWORD
	s_andn2_b64 s[4:5], s[4:5], exec
	s_and_b64 s[8:9], s[8:9], exec
	s_or_b64 s[4:5], s[4:5], s[8:9]
	s_or_b64 exec, exec, s[6:7]
	s_and_saveexec_b64 s[6:7], s[4:5]
	s_cbranch_execnz .LBB12_135
	s_branch .LBB12_136
.LBB12_2185:
	s_movk_i32 s4, 0x80
	v_cmp_eq_u16_sdwa s[12:13], v13, s4 src0_sel:BYTE_0 src1_sel:DWORD
	s_mov_b64 s[4:5], -1
                                        ; implicit-def: $sgpr10
	s_and_saveexec_b64 s[8:9], s[12:13]
; %bb.2186:
	s_mov_b32 s10, 0x7f800001
	s_xor_b64 s[4:5], exec, -1
; %bb.2187:
	s_or_b64 exec, exec, s[8:9]
	s_and_b64 s[4:5], s[4:5], exec
	s_or_saveexec_b64 s[6:7], s[6:7]
	v_mov_b32_e32 v12, s10
	s_xor_b64 exec, exec, s[6:7]
	s_cbranch_execz .LBB12_138
.LBB12_2188:
	v_mov_b32_e32 v12, 0
	v_cmp_ne_u16_sdwa s[8:9], v13, v12 src0_sel:BYTE_0 src1_sel:DWORD
	s_andn2_b64 s[4:5], s[4:5], exec
	s_and_b64 s[8:9], s[8:9], exec
	s_or_b64 s[4:5], s[4:5], s[8:9]
	s_or_b64 exec, exec, s[6:7]
	s_and_saveexec_b64 s[6:7], s[4:5]
	s_cbranch_execnz .LBB12_139
	s_branch .LBB12_140
.LBB12_2189:
	s_movk_i32 s4, 0x80
	v_cmp_eq_u16_sdwa s[12:13], v13, s4 src0_sel:BYTE_0 src1_sel:DWORD
	s_mov_b64 s[4:5], -1
                                        ; implicit-def: $sgpr10
	s_and_saveexec_b64 s[8:9], s[12:13]
; %bb.2190:
	s_mov_b32 s10, 0x7f800001
	s_xor_b64 s[4:5], exec, -1
; %bb.2191:
	s_or_b64 exec, exec, s[8:9]
	s_and_b64 s[4:5], s[4:5], exec
	s_or_saveexec_b64 s[6:7], s[6:7]
	v_mov_b32_e32 v14, s10
	s_xor_b64 exec, exec, s[6:7]
	s_cbranch_execz .LBB12_142
.LBB12_2192:
	v_mov_b32_e32 v14, 0
	v_cmp_ne_u16_sdwa s[8:9], v13, v14 src0_sel:BYTE_0 src1_sel:DWORD
	s_andn2_b64 s[4:5], s[4:5], exec
	s_and_b64 s[8:9], s[8:9], exec
	s_or_b64 s[4:5], s[4:5], s[8:9]
	s_or_b64 exec, exec, s[6:7]
	s_and_saveexec_b64 s[6:7], s[4:5]
	s_cbranch_execnz .LBB12_143
	s_branch .LBB12_144
.LBB12_2193:
	s_movk_i32 s4, 0x80
	v_cmp_eq_u16_e32 vcc, s4, v13
	s_mov_b64 s[4:5], -1
                                        ; implicit-def: $sgpr10
	s_and_saveexec_b64 s[8:9], vcc
; %bb.2194:
	s_mov_b32 s10, 0x7f800001
	s_xor_b64 s[4:5], exec, -1
; %bb.2195:
	s_or_b64 exec, exec, s[8:9]
	s_and_b64 s[4:5], s[4:5], exec
                                        ; implicit-def: $vgpr13
	s_or_saveexec_b64 s[6:7], s[6:7]
	v_mov_b32_e32 v12, s10
	s_xor_b64 exec, exec, s[6:7]
	s_cbranch_execz .LBB12_146
.LBB12_2196:
	v_cmp_ne_u16_e32 vcc, 0, v13
	s_andn2_b64 s[4:5], s[4:5], exec
	s_and_b64 s[8:9], vcc, exec
	v_mov_b32_e32 v12, 0
	s_or_b64 s[4:5], s[4:5], s[8:9]
	s_or_b64 exec, exec, s[6:7]
	s_and_saveexec_b64 s[6:7], s[4:5]
	s_cbranch_execnz .LBB12_147
	s_branch .LBB12_148
.LBB12_2197:
	s_movk_i32 s4, 0x80
	v_cmp_eq_u16_e32 vcc, s4, v13
	s_mov_b64 s[4:5], -1
                                        ; implicit-def: $sgpr10
	s_and_saveexec_b64 s[8:9], vcc
; %bb.2198:
	s_mov_b32 s10, 0x7f800001
	s_xor_b64 s[4:5], exec, -1
; %bb.2199:
	s_or_b64 exec, exec, s[8:9]
	s_and_b64 s[4:5], s[4:5], exec
                                        ; implicit-def: $vgpr13
	s_or_saveexec_b64 s[6:7], s[6:7]
	v_mov_b32_e32 v14, s10
	s_xor_b64 exec, exec, s[6:7]
	s_cbranch_execz .LBB12_150
.LBB12_2200:
	v_cmp_ne_u16_e32 vcc, 0, v13
	s_andn2_b64 s[4:5], s[4:5], exec
	s_and_b64 s[8:9], vcc, exec
	v_mov_b32_e32 v14, 0
	s_or_b64 s[4:5], s[4:5], s[8:9]
	s_or_b64 exec, exec, s[6:7]
	s_and_saveexec_b64 s[6:7], s[4:5]
	s_cbranch_execnz .LBB12_151
	s_branch .LBB12_152
.LBB12_2201:
	s_movk_i32 s4, 0x80
	v_cmp_eq_u16_sdwa s[12:13], v6, s4 src0_sel:BYTE_3 src1_sel:DWORD
	s_mov_b64 s[4:5], -1
                                        ; implicit-def: $sgpr10
	s_and_saveexec_b64 s[8:9], s[12:13]
; %bb.2202:
	s_mov_b32 s10, 0x7f800001
	s_xor_b64 s[4:5], exec, -1
; %bb.2203:
	s_or_b64 exec, exec, s[8:9]
	s_and_b64 s[4:5], s[4:5], exec
	s_or_saveexec_b64 s[6:7], s[6:7]
	v_mov_b32_e32 v12, s10
	s_xor_b64 exec, exec, s[6:7]
	s_cbranch_execz .LBB12_154
.LBB12_2204:
	v_mov_b32_e32 v12, 0
	v_cmp_ne_u16_sdwa s[8:9], v6, v12 src0_sel:BYTE_3 src1_sel:DWORD
	s_andn2_b64 s[4:5], s[4:5], exec
	s_and_b64 s[8:9], s[8:9], exec
	s_or_b64 s[4:5], s[4:5], s[8:9]
	s_or_b64 exec, exec, s[6:7]
	s_and_saveexec_b64 s[6:7], s[4:5]
	s_cbranch_execnz .LBB12_155
	s_branch .LBB12_156
.LBB12_2205:
	s_movk_i32 s4, 0x80
	v_cmp_eq_u16_sdwa s[12:13], v2, s4 src0_sel:BYTE_3 src1_sel:DWORD
	s_mov_b64 s[4:5], -1
                                        ; implicit-def: $sgpr10
	s_and_saveexec_b64 s[8:9], s[12:13]
; %bb.2206:
	s_mov_b32 s10, 0x7f800001
	s_xor_b64 s[4:5], exec, -1
; %bb.2207:
	s_or_b64 exec, exec, s[8:9]
	s_and_b64 s[4:5], s[4:5], exec
	s_or_saveexec_b64 s[6:7], s[6:7]
	v_mov_b32_e32 v6, s10
	s_xor_b64 exec, exec, s[6:7]
	s_cbranch_execz .LBB12_158
.LBB12_2208:
	v_mov_b32_e32 v6, 0
	v_cmp_ne_u16_sdwa s[8:9], v2, v6 src0_sel:BYTE_3 src1_sel:DWORD
	s_andn2_b64 s[4:5], s[4:5], exec
	s_and_b64 s[8:9], s[8:9], exec
	s_or_b64 s[4:5], s[4:5], s[8:9]
	s_or_b64 exec, exec, s[6:7]
	s_and_saveexec_b64 s[6:7], s[4:5]
	s_cbranch_execnz .LBB12_159
	s_branch .LBB12_160
.LBB12_2209:
	s_movk_i32 s4, 0x80
	v_cmp_eq_u16_sdwa s[12:13], v7, s4 src0_sel:BYTE_0 src1_sel:DWORD
	s_mov_b64 s[4:5], -1
                                        ; implicit-def: $sgpr10
	s_and_saveexec_b64 s[8:9], s[12:13]
; %bb.2210:
	s_mov_b32 s10, 0x7f800001
	s_xor_b64 s[4:5], exec, -1
; %bb.2211:
	s_or_b64 exec, exec, s[8:9]
	s_and_b64 s[4:5], s[4:5], exec
	s_or_saveexec_b64 s[6:7], s[6:7]
	v_mov_b32_e32 v2, s10
	s_xor_b64 exec, exec, s[6:7]
	s_cbranch_execz .LBB12_162
.LBB12_2212:
	v_mov_b32_e32 v2, 0
	v_cmp_ne_u16_sdwa s[8:9], v7, v2 src0_sel:BYTE_0 src1_sel:DWORD
	s_andn2_b64 s[4:5], s[4:5], exec
	s_and_b64 s[8:9], s[8:9], exec
	s_or_b64 s[4:5], s[4:5], s[8:9]
	s_or_b64 exec, exec, s[6:7]
	s_and_saveexec_b64 s[6:7], s[4:5]
	s_cbranch_execnz .LBB12_163
	s_branch .LBB12_164
.LBB12_2213:
	s_movk_i32 s4, 0x80
	v_cmp_eq_u16_sdwa s[12:13], v3, s4 src0_sel:BYTE_0 src1_sel:DWORD
	s_mov_b64 s[4:5], -1
                                        ; implicit-def: $sgpr10
	s_and_saveexec_b64 s[8:9], s[12:13]
; %bb.2214:
	s_mov_b32 s10, 0x7f800001
	s_xor_b64 s[4:5], exec, -1
; %bb.2215:
	s_or_b64 exec, exec, s[8:9]
	s_and_b64 s[4:5], s[4:5], exec
	s_or_saveexec_b64 s[6:7], s[6:7]
	v_mov_b32_e32 v6, s10
	s_xor_b64 exec, exec, s[6:7]
	s_cbranch_execz .LBB12_166
.LBB12_2216:
	v_mov_b32_e32 v6, 0
	v_cmp_ne_u16_sdwa s[8:9], v3, v6 src0_sel:BYTE_0 src1_sel:DWORD
	s_andn2_b64 s[4:5], s[4:5], exec
	s_and_b64 s[8:9], s[8:9], exec
	s_or_b64 s[4:5], s[4:5], s[8:9]
	s_or_b64 exec, exec, s[6:7]
	s_and_saveexec_b64 s[6:7], s[4:5]
	s_cbranch_execnz .LBB12_167
	s_branch .LBB12_168
.LBB12_2217:
	s_movk_i32 s4, 0x80
	v_cmp_eq_u16_sdwa s[12:13], v6, s4 src0_sel:BYTE_0 src1_sel:DWORD
	s_mov_b64 s[4:5], -1
                                        ; implicit-def: $sgpr10
	s_and_saveexec_b64 s[8:9], s[12:13]
; %bb.2218:
	s_mov_b32 s10, 0x7f800001
	s_xor_b64 s[4:5], exec, -1
; %bb.2219:
	s_or_b64 exec, exec, s[8:9]
	s_and_b64 s[4:5], s[4:5], exec
	s_or_saveexec_b64 s[6:7], s[6:7]
	v_mov_b32_e32 v2, s10
	s_xor_b64 exec, exec, s[6:7]
	s_cbranch_execz .LBB12_170
.LBB12_2220:
	v_mov_b32_e32 v2, 0
	v_cmp_ne_u16_sdwa s[8:9], v6, v2 src0_sel:BYTE_0 src1_sel:DWORD
	s_andn2_b64 s[4:5], s[4:5], exec
	s_and_b64 s[8:9], s[8:9], exec
	s_or_b64 s[4:5], s[4:5], s[8:9]
	s_or_b64 exec, exec, s[6:7]
	s_and_saveexec_b64 s[6:7], s[4:5]
	s_cbranch_execnz .LBB12_171
	s_branch .LBB12_172
.LBB12_2221:
	s_movk_i32 s4, 0x80
	v_cmp_eq_u16_sdwa s[12:13], v6, s4 src0_sel:BYTE_0 src1_sel:DWORD
	s_mov_b64 s[4:5], -1
                                        ; implicit-def: $sgpr10
	s_and_saveexec_b64 s[8:9], s[12:13]
; %bb.2222:
	s_mov_b32 s10, 0x7f800001
	s_xor_b64 s[4:5], exec, -1
; %bb.2223:
	s_or_b64 exec, exec, s[8:9]
	s_and_b64 s[4:5], s[4:5], exec
	s_or_saveexec_b64 s[6:7], s[6:7]
	v_mov_b32_e32 v12, s10
	s_xor_b64 exec, exec, s[6:7]
	s_cbranch_execz .LBB12_174
.LBB12_2224:
	v_mov_b32_e32 v12, 0
	v_cmp_ne_u16_sdwa s[8:9], v6, v12 src0_sel:BYTE_0 src1_sel:DWORD
	s_andn2_b64 s[4:5], s[4:5], exec
	s_and_b64 s[8:9], s[8:9], exec
	s_or_b64 s[4:5], s[4:5], s[8:9]
	s_or_b64 exec, exec, s[6:7]
	s_and_saveexec_b64 s[6:7], s[4:5]
	s_cbranch_execnz .LBB12_175
	s_branch .LBB12_176
.LBB12_2225:
	s_movk_i32 s4, 0x80
	v_cmp_eq_u16_e32 vcc, s4, v6
	s_mov_b64 s[4:5], -1
                                        ; implicit-def: $sgpr10
	s_and_saveexec_b64 s[8:9], vcc
; %bb.2226:
	s_mov_b32 s10, 0x7f800001
	s_xor_b64 s[4:5], exec, -1
; %bb.2227:
	s_or_b64 exec, exec, s[8:9]
	s_and_b64 s[4:5], s[4:5], exec
                                        ; implicit-def: $vgpr6
	s_or_saveexec_b64 s[6:7], s[6:7]
	v_mov_b32_e32 v2, s10
	s_xor_b64 exec, exec, s[6:7]
	s_cbranch_execz .LBB12_178
.LBB12_2228:
	v_cmp_ne_u16_e32 vcc, 0, v6
	s_andn2_b64 s[4:5], s[4:5], exec
	s_and_b64 s[8:9], vcc, exec
	v_mov_b32_e32 v2, 0
	s_or_b64 s[4:5], s[4:5], s[8:9]
	s_or_b64 exec, exec, s[6:7]
	s_and_saveexec_b64 s[6:7], s[4:5]
	s_cbranch_execnz .LBB12_179
	s_branch .LBB12_180
.LBB12_2229:
	s_movk_i32 s4, 0x80
	v_cmp_eq_u16_e32 vcc, s4, v6
	s_mov_b64 s[4:5], -1
                                        ; implicit-def: $sgpr10
	s_and_saveexec_b64 s[8:9], vcc
; %bb.2230:
	s_mov_b32 s10, 0x7f800001
	s_xor_b64 s[4:5], exec, -1
; %bb.2231:
	s_or_b64 exec, exec, s[8:9]
	s_and_b64 s[4:5], s[4:5], exec
                                        ; implicit-def: $vgpr6
	s_or_saveexec_b64 s[6:7], s[6:7]
	v_mov_b32_e32 v12, s10
	s_xor_b64 exec, exec, s[6:7]
	s_cbranch_execz .LBB12_182
.LBB12_2232:
	v_cmp_ne_u16_e32 vcc, 0, v6
	s_andn2_b64 s[4:5], s[4:5], exec
	s_and_b64 s[8:9], vcc, exec
	v_mov_b32_e32 v12, 0
	s_or_b64 s[4:5], s[4:5], s[8:9]
	s_or_b64 exec, exec, s[6:7]
	s_and_saveexec_b64 s[6:7], s[4:5]
	s_cbranch_execnz .LBB12_183
	s_branch .LBB12_184
.LBB12_2233:
	s_movk_i32 s4, 0x80
	v_cmp_eq_u16_sdwa s[12:13], v7, s4 src0_sel:BYTE_3 src1_sel:DWORD
	s_mov_b64 s[4:5], -1
                                        ; implicit-def: $sgpr10
	s_and_saveexec_b64 s[8:9], s[12:13]
; %bb.2234:
	s_mov_b32 s10, 0x7f800001
	s_xor_b64 s[4:5], exec, -1
; %bb.2235:
	s_or_b64 exec, exec, s[8:9]
	s_and_b64 s[4:5], s[4:5], exec
	s_or_saveexec_b64 s[6:7], s[6:7]
	v_mov_b32_e32 v2, s10
	s_xor_b64 exec, exec, s[6:7]
	s_cbranch_execz .LBB12_186
.LBB12_2236:
	v_mov_b32_e32 v2, 0
	v_cmp_ne_u16_sdwa s[8:9], v7, v2 src0_sel:BYTE_3 src1_sel:DWORD
	s_andn2_b64 s[4:5], s[4:5], exec
	s_and_b64 s[8:9], s[8:9], exec
	s_or_b64 s[4:5], s[4:5], s[8:9]
	s_or_b64 exec, exec, s[6:7]
	s_and_saveexec_b64 s[6:7], s[4:5]
	s_cbranch_execnz .LBB12_187
	s_branch .LBB12_188
.LBB12_2237:
	s_movk_i32 s4, 0x80
	v_cmp_eq_u16_sdwa s[12:13], v3, s4 src0_sel:BYTE_3 src1_sel:DWORD
	s_mov_b64 s[4:5], -1
                                        ; implicit-def: $sgpr10
	s_and_saveexec_b64 s[8:9], s[12:13]
; %bb.2238:
	s_mov_b32 s10, 0x7f800001
	s_xor_b64 s[4:5], exec, -1
; %bb.2239:
	s_or_b64 exec, exec, s[8:9]
	s_and_b64 s[4:5], s[4:5], exec
	s_or_saveexec_b64 s[6:7], s[6:7]
	v_mov_b32_e32 v6, s10
	s_xor_b64 exec, exec, s[6:7]
	s_cbranch_execz .LBB12_190
.LBB12_2240:
	v_mov_b32_e32 v6, 0
	v_cmp_ne_u16_sdwa s[8:9], v3, v6 src0_sel:BYTE_3 src1_sel:DWORD
	s_andn2_b64 s[4:5], s[4:5], exec
	s_and_b64 s[8:9], s[8:9], exec
	s_or_b64 s[4:5], s[4:5], s[8:9]
	s_or_b64 exec, exec, s[6:7]
	s_and_saveexec_b64 s[6:7], s[4:5]
	s_cbranch_execnz .LBB12_191
	s_branch .LBB12_192
.LBB12_2241:
	s_movk_i32 s4, 0x80
	v_cmp_eq_u16_sdwa s[12:13], v8, s4 src0_sel:BYTE_0 src1_sel:DWORD
	s_mov_b64 s[4:5], -1
                                        ; implicit-def: $sgpr10
	s_and_saveexec_b64 s[8:9], s[12:13]
; %bb.2242:
	s_mov_b32 s10, 0x7f800001
	s_xor_b64 s[4:5], exec, -1
; %bb.2243:
	s_or_b64 exec, exec, s[8:9]
	s_and_b64 s[4:5], s[4:5], exec
	s_or_saveexec_b64 s[6:7], s[6:7]
	v_mov_b32_e32 v2, s10
	s_xor_b64 exec, exec, s[6:7]
	s_cbranch_execz .LBB12_194
.LBB12_2244:
	v_mov_b32_e32 v2, 0
	v_cmp_ne_u16_sdwa s[8:9], v8, v2 src0_sel:BYTE_0 src1_sel:DWORD
	s_andn2_b64 s[4:5], s[4:5], exec
	s_and_b64 s[8:9], s[8:9], exec
	s_or_b64 s[4:5], s[4:5], s[8:9]
	s_or_b64 exec, exec, s[6:7]
	s_and_saveexec_b64 s[6:7], s[4:5]
	s_cbranch_execnz .LBB12_195
	s_branch .LBB12_196
.LBB12_2245:
	s_movk_i32 s4, 0x80
	v_cmp_eq_u16_sdwa s[12:13], v4, s4 src0_sel:BYTE_0 src1_sel:DWORD
	s_mov_b64 s[4:5], -1
                                        ; implicit-def: $sgpr10
	s_and_saveexec_b64 s[8:9], s[12:13]
; %bb.2246:
	s_mov_b32 s10, 0x7f800001
	s_xor_b64 s[4:5], exec, -1
; %bb.2247:
	s_or_b64 exec, exec, s[8:9]
	s_and_b64 s[4:5], s[4:5], exec
	s_or_saveexec_b64 s[6:7], s[6:7]
	v_mov_b32_e32 v3, s10
	s_xor_b64 exec, exec, s[6:7]
	s_cbranch_execz .LBB12_198
.LBB12_2248:
	v_mov_b32_e32 v3, 0
	v_cmp_ne_u16_sdwa s[8:9], v4, v3 src0_sel:BYTE_0 src1_sel:DWORD
	s_andn2_b64 s[4:5], s[4:5], exec
	s_and_b64 s[8:9], s[8:9], exec
	s_or_b64 s[4:5], s[4:5], s[8:9]
	s_or_b64 exec, exec, s[6:7]
	s_and_saveexec_b64 s[6:7], s[4:5]
	s_cbranch_execnz .LBB12_199
	s_branch .LBB12_200
.LBB12_2249:
	s_movk_i32 s4, 0x80
	v_cmp_eq_u16_sdwa s[12:13], v3, s4 src0_sel:BYTE_0 src1_sel:DWORD
	s_mov_b64 s[4:5], -1
                                        ; implicit-def: $sgpr10
	s_and_saveexec_b64 s[8:9], s[12:13]
; %bb.2250:
	s_mov_b32 s10, 0x7f800001
	s_xor_b64 s[4:5], exec, -1
; %bb.2251:
	s_or_b64 exec, exec, s[8:9]
	s_and_b64 s[4:5], s[4:5], exec
	s_or_saveexec_b64 s[6:7], s[6:7]
	v_mov_b32_e32 v2, s10
	s_xor_b64 exec, exec, s[6:7]
	s_cbranch_execz .LBB12_202
.LBB12_2252:
	v_mov_b32_e32 v2, 0
	v_cmp_ne_u16_sdwa s[8:9], v3, v2 src0_sel:BYTE_0 src1_sel:DWORD
	s_andn2_b64 s[4:5], s[4:5], exec
	s_and_b64 s[8:9], s[8:9], exec
	s_or_b64 s[4:5], s[4:5], s[8:9]
	s_or_b64 exec, exec, s[6:7]
	s_and_saveexec_b64 s[6:7], s[4:5]
	s_cbranch_execnz .LBB12_203
	s_branch .LBB12_204
.LBB12_2253:
	s_movk_i32 s4, 0x80
	v_cmp_eq_u16_sdwa s[12:13], v3, s4 src0_sel:BYTE_0 src1_sel:DWORD
	s_mov_b64 s[4:5], -1
                                        ; implicit-def: $sgpr10
	s_and_saveexec_b64 s[8:9], s[12:13]
; %bb.2254:
	s_mov_b32 s10, 0x7f800001
	s_xor_b64 s[4:5], exec, -1
; %bb.2255:
	s_or_b64 exec, exec, s[8:9]
	s_and_b64 s[4:5], s[4:5], exec
	s_or_saveexec_b64 s[6:7], s[6:7]
	v_mov_b32_e32 v6, s10
	s_xor_b64 exec, exec, s[6:7]
	s_cbranch_execz .LBB12_206
.LBB12_2256:
	v_mov_b32_e32 v6, 0
	v_cmp_ne_u16_sdwa s[8:9], v3, v6 src0_sel:BYTE_0 src1_sel:DWORD
	s_andn2_b64 s[4:5], s[4:5], exec
	s_and_b64 s[8:9], s[8:9], exec
	s_or_b64 s[4:5], s[4:5], s[8:9]
	s_or_b64 exec, exec, s[6:7]
	s_and_saveexec_b64 s[6:7], s[4:5]
	s_cbranch_execnz .LBB12_207
	s_branch .LBB12_208
.LBB12_2257:
	s_movk_i32 s4, 0x80
	v_cmp_eq_u16_e32 vcc, s4, v3
	s_mov_b64 s[4:5], -1
                                        ; implicit-def: $sgpr10
	s_and_saveexec_b64 s[8:9], vcc
; %bb.2258:
	s_mov_b32 s10, 0x7f800001
	s_xor_b64 s[4:5], exec, -1
; %bb.2259:
	s_or_b64 exec, exec, s[8:9]
	s_and_b64 s[4:5], s[4:5], exec
                                        ; implicit-def: $vgpr3
	s_or_saveexec_b64 s[6:7], s[6:7]
	v_mov_b32_e32 v2, s10
	s_xor_b64 exec, exec, s[6:7]
	s_cbranch_execz .LBB12_210
.LBB12_2260:
	v_cmp_ne_u16_e32 vcc, 0, v3
	s_andn2_b64 s[4:5], s[4:5], exec
	s_and_b64 s[8:9], vcc, exec
	v_mov_b32_e32 v2, 0
	s_or_b64 s[4:5], s[4:5], s[8:9]
	s_or_b64 exec, exec, s[6:7]
	s_and_saveexec_b64 s[6:7], s[4:5]
	s_cbranch_execnz .LBB12_211
	s_branch .LBB12_212
.LBB12_2261:
	s_movk_i32 s4, 0x80
	v_cmp_eq_u16_e32 vcc, s4, v3
	s_mov_b64 s[4:5], -1
                                        ; implicit-def: $sgpr10
	s_and_saveexec_b64 s[8:9], vcc
; %bb.2262:
	s_mov_b32 s10, 0x7f800001
	s_xor_b64 s[4:5], exec, -1
; %bb.2263:
	s_or_b64 exec, exec, s[8:9]
	s_and_b64 s[4:5], s[4:5], exec
                                        ; implicit-def: $vgpr3
	s_or_saveexec_b64 s[6:7], s[6:7]
	v_mov_b32_e32 v6, s10
	s_xor_b64 exec, exec, s[6:7]
	s_cbranch_execz .LBB12_214
.LBB12_2264:
	v_cmp_ne_u16_e32 vcc, 0, v3
	s_andn2_b64 s[4:5], s[4:5], exec
	s_and_b64 s[8:9], vcc, exec
	v_mov_b32_e32 v6, 0
	s_or_b64 s[4:5], s[4:5], s[8:9]
	s_or_b64 exec, exec, s[6:7]
	s_and_saveexec_b64 s[6:7], s[4:5]
	s_cbranch_execnz .LBB12_215
	s_branch .LBB12_216
.LBB12_2265:
	s_movk_i32 s4, 0x80
	v_cmp_eq_u16_sdwa s[12:13], v8, s4 src0_sel:BYTE_3 src1_sel:DWORD
	s_mov_b64 s[4:5], -1
                                        ; implicit-def: $sgpr10
	s_and_saveexec_b64 s[8:9], s[12:13]
; %bb.2266:
	s_mov_b32 s10, 0x7f800001
	s_xor_b64 s[4:5], exec, -1
; %bb.2267:
	s_or_b64 exec, exec, s[8:9]
	s_and_b64 s[4:5], s[4:5], exec
	s_or_saveexec_b64 s[6:7], s[6:7]
	v_mov_b32_e32 v2, s10
	s_xor_b64 exec, exec, s[6:7]
	s_cbranch_execz .LBB12_218
.LBB12_2268:
	v_mov_b32_e32 v2, 0
	v_cmp_ne_u16_sdwa s[8:9], v8, v2 src0_sel:BYTE_3 src1_sel:DWORD
	s_andn2_b64 s[4:5], s[4:5], exec
	s_and_b64 s[8:9], s[8:9], exec
	s_or_b64 s[4:5], s[4:5], s[8:9]
	s_or_b64 exec, exec, s[6:7]
	s_and_saveexec_b64 s[6:7], s[4:5]
	s_cbranch_execnz .LBB12_219
	s_branch .LBB12_220
.LBB12_2269:
	s_movk_i32 s4, 0x80
	v_cmp_eq_u16_sdwa s[12:13], v4, s4 src0_sel:BYTE_3 src1_sel:DWORD
	s_mov_b64 s[4:5], -1
                                        ; implicit-def: $sgpr10
	s_and_saveexec_b64 s[8:9], s[12:13]
; %bb.2270:
	s_mov_b32 s10, 0x7f800001
	s_xor_b64 s[4:5], exec, -1
; %bb.2271:
	s_or_b64 exec, exec, s[8:9]
	s_and_b64 s[4:5], s[4:5], exec
	s_or_saveexec_b64 s[6:7], s[6:7]
	v_mov_b32_e32 v3, s10
	s_xor_b64 exec, exec, s[6:7]
	s_cbranch_execz .LBB12_222
.LBB12_2272:
	v_mov_b32_e32 v3, 0
	v_cmp_ne_u16_sdwa s[8:9], v4, v3 src0_sel:BYTE_3 src1_sel:DWORD
	s_andn2_b64 s[4:5], s[4:5], exec
	s_and_b64 s[8:9], s[8:9], exec
	s_or_b64 s[4:5], s[4:5], s[8:9]
	s_or_b64 exec, exec, s[6:7]
	s_and_saveexec_b64 s[6:7], s[4:5]
	s_cbranch_execnz .LBB12_223
	s_branch .LBB12_224
.LBB12_2273:
	s_movk_i32 s4, 0x80
	v_cmp_eq_u16_sdwa s[12:13], v9, s4 src0_sel:BYTE_0 src1_sel:DWORD
	s_mov_b64 s[4:5], -1
                                        ; implicit-def: $sgpr10
	s_and_saveexec_b64 s[8:9], s[12:13]
; %bb.2274:
	s_mov_b32 s10, 0x7f800001
	s_xor_b64 s[4:5], exec, -1
; %bb.2275:
	s_or_b64 exec, exec, s[8:9]
	s_and_b64 s[4:5], s[4:5], exec
	s_or_saveexec_b64 s[6:7], s[6:7]
	v_mov_b32_e32 v2, s10
	s_xor_b64 exec, exec, s[6:7]
	s_cbranch_execz .LBB12_226
.LBB12_2276:
	v_mov_b32_e32 v2, 0
	v_cmp_ne_u16_sdwa s[8:9], v9, v2 src0_sel:BYTE_0 src1_sel:DWORD
	s_andn2_b64 s[4:5], s[4:5], exec
	s_and_b64 s[8:9], s[8:9], exec
	s_or_b64 s[4:5], s[4:5], s[8:9]
	s_or_b64 exec, exec, s[6:7]
	s_and_saveexec_b64 s[6:7], s[4:5]
	s_cbranch_execnz .LBB12_227
	s_branch .LBB12_228
.LBB12_2277:
	s_movk_i32 s4, 0x80
	v_cmp_eq_u16_sdwa s[12:13], v5, s4 src0_sel:BYTE_0 src1_sel:DWORD
	s_mov_b64 s[4:5], -1
                                        ; implicit-def: $sgpr10
	s_and_saveexec_b64 s[8:9], s[12:13]
; %bb.2278:
	s_mov_b32 s10, 0x7f800001
	s_xor_b64 s[4:5], exec, -1
; %bb.2279:
	s_or_b64 exec, exec, s[8:9]
	s_and_b64 s[4:5], s[4:5], exec
	s_or_saveexec_b64 s[6:7], s[6:7]
	v_mov_b32_e32 v3, s10
	s_xor_b64 exec, exec, s[6:7]
	s_cbranch_execz .LBB12_230
.LBB12_2280:
	v_mov_b32_e32 v3, 0
	v_cmp_ne_u16_sdwa s[8:9], v5, v3 src0_sel:BYTE_0 src1_sel:DWORD
	s_andn2_b64 s[4:5], s[4:5], exec
	s_and_b64 s[8:9], s[8:9], exec
	s_or_b64 s[4:5], s[4:5], s[8:9]
	s_or_b64 exec, exec, s[6:7]
	s_and_saveexec_b64 s[6:7], s[4:5]
	s_cbranch_execnz .LBB12_231
	s_branch .LBB12_232
.LBB12_2281:
	s_movk_i32 s4, 0x80
	v_cmp_eq_u16_sdwa s[12:13], v3, s4 src0_sel:BYTE_0 src1_sel:DWORD
	s_mov_b64 s[4:5], -1
                                        ; implicit-def: $sgpr10
	s_and_saveexec_b64 s[8:9], s[12:13]
; %bb.2282:
	s_mov_b32 s10, 0x7f800001
	s_xor_b64 s[4:5], exec, -1
; %bb.2283:
	s_or_b64 exec, exec, s[8:9]
	s_and_b64 s[4:5], s[4:5], exec
	s_or_saveexec_b64 s[6:7], s[6:7]
	v_mov_b32_e32 v2, s10
	s_xor_b64 exec, exec, s[6:7]
	s_cbranch_execz .LBB12_234
.LBB12_2284:
	v_mov_b32_e32 v2, 0
	v_cmp_ne_u16_sdwa s[8:9], v3, v2 src0_sel:BYTE_0 src1_sel:DWORD
	s_andn2_b64 s[4:5], s[4:5], exec
	s_and_b64 s[8:9], s[8:9], exec
	s_or_b64 s[4:5], s[4:5], s[8:9]
	s_or_b64 exec, exec, s[6:7]
	s_and_saveexec_b64 s[6:7], s[4:5]
	s_cbranch_execnz .LBB12_235
	s_branch .LBB12_236
.LBB12_2285:
	s_movk_i32 s4, 0x80
	v_cmp_eq_u16_sdwa s[12:13], v3, s4 src0_sel:BYTE_0 src1_sel:DWORD
	s_mov_b64 s[4:5], -1
                                        ; implicit-def: $sgpr10
	s_and_saveexec_b64 s[8:9], s[12:13]
; %bb.2286:
	s_mov_b32 s10, 0x7f800001
	s_xor_b64 s[4:5], exec, -1
; %bb.2287:
	s_or_b64 exec, exec, s[8:9]
	s_and_b64 s[4:5], s[4:5], exec
	s_or_saveexec_b64 s[6:7], s[6:7]
	v_mov_b32_e32 v4, s10
	s_xor_b64 exec, exec, s[6:7]
	s_cbranch_execz .LBB12_238
.LBB12_2288:
	v_mov_b32_e32 v4, 0
	v_cmp_ne_u16_sdwa s[8:9], v3, v4 src0_sel:BYTE_0 src1_sel:DWORD
	s_andn2_b64 s[4:5], s[4:5], exec
	s_and_b64 s[8:9], s[8:9], exec
	s_or_b64 s[4:5], s[4:5], s[8:9]
	s_or_b64 exec, exec, s[6:7]
	s_and_saveexec_b64 s[6:7], s[4:5]
	s_cbranch_execnz .LBB12_239
	s_branch .LBB12_240
.LBB12_2289:
	s_movk_i32 s4, 0x80
	v_cmp_eq_u16_e32 vcc, s4, v3
	s_mov_b64 s[4:5], -1
                                        ; implicit-def: $sgpr10
	s_and_saveexec_b64 s[8:9], vcc
; %bb.2290:
	s_mov_b32 s10, 0x7f800001
	s_xor_b64 s[4:5], exec, -1
; %bb.2291:
	s_or_b64 exec, exec, s[8:9]
	s_and_b64 s[4:5], s[4:5], exec
                                        ; implicit-def: $vgpr3
	s_or_saveexec_b64 s[6:7], s[6:7]
	v_mov_b32_e32 v2, s10
	s_xor_b64 exec, exec, s[6:7]
	s_cbranch_execz .LBB12_242
.LBB12_2292:
	v_cmp_ne_u16_e32 vcc, 0, v3
	s_andn2_b64 s[4:5], s[4:5], exec
	s_and_b64 s[8:9], vcc, exec
	v_mov_b32_e32 v2, 0
	s_or_b64 s[4:5], s[4:5], s[8:9]
	s_or_b64 exec, exec, s[6:7]
	s_and_saveexec_b64 s[6:7], s[4:5]
	s_cbranch_execnz .LBB12_243
	s_branch .LBB12_244
.LBB12_2293:
	s_movk_i32 s4, 0x80
	v_cmp_eq_u16_e32 vcc, s4, v3
	s_mov_b64 s[4:5], -1
                                        ; implicit-def: $sgpr10
	s_and_saveexec_b64 s[8:9], vcc
; %bb.2294:
	s_mov_b32 s10, 0x7f800001
	s_xor_b64 s[4:5], exec, -1
; %bb.2295:
	s_or_b64 exec, exec, s[8:9]
	s_and_b64 s[4:5], s[4:5], exec
                                        ; implicit-def: $vgpr3
	s_or_saveexec_b64 s[6:7], s[6:7]
	v_mov_b32_e32 v4, s10
	s_xor_b64 exec, exec, s[6:7]
	s_cbranch_execz .LBB12_246
.LBB12_2296:
	v_cmp_ne_u16_e32 vcc, 0, v3
	s_andn2_b64 s[4:5], s[4:5], exec
	s_and_b64 s[8:9], vcc, exec
	v_mov_b32_e32 v4, 0
	s_or_b64 s[4:5], s[4:5], s[8:9]
	s_or_b64 exec, exec, s[6:7]
	s_and_saveexec_b64 s[6:7], s[4:5]
	s_cbranch_execnz .LBB12_247
	s_branch .LBB12_248
.LBB12_2297:
	s_movk_i32 s4, 0x80
	v_cmp_eq_u16_sdwa s[12:13], v9, s4 src0_sel:BYTE_3 src1_sel:DWORD
	s_mov_b64 s[4:5], -1
                                        ; implicit-def: $sgpr10
	s_and_saveexec_b64 s[8:9], s[12:13]
; %bb.2298:
	s_mov_b32 s10, 0x7f800001
	s_xor_b64 s[4:5], exec, -1
; %bb.2299:
	s_or_b64 exec, exec, s[8:9]
	s_and_b64 s[4:5], s[4:5], exec
	s_or_saveexec_b64 s[6:7], s[6:7]
	v_mov_b32_e32 v2, s10
	s_xor_b64 exec, exec, s[6:7]
	s_cbranch_execz .LBB12_250
.LBB12_2300:
	v_mov_b32_e32 v2, 0
	v_cmp_ne_u16_sdwa s[8:9], v9, v2 src0_sel:BYTE_3 src1_sel:DWORD
	s_andn2_b64 s[4:5], s[4:5], exec
	s_and_b64 s[8:9], s[8:9], exec
	s_or_b64 s[4:5], s[4:5], s[8:9]
	s_or_b64 exec, exec, s[6:7]
	s_and_saveexec_b64 s[6:7], s[4:5]
	s_cbranch_execnz .LBB12_251
	s_branch .LBB12_252
.LBB12_2301:
	s_movk_i32 s4, 0x80
	v_cmp_eq_u16_sdwa s[12:13], v5, s4 src0_sel:BYTE_3 src1_sel:DWORD
	s_mov_b64 s[4:5], -1
                                        ; implicit-def: $sgpr10
	s_and_saveexec_b64 s[8:9], s[12:13]
; %bb.2302:
	s_mov_b32 s10, 0x7f800001
	s_xor_b64 s[4:5], exec, -1
; %bb.2303:
	s_or_b64 exec, exec, s[8:9]
	s_and_b64 s[4:5], s[4:5], exec
	s_or_saveexec_b64 s[6:7], s[6:7]
	v_mov_b32_e32 v3, s10
	s_xor_b64 exec, exec, s[6:7]
	s_cbranch_execz .LBB12_254
.LBB12_2304:
	v_mov_b32_e32 v3, 0
	v_cmp_ne_u16_sdwa s[8:9], v5, v3 src0_sel:BYTE_3 src1_sel:DWORD
	s_andn2_b64 s[4:5], s[4:5], exec
	s_and_b64 s[8:9], s[8:9], exec
	s_or_b64 s[4:5], s[4:5], s[8:9]
	s_or_b64 exec, exec, s[6:7]
	s_and_saveexec_b64 s[6:7], s[4:5]
	s_cbranch_execnz .LBB12_255
	s_branch .LBB12_256
.LBB12_2305:
	s_movk_i32 s4, 0x80
	v_cmp_eq_u16_sdwa s[12:13], v6, s4 src0_sel:BYTE_0 src1_sel:DWORD
	s_mov_b64 s[4:5], -1
                                        ; implicit-def: $sgpr10
	s_and_saveexec_b64 s[8:9], s[12:13]
; %bb.2306:
	s_mov_b32 s10, 0x7f800001
	s_xor_b64 s[4:5], exec, -1
; %bb.2307:
	s_or_b64 exec, exec, s[8:9]
	s_and_b64 s[4:5], s[4:5], exec
	s_or_saveexec_b64 s[6:7], s[6:7]
	v_mov_b32_e32 v12, s10
	s_xor_b64 exec, exec, s[6:7]
	s_cbranch_execz .LBB12_258
.LBB12_2308:
	v_mov_b32_e32 v12, 0
	v_cmp_ne_u16_sdwa s[8:9], v6, v12 src0_sel:BYTE_0 src1_sel:DWORD
	s_andn2_b64 s[4:5], s[4:5], exec
	s_and_b64 s[8:9], s[8:9], exec
	s_or_b64 s[4:5], s[4:5], s[8:9]
	s_or_b64 exec, exec, s[6:7]
	s_and_saveexec_b64 s[6:7], s[4:5]
	s_cbranch_execnz .LBB12_259
	s_branch .LBB12_260
.LBB12_2309:
	s_movk_i32 s4, 0x80
	v_cmp_eq_u16_sdwa s[12:13], v2, s4 src0_sel:BYTE_0 src1_sel:DWORD
	s_mov_b64 s[4:5], -1
                                        ; implicit-def: $sgpr10
	s_and_saveexec_b64 s[8:9], s[12:13]
; %bb.2310:
	s_mov_b32 s10, 0x7f800001
	s_xor_b64 s[4:5], exec, -1
; %bb.2311:
	s_or_b64 exec, exec, s[8:9]
	s_and_b64 s[4:5], s[4:5], exec
	s_or_saveexec_b64 s[6:7], s[6:7]
	v_mov_b32_e32 v13, s10
	s_xor_b64 exec, exec, s[6:7]
	s_cbranch_execz .LBB12_262
.LBB12_2312:
	v_mov_b32_e32 v13, 0
	v_cmp_ne_u16_sdwa s[8:9], v2, v13 src0_sel:BYTE_0 src1_sel:DWORD
	s_andn2_b64 s[4:5], s[4:5], exec
	s_and_b64 s[8:9], s[8:9], exec
	s_or_b64 s[4:5], s[4:5], s[8:9]
	s_or_b64 exec, exec, s[6:7]
	s_and_saveexec_b64 s[6:7], s[4:5]
	s_cbranch_execnz .LBB12_263
	s_branch .LBB12_264
.LBB12_2313:
	s_movk_i32 s4, 0x80
	v_cmp_eq_u16_sdwa s[12:13], v13, s4 src0_sel:BYTE_0 src1_sel:DWORD
	s_mov_b64 s[4:5], -1
                                        ; implicit-def: $sgpr10
	s_and_saveexec_b64 s[8:9], s[12:13]
; %bb.2314:
	s_mov_b32 s10, 0x7f800001
	s_xor_b64 s[4:5], exec, -1
; %bb.2315:
	s_or_b64 exec, exec, s[8:9]
	s_and_b64 s[4:5], s[4:5], exec
	s_or_saveexec_b64 s[6:7], s[6:7]
	v_mov_b32_e32 v12, s10
	s_xor_b64 exec, exec, s[6:7]
	s_cbranch_execz .LBB12_266
.LBB12_2316:
	v_mov_b32_e32 v12, 0
	v_cmp_ne_u16_sdwa s[8:9], v13, v12 src0_sel:BYTE_0 src1_sel:DWORD
	s_andn2_b64 s[4:5], s[4:5], exec
	s_and_b64 s[8:9], s[8:9], exec
	s_or_b64 s[4:5], s[4:5], s[8:9]
	s_or_b64 exec, exec, s[6:7]
	s_and_saveexec_b64 s[6:7], s[4:5]
	s_cbranch_execnz .LBB12_267
	s_branch .LBB12_268
.LBB12_2317:
	s_movk_i32 s4, 0x80
	v_cmp_eq_u16_sdwa s[12:13], v13, s4 src0_sel:BYTE_0 src1_sel:DWORD
	s_mov_b64 s[4:5], -1
                                        ; implicit-def: $sgpr10
	s_and_saveexec_b64 s[8:9], s[12:13]
; %bb.2318:
	s_mov_b32 s10, 0x7f800001
	s_xor_b64 s[4:5], exec, -1
; %bb.2319:
	s_or_b64 exec, exec, s[8:9]
	s_and_b64 s[4:5], s[4:5], exec
	s_or_saveexec_b64 s[6:7], s[6:7]
	v_mov_b32_e32 v14, s10
	s_xor_b64 exec, exec, s[6:7]
	s_cbranch_execz .LBB12_270
.LBB12_2320:
	v_mov_b32_e32 v14, 0
	v_cmp_ne_u16_sdwa s[8:9], v13, v14 src0_sel:BYTE_0 src1_sel:DWORD
	s_andn2_b64 s[4:5], s[4:5], exec
	s_and_b64 s[8:9], s[8:9], exec
	s_or_b64 s[4:5], s[4:5], s[8:9]
	s_or_b64 exec, exec, s[6:7]
	s_and_saveexec_b64 s[6:7], s[4:5]
	s_cbranch_execnz .LBB12_271
	s_branch .LBB12_272
.LBB12_2321:
	s_movk_i32 s4, 0x80
	v_cmp_eq_u16_e32 vcc, s4, v13
	s_mov_b64 s[4:5], -1
                                        ; implicit-def: $sgpr10
	s_and_saveexec_b64 s[8:9], vcc
; %bb.2322:
	s_mov_b32 s10, 0x7f800001
	s_xor_b64 s[4:5], exec, -1
; %bb.2323:
	s_or_b64 exec, exec, s[8:9]
	s_and_b64 s[4:5], s[4:5], exec
                                        ; implicit-def: $vgpr13
	s_or_saveexec_b64 s[6:7], s[6:7]
	v_mov_b32_e32 v12, s10
	s_xor_b64 exec, exec, s[6:7]
	s_cbranch_execz .LBB12_274
.LBB12_2324:
	v_cmp_ne_u16_e32 vcc, 0, v13
	s_andn2_b64 s[4:5], s[4:5], exec
	s_and_b64 s[8:9], vcc, exec
	v_mov_b32_e32 v12, 0
	s_or_b64 s[4:5], s[4:5], s[8:9]
	s_or_b64 exec, exec, s[6:7]
	s_and_saveexec_b64 s[6:7], s[4:5]
	s_cbranch_execnz .LBB12_275
	s_branch .LBB12_276
.LBB12_2325:
	s_movk_i32 s4, 0x80
	v_cmp_eq_u16_e32 vcc, s4, v13
	s_mov_b64 s[4:5], -1
                                        ; implicit-def: $sgpr10
	s_and_saveexec_b64 s[8:9], vcc
; %bb.2326:
	s_mov_b32 s10, 0x7f800001
	s_xor_b64 s[4:5], exec, -1
; %bb.2327:
	s_or_b64 exec, exec, s[8:9]
	s_and_b64 s[4:5], s[4:5], exec
                                        ; implicit-def: $vgpr13
	s_or_saveexec_b64 s[6:7], s[6:7]
	v_mov_b32_e32 v14, s10
	s_xor_b64 exec, exec, s[6:7]
	s_cbranch_execz .LBB12_278
.LBB12_2328:
	v_cmp_ne_u16_e32 vcc, 0, v13
	s_andn2_b64 s[4:5], s[4:5], exec
	s_and_b64 s[8:9], vcc, exec
	v_mov_b32_e32 v14, 0
	s_or_b64 s[4:5], s[4:5], s[8:9]
	s_or_b64 exec, exec, s[6:7]
	s_and_saveexec_b64 s[6:7], s[4:5]
	s_cbranch_execnz .LBB12_279
	s_branch .LBB12_280
.LBB12_2329:
	s_movk_i32 s4, 0x80
	v_cmp_eq_u16_sdwa s[12:13], v6, s4 src0_sel:BYTE_3 src1_sel:DWORD
	s_mov_b64 s[4:5], -1
                                        ; implicit-def: $sgpr10
	s_and_saveexec_b64 s[8:9], s[12:13]
; %bb.2330:
	s_mov_b32 s10, 0x7f800001
	s_xor_b64 s[4:5], exec, -1
; %bb.2331:
	s_or_b64 exec, exec, s[8:9]
	s_and_b64 s[4:5], s[4:5], exec
	s_or_saveexec_b64 s[6:7], s[6:7]
	v_mov_b32_e32 v12, s10
	s_xor_b64 exec, exec, s[6:7]
	s_cbranch_execz .LBB12_282
.LBB12_2332:
	v_mov_b32_e32 v12, 0
	v_cmp_ne_u16_sdwa s[8:9], v6, v12 src0_sel:BYTE_3 src1_sel:DWORD
	s_andn2_b64 s[4:5], s[4:5], exec
	s_and_b64 s[8:9], s[8:9], exec
	s_or_b64 s[4:5], s[4:5], s[8:9]
	s_or_b64 exec, exec, s[6:7]
	s_and_saveexec_b64 s[6:7], s[4:5]
	s_cbranch_execnz .LBB12_283
	s_branch .LBB12_284
.LBB12_2333:
	s_movk_i32 s4, 0x80
	v_cmp_eq_u16_sdwa s[12:13], v2, s4 src0_sel:BYTE_3 src1_sel:DWORD
	s_mov_b64 s[4:5], -1
                                        ; implicit-def: $sgpr10
	s_and_saveexec_b64 s[8:9], s[12:13]
; %bb.2334:
	s_mov_b32 s10, 0x7f800001
	s_xor_b64 s[4:5], exec, -1
; %bb.2335:
	s_or_b64 exec, exec, s[8:9]
	s_and_b64 s[4:5], s[4:5], exec
	s_or_saveexec_b64 s[6:7], s[6:7]
	v_mov_b32_e32 v6, s10
	s_xor_b64 exec, exec, s[6:7]
	s_cbranch_execz .LBB12_286
.LBB12_2336:
	v_mov_b32_e32 v6, 0
	v_cmp_ne_u16_sdwa s[8:9], v2, v6 src0_sel:BYTE_3 src1_sel:DWORD
	s_andn2_b64 s[4:5], s[4:5], exec
	s_and_b64 s[8:9], s[8:9], exec
	s_or_b64 s[4:5], s[4:5], s[8:9]
	s_or_b64 exec, exec, s[6:7]
	s_and_saveexec_b64 s[6:7], s[4:5]
	s_cbranch_execnz .LBB12_287
	s_branch .LBB12_288
.LBB12_2337:
	s_movk_i32 s4, 0x80
	v_cmp_eq_u16_sdwa s[12:13], v7, s4 src0_sel:BYTE_0 src1_sel:DWORD
	s_mov_b64 s[4:5], -1
                                        ; implicit-def: $sgpr10
	s_and_saveexec_b64 s[8:9], s[12:13]
; %bb.2338:
	s_mov_b32 s10, 0x7f800001
	s_xor_b64 s[4:5], exec, -1
; %bb.2339:
	s_or_b64 exec, exec, s[8:9]
	s_and_b64 s[4:5], s[4:5], exec
	s_or_saveexec_b64 s[6:7], s[6:7]
	v_mov_b32_e32 v2, s10
	s_xor_b64 exec, exec, s[6:7]
	s_cbranch_execz .LBB12_290
.LBB12_2340:
	v_mov_b32_e32 v2, 0
	v_cmp_ne_u16_sdwa s[8:9], v7, v2 src0_sel:BYTE_0 src1_sel:DWORD
	s_andn2_b64 s[4:5], s[4:5], exec
	s_and_b64 s[8:9], s[8:9], exec
	s_or_b64 s[4:5], s[4:5], s[8:9]
	s_or_b64 exec, exec, s[6:7]
	s_and_saveexec_b64 s[6:7], s[4:5]
	s_cbranch_execnz .LBB12_291
	s_branch .LBB12_292
.LBB12_2341:
	s_movk_i32 s4, 0x80
	v_cmp_eq_u16_sdwa s[12:13], v3, s4 src0_sel:BYTE_0 src1_sel:DWORD
	s_mov_b64 s[4:5], -1
                                        ; implicit-def: $sgpr10
	s_and_saveexec_b64 s[8:9], s[12:13]
; %bb.2342:
	s_mov_b32 s10, 0x7f800001
	s_xor_b64 s[4:5], exec, -1
; %bb.2343:
	s_or_b64 exec, exec, s[8:9]
	s_and_b64 s[4:5], s[4:5], exec
	s_or_saveexec_b64 s[6:7], s[6:7]
	v_mov_b32_e32 v6, s10
	s_xor_b64 exec, exec, s[6:7]
	s_cbranch_execz .LBB12_294
.LBB12_2344:
	v_mov_b32_e32 v6, 0
	v_cmp_ne_u16_sdwa s[8:9], v3, v6 src0_sel:BYTE_0 src1_sel:DWORD
	s_andn2_b64 s[4:5], s[4:5], exec
	s_and_b64 s[8:9], s[8:9], exec
	s_or_b64 s[4:5], s[4:5], s[8:9]
	s_or_b64 exec, exec, s[6:7]
	s_and_saveexec_b64 s[6:7], s[4:5]
	s_cbranch_execnz .LBB12_295
	s_branch .LBB12_296
.LBB12_2345:
	s_movk_i32 s4, 0x80
	v_cmp_eq_u16_sdwa s[12:13], v6, s4 src0_sel:BYTE_0 src1_sel:DWORD
	s_mov_b64 s[4:5], -1
                                        ; implicit-def: $sgpr10
	s_and_saveexec_b64 s[8:9], s[12:13]
; %bb.2346:
	s_mov_b32 s10, 0x7f800001
	s_xor_b64 s[4:5], exec, -1
; %bb.2347:
	s_or_b64 exec, exec, s[8:9]
	s_and_b64 s[4:5], s[4:5], exec
	s_or_saveexec_b64 s[6:7], s[6:7]
	v_mov_b32_e32 v2, s10
	s_xor_b64 exec, exec, s[6:7]
	s_cbranch_execz .LBB12_298
.LBB12_2348:
	v_mov_b32_e32 v2, 0
	v_cmp_ne_u16_sdwa s[8:9], v6, v2 src0_sel:BYTE_0 src1_sel:DWORD
	s_andn2_b64 s[4:5], s[4:5], exec
	s_and_b64 s[8:9], s[8:9], exec
	s_or_b64 s[4:5], s[4:5], s[8:9]
	s_or_b64 exec, exec, s[6:7]
	s_and_saveexec_b64 s[6:7], s[4:5]
	s_cbranch_execnz .LBB12_299
	s_branch .LBB12_300
.LBB12_2349:
	s_movk_i32 s4, 0x80
	v_cmp_eq_u16_sdwa s[12:13], v6, s4 src0_sel:BYTE_0 src1_sel:DWORD
	s_mov_b64 s[4:5], -1
                                        ; implicit-def: $sgpr10
	s_and_saveexec_b64 s[8:9], s[12:13]
; %bb.2350:
	s_mov_b32 s10, 0x7f800001
	s_xor_b64 s[4:5], exec, -1
; %bb.2351:
	s_or_b64 exec, exec, s[8:9]
	s_and_b64 s[4:5], s[4:5], exec
	s_or_saveexec_b64 s[6:7], s[6:7]
	v_mov_b32_e32 v12, s10
	s_xor_b64 exec, exec, s[6:7]
	s_cbranch_execz .LBB12_302
.LBB12_2352:
	v_mov_b32_e32 v12, 0
	v_cmp_ne_u16_sdwa s[8:9], v6, v12 src0_sel:BYTE_0 src1_sel:DWORD
	s_andn2_b64 s[4:5], s[4:5], exec
	s_and_b64 s[8:9], s[8:9], exec
	s_or_b64 s[4:5], s[4:5], s[8:9]
	s_or_b64 exec, exec, s[6:7]
	s_and_saveexec_b64 s[6:7], s[4:5]
	s_cbranch_execnz .LBB12_303
	s_branch .LBB12_304
.LBB12_2353:
	s_movk_i32 s4, 0x80
	v_cmp_eq_u16_e32 vcc, s4, v6
	s_mov_b64 s[4:5], -1
                                        ; implicit-def: $sgpr10
	s_and_saveexec_b64 s[8:9], vcc
; %bb.2354:
	s_mov_b32 s10, 0x7f800001
	s_xor_b64 s[4:5], exec, -1
; %bb.2355:
	s_or_b64 exec, exec, s[8:9]
	s_and_b64 s[4:5], s[4:5], exec
                                        ; implicit-def: $vgpr6
	s_or_saveexec_b64 s[6:7], s[6:7]
	v_mov_b32_e32 v2, s10
	s_xor_b64 exec, exec, s[6:7]
	s_cbranch_execz .LBB12_306
.LBB12_2356:
	v_cmp_ne_u16_e32 vcc, 0, v6
	s_andn2_b64 s[4:5], s[4:5], exec
	s_and_b64 s[8:9], vcc, exec
	v_mov_b32_e32 v2, 0
	s_or_b64 s[4:5], s[4:5], s[8:9]
	s_or_b64 exec, exec, s[6:7]
	s_and_saveexec_b64 s[6:7], s[4:5]
	s_cbranch_execnz .LBB12_307
	s_branch .LBB12_308
.LBB12_2357:
	s_movk_i32 s4, 0x80
	v_cmp_eq_u16_e32 vcc, s4, v6
	s_mov_b64 s[4:5], -1
                                        ; implicit-def: $sgpr10
	s_and_saveexec_b64 s[8:9], vcc
; %bb.2358:
	s_mov_b32 s10, 0x7f800001
	s_xor_b64 s[4:5], exec, -1
; %bb.2359:
	s_or_b64 exec, exec, s[8:9]
	s_and_b64 s[4:5], s[4:5], exec
                                        ; implicit-def: $vgpr6
	s_or_saveexec_b64 s[6:7], s[6:7]
	v_mov_b32_e32 v12, s10
	s_xor_b64 exec, exec, s[6:7]
	s_cbranch_execz .LBB12_310
.LBB12_2360:
	v_cmp_ne_u16_e32 vcc, 0, v6
	s_andn2_b64 s[4:5], s[4:5], exec
	s_and_b64 s[8:9], vcc, exec
	v_mov_b32_e32 v12, 0
	s_or_b64 s[4:5], s[4:5], s[8:9]
	s_or_b64 exec, exec, s[6:7]
	s_and_saveexec_b64 s[6:7], s[4:5]
	s_cbranch_execnz .LBB12_311
	s_branch .LBB12_312
.LBB12_2361:
	s_movk_i32 s4, 0x80
	v_cmp_eq_u16_sdwa s[12:13], v7, s4 src0_sel:BYTE_3 src1_sel:DWORD
	s_mov_b64 s[4:5], -1
                                        ; implicit-def: $sgpr10
	s_and_saveexec_b64 s[8:9], s[12:13]
; %bb.2362:
	s_mov_b32 s10, 0x7f800001
	s_xor_b64 s[4:5], exec, -1
; %bb.2363:
	s_or_b64 exec, exec, s[8:9]
	s_and_b64 s[4:5], s[4:5], exec
	s_or_saveexec_b64 s[6:7], s[6:7]
	v_mov_b32_e32 v2, s10
	s_xor_b64 exec, exec, s[6:7]
	s_cbranch_execz .LBB12_314
.LBB12_2364:
	v_mov_b32_e32 v2, 0
	v_cmp_ne_u16_sdwa s[8:9], v7, v2 src0_sel:BYTE_3 src1_sel:DWORD
	s_andn2_b64 s[4:5], s[4:5], exec
	s_and_b64 s[8:9], s[8:9], exec
	s_or_b64 s[4:5], s[4:5], s[8:9]
	s_or_b64 exec, exec, s[6:7]
	s_and_saveexec_b64 s[6:7], s[4:5]
	s_cbranch_execnz .LBB12_315
	s_branch .LBB12_316
.LBB12_2365:
	s_movk_i32 s4, 0x80
	v_cmp_eq_u16_sdwa s[12:13], v3, s4 src0_sel:BYTE_3 src1_sel:DWORD
	s_mov_b64 s[4:5], -1
                                        ; implicit-def: $sgpr10
	s_and_saveexec_b64 s[8:9], s[12:13]
; %bb.2366:
	s_mov_b32 s10, 0x7f800001
	s_xor_b64 s[4:5], exec, -1
; %bb.2367:
	s_or_b64 exec, exec, s[8:9]
	s_and_b64 s[4:5], s[4:5], exec
	s_or_saveexec_b64 s[6:7], s[6:7]
	v_mov_b32_e32 v6, s10
	s_xor_b64 exec, exec, s[6:7]
	s_cbranch_execz .LBB12_318
.LBB12_2368:
	v_mov_b32_e32 v6, 0
	v_cmp_ne_u16_sdwa s[8:9], v3, v6 src0_sel:BYTE_3 src1_sel:DWORD
	s_andn2_b64 s[4:5], s[4:5], exec
	s_and_b64 s[8:9], s[8:9], exec
	s_or_b64 s[4:5], s[4:5], s[8:9]
	s_or_b64 exec, exec, s[6:7]
	s_and_saveexec_b64 s[6:7], s[4:5]
	s_cbranch_execnz .LBB12_319
	s_branch .LBB12_320
.LBB12_2369:
	s_movk_i32 s4, 0x80
	v_cmp_eq_u16_sdwa s[12:13], v8, s4 src0_sel:BYTE_0 src1_sel:DWORD
	s_mov_b64 s[4:5], -1
                                        ; implicit-def: $sgpr10
	s_and_saveexec_b64 s[8:9], s[12:13]
; %bb.2370:
	s_mov_b32 s10, 0x7f800001
	s_xor_b64 s[4:5], exec, -1
; %bb.2371:
	s_or_b64 exec, exec, s[8:9]
	s_and_b64 s[4:5], s[4:5], exec
	s_or_saveexec_b64 s[6:7], s[6:7]
	v_mov_b32_e32 v2, s10
	s_xor_b64 exec, exec, s[6:7]
	s_cbranch_execz .LBB12_322
.LBB12_2372:
	v_mov_b32_e32 v2, 0
	v_cmp_ne_u16_sdwa s[8:9], v8, v2 src0_sel:BYTE_0 src1_sel:DWORD
	s_andn2_b64 s[4:5], s[4:5], exec
	s_and_b64 s[8:9], s[8:9], exec
	s_or_b64 s[4:5], s[4:5], s[8:9]
	s_or_b64 exec, exec, s[6:7]
	s_and_saveexec_b64 s[6:7], s[4:5]
	s_cbranch_execnz .LBB12_323
	s_branch .LBB12_324
.LBB12_2373:
	s_movk_i32 s4, 0x80
	v_cmp_eq_u16_sdwa s[12:13], v4, s4 src0_sel:BYTE_0 src1_sel:DWORD
	s_mov_b64 s[4:5], -1
                                        ; implicit-def: $sgpr10
	s_and_saveexec_b64 s[8:9], s[12:13]
; %bb.2374:
	s_mov_b32 s10, 0x7f800001
	s_xor_b64 s[4:5], exec, -1
; %bb.2375:
	s_or_b64 exec, exec, s[8:9]
	s_and_b64 s[4:5], s[4:5], exec
	s_or_saveexec_b64 s[6:7], s[6:7]
	v_mov_b32_e32 v3, s10
	s_xor_b64 exec, exec, s[6:7]
	s_cbranch_execz .LBB12_326
.LBB12_2376:
	v_mov_b32_e32 v3, 0
	v_cmp_ne_u16_sdwa s[8:9], v4, v3 src0_sel:BYTE_0 src1_sel:DWORD
	s_andn2_b64 s[4:5], s[4:5], exec
	s_and_b64 s[8:9], s[8:9], exec
	s_or_b64 s[4:5], s[4:5], s[8:9]
	s_or_b64 exec, exec, s[6:7]
	s_and_saveexec_b64 s[6:7], s[4:5]
	s_cbranch_execnz .LBB12_327
	s_branch .LBB12_328
.LBB12_2377:
	s_movk_i32 s4, 0x80
	v_cmp_eq_u16_sdwa s[12:13], v3, s4 src0_sel:BYTE_0 src1_sel:DWORD
	s_mov_b64 s[4:5], -1
                                        ; implicit-def: $sgpr10
	s_and_saveexec_b64 s[8:9], s[12:13]
; %bb.2378:
	s_mov_b32 s10, 0x7f800001
	s_xor_b64 s[4:5], exec, -1
; %bb.2379:
	s_or_b64 exec, exec, s[8:9]
	s_and_b64 s[4:5], s[4:5], exec
	s_or_saveexec_b64 s[6:7], s[6:7]
	v_mov_b32_e32 v2, s10
	s_xor_b64 exec, exec, s[6:7]
	s_cbranch_execz .LBB12_330
.LBB12_2380:
	v_mov_b32_e32 v2, 0
	v_cmp_ne_u16_sdwa s[8:9], v3, v2 src0_sel:BYTE_0 src1_sel:DWORD
	s_andn2_b64 s[4:5], s[4:5], exec
	s_and_b64 s[8:9], s[8:9], exec
	s_or_b64 s[4:5], s[4:5], s[8:9]
	s_or_b64 exec, exec, s[6:7]
	s_and_saveexec_b64 s[6:7], s[4:5]
	s_cbranch_execnz .LBB12_331
	s_branch .LBB12_332
.LBB12_2381:
	s_movk_i32 s4, 0x80
	v_cmp_eq_u16_sdwa s[12:13], v3, s4 src0_sel:BYTE_0 src1_sel:DWORD
	s_mov_b64 s[4:5], -1
                                        ; implicit-def: $sgpr10
	s_and_saveexec_b64 s[8:9], s[12:13]
; %bb.2382:
	s_mov_b32 s10, 0x7f800001
	s_xor_b64 s[4:5], exec, -1
; %bb.2383:
	s_or_b64 exec, exec, s[8:9]
	s_and_b64 s[4:5], s[4:5], exec
	s_or_saveexec_b64 s[6:7], s[6:7]
	v_mov_b32_e32 v6, s10
	s_xor_b64 exec, exec, s[6:7]
	s_cbranch_execz .LBB12_334
.LBB12_2384:
	v_mov_b32_e32 v6, 0
	v_cmp_ne_u16_sdwa s[8:9], v3, v6 src0_sel:BYTE_0 src1_sel:DWORD
	s_andn2_b64 s[4:5], s[4:5], exec
	s_and_b64 s[8:9], s[8:9], exec
	s_or_b64 s[4:5], s[4:5], s[8:9]
	s_or_b64 exec, exec, s[6:7]
	s_and_saveexec_b64 s[6:7], s[4:5]
	s_cbranch_execnz .LBB12_335
	s_branch .LBB12_336
.LBB12_2385:
	s_movk_i32 s4, 0x80
	v_cmp_eq_u16_e32 vcc, s4, v3
	s_mov_b64 s[4:5], -1
                                        ; implicit-def: $sgpr10
	s_and_saveexec_b64 s[8:9], vcc
; %bb.2386:
	s_mov_b32 s10, 0x7f800001
	s_xor_b64 s[4:5], exec, -1
; %bb.2387:
	s_or_b64 exec, exec, s[8:9]
	s_and_b64 s[4:5], s[4:5], exec
                                        ; implicit-def: $vgpr3
	s_or_saveexec_b64 s[6:7], s[6:7]
	v_mov_b32_e32 v2, s10
	s_xor_b64 exec, exec, s[6:7]
	s_cbranch_execz .LBB12_338
.LBB12_2388:
	v_cmp_ne_u16_e32 vcc, 0, v3
	s_andn2_b64 s[4:5], s[4:5], exec
	s_and_b64 s[8:9], vcc, exec
	v_mov_b32_e32 v2, 0
	s_or_b64 s[4:5], s[4:5], s[8:9]
	s_or_b64 exec, exec, s[6:7]
	s_and_saveexec_b64 s[6:7], s[4:5]
	s_cbranch_execnz .LBB12_339
	s_branch .LBB12_340
.LBB12_2389:
	s_movk_i32 s4, 0x80
	v_cmp_eq_u16_e32 vcc, s4, v3
	s_mov_b64 s[4:5], -1
                                        ; implicit-def: $sgpr10
	s_and_saveexec_b64 s[8:9], vcc
; %bb.2390:
	s_mov_b32 s10, 0x7f800001
	s_xor_b64 s[4:5], exec, -1
; %bb.2391:
	s_or_b64 exec, exec, s[8:9]
	s_and_b64 s[4:5], s[4:5], exec
                                        ; implicit-def: $vgpr3
	s_or_saveexec_b64 s[6:7], s[6:7]
	v_mov_b32_e32 v6, s10
	s_xor_b64 exec, exec, s[6:7]
	s_cbranch_execz .LBB12_342
.LBB12_2392:
	v_cmp_ne_u16_e32 vcc, 0, v3
	s_andn2_b64 s[4:5], s[4:5], exec
	s_and_b64 s[8:9], vcc, exec
	v_mov_b32_e32 v6, 0
	s_or_b64 s[4:5], s[4:5], s[8:9]
	s_or_b64 exec, exec, s[6:7]
	s_and_saveexec_b64 s[6:7], s[4:5]
	s_cbranch_execnz .LBB12_343
	s_branch .LBB12_344
.LBB12_2393:
	s_movk_i32 s4, 0x80
	v_cmp_eq_u16_sdwa s[12:13], v8, s4 src0_sel:BYTE_3 src1_sel:DWORD
	s_mov_b64 s[4:5], -1
                                        ; implicit-def: $sgpr10
	s_and_saveexec_b64 s[8:9], s[12:13]
; %bb.2394:
	s_mov_b32 s10, 0x7f800001
	s_xor_b64 s[4:5], exec, -1
; %bb.2395:
	s_or_b64 exec, exec, s[8:9]
	s_and_b64 s[4:5], s[4:5], exec
	s_or_saveexec_b64 s[6:7], s[6:7]
	v_mov_b32_e32 v2, s10
	s_xor_b64 exec, exec, s[6:7]
	s_cbranch_execz .LBB12_346
.LBB12_2396:
	v_mov_b32_e32 v2, 0
	v_cmp_ne_u16_sdwa s[8:9], v8, v2 src0_sel:BYTE_3 src1_sel:DWORD
	s_andn2_b64 s[4:5], s[4:5], exec
	s_and_b64 s[8:9], s[8:9], exec
	s_or_b64 s[4:5], s[4:5], s[8:9]
	s_or_b64 exec, exec, s[6:7]
	s_and_saveexec_b64 s[6:7], s[4:5]
	s_cbranch_execnz .LBB12_347
	s_branch .LBB12_348
.LBB12_2397:
	s_movk_i32 s4, 0x80
	v_cmp_eq_u16_sdwa s[12:13], v4, s4 src0_sel:BYTE_3 src1_sel:DWORD
	s_mov_b64 s[4:5], -1
                                        ; implicit-def: $sgpr10
	s_and_saveexec_b64 s[8:9], s[12:13]
; %bb.2398:
	s_mov_b32 s10, 0x7f800001
	s_xor_b64 s[4:5], exec, -1
; %bb.2399:
	s_or_b64 exec, exec, s[8:9]
	s_and_b64 s[4:5], s[4:5], exec
	s_or_saveexec_b64 s[6:7], s[6:7]
	v_mov_b32_e32 v3, s10
	s_xor_b64 exec, exec, s[6:7]
	s_cbranch_execz .LBB12_350
.LBB12_2400:
	v_mov_b32_e32 v3, 0
	v_cmp_ne_u16_sdwa s[8:9], v4, v3 src0_sel:BYTE_3 src1_sel:DWORD
	s_andn2_b64 s[4:5], s[4:5], exec
	s_and_b64 s[8:9], s[8:9], exec
	s_or_b64 s[4:5], s[4:5], s[8:9]
	s_or_b64 exec, exec, s[6:7]
	s_and_saveexec_b64 s[6:7], s[4:5]
	s_cbranch_execnz .LBB12_351
	s_branch .LBB12_352
.LBB12_2401:
	s_movk_i32 s4, 0x80
	v_cmp_eq_u16_sdwa s[12:13], v9, s4 src0_sel:BYTE_0 src1_sel:DWORD
	s_mov_b64 s[4:5], -1
                                        ; implicit-def: $sgpr10
	s_and_saveexec_b64 s[8:9], s[12:13]
; %bb.2402:
	s_mov_b32 s10, 0x7f800001
	s_xor_b64 s[4:5], exec, -1
; %bb.2403:
	s_or_b64 exec, exec, s[8:9]
	s_and_b64 s[4:5], s[4:5], exec
	s_or_saveexec_b64 s[6:7], s[6:7]
	v_mov_b32_e32 v2, s10
	s_xor_b64 exec, exec, s[6:7]
	s_cbranch_execz .LBB12_354
.LBB12_2404:
	v_mov_b32_e32 v2, 0
	v_cmp_ne_u16_sdwa s[8:9], v9, v2 src0_sel:BYTE_0 src1_sel:DWORD
	s_andn2_b64 s[4:5], s[4:5], exec
	s_and_b64 s[8:9], s[8:9], exec
	s_or_b64 s[4:5], s[4:5], s[8:9]
	s_or_b64 exec, exec, s[6:7]
	s_and_saveexec_b64 s[6:7], s[4:5]
	s_cbranch_execnz .LBB12_355
	s_branch .LBB12_356
.LBB12_2405:
	s_movk_i32 s4, 0x80
	v_cmp_eq_u16_sdwa s[12:13], v5, s4 src0_sel:BYTE_0 src1_sel:DWORD
	s_mov_b64 s[4:5], -1
                                        ; implicit-def: $sgpr10
	s_and_saveexec_b64 s[8:9], s[12:13]
; %bb.2406:
	s_mov_b32 s10, 0x7f800001
	s_xor_b64 s[4:5], exec, -1
; %bb.2407:
	s_or_b64 exec, exec, s[8:9]
	s_and_b64 s[4:5], s[4:5], exec
	s_or_saveexec_b64 s[6:7], s[6:7]
	v_mov_b32_e32 v3, s10
	s_xor_b64 exec, exec, s[6:7]
	s_cbranch_execz .LBB12_358
.LBB12_2408:
	v_mov_b32_e32 v3, 0
	v_cmp_ne_u16_sdwa s[8:9], v5, v3 src0_sel:BYTE_0 src1_sel:DWORD
	s_andn2_b64 s[4:5], s[4:5], exec
	s_and_b64 s[8:9], s[8:9], exec
	s_or_b64 s[4:5], s[4:5], s[8:9]
	s_or_b64 exec, exec, s[6:7]
	s_and_saveexec_b64 s[6:7], s[4:5]
	s_cbranch_execnz .LBB12_359
	s_branch .LBB12_360
.LBB12_2409:
	s_movk_i32 s4, 0x80
	v_cmp_eq_u16_sdwa s[12:13], v3, s4 src0_sel:BYTE_0 src1_sel:DWORD
	s_mov_b64 s[4:5], -1
                                        ; implicit-def: $sgpr10
	s_and_saveexec_b64 s[8:9], s[12:13]
; %bb.2410:
	s_mov_b32 s10, 0x7f800001
	s_xor_b64 s[4:5], exec, -1
; %bb.2411:
	s_or_b64 exec, exec, s[8:9]
	s_and_b64 s[4:5], s[4:5], exec
	s_or_saveexec_b64 s[6:7], s[6:7]
	v_mov_b32_e32 v2, s10
	s_xor_b64 exec, exec, s[6:7]
	s_cbranch_execz .LBB12_362
.LBB12_2412:
	v_mov_b32_e32 v2, 0
	v_cmp_ne_u16_sdwa s[8:9], v3, v2 src0_sel:BYTE_0 src1_sel:DWORD
	s_andn2_b64 s[4:5], s[4:5], exec
	s_and_b64 s[8:9], s[8:9], exec
	s_or_b64 s[4:5], s[4:5], s[8:9]
	s_or_b64 exec, exec, s[6:7]
	s_and_saveexec_b64 s[6:7], s[4:5]
	s_cbranch_execnz .LBB12_363
	s_branch .LBB12_364
.LBB12_2413:
	s_movk_i32 s4, 0x80
	v_cmp_eq_u16_sdwa s[12:13], v3, s4 src0_sel:BYTE_0 src1_sel:DWORD
	s_mov_b64 s[4:5], -1
                                        ; implicit-def: $sgpr10
	s_and_saveexec_b64 s[8:9], s[12:13]
; %bb.2414:
	s_mov_b32 s10, 0x7f800001
	s_xor_b64 s[4:5], exec, -1
; %bb.2415:
	s_or_b64 exec, exec, s[8:9]
	s_and_b64 s[4:5], s[4:5], exec
	s_or_saveexec_b64 s[6:7], s[6:7]
	v_mov_b32_e32 v4, s10
	s_xor_b64 exec, exec, s[6:7]
	s_cbranch_execz .LBB12_366
.LBB12_2416:
	v_mov_b32_e32 v4, 0
	v_cmp_ne_u16_sdwa s[8:9], v3, v4 src0_sel:BYTE_0 src1_sel:DWORD
	s_andn2_b64 s[4:5], s[4:5], exec
	s_and_b64 s[8:9], s[8:9], exec
	s_or_b64 s[4:5], s[4:5], s[8:9]
	s_or_b64 exec, exec, s[6:7]
	s_and_saveexec_b64 s[6:7], s[4:5]
	s_cbranch_execnz .LBB12_367
	s_branch .LBB12_368
.LBB12_2417:
	s_movk_i32 s4, 0x80
	v_cmp_eq_u16_e32 vcc, s4, v3
	s_mov_b64 s[4:5], -1
                                        ; implicit-def: $sgpr10
	s_and_saveexec_b64 s[8:9], vcc
; %bb.2418:
	s_mov_b32 s10, 0x7f800001
	s_xor_b64 s[4:5], exec, -1
; %bb.2419:
	s_or_b64 exec, exec, s[8:9]
	s_and_b64 s[4:5], s[4:5], exec
                                        ; implicit-def: $vgpr3
	s_or_saveexec_b64 s[6:7], s[6:7]
	v_mov_b32_e32 v2, s10
	s_xor_b64 exec, exec, s[6:7]
	s_cbranch_execz .LBB12_370
.LBB12_2420:
	v_cmp_ne_u16_e32 vcc, 0, v3
	s_andn2_b64 s[4:5], s[4:5], exec
	s_and_b64 s[8:9], vcc, exec
	v_mov_b32_e32 v2, 0
	s_or_b64 s[4:5], s[4:5], s[8:9]
	s_or_b64 exec, exec, s[6:7]
	s_and_saveexec_b64 s[6:7], s[4:5]
	s_cbranch_execnz .LBB12_371
	s_branch .LBB12_372
.LBB12_2421:
	s_movk_i32 s4, 0x80
	v_cmp_eq_u16_e32 vcc, s4, v3
	s_mov_b64 s[4:5], -1
                                        ; implicit-def: $sgpr10
	s_and_saveexec_b64 s[8:9], vcc
; %bb.2422:
	s_mov_b32 s10, 0x7f800001
	s_xor_b64 s[4:5], exec, -1
; %bb.2423:
	s_or_b64 exec, exec, s[8:9]
	s_and_b64 s[4:5], s[4:5], exec
                                        ; implicit-def: $vgpr3
	s_or_saveexec_b64 s[6:7], s[6:7]
	v_mov_b32_e32 v4, s10
	s_xor_b64 exec, exec, s[6:7]
	s_cbranch_execz .LBB12_374
.LBB12_2424:
	v_cmp_ne_u16_e32 vcc, 0, v3
	s_andn2_b64 s[4:5], s[4:5], exec
	s_and_b64 s[8:9], vcc, exec
	v_mov_b32_e32 v4, 0
	s_or_b64 s[4:5], s[4:5], s[8:9]
	s_or_b64 exec, exec, s[6:7]
	s_and_saveexec_b64 s[6:7], s[4:5]
	s_cbranch_execnz .LBB12_375
	s_branch .LBB12_376
.LBB12_2425:
	s_movk_i32 s4, 0x80
	v_cmp_eq_u16_sdwa s[12:13], v9, s4 src0_sel:BYTE_3 src1_sel:DWORD
	s_mov_b64 s[4:5], -1
                                        ; implicit-def: $sgpr10
	s_and_saveexec_b64 s[8:9], s[12:13]
; %bb.2426:
	s_mov_b32 s10, 0x7f800001
	s_xor_b64 s[4:5], exec, -1
; %bb.2427:
	s_or_b64 exec, exec, s[8:9]
	s_and_b64 s[4:5], s[4:5], exec
	s_or_saveexec_b64 s[6:7], s[6:7]
	v_mov_b32_e32 v2, s10
	s_xor_b64 exec, exec, s[6:7]
	s_cbranch_execz .LBB12_378
.LBB12_2428:
	v_mov_b32_e32 v2, 0
	v_cmp_ne_u16_sdwa s[8:9], v9, v2 src0_sel:BYTE_3 src1_sel:DWORD
	s_andn2_b64 s[4:5], s[4:5], exec
	s_and_b64 s[8:9], s[8:9], exec
	s_or_b64 s[4:5], s[4:5], s[8:9]
	s_or_b64 exec, exec, s[6:7]
	s_and_saveexec_b64 s[6:7], s[4:5]
	s_cbranch_execnz .LBB12_379
	s_branch .LBB12_380
.LBB12_2429:
	s_movk_i32 s4, 0x80
	v_cmp_eq_u16_sdwa s[12:13], v5, s4 src0_sel:BYTE_3 src1_sel:DWORD
	s_mov_b64 s[4:5], -1
                                        ; implicit-def: $sgpr10
	s_and_saveexec_b64 s[8:9], s[12:13]
; %bb.2430:
	s_mov_b32 s10, 0x7f800001
	s_xor_b64 s[4:5], exec, -1
; %bb.2431:
	s_or_b64 exec, exec, s[8:9]
	s_and_b64 s[4:5], s[4:5], exec
	s_or_saveexec_b64 s[6:7], s[6:7]
	v_mov_b32_e32 v3, s10
	s_xor_b64 exec, exec, s[6:7]
	s_cbranch_execz .LBB12_382
.LBB12_2432:
	v_mov_b32_e32 v3, 0
	v_cmp_ne_u16_sdwa s[8:9], v5, v3 src0_sel:BYTE_3 src1_sel:DWORD
	s_andn2_b64 s[4:5], s[4:5], exec
	s_and_b64 s[8:9], s[8:9], exec
	s_or_b64 s[4:5], s[4:5], s[8:9]
	s_or_b64 exec, exec, s[6:7]
	s_and_saveexec_b64 s[6:7], s[4:5]
	s_cbranch_execnz .LBB12_383
	s_branch .LBB12_384
.LBB12_2433:
	s_movk_i32 s4, 0x80
	v_cmp_eq_u16_sdwa s[12:13], v6, s4 src0_sel:BYTE_0 src1_sel:DWORD
	s_mov_b64 s[4:5], -1
                                        ; implicit-def: $sgpr10
	s_and_saveexec_b64 s[8:9], s[12:13]
; %bb.2434:
	s_mov_b32 s10, 0x7f800001
	s_xor_b64 s[4:5], exec, -1
; %bb.2435:
	s_or_b64 exec, exec, s[8:9]
	s_and_b64 s[4:5], s[4:5], exec
	s_or_saveexec_b64 s[6:7], s[6:7]
	v_mov_b32_e32 v12, s10
	s_xor_b64 exec, exec, s[6:7]
	s_cbranch_execz .LBB12_386
.LBB12_2436:
	v_mov_b32_e32 v12, 0
	v_cmp_ne_u16_sdwa s[8:9], v6, v12 src0_sel:BYTE_0 src1_sel:DWORD
	s_andn2_b64 s[4:5], s[4:5], exec
	s_and_b64 s[8:9], s[8:9], exec
	s_or_b64 s[4:5], s[4:5], s[8:9]
	s_or_b64 exec, exec, s[6:7]
	s_and_saveexec_b64 s[6:7], s[4:5]
	s_cbranch_execnz .LBB12_387
	s_branch .LBB12_388
.LBB12_2437:
	s_movk_i32 s4, 0x80
	v_cmp_eq_u16_sdwa s[12:13], v2, s4 src0_sel:BYTE_0 src1_sel:DWORD
	s_mov_b64 s[4:5], -1
                                        ; implicit-def: $sgpr10
	s_and_saveexec_b64 s[8:9], s[12:13]
; %bb.2438:
	s_mov_b32 s10, 0x7f800001
	s_xor_b64 s[4:5], exec, -1
; %bb.2439:
	s_or_b64 exec, exec, s[8:9]
	s_and_b64 s[4:5], s[4:5], exec
	s_or_saveexec_b64 s[6:7], s[6:7]
	v_mov_b32_e32 v13, s10
	s_xor_b64 exec, exec, s[6:7]
	s_cbranch_execz .LBB12_390
.LBB12_2440:
	v_mov_b32_e32 v13, 0
	v_cmp_ne_u16_sdwa s[8:9], v2, v13 src0_sel:BYTE_0 src1_sel:DWORD
	s_andn2_b64 s[4:5], s[4:5], exec
	s_and_b64 s[8:9], s[8:9], exec
	s_or_b64 s[4:5], s[4:5], s[8:9]
	s_or_b64 exec, exec, s[6:7]
	s_and_saveexec_b64 s[6:7], s[4:5]
	s_cbranch_execnz .LBB12_391
	s_branch .LBB12_392
.LBB12_2441:
	s_movk_i32 s4, 0x80
	v_cmp_eq_u16_sdwa s[12:13], v13, s4 src0_sel:BYTE_0 src1_sel:DWORD
	s_mov_b64 s[4:5], -1
                                        ; implicit-def: $sgpr10
	s_and_saveexec_b64 s[8:9], s[12:13]
; %bb.2442:
	s_mov_b32 s10, 0x7f800001
	s_xor_b64 s[4:5], exec, -1
; %bb.2443:
	s_or_b64 exec, exec, s[8:9]
	s_and_b64 s[4:5], s[4:5], exec
	s_or_saveexec_b64 s[6:7], s[6:7]
	v_mov_b32_e32 v12, s10
	s_xor_b64 exec, exec, s[6:7]
	s_cbranch_execz .LBB12_394
.LBB12_2444:
	v_mov_b32_e32 v12, 0
	v_cmp_ne_u16_sdwa s[8:9], v13, v12 src0_sel:BYTE_0 src1_sel:DWORD
	s_andn2_b64 s[4:5], s[4:5], exec
	s_and_b64 s[8:9], s[8:9], exec
	s_or_b64 s[4:5], s[4:5], s[8:9]
	s_or_b64 exec, exec, s[6:7]
	s_and_saveexec_b64 s[6:7], s[4:5]
	s_cbranch_execnz .LBB12_395
	s_branch .LBB12_396
.LBB12_2445:
	s_movk_i32 s4, 0x80
	v_cmp_eq_u16_sdwa s[12:13], v13, s4 src0_sel:BYTE_0 src1_sel:DWORD
	s_mov_b64 s[4:5], -1
                                        ; implicit-def: $sgpr10
	s_and_saveexec_b64 s[8:9], s[12:13]
; %bb.2446:
	s_mov_b32 s10, 0x7f800001
	s_xor_b64 s[4:5], exec, -1
; %bb.2447:
	s_or_b64 exec, exec, s[8:9]
	s_and_b64 s[4:5], s[4:5], exec
	s_or_saveexec_b64 s[6:7], s[6:7]
	v_mov_b32_e32 v14, s10
	s_xor_b64 exec, exec, s[6:7]
	s_cbranch_execz .LBB12_398
.LBB12_2448:
	v_mov_b32_e32 v14, 0
	v_cmp_ne_u16_sdwa s[8:9], v13, v14 src0_sel:BYTE_0 src1_sel:DWORD
	s_andn2_b64 s[4:5], s[4:5], exec
	s_and_b64 s[8:9], s[8:9], exec
	s_or_b64 s[4:5], s[4:5], s[8:9]
	s_or_b64 exec, exec, s[6:7]
	s_and_saveexec_b64 s[6:7], s[4:5]
	s_cbranch_execnz .LBB12_399
	s_branch .LBB12_400
.LBB12_2449:
	s_movk_i32 s4, 0x80
	v_cmp_eq_u16_e32 vcc, s4, v13
	s_mov_b64 s[4:5], -1
                                        ; implicit-def: $sgpr10
	s_and_saveexec_b64 s[8:9], vcc
; %bb.2450:
	s_mov_b32 s10, 0x7f800001
	s_xor_b64 s[4:5], exec, -1
; %bb.2451:
	s_or_b64 exec, exec, s[8:9]
	s_and_b64 s[4:5], s[4:5], exec
                                        ; implicit-def: $vgpr13
	s_or_saveexec_b64 s[6:7], s[6:7]
	v_mov_b32_e32 v12, s10
	s_xor_b64 exec, exec, s[6:7]
	s_cbranch_execz .LBB12_402
.LBB12_2452:
	v_cmp_ne_u16_e32 vcc, 0, v13
	s_andn2_b64 s[4:5], s[4:5], exec
	s_and_b64 s[8:9], vcc, exec
	v_mov_b32_e32 v12, 0
	s_or_b64 s[4:5], s[4:5], s[8:9]
	s_or_b64 exec, exec, s[6:7]
	s_and_saveexec_b64 s[6:7], s[4:5]
	s_cbranch_execnz .LBB12_403
	s_branch .LBB12_404
.LBB12_2453:
	s_movk_i32 s4, 0x80
	v_cmp_eq_u16_e32 vcc, s4, v13
	s_mov_b64 s[4:5], -1
                                        ; implicit-def: $sgpr10
	s_and_saveexec_b64 s[8:9], vcc
; %bb.2454:
	s_mov_b32 s10, 0x7f800001
	s_xor_b64 s[4:5], exec, -1
; %bb.2455:
	s_or_b64 exec, exec, s[8:9]
	s_and_b64 s[4:5], s[4:5], exec
                                        ; implicit-def: $vgpr13
	s_or_saveexec_b64 s[6:7], s[6:7]
	v_mov_b32_e32 v14, s10
	s_xor_b64 exec, exec, s[6:7]
	s_cbranch_execz .LBB12_406
.LBB12_2456:
	v_cmp_ne_u16_e32 vcc, 0, v13
	s_andn2_b64 s[4:5], s[4:5], exec
	s_and_b64 s[8:9], vcc, exec
	v_mov_b32_e32 v14, 0
	s_or_b64 s[4:5], s[4:5], s[8:9]
	s_or_b64 exec, exec, s[6:7]
	s_and_saveexec_b64 s[6:7], s[4:5]
	s_cbranch_execnz .LBB12_407
	s_branch .LBB12_408
.LBB12_2457:
	s_movk_i32 s4, 0x80
	v_cmp_eq_u16_sdwa s[12:13], v6, s4 src0_sel:BYTE_3 src1_sel:DWORD
	s_mov_b64 s[4:5], -1
                                        ; implicit-def: $sgpr10
	s_and_saveexec_b64 s[8:9], s[12:13]
; %bb.2458:
	s_mov_b32 s10, 0x7f800001
	s_xor_b64 s[4:5], exec, -1
; %bb.2459:
	s_or_b64 exec, exec, s[8:9]
	s_and_b64 s[4:5], s[4:5], exec
	s_or_saveexec_b64 s[6:7], s[6:7]
	v_mov_b32_e32 v12, s10
	s_xor_b64 exec, exec, s[6:7]
	s_cbranch_execz .LBB12_410
.LBB12_2460:
	v_mov_b32_e32 v12, 0
	v_cmp_ne_u16_sdwa s[8:9], v6, v12 src0_sel:BYTE_3 src1_sel:DWORD
	s_andn2_b64 s[4:5], s[4:5], exec
	s_and_b64 s[8:9], s[8:9], exec
	s_or_b64 s[4:5], s[4:5], s[8:9]
	s_or_b64 exec, exec, s[6:7]
	s_and_saveexec_b64 s[6:7], s[4:5]
	s_cbranch_execnz .LBB12_411
	s_branch .LBB12_412
.LBB12_2461:
	s_movk_i32 s4, 0x80
	v_cmp_eq_u16_sdwa s[12:13], v2, s4 src0_sel:BYTE_3 src1_sel:DWORD
	s_mov_b64 s[4:5], -1
                                        ; implicit-def: $sgpr10
	s_and_saveexec_b64 s[8:9], s[12:13]
; %bb.2462:
	s_mov_b32 s10, 0x7f800001
	s_xor_b64 s[4:5], exec, -1
; %bb.2463:
	s_or_b64 exec, exec, s[8:9]
	s_and_b64 s[4:5], s[4:5], exec
	s_or_saveexec_b64 s[6:7], s[6:7]
	v_mov_b32_e32 v6, s10
	s_xor_b64 exec, exec, s[6:7]
	s_cbranch_execz .LBB12_414
.LBB12_2464:
	v_mov_b32_e32 v6, 0
	v_cmp_ne_u16_sdwa s[8:9], v2, v6 src0_sel:BYTE_3 src1_sel:DWORD
	s_andn2_b64 s[4:5], s[4:5], exec
	s_and_b64 s[8:9], s[8:9], exec
	s_or_b64 s[4:5], s[4:5], s[8:9]
	s_or_b64 exec, exec, s[6:7]
	s_and_saveexec_b64 s[6:7], s[4:5]
	s_cbranch_execnz .LBB12_415
	s_branch .LBB12_416
.LBB12_2465:
	s_movk_i32 s4, 0x80
	v_cmp_eq_u16_sdwa s[12:13], v7, s4 src0_sel:BYTE_0 src1_sel:DWORD
	s_mov_b64 s[4:5], -1
                                        ; implicit-def: $sgpr10
	s_and_saveexec_b64 s[8:9], s[12:13]
; %bb.2466:
	s_mov_b32 s10, 0x7f800001
	s_xor_b64 s[4:5], exec, -1
; %bb.2467:
	s_or_b64 exec, exec, s[8:9]
	s_and_b64 s[4:5], s[4:5], exec
	s_or_saveexec_b64 s[6:7], s[6:7]
	v_mov_b32_e32 v2, s10
	s_xor_b64 exec, exec, s[6:7]
	s_cbranch_execz .LBB12_418
.LBB12_2468:
	v_mov_b32_e32 v2, 0
	v_cmp_ne_u16_sdwa s[8:9], v7, v2 src0_sel:BYTE_0 src1_sel:DWORD
	s_andn2_b64 s[4:5], s[4:5], exec
	s_and_b64 s[8:9], s[8:9], exec
	s_or_b64 s[4:5], s[4:5], s[8:9]
	s_or_b64 exec, exec, s[6:7]
	s_and_saveexec_b64 s[6:7], s[4:5]
	s_cbranch_execnz .LBB12_419
	s_branch .LBB12_420
.LBB12_2469:
	s_movk_i32 s4, 0x80
	v_cmp_eq_u16_sdwa s[12:13], v3, s4 src0_sel:BYTE_0 src1_sel:DWORD
	s_mov_b64 s[4:5], -1
                                        ; implicit-def: $sgpr10
	s_and_saveexec_b64 s[8:9], s[12:13]
; %bb.2470:
	s_mov_b32 s10, 0x7f800001
	s_xor_b64 s[4:5], exec, -1
; %bb.2471:
	s_or_b64 exec, exec, s[8:9]
	s_and_b64 s[4:5], s[4:5], exec
	s_or_saveexec_b64 s[6:7], s[6:7]
	v_mov_b32_e32 v6, s10
	s_xor_b64 exec, exec, s[6:7]
	s_cbranch_execz .LBB12_422
.LBB12_2472:
	v_mov_b32_e32 v6, 0
	v_cmp_ne_u16_sdwa s[8:9], v3, v6 src0_sel:BYTE_0 src1_sel:DWORD
	s_andn2_b64 s[4:5], s[4:5], exec
	s_and_b64 s[8:9], s[8:9], exec
	s_or_b64 s[4:5], s[4:5], s[8:9]
	s_or_b64 exec, exec, s[6:7]
	s_and_saveexec_b64 s[6:7], s[4:5]
	s_cbranch_execnz .LBB12_423
	s_branch .LBB12_424
.LBB12_2473:
	s_movk_i32 s4, 0x80
	v_cmp_eq_u16_sdwa s[12:13], v6, s4 src0_sel:BYTE_0 src1_sel:DWORD
	s_mov_b64 s[4:5], -1
                                        ; implicit-def: $sgpr10
	s_and_saveexec_b64 s[8:9], s[12:13]
; %bb.2474:
	s_mov_b32 s10, 0x7f800001
	s_xor_b64 s[4:5], exec, -1
; %bb.2475:
	s_or_b64 exec, exec, s[8:9]
	s_and_b64 s[4:5], s[4:5], exec
	s_or_saveexec_b64 s[6:7], s[6:7]
	v_mov_b32_e32 v2, s10
	s_xor_b64 exec, exec, s[6:7]
	s_cbranch_execz .LBB12_426
.LBB12_2476:
	v_mov_b32_e32 v2, 0
	v_cmp_ne_u16_sdwa s[8:9], v6, v2 src0_sel:BYTE_0 src1_sel:DWORD
	s_andn2_b64 s[4:5], s[4:5], exec
	s_and_b64 s[8:9], s[8:9], exec
	s_or_b64 s[4:5], s[4:5], s[8:9]
	s_or_b64 exec, exec, s[6:7]
	s_and_saveexec_b64 s[6:7], s[4:5]
	s_cbranch_execnz .LBB12_427
	s_branch .LBB12_428
.LBB12_2477:
	s_movk_i32 s4, 0x80
	v_cmp_eq_u16_sdwa s[12:13], v6, s4 src0_sel:BYTE_0 src1_sel:DWORD
	s_mov_b64 s[4:5], -1
                                        ; implicit-def: $sgpr10
	s_and_saveexec_b64 s[8:9], s[12:13]
; %bb.2478:
	s_mov_b32 s10, 0x7f800001
	s_xor_b64 s[4:5], exec, -1
; %bb.2479:
	s_or_b64 exec, exec, s[8:9]
	s_and_b64 s[4:5], s[4:5], exec
	s_or_saveexec_b64 s[6:7], s[6:7]
	v_mov_b32_e32 v12, s10
	s_xor_b64 exec, exec, s[6:7]
	s_cbranch_execz .LBB12_430
.LBB12_2480:
	v_mov_b32_e32 v12, 0
	v_cmp_ne_u16_sdwa s[8:9], v6, v12 src0_sel:BYTE_0 src1_sel:DWORD
	s_andn2_b64 s[4:5], s[4:5], exec
	s_and_b64 s[8:9], s[8:9], exec
	s_or_b64 s[4:5], s[4:5], s[8:9]
	s_or_b64 exec, exec, s[6:7]
	s_and_saveexec_b64 s[6:7], s[4:5]
	s_cbranch_execnz .LBB12_431
	s_branch .LBB12_432
.LBB12_2481:
	s_movk_i32 s4, 0x80
	v_cmp_eq_u16_e32 vcc, s4, v6
	s_mov_b64 s[4:5], -1
                                        ; implicit-def: $sgpr10
	s_and_saveexec_b64 s[8:9], vcc
; %bb.2482:
	s_mov_b32 s10, 0x7f800001
	s_xor_b64 s[4:5], exec, -1
; %bb.2483:
	s_or_b64 exec, exec, s[8:9]
	s_and_b64 s[4:5], s[4:5], exec
                                        ; implicit-def: $vgpr6
	s_or_saveexec_b64 s[6:7], s[6:7]
	v_mov_b32_e32 v2, s10
	s_xor_b64 exec, exec, s[6:7]
	s_cbranch_execz .LBB12_434
.LBB12_2484:
	v_cmp_ne_u16_e32 vcc, 0, v6
	s_andn2_b64 s[4:5], s[4:5], exec
	s_and_b64 s[8:9], vcc, exec
	v_mov_b32_e32 v2, 0
	s_or_b64 s[4:5], s[4:5], s[8:9]
	s_or_b64 exec, exec, s[6:7]
	s_and_saveexec_b64 s[6:7], s[4:5]
	s_cbranch_execnz .LBB12_435
	s_branch .LBB12_436
.LBB12_2485:
	s_movk_i32 s4, 0x80
	v_cmp_eq_u16_e32 vcc, s4, v6
	s_mov_b64 s[4:5], -1
                                        ; implicit-def: $sgpr10
	s_and_saveexec_b64 s[8:9], vcc
; %bb.2486:
	s_mov_b32 s10, 0x7f800001
	s_xor_b64 s[4:5], exec, -1
; %bb.2487:
	s_or_b64 exec, exec, s[8:9]
	s_and_b64 s[4:5], s[4:5], exec
                                        ; implicit-def: $vgpr6
	s_or_saveexec_b64 s[6:7], s[6:7]
	v_mov_b32_e32 v12, s10
	s_xor_b64 exec, exec, s[6:7]
	s_cbranch_execz .LBB12_438
.LBB12_2488:
	v_cmp_ne_u16_e32 vcc, 0, v6
	s_andn2_b64 s[4:5], s[4:5], exec
	s_and_b64 s[8:9], vcc, exec
	v_mov_b32_e32 v12, 0
	s_or_b64 s[4:5], s[4:5], s[8:9]
	s_or_b64 exec, exec, s[6:7]
	s_and_saveexec_b64 s[6:7], s[4:5]
	s_cbranch_execnz .LBB12_439
	s_branch .LBB12_440
.LBB12_2489:
	s_movk_i32 s4, 0x80
	v_cmp_eq_u16_sdwa s[12:13], v7, s4 src0_sel:BYTE_3 src1_sel:DWORD
	s_mov_b64 s[4:5], -1
                                        ; implicit-def: $sgpr10
	s_and_saveexec_b64 s[8:9], s[12:13]
; %bb.2490:
	s_mov_b32 s10, 0x7f800001
	s_xor_b64 s[4:5], exec, -1
; %bb.2491:
	s_or_b64 exec, exec, s[8:9]
	s_and_b64 s[4:5], s[4:5], exec
	s_or_saveexec_b64 s[6:7], s[6:7]
	v_mov_b32_e32 v2, s10
	s_xor_b64 exec, exec, s[6:7]
	s_cbranch_execz .LBB12_442
.LBB12_2492:
	v_mov_b32_e32 v2, 0
	v_cmp_ne_u16_sdwa s[8:9], v7, v2 src0_sel:BYTE_3 src1_sel:DWORD
	s_andn2_b64 s[4:5], s[4:5], exec
	s_and_b64 s[8:9], s[8:9], exec
	s_or_b64 s[4:5], s[4:5], s[8:9]
	s_or_b64 exec, exec, s[6:7]
	s_and_saveexec_b64 s[6:7], s[4:5]
	s_cbranch_execnz .LBB12_443
	s_branch .LBB12_444
.LBB12_2493:
	s_movk_i32 s4, 0x80
	v_cmp_eq_u16_sdwa s[12:13], v3, s4 src0_sel:BYTE_3 src1_sel:DWORD
	s_mov_b64 s[4:5], -1
                                        ; implicit-def: $sgpr10
	s_and_saveexec_b64 s[8:9], s[12:13]
; %bb.2494:
	s_mov_b32 s10, 0x7f800001
	s_xor_b64 s[4:5], exec, -1
; %bb.2495:
	s_or_b64 exec, exec, s[8:9]
	s_and_b64 s[4:5], s[4:5], exec
	s_or_saveexec_b64 s[6:7], s[6:7]
	v_mov_b32_e32 v6, s10
	s_xor_b64 exec, exec, s[6:7]
	s_cbranch_execz .LBB12_446
.LBB12_2496:
	v_mov_b32_e32 v6, 0
	v_cmp_ne_u16_sdwa s[8:9], v3, v6 src0_sel:BYTE_3 src1_sel:DWORD
	s_andn2_b64 s[4:5], s[4:5], exec
	s_and_b64 s[8:9], s[8:9], exec
	s_or_b64 s[4:5], s[4:5], s[8:9]
	s_or_b64 exec, exec, s[6:7]
	s_and_saveexec_b64 s[6:7], s[4:5]
	s_cbranch_execnz .LBB12_447
	s_branch .LBB12_448
.LBB12_2497:
	s_movk_i32 s4, 0x80
	v_cmp_eq_u16_sdwa s[12:13], v8, s4 src0_sel:BYTE_0 src1_sel:DWORD
	s_mov_b64 s[4:5], -1
                                        ; implicit-def: $sgpr10
	s_and_saveexec_b64 s[8:9], s[12:13]
; %bb.2498:
	s_mov_b32 s10, 0x7f800001
	s_xor_b64 s[4:5], exec, -1
; %bb.2499:
	s_or_b64 exec, exec, s[8:9]
	s_and_b64 s[4:5], s[4:5], exec
	s_or_saveexec_b64 s[6:7], s[6:7]
	v_mov_b32_e32 v2, s10
	s_xor_b64 exec, exec, s[6:7]
	s_cbranch_execz .LBB12_450
.LBB12_2500:
	v_mov_b32_e32 v2, 0
	v_cmp_ne_u16_sdwa s[8:9], v8, v2 src0_sel:BYTE_0 src1_sel:DWORD
	s_andn2_b64 s[4:5], s[4:5], exec
	s_and_b64 s[8:9], s[8:9], exec
	s_or_b64 s[4:5], s[4:5], s[8:9]
	s_or_b64 exec, exec, s[6:7]
	s_and_saveexec_b64 s[6:7], s[4:5]
	s_cbranch_execnz .LBB12_451
	s_branch .LBB12_452
.LBB12_2501:
	s_movk_i32 s4, 0x80
	v_cmp_eq_u16_sdwa s[12:13], v4, s4 src0_sel:BYTE_0 src1_sel:DWORD
	s_mov_b64 s[4:5], -1
                                        ; implicit-def: $sgpr10
	s_and_saveexec_b64 s[8:9], s[12:13]
; %bb.2502:
	s_mov_b32 s10, 0x7f800001
	s_xor_b64 s[4:5], exec, -1
; %bb.2503:
	s_or_b64 exec, exec, s[8:9]
	s_and_b64 s[4:5], s[4:5], exec
	s_or_saveexec_b64 s[6:7], s[6:7]
	v_mov_b32_e32 v3, s10
	s_xor_b64 exec, exec, s[6:7]
	s_cbranch_execz .LBB12_454
.LBB12_2504:
	v_mov_b32_e32 v3, 0
	v_cmp_ne_u16_sdwa s[8:9], v4, v3 src0_sel:BYTE_0 src1_sel:DWORD
	s_andn2_b64 s[4:5], s[4:5], exec
	s_and_b64 s[8:9], s[8:9], exec
	s_or_b64 s[4:5], s[4:5], s[8:9]
	s_or_b64 exec, exec, s[6:7]
	s_and_saveexec_b64 s[6:7], s[4:5]
	s_cbranch_execnz .LBB12_455
	s_branch .LBB12_456
.LBB12_2505:
	s_movk_i32 s4, 0x80
	v_cmp_eq_u16_sdwa s[12:13], v3, s4 src0_sel:BYTE_0 src1_sel:DWORD
	s_mov_b64 s[4:5], -1
                                        ; implicit-def: $sgpr10
	s_and_saveexec_b64 s[8:9], s[12:13]
; %bb.2506:
	s_mov_b32 s10, 0x7f800001
	s_xor_b64 s[4:5], exec, -1
; %bb.2507:
	s_or_b64 exec, exec, s[8:9]
	s_and_b64 s[4:5], s[4:5], exec
	s_or_saveexec_b64 s[6:7], s[6:7]
	v_mov_b32_e32 v2, s10
	s_xor_b64 exec, exec, s[6:7]
	s_cbranch_execz .LBB12_458
.LBB12_2508:
	v_mov_b32_e32 v2, 0
	v_cmp_ne_u16_sdwa s[8:9], v3, v2 src0_sel:BYTE_0 src1_sel:DWORD
	s_andn2_b64 s[4:5], s[4:5], exec
	s_and_b64 s[8:9], s[8:9], exec
	s_or_b64 s[4:5], s[4:5], s[8:9]
	s_or_b64 exec, exec, s[6:7]
	s_and_saveexec_b64 s[6:7], s[4:5]
	s_cbranch_execnz .LBB12_459
	s_branch .LBB12_460
.LBB12_2509:
	s_movk_i32 s4, 0x80
	v_cmp_eq_u16_sdwa s[12:13], v3, s4 src0_sel:BYTE_0 src1_sel:DWORD
	s_mov_b64 s[4:5], -1
                                        ; implicit-def: $sgpr10
	s_and_saveexec_b64 s[8:9], s[12:13]
; %bb.2510:
	s_mov_b32 s10, 0x7f800001
	s_xor_b64 s[4:5], exec, -1
; %bb.2511:
	s_or_b64 exec, exec, s[8:9]
	s_and_b64 s[4:5], s[4:5], exec
	s_or_saveexec_b64 s[6:7], s[6:7]
	v_mov_b32_e32 v6, s10
	s_xor_b64 exec, exec, s[6:7]
	s_cbranch_execz .LBB12_462
.LBB12_2512:
	v_mov_b32_e32 v6, 0
	v_cmp_ne_u16_sdwa s[8:9], v3, v6 src0_sel:BYTE_0 src1_sel:DWORD
	s_andn2_b64 s[4:5], s[4:5], exec
	s_and_b64 s[8:9], s[8:9], exec
	s_or_b64 s[4:5], s[4:5], s[8:9]
	s_or_b64 exec, exec, s[6:7]
	s_and_saveexec_b64 s[6:7], s[4:5]
	s_cbranch_execnz .LBB12_463
	s_branch .LBB12_464
.LBB12_2513:
	s_movk_i32 s4, 0x80
	v_cmp_eq_u16_e32 vcc, s4, v3
	s_mov_b64 s[4:5], -1
                                        ; implicit-def: $sgpr10
	s_and_saveexec_b64 s[8:9], vcc
; %bb.2514:
	s_mov_b32 s10, 0x7f800001
	s_xor_b64 s[4:5], exec, -1
; %bb.2515:
	s_or_b64 exec, exec, s[8:9]
	s_and_b64 s[4:5], s[4:5], exec
                                        ; implicit-def: $vgpr3
	s_or_saveexec_b64 s[6:7], s[6:7]
	v_mov_b32_e32 v2, s10
	s_xor_b64 exec, exec, s[6:7]
	s_cbranch_execz .LBB12_466
.LBB12_2516:
	v_cmp_ne_u16_e32 vcc, 0, v3
	s_andn2_b64 s[4:5], s[4:5], exec
	s_and_b64 s[8:9], vcc, exec
	v_mov_b32_e32 v2, 0
	s_or_b64 s[4:5], s[4:5], s[8:9]
	s_or_b64 exec, exec, s[6:7]
	s_and_saveexec_b64 s[6:7], s[4:5]
	s_cbranch_execnz .LBB12_467
	s_branch .LBB12_468
.LBB12_2517:
	s_movk_i32 s4, 0x80
	v_cmp_eq_u16_e32 vcc, s4, v3
	s_mov_b64 s[4:5], -1
                                        ; implicit-def: $sgpr10
	s_and_saveexec_b64 s[8:9], vcc
; %bb.2518:
	s_mov_b32 s10, 0x7f800001
	s_xor_b64 s[4:5], exec, -1
; %bb.2519:
	s_or_b64 exec, exec, s[8:9]
	s_and_b64 s[4:5], s[4:5], exec
                                        ; implicit-def: $vgpr3
	s_or_saveexec_b64 s[6:7], s[6:7]
	v_mov_b32_e32 v6, s10
	s_xor_b64 exec, exec, s[6:7]
	s_cbranch_execz .LBB12_470
.LBB12_2520:
	v_cmp_ne_u16_e32 vcc, 0, v3
	s_andn2_b64 s[4:5], s[4:5], exec
	s_and_b64 s[8:9], vcc, exec
	v_mov_b32_e32 v6, 0
	s_or_b64 s[4:5], s[4:5], s[8:9]
	s_or_b64 exec, exec, s[6:7]
	s_and_saveexec_b64 s[6:7], s[4:5]
	s_cbranch_execnz .LBB12_471
	s_branch .LBB12_472
.LBB12_2521:
	s_movk_i32 s4, 0x80
	v_cmp_eq_u16_sdwa s[12:13], v8, s4 src0_sel:BYTE_3 src1_sel:DWORD
	s_mov_b64 s[4:5], -1
                                        ; implicit-def: $sgpr10
	s_and_saveexec_b64 s[8:9], s[12:13]
; %bb.2522:
	s_mov_b32 s10, 0x7f800001
	s_xor_b64 s[4:5], exec, -1
; %bb.2523:
	s_or_b64 exec, exec, s[8:9]
	s_and_b64 s[4:5], s[4:5], exec
	s_or_saveexec_b64 s[6:7], s[6:7]
	v_mov_b32_e32 v2, s10
	s_xor_b64 exec, exec, s[6:7]
	s_cbranch_execz .LBB12_474
.LBB12_2524:
	v_mov_b32_e32 v2, 0
	v_cmp_ne_u16_sdwa s[8:9], v8, v2 src0_sel:BYTE_3 src1_sel:DWORD
	s_andn2_b64 s[4:5], s[4:5], exec
	s_and_b64 s[8:9], s[8:9], exec
	s_or_b64 s[4:5], s[4:5], s[8:9]
	s_or_b64 exec, exec, s[6:7]
	s_and_saveexec_b64 s[6:7], s[4:5]
	s_cbranch_execnz .LBB12_475
	s_branch .LBB12_476
.LBB12_2525:
	s_movk_i32 s4, 0x80
	v_cmp_eq_u16_sdwa s[12:13], v4, s4 src0_sel:BYTE_3 src1_sel:DWORD
	s_mov_b64 s[4:5], -1
                                        ; implicit-def: $sgpr10
	s_and_saveexec_b64 s[8:9], s[12:13]
; %bb.2526:
	s_mov_b32 s10, 0x7f800001
	s_xor_b64 s[4:5], exec, -1
; %bb.2527:
	s_or_b64 exec, exec, s[8:9]
	s_and_b64 s[4:5], s[4:5], exec
	s_or_saveexec_b64 s[6:7], s[6:7]
	v_mov_b32_e32 v3, s10
	s_xor_b64 exec, exec, s[6:7]
	s_cbranch_execz .LBB12_478
.LBB12_2528:
	v_mov_b32_e32 v3, 0
	v_cmp_ne_u16_sdwa s[8:9], v4, v3 src0_sel:BYTE_3 src1_sel:DWORD
	s_andn2_b64 s[4:5], s[4:5], exec
	s_and_b64 s[8:9], s[8:9], exec
	s_or_b64 s[4:5], s[4:5], s[8:9]
	s_or_b64 exec, exec, s[6:7]
	s_and_saveexec_b64 s[6:7], s[4:5]
	s_cbranch_execnz .LBB12_479
	s_branch .LBB12_480
.LBB12_2529:
	s_movk_i32 s4, 0x80
	v_cmp_eq_u16_sdwa s[12:13], v9, s4 src0_sel:BYTE_0 src1_sel:DWORD
	s_mov_b64 s[4:5], -1
                                        ; implicit-def: $sgpr10
	s_and_saveexec_b64 s[8:9], s[12:13]
; %bb.2530:
	s_mov_b32 s10, 0x7f800001
	s_xor_b64 s[4:5], exec, -1
; %bb.2531:
	s_or_b64 exec, exec, s[8:9]
	s_and_b64 s[4:5], s[4:5], exec
	s_or_saveexec_b64 s[6:7], s[6:7]
	v_mov_b32_e32 v2, s10
	s_xor_b64 exec, exec, s[6:7]
	s_cbranch_execz .LBB12_482
.LBB12_2532:
	v_mov_b32_e32 v2, 0
	v_cmp_ne_u16_sdwa s[8:9], v9, v2 src0_sel:BYTE_0 src1_sel:DWORD
	s_andn2_b64 s[4:5], s[4:5], exec
	s_and_b64 s[8:9], s[8:9], exec
	s_or_b64 s[4:5], s[4:5], s[8:9]
	s_or_b64 exec, exec, s[6:7]
	s_and_saveexec_b64 s[6:7], s[4:5]
	s_cbranch_execnz .LBB12_483
	s_branch .LBB12_484
.LBB12_2533:
	s_movk_i32 s4, 0x80
	v_cmp_eq_u16_sdwa s[12:13], v5, s4 src0_sel:BYTE_0 src1_sel:DWORD
	s_mov_b64 s[4:5], -1
                                        ; implicit-def: $sgpr10
	s_and_saveexec_b64 s[8:9], s[12:13]
; %bb.2534:
	s_mov_b32 s10, 0x7f800001
	s_xor_b64 s[4:5], exec, -1
; %bb.2535:
	s_or_b64 exec, exec, s[8:9]
	s_and_b64 s[4:5], s[4:5], exec
	s_or_saveexec_b64 s[6:7], s[6:7]
	v_mov_b32_e32 v3, s10
	s_xor_b64 exec, exec, s[6:7]
	s_cbranch_execz .LBB12_486
.LBB12_2536:
	v_mov_b32_e32 v3, 0
	v_cmp_ne_u16_sdwa s[8:9], v5, v3 src0_sel:BYTE_0 src1_sel:DWORD
	s_andn2_b64 s[4:5], s[4:5], exec
	s_and_b64 s[8:9], s[8:9], exec
	s_or_b64 s[4:5], s[4:5], s[8:9]
	s_or_b64 exec, exec, s[6:7]
	s_and_saveexec_b64 s[6:7], s[4:5]
	s_cbranch_execnz .LBB12_487
	s_branch .LBB12_488
.LBB12_2537:
	s_movk_i32 s4, 0x80
	v_cmp_eq_u16_sdwa s[12:13], v3, s4 src0_sel:BYTE_0 src1_sel:DWORD
	s_mov_b64 s[4:5], -1
                                        ; implicit-def: $sgpr10
	s_and_saveexec_b64 s[8:9], s[12:13]
; %bb.2538:
	s_mov_b32 s10, 0x7f800001
	s_xor_b64 s[4:5], exec, -1
; %bb.2539:
	s_or_b64 exec, exec, s[8:9]
	s_and_b64 s[4:5], s[4:5], exec
	s_or_saveexec_b64 s[6:7], s[6:7]
	v_mov_b32_e32 v2, s10
	s_xor_b64 exec, exec, s[6:7]
	s_cbranch_execz .LBB12_490
.LBB12_2540:
	v_mov_b32_e32 v2, 0
	v_cmp_ne_u16_sdwa s[8:9], v3, v2 src0_sel:BYTE_0 src1_sel:DWORD
	s_andn2_b64 s[4:5], s[4:5], exec
	s_and_b64 s[8:9], s[8:9], exec
	s_or_b64 s[4:5], s[4:5], s[8:9]
	s_or_b64 exec, exec, s[6:7]
	s_and_saveexec_b64 s[6:7], s[4:5]
	s_cbranch_execnz .LBB12_491
	s_branch .LBB12_492
.LBB12_2541:
	s_movk_i32 s4, 0x80
	v_cmp_eq_u16_sdwa s[12:13], v3, s4 src0_sel:BYTE_0 src1_sel:DWORD
	s_mov_b64 s[4:5], -1
                                        ; implicit-def: $sgpr10
	s_and_saveexec_b64 s[8:9], s[12:13]
; %bb.2542:
	s_mov_b32 s10, 0x7f800001
	s_xor_b64 s[4:5], exec, -1
; %bb.2543:
	s_or_b64 exec, exec, s[8:9]
	s_and_b64 s[4:5], s[4:5], exec
	s_or_saveexec_b64 s[6:7], s[6:7]
	v_mov_b32_e32 v4, s10
	s_xor_b64 exec, exec, s[6:7]
	s_cbranch_execz .LBB12_494
.LBB12_2544:
	v_mov_b32_e32 v4, 0
	v_cmp_ne_u16_sdwa s[8:9], v3, v4 src0_sel:BYTE_0 src1_sel:DWORD
	s_andn2_b64 s[4:5], s[4:5], exec
	s_and_b64 s[8:9], s[8:9], exec
	s_or_b64 s[4:5], s[4:5], s[8:9]
	s_or_b64 exec, exec, s[6:7]
	s_and_saveexec_b64 s[6:7], s[4:5]
	s_cbranch_execnz .LBB12_495
	s_branch .LBB12_496
.LBB12_2545:
	s_movk_i32 s4, 0x80
	v_cmp_eq_u16_e32 vcc, s4, v3
	s_mov_b64 s[4:5], -1
                                        ; implicit-def: $sgpr10
	s_and_saveexec_b64 s[8:9], vcc
; %bb.2546:
	s_mov_b32 s10, 0x7f800001
	s_xor_b64 s[4:5], exec, -1
; %bb.2547:
	s_or_b64 exec, exec, s[8:9]
	s_and_b64 s[4:5], s[4:5], exec
                                        ; implicit-def: $vgpr3
	s_or_saveexec_b64 s[6:7], s[6:7]
	v_mov_b32_e32 v2, s10
	s_xor_b64 exec, exec, s[6:7]
	s_cbranch_execz .LBB12_498
.LBB12_2548:
	v_cmp_ne_u16_e32 vcc, 0, v3
	s_andn2_b64 s[4:5], s[4:5], exec
	s_and_b64 s[8:9], vcc, exec
	v_mov_b32_e32 v2, 0
	s_or_b64 s[4:5], s[4:5], s[8:9]
	s_or_b64 exec, exec, s[6:7]
	s_and_saveexec_b64 s[6:7], s[4:5]
	s_cbranch_execnz .LBB12_499
	s_branch .LBB12_500
.LBB12_2549:
	s_movk_i32 s4, 0x80
	v_cmp_eq_u16_e32 vcc, s4, v3
	s_mov_b64 s[4:5], -1
                                        ; implicit-def: $sgpr10
	s_and_saveexec_b64 s[8:9], vcc
; %bb.2550:
	s_mov_b32 s10, 0x7f800001
	s_xor_b64 s[4:5], exec, -1
; %bb.2551:
	s_or_b64 exec, exec, s[8:9]
	s_and_b64 s[4:5], s[4:5], exec
                                        ; implicit-def: $vgpr3
	s_or_saveexec_b64 s[6:7], s[6:7]
	v_mov_b32_e32 v4, s10
	s_xor_b64 exec, exec, s[6:7]
	s_cbranch_execz .LBB12_502
.LBB12_2552:
	v_cmp_ne_u16_e32 vcc, 0, v3
	s_andn2_b64 s[4:5], s[4:5], exec
	s_and_b64 s[8:9], vcc, exec
	v_mov_b32_e32 v4, 0
	s_or_b64 s[4:5], s[4:5], s[8:9]
	s_or_b64 exec, exec, s[6:7]
	s_and_saveexec_b64 s[6:7], s[4:5]
	s_cbranch_execnz .LBB12_503
	s_branch .LBB12_504
.LBB12_2553:
	s_movk_i32 s4, 0x80
	v_cmp_eq_u16_sdwa s[12:13], v9, s4 src0_sel:BYTE_3 src1_sel:DWORD
	s_mov_b64 s[4:5], -1
                                        ; implicit-def: $sgpr10
	s_and_saveexec_b64 s[8:9], s[12:13]
; %bb.2554:
	s_mov_b32 s10, 0x7f800001
	s_xor_b64 s[4:5], exec, -1
; %bb.2555:
	s_or_b64 exec, exec, s[8:9]
	s_and_b64 s[4:5], s[4:5], exec
	s_or_saveexec_b64 s[6:7], s[6:7]
	v_mov_b32_e32 v2, s10
	s_xor_b64 exec, exec, s[6:7]
	s_cbranch_execz .LBB12_506
.LBB12_2556:
	v_mov_b32_e32 v2, 0
	v_cmp_ne_u16_sdwa s[8:9], v9, v2 src0_sel:BYTE_3 src1_sel:DWORD
	s_andn2_b64 s[4:5], s[4:5], exec
	s_and_b64 s[8:9], s[8:9], exec
	s_or_b64 s[4:5], s[4:5], s[8:9]
	s_or_b64 exec, exec, s[6:7]
	s_and_saveexec_b64 s[6:7], s[4:5]
	s_cbranch_execnz .LBB12_507
	s_branch .LBB12_508
.LBB12_2557:
	s_movk_i32 s4, 0x80
	v_cmp_eq_u16_sdwa s[12:13], v5, s4 src0_sel:BYTE_3 src1_sel:DWORD
	s_mov_b64 s[4:5], -1
                                        ; implicit-def: $sgpr10
	s_and_saveexec_b64 s[8:9], s[12:13]
; %bb.2558:
	s_mov_b32 s10, 0x7f800001
	s_xor_b64 s[4:5], exec, -1
; %bb.2559:
	s_or_b64 exec, exec, s[8:9]
	s_and_b64 s[4:5], s[4:5], exec
	s_or_saveexec_b64 s[6:7], s[6:7]
	v_mov_b32_e32 v3, s10
	s_xor_b64 exec, exec, s[6:7]
	s_cbranch_execz .LBB12_510
.LBB12_2560:
	v_mov_b32_e32 v3, 0
	v_cmp_ne_u16_sdwa s[8:9], v5, v3 src0_sel:BYTE_3 src1_sel:DWORD
	s_andn2_b64 s[4:5], s[4:5], exec
	s_and_b64 s[8:9], s[8:9], exec
	s_or_b64 s[4:5], s[4:5], s[8:9]
	s_or_b64 exec, exec, s[6:7]
	s_and_saveexec_b64 s[6:7], s[4:5]
	s_cbranch_execnz .LBB12_511
	s_branch .LBB12_512
.LBB12_2561:
	s_movk_i32 s4, 0x80
	v_cmp_eq_u16_sdwa s[12:13], v6, s4 src0_sel:BYTE_0 src1_sel:DWORD
	s_mov_b64 s[4:5], -1
                                        ; implicit-def: $sgpr10
	s_and_saveexec_b64 s[8:9], s[12:13]
; %bb.2562:
	s_mov_b32 s10, 0x7f800001
	s_xor_b64 s[4:5], exec, -1
; %bb.2563:
	s_or_b64 exec, exec, s[8:9]
	s_and_b64 s[4:5], s[4:5], exec
	s_or_saveexec_b64 s[6:7], s[6:7]
	v_mov_b32_e32 v12, s10
	s_xor_b64 exec, exec, s[6:7]
	s_cbranch_execz .LBB12_514
.LBB12_2564:
	v_mov_b32_e32 v12, 0
	v_cmp_ne_u16_sdwa s[8:9], v6, v12 src0_sel:BYTE_0 src1_sel:DWORD
	s_andn2_b64 s[4:5], s[4:5], exec
	s_and_b64 s[8:9], s[8:9], exec
	s_or_b64 s[4:5], s[4:5], s[8:9]
	s_or_b64 exec, exec, s[6:7]
	s_and_saveexec_b64 s[6:7], s[4:5]
	s_cbranch_execnz .LBB12_515
	s_branch .LBB12_516
.LBB12_2565:
	s_movk_i32 s4, 0x80
	v_cmp_eq_u16_sdwa s[12:13], v2, s4 src0_sel:BYTE_0 src1_sel:DWORD
	s_mov_b64 s[4:5], -1
                                        ; implicit-def: $sgpr10
	s_and_saveexec_b64 s[8:9], s[12:13]
; %bb.2566:
	s_mov_b32 s10, 0x7f800001
	s_xor_b64 s[4:5], exec, -1
; %bb.2567:
	s_or_b64 exec, exec, s[8:9]
	s_and_b64 s[4:5], s[4:5], exec
	s_or_saveexec_b64 s[6:7], s[6:7]
	v_mov_b32_e32 v13, s10
	s_xor_b64 exec, exec, s[6:7]
	s_cbranch_execz .LBB12_518
.LBB12_2568:
	v_mov_b32_e32 v13, 0
	v_cmp_ne_u16_sdwa s[8:9], v2, v13 src0_sel:BYTE_0 src1_sel:DWORD
	s_andn2_b64 s[4:5], s[4:5], exec
	s_and_b64 s[8:9], s[8:9], exec
	s_or_b64 s[4:5], s[4:5], s[8:9]
	s_or_b64 exec, exec, s[6:7]
	s_and_saveexec_b64 s[6:7], s[4:5]
	s_cbranch_execnz .LBB12_519
	s_branch .LBB12_520
.LBB12_2569:
	s_movk_i32 s4, 0x80
	v_cmp_eq_u16_sdwa s[12:13], v13, s4 src0_sel:BYTE_0 src1_sel:DWORD
	s_mov_b64 s[4:5], -1
                                        ; implicit-def: $sgpr10
	s_and_saveexec_b64 s[8:9], s[12:13]
; %bb.2570:
	s_mov_b32 s10, 0x7f800001
	s_xor_b64 s[4:5], exec, -1
; %bb.2571:
	s_or_b64 exec, exec, s[8:9]
	s_and_b64 s[4:5], s[4:5], exec
	s_or_saveexec_b64 s[6:7], s[6:7]
	v_mov_b32_e32 v12, s10
	s_xor_b64 exec, exec, s[6:7]
	s_cbranch_execz .LBB12_522
.LBB12_2572:
	v_mov_b32_e32 v12, 0
	v_cmp_ne_u16_sdwa s[8:9], v13, v12 src0_sel:BYTE_0 src1_sel:DWORD
	s_andn2_b64 s[4:5], s[4:5], exec
	s_and_b64 s[8:9], s[8:9], exec
	s_or_b64 s[4:5], s[4:5], s[8:9]
	s_or_b64 exec, exec, s[6:7]
	s_and_saveexec_b64 s[6:7], s[4:5]
	s_cbranch_execnz .LBB12_523
	s_branch .LBB12_524
.LBB12_2573:
	s_movk_i32 s4, 0x80
	v_cmp_eq_u16_sdwa s[12:13], v13, s4 src0_sel:BYTE_0 src1_sel:DWORD
	s_mov_b64 s[4:5], -1
                                        ; implicit-def: $sgpr10
	s_and_saveexec_b64 s[8:9], s[12:13]
; %bb.2574:
	s_mov_b32 s10, 0x7f800001
	s_xor_b64 s[4:5], exec, -1
; %bb.2575:
	s_or_b64 exec, exec, s[8:9]
	s_and_b64 s[4:5], s[4:5], exec
	s_or_saveexec_b64 s[6:7], s[6:7]
	v_mov_b32_e32 v14, s10
	s_xor_b64 exec, exec, s[6:7]
	s_cbranch_execz .LBB12_526
.LBB12_2576:
	v_mov_b32_e32 v14, 0
	v_cmp_ne_u16_sdwa s[8:9], v13, v14 src0_sel:BYTE_0 src1_sel:DWORD
	s_andn2_b64 s[4:5], s[4:5], exec
	s_and_b64 s[8:9], s[8:9], exec
	s_or_b64 s[4:5], s[4:5], s[8:9]
	s_or_b64 exec, exec, s[6:7]
	s_and_saveexec_b64 s[6:7], s[4:5]
	s_cbranch_execnz .LBB12_527
	s_branch .LBB12_528
.LBB12_2577:
	s_movk_i32 s4, 0x80
	v_cmp_eq_u16_e32 vcc, s4, v13
	s_mov_b64 s[4:5], -1
                                        ; implicit-def: $sgpr10
	s_and_saveexec_b64 s[8:9], vcc
; %bb.2578:
	s_mov_b32 s10, 0x7f800001
	s_xor_b64 s[4:5], exec, -1
; %bb.2579:
	s_or_b64 exec, exec, s[8:9]
	s_and_b64 s[4:5], s[4:5], exec
                                        ; implicit-def: $vgpr13
	s_or_saveexec_b64 s[6:7], s[6:7]
	v_mov_b32_e32 v12, s10
	s_xor_b64 exec, exec, s[6:7]
	s_cbranch_execz .LBB12_530
.LBB12_2580:
	v_cmp_ne_u16_e32 vcc, 0, v13
	s_andn2_b64 s[4:5], s[4:5], exec
	s_and_b64 s[8:9], vcc, exec
	v_mov_b32_e32 v12, 0
	s_or_b64 s[4:5], s[4:5], s[8:9]
	s_or_b64 exec, exec, s[6:7]
	s_and_saveexec_b64 s[6:7], s[4:5]
	s_cbranch_execnz .LBB12_531
	s_branch .LBB12_532
.LBB12_2581:
	s_movk_i32 s4, 0x80
	v_cmp_eq_u16_e32 vcc, s4, v13
	s_mov_b64 s[4:5], -1
                                        ; implicit-def: $sgpr10
	s_and_saveexec_b64 s[8:9], vcc
; %bb.2582:
	s_mov_b32 s10, 0x7f800001
	s_xor_b64 s[4:5], exec, -1
; %bb.2583:
	s_or_b64 exec, exec, s[8:9]
	s_and_b64 s[4:5], s[4:5], exec
                                        ; implicit-def: $vgpr13
	s_or_saveexec_b64 s[6:7], s[6:7]
	v_mov_b32_e32 v14, s10
	s_xor_b64 exec, exec, s[6:7]
	s_cbranch_execz .LBB12_534
.LBB12_2584:
	v_cmp_ne_u16_e32 vcc, 0, v13
	s_andn2_b64 s[4:5], s[4:5], exec
	s_and_b64 s[8:9], vcc, exec
	v_mov_b32_e32 v14, 0
	s_or_b64 s[4:5], s[4:5], s[8:9]
	s_or_b64 exec, exec, s[6:7]
	s_and_saveexec_b64 s[6:7], s[4:5]
	s_cbranch_execnz .LBB12_535
	s_branch .LBB12_536
.LBB12_2585:
	s_movk_i32 s4, 0x80
	v_cmp_eq_u16_sdwa s[12:13], v6, s4 src0_sel:BYTE_3 src1_sel:DWORD
	s_mov_b64 s[4:5], -1
                                        ; implicit-def: $sgpr10
	s_and_saveexec_b64 s[8:9], s[12:13]
; %bb.2586:
	s_mov_b32 s10, 0x7f800001
	s_xor_b64 s[4:5], exec, -1
; %bb.2587:
	s_or_b64 exec, exec, s[8:9]
	s_and_b64 s[4:5], s[4:5], exec
	s_or_saveexec_b64 s[6:7], s[6:7]
	v_mov_b32_e32 v12, s10
	s_xor_b64 exec, exec, s[6:7]
	s_cbranch_execz .LBB12_538
.LBB12_2588:
	v_mov_b32_e32 v12, 0
	v_cmp_ne_u16_sdwa s[8:9], v6, v12 src0_sel:BYTE_3 src1_sel:DWORD
	s_andn2_b64 s[4:5], s[4:5], exec
	s_and_b64 s[8:9], s[8:9], exec
	s_or_b64 s[4:5], s[4:5], s[8:9]
	s_or_b64 exec, exec, s[6:7]
	s_and_saveexec_b64 s[6:7], s[4:5]
	s_cbranch_execnz .LBB12_539
	s_branch .LBB12_540
.LBB12_2589:
	s_movk_i32 s4, 0x80
	v_cmp_eq_u16_sdwa s[12:13], v2, s4 src0_sel:BYTE_3 src1_sel:DWORD
	s_mov_b64 s[4:5], -1
                                        ; implicit-def: $sgpr10
	s_and_saveexec_b64 s[8:9], s[12:13]
; %bb.2590:
	s_mov_b32 s10, 0x7f800001
	s_xor_b64 s[4:5], exec, -1
; %bb.2591:
	s_or_b64 exec, exec, s[8:9]
	s_and_b64 s[4:5], s[4:5], exec
	s_or_saveexec_b64 s[6:7], s[6:7]
	v_mov_b32_e32 v6, s10
	s_xor_b64 exec, exec, s[6:7]
	s_cbranch_execz .LBB12_542
.LBB12_2592:
	v_mov_b32_e32 v6, 0
	v_cmp_ne_u16_sdwa s[8:9], v2, v6 src0_sel:BYTE_3 src1_sel:DWORD
	s_andn2_b64 s[4:5], s[4:5], exec
	s_and_b64 s[8:9], s[8:9], exec
	s_or_b64 s[4:5], s[4:5], s[8:9]
	s_or_b64 exec, exec, s[6:7]
	s_and_saveexec_b64 s[6:7], s[4:5]
	s_cbranch_execnz .LBB12_543
	s_branch .LBB12_544
.LBB12_2593:
	s_movk_i32 s4, 0x80
	v_cmp_eq_u16_sdwa s[12:13], v7, s4 src0_sel:BYTE_0 src1_sel:DWORD
	s_mov_b64 s[4:5], -1
                                        ; implicit-def: $sgpr10
	s_and_saveexec_b64 s[8:9], s[12:13]
; %bb.2594:
	s_mov_b32 s10, 0x7f800001
	s_xor_b64 s[4:5], exec, -1
; %bb.2595:
	s_or_b64 exec, exec, s[8:9]
	s_and_b64 s[4:5], s[4:5], exec
	s_or_saveexec_b64 s[6:7], s[6:7]
	v_mov_b32_e32 v2, s10
	s_xor_b64 exec, exec, s[6:7]
	s_cbranch_execz .LBB12_546
.LBB12_2596:
	v_mov_b32_e32 v2, 0
	v_cmp_ne_u16_sdwa s[8:9], v7, v2 src0_sel:BYTE_0 src1_sel:DWORD
	s_andn2_b64 s[4:5], s[4:5], exec
	s_and_b64 s[8:9], s[8:9], exec
	s_or_b64 s[4:5], s[4:5], s[8:9]
	s_or_b64 exec, exec, s[6:7]
	s_and_saveexec_b64 s[6:7], s[4:5]
	s_cbranch_execnz .LBB12_547
	s_branch .LBB12_548
.LBB12_2597:
	s_movk_i32 s4, 0x80
	v_cmp_eq_u16_sdwa s[12:13], v3, s4 src0_sel:BYTE_0 src1_sel:DWORD
	s_mov_b64 s[4:5], -1
                                        ; implicit-def: $sgpr10
	s_and_saveexec_b64 s[8:9], s[12:13]
; %bb.2598:
	s_mov_b32 s10, 0x7f800001
	s_xor_b64 s[4:5], exec, -1
; %bb.2599:
	s_or_b64 exec, exec, s[8:9]
	s_and_b64 s[4:5], s[4:5], exec
	s_or_saveexec_b64 s[6:7], s[6:7]
	v_mov_b32_e32 v6, s10
	s_xor_b64 exec, exec, s[6:7]
	s_cbranch_execz .LBB12_550
.LBB12_2600:
	v_mov_b32_e32 v6, 0
	v_cmp_ne_u16_sdwa s[8:9], v3, v6 src0_sel:BYTE_0 src1_sel:DWORD
	s_andn2_b64 s[4:5], s[4:5], exec
	s_and_b64 s[8:9], s[8:9], exec
	s_or_b64 s[4:5], s[4:5], s[8:9]
	s_or_b64 exec, exec, s[6:7]
	s_and_saveexec_b64 s[6:7], s[4:5]
	s_cbranch_execnz .LBB12_551
	s_branch .LBB12_552
.LBB12_2601:
	s_movk_i32 s4, 0x80
	v_cmp_eq_u16_sdwa s[12:13], v6, s4 src0_sel:BYTE_0 src1_sel:DWORD
	s_mov_b64 s[4:5], -1
                                        ; implicit-def: $sgpr10
	s_and_saveexec_b64 s[8:9], s[12:13]
; %bb.2602:
	s_mov_b32 s10, 0x7f800001
	s_xor_b64 s[4:5], exec, -1
; %bb.2603:
	s_or_b64 exec, exec, s[8:9]
	s_and_b64 s[4:5], s[4:5], exec
	s_or_saveexec_b64 s[6:7], s[6:7]
	v_mov_b32_e32 v2, s10
	s_xor_b64 exec, exec, s[6:7]
	s_cbranch_execz .LBB12_554
.LBB12_2604:
	v_mov_b32_e32 v2, 0
	v_cmp_ne_u16_sdwa s[8:9], v6, v2 src0_sel:BYTE_0 src1_sel:DWORD
	s_andn2_b64 s[4:5], s[4:5], exec
	s_and_b64 s[8:9], s[8:9], exec
	s_or_b64 s[4:5], s[4:5], s[8:9]
	s_or_b64 exec, exec, s[6:7]
	s_and_saveexec_b64 s[6:7], s[4:5]
	s_cbranch_execnz .LBB12_555
	s_branch .LBB12_556
.LBB12_2605:
	s_movk_i32 s4, 0x80
	v_cmp_eq_u16_sdwa s[12:13], v6, s4 src0_sel:BYTE_0 src1_sel:DWORD
	s_mov_b64 s[4:5], -1
                                        ; implicit-def: $sgpr10
	s_and_saveexec_b64 s[8:9], s[12:13]
; %bb.2606:
	s_mov_b32 s10, 0x7f800001
	s_xor_b64 s[4:5], exec, -1
; %bb.2607:
	s_or_b64 exec, exec, s[8:9]
	s_and_b64 s[4:5], s[4:5], exec
	s_or_saveexec_b64 s[6:7], s[6:7]
	v_mov_b32_e32 v12, s10
	s_xor_b64 exec, exec, s[6:7]
	s_cbranch_execz .LBB12_558
.LBB12_2608:
	v_mov_b32_e32 v12, 0
	v_cmp_ne_u16_sdwa s[8:9], v6, v12 src0_sel:BYTE_0 src1_sel:DWORD
	s_andn2_b64 s[4:5], s[4:5], exec
	s_and_b64 s[8:9], s[8:9], exec
	s_or_b64 s[4:5], s[4:5], s[8:9]
	s_or_b64 exec, exec, s[6:7]
	s_and_saveexec_b64 s[6:7], s[4:5]
	s_cbranch_execnz .LBB12_559
	s_branch .LBB12_560
.LBB12_2609:
	s_movk_i32 s4, 0x80
	v_cmp_eq_u16_e32 vcc, s4, v6
	s_mov_b64 s[4:5], -1
                                        ; implicit-def: $sgpr10
	s_and_saveexec_b64 s[8:9], vcc
; %bb.2610:
	s_mov_b32 s10, 0x7f800001
	s_xor_b64 s[4:5], exec, -1
; %bb.2611:
	s_or_b64 exec, exec, s[8:9]
	s_and_b64 s[4:5], s[4:5], exec
                                        ; implicit-def: $vgpr6
	s_or_saveexec_b64 s[6:7], s[6:7]
	v_mov_b32_e32 v2, s10
	s_xor_b64 exec, exec, s[6:7]
	s_cbranch_execz .LBB12_562
.LBB12_2612:
	v_cmp_ne_u16_e32 vcc, 0, v6
	s_andn2_b64 s[4:5], s[4:5], exec
	s_and_b64 s[8:9], vcc, exec
	v_mov_b32_e32 v2, 0
	s_or_b64 s[4:5], s[4:5], s[8:9]
	s_or_b64 exec, exec, s[6:7]
	s_and_saveexec_b64 s[6:7], s[4:5]
	s_cbranch_execnz .LBB12_563
	s_branch .LBB12_564
.LBB12_2613:
	s_movk_i32 s4, 0x80
	v_cmp_eq_u16_e32 vcc, s4, v6
	s_mov_b64 s[4:5], -1
                                        ; implicit-def: $sgpr10
	s_and_saveexec_b64 s[8:9], vcc
; %bb.2614:
	s_mov_b32 s10, 0x7f800001
	s_xor_b64 s[4:5], exec, -1
; %bb.2615:
	s_or_b64 exec, exec, s[8:9]
	s_and_b64 s[4:5], s[4:5], exec
                                        ; implicit-def: $vgpr6
	s_or_saveexec_b64 s[6:7], s[6:7]
	v_mov_b32_e32 v12, s10
	s_xor_b64 exec, exec, s[6:7]
	s_cbranch_execz .LBB12_566
.LBB12_2616:
	v_cmp_ne_u16_e32 vcc, 0, v6
	s_andn2_b64 s[4:5], s[4:5], exec
	s_and_b64 s[8:9], vcc, exec
	v_mov_b32_e32 v12, 0
	s_or_b64 s[4:5], s[4:5], s[8:9]
	s_or_b64 exec, exec, s[6:7]
	s_and_saveexec_b64 s[6:7], s[4:5]
	s_cbranch_execnz .LBB12_567
	s_branch .LBB12_568
.LBB12_2617:
	s_movk_i32 s4, 0x80
	v_cmp_eq_u16_sdwa s[12:13], v7, s4 src0_sel:BYTE_3 src1_sel:DWORD
	s_mov_b64 s[4:5], -1
                                        ; implicit-def: $sgpr10
	s_and_saveexec_b64 s[8:9], s[12:13]
; %bb.2618:
	s_mov_b32 s10, 0x7f800001
	s_xor_b64 s[4:5], exec, -1
; %bb.2619:
	s_or_b64 exec, exec, s[8:9]
	s_and_b64 s[4:5], s[4:5], exec
	s_or_saveexec_b64 s[6:7], s[6:7]
	v_mov_b32_e32 v2, s10
	s_xor_b64 exec, exec, s[6:7]
	s_cbranch_execz .LBB12_570
.LBB12_2620:
	v_mov_b32_e32 v2, 0
	v_cmp_ne_u16_sdwa s[8:9], v7, v2 src0_sel:BYTE_3 src1_sel:DWORD
	s_andn2_b64 s[4:5], s[4:5], exec
	s_and_b64 s[8:9], s[8:9], exec
	s_or_b64 s[4:5], s[4:5], s[8:9]
	s_or_b64 exec, exec, s[6:7]
	s_and_saveexec_b64 s[6:7], s[4:5]
	s_cbranch_execnz .LBB12_571
	s_branch .LBB12_572
.LBB12_2621:
	s_movk_i32 s4, 0x80
	v_cmp_eq_u16_sdwa s[12:13], v3, s4 src0_sel:BYTE_3 src1_sel:DWORD
	s_mov_b64 s[4:5], -1
                                        ; implicit-def: $sgpr10
	s_and_saveexec_b64 s[8:9], s[12:13]
; %bb.2622:
	s_mov_b32 s10, 0x7f800001
	s_xor_b64 s[4:5], exec, -1
; %bb.2623:
	s_or_b64 exec, exec, s[8:9]
	s_and_b64 s[4:5], s[4:5], exec
	s_or_saveexec_b64 s[6:7], s[6:7]
	v_mov_b32_e32 v6, s10
	s_xor_b64 exec, exec, s[6:7]
	s_cbranch_execz .LBB12_574
.LBB12_2624:
	v_mov_b32_e32 v6, 0
	v_cmp_ne_u16_sdwa s[8:9], v3, v6 src0_sel:BYTE_3 src1_sel:DWORD
	s_andn2_b64 s[4:5], s[4:5], exec
	s_and_b64 s[8:9], s[8:9], exec
	s_or_b64 s[4:5], s[4:5], s[8:9]
	s_or_b64 exec, exec, s[6:7]
	s_and_saveexec_b64 s[6:7], s[4:5]
	s_cbranch_execnz .LBB12_575
	s_branch .LBB12_576
.LBB12_2625:
	s_movk_i32 s4, 0x80
	v_cmp_eq_u16_sdwa s[12:13], v8, s4 src0_sel:BYTE_0 src1_sel:DWORD
	s_mov_b64 s[4:5], -1
                                        ; implicit-def: $sgpr10
	s_and_saveexec_b64 s[8:9], s[12:13]
; %bb.2626:
	s_mov_b32 s10, 0x7f800001
	s_xor_b64 s[4:5], exec, -1
; %bb.2627:
	s_or_b64 exec, exec, s[8:9]
	s_and_b64 s[4:5], s[4:5], exec
	s_or_saveexec_b64 s[6:7], s[6:7]
	v_mov_b32_e32 v2, s10
	s_xor_b64 exec, exec, s[6:7]
	s_cbranch_execz .LBB12_578
.LBB12_2628:
	v_mov_b32_e32 v2, 0
	v_cmp_ne_u16_sdwa s[8:9], v8, v2 src0_sel:BYTE_0 src1_sel:DWORD
	s_andn2_b64 s[4:5], s[4:5], exec
	s_and_b64 s[8:9], s[8:9], exec
	s_or_b64 s[4:5], s[4:5], s[8:9]
	s_or_b64 exec, exec, s[6:7]
	s_and_saveexec_b64 s[6:7], s[4:5]
	s_cbranch_execnz .LBB12_579
	s_branch .LBB12_580
.LBB12_2629:
	s_movk_i32 s4, 0x80
	v_cmp_eq_u16_sdwa s[12:13], v4, s4 src0_sel:BYTE_0 src1_sel:DWORD
	s_mov_b64 s[4:5], -1
                                        ; implicit-def: $sgpr10
	s_and_saveexec_b64 s[8:9], s[12:13]
; %bb.2630:
	s_mov_b32 s10, 0x7f800001
	s_xor_b64 s[4:5], exec, -1
; %bb.2631:
	s_or_b64 exec, exec, s[8:9]
	s_and_b64 s[4:5], s[4:5], exec
	s_or_saveexec_b64 s[6:7], s[6:7]
	v_mov_b32_e32 v3, s10
	s_xor_b64 exec, exec, s[6:7]
	s_cbranch_execz .LBB12_582
.LBB12_2632:
	v_mov_b32_e32 v3, 0
	v_cmp_ne_u16_sdwa s[8:9], v4, v3 src0_sel:BYTE_0 src1_sel:DWORD
	s_andn2_b64 s[4:5], s[4:5], exec
	s_and_b64 s[8:9], s[8:9], exec
	s_or_b64 s[4:5], s[4:5], s[8:9]
	s_or_b64 exec, exec, s[6:7]
	s_and_saveexec_b64 s[6:7], s[4:5]
	s_cbranch_execnz .LBB12_583
	s_branch .LBB12_584
.LBB12_2633:
	s_movk_i32 s4, 0x80
	v_cmp_eq_u16_sdwa s[12:13], v3, s4 src0_sel:BYTE_0 src1_sel:DWORD
	s_mov_b64 s[4:5], -1
                                        ; implicit-def: $sgpr10
	s_and_saveexec_b64 s[8:9], s[12:13]
; %bb.2634:
	s_mov_b32 s10, 0x7f800001
	s_xor_b64 s[4:5], exec, -1
; %bb.2635:
	s_or_b64 exec, exec, s[8:9]
	s_and_b64 s[4:5], s[4:5], exec
	s_or_saveexec_b64 s[6:7], s[6:7]
	v_mov_b32_e32 v2, s10
	s_xor_b64 exec, exec, s[6:7]
	s_cbranch_execz .LBB12_586
.LBB12_2636:
	v_mov_b32_e32 v2, 0
	v_cmp_ne_u16_sdwa s[8:9], v3, v2 src0_sel:BYTE_0 src1_sel:DWORD
	s_andn2_b64 s[4:5], s[4:5], exec
	s_and_b64 s[8:9], s[8:9], exec
	s_or_b64 s[4:5], s[4:5], s[8:9]
	s_or_b64 exec, exec, s[6:7]
	s_and_saveexec_b64 s[6:7], s[4:5]
	s_cbranch_execnz .LBB12_587
	s_branch .LBB12_588
.LBB12_2637:
	s_movk_i32 s4, 0x80
	v_cmp_eq_u16_sdwa s[12:13], v3, s4 src0_sel:BYTE_0 src1_sel:DWORD
	s_mov_b64 s[4:5], -1
                                        ; implicit-def: $sgpr10
	s_and_saveexec_b64 s[8:9], s[12:13]
; %bb.2638:
	s_mov_b32 s10, 0x7f800001
	s_xor_b64 s[4:5], exec, -1
; %bb.2639:
	s_or_b64 exec, exec, s[8:9]
	s_and_b64 s[4:5], s[4:5], exec
	s_or_saveexec_b64 s[6:7], s[6:7]
	v_mov_b32_e32 v6, s10
	s_xor_b64 exec, exec, s[6:7]
	s_cbranch_execz .LBB12_590
.LBB12_2640:
	v_mov_b32_e32 v6, 0
	v_cmp_ne_u16_sdwa s[8:9], v3, v6 src0_sel:BYTE_0 src1_sel:DWORD
	s_andn2_b64 s[4:5], s[4:5], exec
	s_and_b64 s[8:9], s[8:9], exec
	s_or_b64 s[4:5], s[4:5], s[8:9]
	s_or_b64 exec, exec, s[6:7]
	s_and_saveexec_b64 s[6:7], s[4:5]
	s_cbranch_execnz .LBB12_591
	s_branch .LBB12_592
.LBB12_2641:
	s_movk_i32 s4, 0x80
	v_cmp_eq_u16_e32 vcc, s4, v3
	s_mov_b64 s[4:5], -1
                                        ; implicit-def: $sgpr10
	s_and_saveexec_b64 s[8:9], vcc
; %bb.2642:
	s_mov_b32 s10, 0x7f800001
	s_xor_b64 s[4:5], exec, -1
; %bb.2643:
	s_or_b64 exec, exec, s[8:9]
	s_and_b64 s[4:5], s[4:5], exec
                                        ; implicit-def: $vgpr3
	s_or_saveexec_b64 s[6:7], s[6:7]
	v_mov_b32_e32 v2, s10
	s_xor_b64 exec, exec, s[6:7]
	s_cbranch_execz .LBB12_594
.LBB12_2644:
	v_cmp_ne_u16_e32 vcc, 0, v3
	s_andn2_b64 s[4:5], s[4:5], exec
	s_and_b64 s[8:9], vcc, exec
	v_mov_b32_e32 v2, 0
	s_or_b64 s[4:5], s[4:5], s[8:9]
	s_or_b64 exec, exec, s[6:7]
	s_and_saveexec_b64 s[6:7], s[4:5]
	s_cbranch_execnz .LBB12_595
	s_branch .LBB12_596
.LBB12_2645:
	s_movk_i32 s4, 0x80
	v_cmp_eq_u16_e32 vcc, s4, v3
	s_mov_b64 s[4:5], -1
                                        ; implicit-def: $sgpr10
	s_and_saveexec_b64 s[8:9], vcc
; %bb.2646:
	s_mov_b32 s10, 0x7f800001
	s_xor_b64 s[4:5], exec, -1
; %bb.2647:
	s_or_b64 exec, exec, s[8:9]
	s_and_b64 s[4:5], s[4:5], exec
                                        ; implicit-def: $vgpr3
	s_or_saveexec_b64 s[6:7], s[6:7]
	v_mov_b32_e32 v6, s10
	s_xor_b64 exec, exec, s[6:7]
	s_cbranch_execz .LBB12_598
.LBB12_2648:
	v_cmp_ne_u16_e32 vcc, 0, v3
	s_andn2_b64 s[4:5], s[4:5], exec
	s_and_b64 s[8:9], vcc, exec
	v_mov_b32_e32 v6, 0
	s_or_b64 s[4:5], s[4:5], s[8:9]
	s_or_b64 exec, exec, s[6:7]
	s_and_saveexec_b64 s[6:7], s[4:5]
	s_cbranch_execnz .LBB12_599
	s_branch .LBB12_600
.LBB12_2649:
	s_movk_i32 s4, 0x80
	v_cmp_eq_u16_sdwa s[12:13], v8, s4 src0_sel:BYTE_3 src1_sel:DWORD
	s_mov_b64 s[4:5], -1
                                        ; implicit-def: $sgpr10
	s_and_saveexec_b64 s[8:9], s[12:13]
; %bb.2650:
	s_mov_b32 s10, 0x7f800001
	s_xor_b64 s[4:5], exec, -1
; %bb.2651:
	s_or_b64 exec, exec, s[8:9]
	s_and_b64 s[4:5], s[4:5], exec
	s_or_saveexec_b64 s[6:7], s[6:7]
	v_mov_b32_e32 v2, s10
	s_xor_b64 exec, exec, s[6:7]
	s_cbranch_execz .LBB12_602
.LBB12_2652:
	v_mov_b32_e32 v2, 0
	v_cmp_ne_u16_sdwa s[8:9], v8, v2 src0_sel:BYTE_3 src1_sel:DWORD
	s_andn2_b64 s[4:5], s[4:5], exec
	s_and_b64 s[8:9], s[8:9], exec
	s_or_b64 s[4:5], s[4:5], s[8:9]
	s_or_b64 exec, exec, s[6:7]
	s_and_saveexec_b64 s[6:7], s[4:5]
	s_cbranch_execnz .LBB12_603
	s_branch .LBB12_604
.LBB12_2653:
	s_movk_i32 s4, 0x80
	v_cmp_eq_u16_sdwa s[12:13], v4, s4 src0_sel:BYTE_3 src1_sel:DWORD
	s_mov_b64 s[4:5], -1
                                        ; implicit-def: $sgpr10
	s_and_saveexec_b64 s[8:9], s[12:13]
; %bb.2654:
	s_mov_b32 s10, 0x7f800001
	s_xor_b64 s[4:5], exec, -1
; %bb.2655:
	s_or_b64 exec, exec, s[8:9]
	s_and_b64 s[4:5], s[4:5], exec
	s_or_saveexec_b64 s[6:7], s[6:7]
	v_mov_b32_e32 v3, s10
	s_xor_b64 exec, exec, s[6:7]
	s_cbranch_execz .LBB12_606
.LBB12_2656:
	v_mov_b32_e32 v3, 0
	v_cmp_ne_u16_sdwa s[8:9], v4, v3 src0_sel:BYTE_3 src1_sel:DWORD
	s_andn2_b64 s[4:5], s[4:5], exec
	s_and_b64 s[8:9], s[8:9], exec
	s_or_b64 s[4:5], s[4:5], s[8:9]
	s_or_b64 exec, exec, s[6:7]
	s_and_saveexec_b64 s[6:7], s[4:5]
	s_cbranch_execnz .LBB12_607
	s_branch .LBB12_608
.LBB12_2657:
	s_movk_i32 s4, 0x80
	v_cmp_eq_u16_sdwa s[12:13], v9, s4 src0_sel:BYTE_0 src1_sel:DWORD
	s_mov_b64 s[4:5], -1
                                        ; implicit-def: $sgpr10
	s_and_saveexec_b64 s[8:9], s[12:13]
; %bb.2658:
	s_mov_b32 s10, 0x7f800001
	s_xor_b64 s[4:5], exec, -1
; %bb.2659:
	s_or_b64 exec, exec, s[8:9]
	s_and_b64 s[4:5], s[4:5], exec
	s_or_saveexec_b64 s[6:7], s[6:7]
	v_mov_b32_e32 v2, s10
	s_xor_b64 exec, exec, s[6:7]
	s_cbranch_execz .LBB12_610
.LBB12_2660:
	v_mov_b32_e32 v2, 0
	v_cmp_ne_u16_sdwa s[8:9], v9, v2 src0_sel:BYTE_0 src1_sel:DWORD
	s_andn2_b64 s[4:5], s[4:5], exec
	s_and_b64 s[8:9], s[8:9], exec
	s_or_b64 s[4:5], s[4:5], s[8:9]
	s_or_b64 exec, exec, s[6:7]
	s_and_saveexec_b64 s[6:7], s[4:5]
	s_cbranch_execnz .LBB12_611
	s_branch .LBB12_612
.LBB12_2661:
	s_movk_i32 s4, 0x80
	v_cmp_eq_u16_sdwa s[12:13], v5, s4 src0_sel:BYTE_0 src1_sel:DWORD
	s_mov_b64 s[4:5], -1
                                        ; implicit-def: $sgpr10
	s_and_saveexec_b64 s[8:9], s[12:13]
; %bb.2662:
	s_mov_b32 s10, 0x7f800001
	s_xor_b64 s[4:5], exec, -1
; %bb.2663:
	s_or_b64 exec, exec, s[8:9]
	s_and_b64 s[4:5], s[4:5], exec
	s_or_saveexec_b64 s[6:7], s[6:7]
	v_mov_b32_e32 v3, s10
	s_xor_b64 exec, exec, s[6:7]
	s_cbranch_execz .LBB12_614
.LBB12_2664:
	v_mov_b32_e32 v3, 0
	v_cmp_ne_u16_sdwa s[8:9], v5, v3 src0_sel:BYTE_0 src1_sel:DWORD
	s_andn2_b64 s[4:5], s[4:5], exec
	s_and_b64 s[8:9], s[8:9], exec
	s_or_b64 s[4:5], s[4:5], s[8:9]
	s_or_b64 exec, exec, s[6:7]
	s_and_saveexec_b64 s[6:7], s[4:5]
	s_cbranch_execnz .LBB12_615
	s_branch .LBB12_616
.LBB12_2665:
	s_movk_i32 s4, 0x80
	v_cmp_eq_u16_sdwa s[12:13], v3, s4 src0_sel:BYTE_0 src1_sel:DWORD
	s_mov_b64 s[4:5], -1
                                        ; implicit-def: $sgpr10
	s_and_saveexec_b64 s[8:9], s[12:13]
; %bb.2666:
	s_mov_b32 s10, 0x7f800001
	s_xor_b64 s[4:5], exec, -1
; %bb.2667:
	s_or_b64 exec, exec, s[8:9]
	s_and_b64 s[4:5], s[4:5], exec
	s_or_saveexec_b64 s[6:7], s[6:7]
	v_mov_b32_e32 v2, s10
	s_xor_b64 exec, exec, s[6:7]
	s_cbranch_execz .LBB12_618
.LBB12_2668:
	v_mov_b32_e32 v2, 0
	v_cmp_ne_u16_sdwa s[8:9], v3, v2 src0_sel:BYTE_0 src1_sel:DWORD
	s_andn2_b64 s[4:5], s[4:5], exec
	s_and_b64 s[8:9], s[8:9], exec
	s_or_b64 s[4:5], s[4:5], s[8:9]
	s_or_b64 exec, exec, s[6:7]
	s_and_saveexec_b64 s[6:7], s[4:5]
	s_cbranch_execnz .LBB12_619
	s_branch .LBB12_620
.LBB12_2669:
	s_movk_i32 s4, 0x80
	v_cmp_eq_u16_sdwa s[12:13], v3, s4 src0_sel:BYTE_0 src1_sel:DWORD
	s_mov_b64 s[4:5], -1
                                        ; implicit-def: $sgpr10
	s_and_saveexec_b64 s[8:9], s[12:13]
; %bb.2670:
	s_mov_b32 s10, 0x7f800001
	s_xor_b64 s[4:5], exec, -1
; %bb.2671:
	s_or_b64 exec, exec, s[8:9]
	s_and_b64 s[4:5], s[4:5], exec
	s_or_saveexec_b64 s[6:7], s[6:7]
	v_mov_b32_e32 v4, s10
	s_xor_b64 exec, exec, s[6:7]
	s_cbranch_execz .LBB12_622
.LBB12_2672:
	v_mov_b32_e32 v4, 0
	v_cmp_ne_u16_sdwa s[8:9], v3, v4 src0_sel:BYTE_0 src1_sel:DWORD
	s_andn2_b64 s[4:5], s[4:5], exec
	s_and_b64 s[8:9], s[8:9], exec
	s_or_b64 s[4:5], s[4:5], s[8:9]
	s_or_b64 exec, exec, s[6:7]
	s_and_saveexec_b64 s[6:7], s[4:5]
	s_cbranch_execnz .LBB12_623
	s_branch .LBB12_624
.LBB12_2673:
	s_movk_i32 s4, 0x80
	v_cmp_eq_u16_e32 vcc, s4, v3
	s_mov_b64 s[4:5], -1
                                        ; implicit-def: $sgpr10
	s_and_saveexec_b64 s[8:9], vcc
; %bb.2674:
	s_mov_b32 s10, 0x7f800001
	s_xor_b64 s[4:5], exec, -1
; %bb.2675:
	s_or_b64 exec, exec, s[8:9]
	s_and_b64 s[4:5], s[4:5], exec
                                        ; implicit-def: $vgpr3
	s_or_saveexec_b64 s[6:7], s[6:7]
	v_mov_b32_e32 v2, s10
	s_xor_b64 exec, exec, s[6:7]
	s_cbranch_execz .LBB12_626
.LBB12_2676:
	v_cmp_ne_u16_e32 vcc, 0, v3
	s_andn2_b64 s[4:5], s[4:5], exec
	s_and_b64 s[8:9], vcc, exec
	v_mov_b32_e32 v2, 0
	s_or_b64 s[4:5], s[4:5], s[8:9]
	s_or_b64 exec, exec, s[6:7]
	s_and_saveexec_b64 s[6:7], s[4:5]
	s_cbranch_execnz .LBB12_627
	s_branch .LBB12_628
.LBB12_2677:
	s_movk_i32 s4, 0x80
	v_cmp_eq_u16_e32 vcc, s4, v3
	s_mov_b64 s[4:5], -1
                                        ; implicit-def: $sgpr10
	s_and_saveexec_b64 s[8:9], vcc
; %bb.2678:
	s_mov_b32 s10, 0x7f800001
	s_xor_b64 s[4:5], exec, -1
; %bb.2679:
	s_or_b64 exec, exec, s[8:9]
	s_and_b64 s[4:5], s[4:5], exec
                                        ; implicit-def: $vgpr3
	s_or_saveexec_b64 s[6:7], s[6:7]
	v_mov_b32_e32 v4, s10
	s_xor_b64 exec, exec, s[6:7]
	s_cbranch_execz .LBB12_630
.LBB12_2680:
	v_cmp_ne_u16_e32 vcc, 0, v3
	s_andn2_b64 s[4:5], s[4:5], exec
	s_and_b64 s[8:9], vcc, exec
	v_mov_b32_e32 v4, 0
	s_or_b64 s[4:5], s[4:5], s[8:9]
	s_or_b64 exec, exec, s[6:7]
	s_and_saveexec_b64 s[6:7], s[4:5]
	s_cbranch_execnz .LBB12_631
	s_branch .LBB12_632
.LBB12_2681:
	s_movk_i32 s4, 0x80
	v_cmp_eq_u16_sdwa s[12:13], v9, s4 src0_sel:BYTE_3 src1_sel:DWORD
	s_mov_b64 s[4:5], -1
                                        ; implicit-def: $sgpr10
	s_and_saveexec_b64 s[8:9], s[12:13]
; %bb.2682:
	s_mov_b32 s10, 0x7f800001
	s_xor_b64 s[4:5], exec, -1
; %bb.2683:
	s_or_b64 exec, exec, s[8:9]
	s_and_b64 s[4:5], s[4:5], exec
	s_or_saveexec_b64 s[6:7], s[6:7]
	v_mov_b32_e32 v2, s10
	s_xor_b64 exec, exec, s[6:7]
	s_cbranch_execz .LBB12_634
.LBB12_2684:
	v_mov_b32_e32 v2, 0
	v_cmp_ne_u16_sdwa s[8:9], v9, v2 src0_sel:BYTE_3 src1_sel:DWORD
	s_andn2_b64 s[4:5], s[4:5], exec
	s_and_b64 s[8:9], s[8:9], exec
	s_or_b64 s[4:5], s[4:5], s[8:9]
	s_or_b64 exec, exec, s[6:7]
	s_and_saveexec_b64 s[6:7], s[4:5]
	s_cbranch_execnz .LBB12_635
	s_branch .LBB12_636
.LBB12_2685:
	s_movk_i32 s4, 0x80
	v_cmp_eq_u16_sdwa s[12:13], v5, s4 src0_sel:BYTE_3 src1_sel:DWORD
	s_mov_b64 s[4:5], -1
                                        ; implicit-def: $sgpr10
	s_and_saveexec_b64 s[8:9], s[12:13]
; %bb.2686:
	s_mov_b32 s10, 0x7f800001
	s_xor_b64 s[4:5], exec, -1
; %bb.2687:
	s_or_b64 exec, exec, s[8:9]
	s_and_b64 s[4:5], s[4:5], exec
	s_or_saveexec_b64 s[6:7], s[6:7]
	v_mov_b32_e32 v3, s10
	s_xor_b64 exec, exec, s[6:7]
	s_cbranch_execz .LBB12_638
.LBB12_2688:
	v_mov_b32_e32 v3, 0
	v_cmp_ne_u16_sdwa s[8:9], v5, v3 src0_sel:BYTE_3 src1_sel:DWORD
	s_andn2_b64 s[4:5], s[4:5], exec
	s_and_b64 s[8:9], s[8:9], exec
	s_or_b64 s[4:5], s[4:5], s[8:9]
	s_or_b64 exec, exec, s[6:7]
	s_and_saveexec_b64 s[6:7], s[4:5]
	s_cbranch_execnz .LBB12_639
	s_branch .LBB12_640
.LBB12_2689:
	s_movk_i32 s4, 0x80
	v_cmp_eq_u16_sdwa s[12:13], v6, s4 src0_sel:BYTE_0 src1_sel:DWORD
	s_mov_b64 s[4:5], -1
                                        ; implicit-def: $sgpr10
	s_and_saveexec_b64 s[8:9], s[12:13]
; %bb.2690:
	s_mov_b32 s10, 0x7f800001
	s_xor_b64 s[4:5], exec, -1
; %bb.2691:
	s_or_b64 exec, exec, s[8:9]
	s_and_b64 s[4:5], s[4:5], exec
	s_or_saveexec_b64 s[6:7], s[6:7]
	v_mov_b32_e32 v12, s10
	s_xor_b64 exec, exec, s[6:7]
	s_cbranch_execz .LBB12_642
.LBB12_2692:
	v_mov_b32_e32 v12, 0
	v_cmp_ne_u16_sdwa s[8:9], v6, v12 src0_sel:BYTE_0 src1_sel:DWORD
	s_andn2_b64 s[4:5], s[4:5], exec
	s_and_b64 s[8:9], s[8:9], exec
	s_or_b64 s[4:5], s[4:5], s[8:9]
	s_or_b64 exec, exec, s[6:7]
	s_and_saveexec_b64 s[6:7], s[4:5]
	s_cbranch_execnz .LBB12_643
	s_branch .LBB12_644
.LBB12_2693:
	s_movk_i32 s4, 0x80
	v_cmp_eq_u16_sdwa s[12:13], v2, s4 src0_sel:BYTE_0 src1_sel:DWORD
	s_mov_b64 s[4:5], -1
                                        ; implicit-def: $sgpr10
	s_and_saveexec_b64 s[8:9], s[12:13]
; %bb.2694:
	s_mov_b32 s10, 0x7f800001
	s_xor_b64 s[4:5], exec, -1
; %bb.2695:
	s_or_b64 exec, exec, s[8:9]
	s_and_b64 s[4:5], s[4:5], exec
	s_or_saveexec_b64 s[6:7], s[6:7]
	v_mov_b32_e32 v13, s10
	s_xor_b64 exec, exec, s[6:7]
	s_cbranch_execz .LBB12_646
.LBB12_2696:
	v_mov_b32_e32 v13, 0
	v_cmp_ne_u16_sdwa s[8:9], v2, v13 src0_sel:BYTE_0 src1_sel:DWORD
	s_andn2_b64 s[4:5], s[4:5], exec
	s_and_b64 s[8:9], s[8:9], exec
	s_or_b64 s[4:5], s[4:5], s[8:9]
	s_or_b64 exec, exec, s[6:7]
	s_and_saveexec_b64 s[6:7], s[4:5]
	s_cbranch_execnz .LBB12_647
	s_branch .LBB12_648
.LBB12_2697:
	s_movk_i32 s4, 0x80
	v_cmp_eq_u16_sdwa s[12:13], v13, s4 src0_sel:BYTE_0 src1_sel:DWORD
	s_mov_b64 s[4:5], -1
                                        ; implicit-def: $sgpr10
	s_and_saveexec_b64 s[8:9], s[12:13]
; %bb.2698:
	s_mov_b32 s10, 0x7f800001
	s_xor_b64 s[4:5], exec, -1
; %bb.2699:
	s_or_b64 exec, exec, s[8:9]
	s_and_b64 s[4:5], s[4:5], exec
	s_or_saveexec_b64 s[6:7], s[6:7]
	v_mov_b32_e32 v12, s10
	s_xor_b64 exec, exec, s[6:7]
	s_cbranch_execz .LBB12_650
.LBB12_2700:
	v_mov_b32_e32 v12, 0
	v_cmp_ne_u16_sdwa s[8:9], v13, v12 src0_sel:BYTE_0 src1_sel:DWORD
	s_andn2_b64 s[4:5], s[4:5], exec
	s_and_b64 s[8:9], s[8:9], exec
	s_or_b64 s[4:5], s[4:5], s[8:9]
	s_or_b64 exec, exec, s[6:7]
	s_and_saveexec_b64 s[6:7], s[4:5]
	s_cbranch_execnz .LBB12_651
	s_branch .LBB12_652
.LBB12_2701:
	s_movk_i32 s4, 0x80
	v_cmp_eq_u16_sdwa s[12:13], v13, s4 src0_sel:BYTE_0 src1_sel:DWORD
	s_mov_b64 s[4:5], -1
                                        ; implicit-def: $sgpr10
	s_and_saveexec_b64 s[8:9], s[12:13]
; %bb.2702:
	s_mov_b32 s10, 0x7f800001
	s_xor_b64 s[4:5], exec, -1
; %bb.2703:
	s_or_b64 exec, exec, s[8:9]
	s_and_b64 s[4:5], s[4:5], exec
	s_or_saveexec_b64 s[6:7], s[6:7]
	v_mov_b32_e32 v14, s10
	s_xor_b64 exec, exec, s[6:7]
	s_cbranch_execz .LBB12_654
.LBB12_2704:
	v_mov_b32_e32 v14, 0
	v_cmp_ne_u16_sdwa s[8:9], v13, v14 src0_sel:BYTE_0 src1_sel:DWORD
	s_andn2_b64 s[4:5], s[4:5], exec
	s_and_b64 s[8:9], s[8:9], exec
	s_or_b64 s[4:5], s[4:5], s[8:9]
	s_or_b64 exec, exec, s[6:7]
	s_and_saveexec_b64 s[6:7], s[4:5]
	s_cbranch_execnz .LBB12_655
	s_branch .LBB12_656
.LBB12_2705:
	s_movk_i32 s4, 0x80
	v_cmp_eq_u16_e32 vcc, s4, v13
	s_mov_b64 s[4:5], -1
                                        ; implicit-def: $sgpr10
	s_and_saveexec_b64 s[8:9], vcc
; %bb.2706:
	s_mov_b32 s10, 0x7f800001
	s_xor_b64 s[4:5], exec, -1
; %bb.2707:
	s_or_b64 exec, exec, s[8:9]
	s_and_b64 s[4:5], s[4:5], exec
                                        ; implicit-def: $vgpr13
	s_or_saveexec_b64 s[6:7], s[6:7]
	v_mov_b32_e32 v12, s10
	s_xor_b64 exec, exec, s[6:7]
	s_cbranch_execz .LBB12_658
.LBB12_2708:
	v_cmp_ne_u16_e32 vcc, 0, v13
	s_andn2_b64 s[4:5], s[4:5], exec
	s_and_b64 s[8:9], vcc, exec
	v_mov_b32_e32 v12, 0
	s_or_b64 s[4:5], s[4:5], s[8:9]
	s_or_b64 exec, exec, s[6:7]
	s_and_saveexec_b64 s[6:7], s[4:5]
	s_cbranch_execnz .LBB12_659
	s_branch .LBB12_660
.LBB12_2709:
	s_movk_i32 s4, 0x80
	v_cmp_eq_u16_e32 vcc, s4, v13
	s_mov_b64 s[4:5], -1
                                        ; implicit-def: $sgpr10
	s_and_saveexec_b64 s[8:9], vcc
; %bb.2710:
	s_mov_b32 s10, 0x7f800001
	s_xor_b64 s[4:5], exec, -1
; %bb.2711:
	s_or_b64 exec, exec, s[8:9]
	s_and_b64 s[4:5], s[4:5], exec
                                        ; implicit-def: $vgpr13
	s_or_saveexec_b64 s[6:7], s[6:7]
	v_mov_b32_e32 v14, s10
	s_xor_b64 exec, exec, s[6:7]
	s_cbranch_execz .LBB12_662
.LBB12_2712:
	v_cmp_ne_u16_e32 vcc, 0, v13
	s_andn2_b64 s[4:5], s[4:5], exec
	s_and_b64 s[8:9], vcc, exec
	v_mov_b32_e32 v14, 0
	s_or_b64 s[4:5], s[4:5], s[8:9]
	s_or_b64 exec, exec, s[6:7]
	s_and_saveexec_b64 s[6:7], s[4:5]
	s_cbranch_execnz .LBB12_663
	s_branch .LBB12_664
.LBB12_2713:
	s_movk_i32 s4, 0x80
	v_cmp_eq_u16_sdwa s[12:13], v6, s4 src0_sel:BYTE_3 src1_sel:DWORD
	s_mov_b64 s[4:5], -1
                                        ; implicit-def: $sgpr10
	s_and_saveexec_b64 s[8:9], s[12:13]
; %bb.2714:
	s_mov_b32 s10, 0x7f800001
	s_xor_b64 s[4:5], exec, -1
; %bb.2715:
	s_or_b64 exec, exec, s[8:9]
	s_and_b64 s[4:5], s[4:5], exec
	s_or_saveexec_b64 s[6:7], s[6:7]
	v_mov_b32_e32 v12, s10
	s_xor_b64 exec, exec, s[6:7]
	s_cbranch_execz .LBB12_666
.LBB12_2716:
	v_mov_b32_e32 v12, 0
	v_cmp_ne_u16_sdwa s[8:9], v6, v12 src0_sel:BYTE_3 src1_sel:DWORD
	s_andn2_b64 s[4:5], s[4:5], exec
	s_and_b64 s[8:9], s[8:9], exec
	s_or_b64 s[4:5], s[4:5], s[8:9]
	s_or_b64 exec, exec, s[6:7]
	s_and_saveexec_b64 s[6:7], s[4:5]
	s_cbranch_execnz .LBB12_667
	s_branch .LBB12_668
.LBB12_2717:
	s_movk_i32 s4, 0x80
	v_cmp_eq_u16_sdwa s[12:13], v2, s4 src0_sel:BYTE_3 src1_sel:DWORD
	s_mov_b64 s[4:5], -1
                                        ; implicit-def: $sgpr10
	s_and_saveexec_b64 s[8:9], s[12:13]
; %bb.2718:
	s_mov_b32 s10, 0x7f800001
	s_xor_b64 s[4:5], exec, -1
; %bb.2719:
	s_or_b64 exec, exec, s[8:9]
	s_and_b64 s[4:5], s[4:5], exec
	s_or_saveexec_b64 s[6:7], s[6:7]
	v_mov_b32_e32 v6, s10
	s_xor_b64 exec, exec, s[6:7]
	s_cbranch_execz .LBB12_670
.LBB12_2720:
	v_mov_b32_e32 v6, 0
	v_cmp_ne_u16_sdwa s[8:9], v2, v6 src0_sel:BYTE_3 src1_sel:DWORD
	s_andn2_b64 s[4:5], s[4:5], exec
	s_and_b64 s[8:9], s[8:9], exec
	s_or_b64 s[4:5], s[4:5], s[8:9]
	s_or_b64 exec, exec, s[6:7]
	s_and_saveexec_b64 s[6:7], s[4:5]
	s_cbranch_execnz .LBB12_671
	s_branch .LBB12_672
.LBB12_2721:
	s_movk_i32 s4, 0x80
	v_cmp_eq_u16_sdwa s[12:13], v7, s4 src0_sel:BYTE_0 src1_sel:DWORD
	s_mov_b64 s[4:5], -1
                                        ; implicit-def: $sgpr10
	s_and_saveexec_b64 s[8:9], s[12:13]
; %bb.2722:
	s_mov_b32 s10, 0x7f800001
	s_xor_b64 s[4:5], exec, -1
; %bb.2723:
	s_or_b64 exec, exec, s[8:9]
	s_and_b64 s[4:5], s[4:5], exec
	s_or_saveexec_b64 s[6:7], s[6:7]
	v_mov_b32_e32 v2, s10
	s_xor_b64 exec, exec, s[6:7]
	s_cbranch_execz .LBB12_674
.LBB12_2724:
	v_mov_b32_e32 v2, 0
	v_cmp_ne_u16_sdwa s[8:9], v7, v2 src0_sel:BYTE_0 src1_sel:DWORD
	s_andn2_b64 s[4:5], s[4:5], exec
	s_and_b64 s[8:9], s[8:9], exec
	s_or_b64 s[4:5], s[4:5], s[8:9]
	s_or_b64 exec, exec, s[6:7]
	s_and_saveexec_b64 s[6:7], s[4:5]
	s_cbranch_execnz .LBB12_675
	s_branch .LBB12_676
.LBB12_2725:
	s_movk_i32 s4, 0x80
	v_cmp_eq_u16_sdwa s[12:13], v3, s4 src0_sel:BYTE_0 src1_sel:DWORD
	s_mov_b64 s[4:5], -1
                                        ; implicit-def: $sgpr10
	s_and_saveexec_b64 s[8:9], s[12:13]
; %bb.2726:
	s_mov_b32 s10, 0x7f800001
	s_xor_b64 s[4:5], exec, -1
; %bb.2727:
	s_or_b64 exec, exec, s[8:9]
	s_and_b64 s[4:5], s[4:5], exec
	s_or_saveexec_b64 s[6:7], s[6:7]
	v_mov_b32_e32 v6, s10
	s_xor_b64 exec, exec, s[6:7]
	s_cbranch_execz .LBB12_678
.LBB12_2728:
	v_mov_b32_e32 v6, 0
	v_cmp_ne_u16_sdwa s[8:9], v3, v6 src0_sel:BYTE_0 src1_sel:DWORD
	s_andn2_b64 s[4:5], s[4:5], exec
	s_and_b64 s[8:9], s[8:9], exec
	s_or_b64 s[4:5], s[4:5], s[8:9]
	s_or_b64 exec, exec, s[6:7]
	s_and_saveexec_b64 s[6:7], s[4:5]
	s_cbranch_execnz .LBB12_679
	s_branch .LBB12_680
.LBB12_2729:
	s_movk_i32 s4, 0x80
	v_cmp_eq_u16_sdwa s[12:13], v6, s4 src0_sel:BYTE_0 src1_sel:DWORD
	s_mov_b64 s[4:5], -1
                                        ; implicit-def: $sgpr10
	s_and_saveexec_b64 s[8:9], s[12:13]
; %bb.2730:
	s_mov_b32 s10, 0x7f800001
	s_xor_b64 s[4:5], exec, -1
; %bb.2731:
	s_or_b64 exec, exec, s[8:9]
	s_and_b64 s[4:5], s[4:5], exec
	s_or_saveexec_b64 s[6:7], s[6:7]
	v_mov_b32_e32 v2, s10
	s_xor_b64 exec, exec, s[6:7]
	s_cbranch_execz .LBB12_682
.LBB12_2732:
	v_mov_b32_e32 v2, 0
	v_cmp_ne_u16_sdwa s[8:9], v6, v2 src0_sel:BYTE_0 src1_sel:DWORD
	s_andn2_b64 s[4:5], s[4:5], exec
	s_and_b64 s[8:9], s[8:9], exec
	s_or_b64 s[4:5], s[4:5], s[8:9]
	s_or_b64 exec, exec, s[6:7]
	s_and_saveexec_b64 s[6:7], s[4:5]
	s_cbranch_execnz .LBB12_683
	s_branch .LBB12_684
.LBB12_2733:
	s_movk_i32 s4, 0x80
	v_cmp_eq_u16_sdwa s[12:13], v6, s4 src0_sel:BYTE_0 src1_sel:DWORD
	s_mov_b64 s[4:5], -1
                                        ; implicit-def: $sgpr10
	s_and_saveexec_b64 s[8:9], s[12:13]
; %bb.2734:
	s_mov_b32 s10, 0x7f800001
	s_xor_b64 s[4:5], exec, -1
; %bb.2735:
	s_or_b64 exec, exec, s[8:9]
	s_and_b64 s[4:5], s[4:5], exec
	s_or_saveexec_b64 s[6:7], s[6:7]
	v_mov_b32_e32 v12, s10
	s_xor_b64 exec, exec, s[6:7]
	s_cbranch_execz .LBB12_686
.LBB12_2736:
	v_mov_b32_e32 v12, 0
	v_cmp_ne_u16_sdwa s[8:9], v6, v12 src0_sel:BYTE_0 src1_sel:DWORD
	s_andn2_b64 s[4:5], s[4:5], exec
	s_and_b64 s[8:9], s[8:9], exec
	s_or_b64 s[4:5], s[4:5], s[8:9]
	s_or_b64 exec, exec, s[6:7]
	s_and_saveexec_b64 s[6:7], s[4:5]
	s_cbranch_execnz .LBB12_687
	s_branch .LBB12_688
.LBB12_2737:
	s_movk_i32 s4, 0x80
	v_cmp_eq_u16_e32 vcc, s4, v6
	s_mov_b64 s[4:5], -1
                                        ; implicit-def: $sgpr10
	s_and_saveexec_b64 s[8:9], vcc
; %bb.2738:
	s_mov_b32 s10, 0x7f800001
	s_xor_b64 s[4:5], exec, -1
; %bb.2739:
	s_or_b64 exec, exec, s[8:9]
	s_and_b64 s[4:5], s[4:5], exec
                                        ; implicit-def: $vgpr6
	s_or_saveexec_b64 s[6:7], s[6:7]
	v_mov_b32_e32 v2, s10
	s_xor_b64 exec, exec, s[6:7]
	s_cbranch_execz .LBB12_690
.LBB12_2740:
	v_cmp_ne_u16_e32 vcc, 0, v6
	s_andn2_b64 s[4:5], s[4:5], exec
	s_and_b64 s[8:9], vcc, exec
	v_mov_b32_e32 v2, 0
	s_or_b64 s[4:5], s[4:5], s[8:9]
	s_or_b64 exec, exec, s[6:7]
	s_and_saveexec_b64 s[6:7], s[4:5]
	s_cbranch_execnz .LBB12_691
	s_branch .LBB12_692
.LBB12_2741:
	s_movk_i32 s4, 0x80
	v_cmp_eq_u16_e32 vcc, s4, v6
	s_mov_b64 s[4:5], -1
                                        ; implicit-def: $sgpr10
	s_and_saveexec_b64 s[8:9], vcc
; %bb.2742:
	s_mov_b32 s10, 0x7f800001
	s_xor_b64 s[4:5], exec, -1
; %bb.2743:
	s_or_b64 exec, exec, s[8:9]
	s_and_b64 s[4:5], s[4:5], exec
                                        ; implicit-def: $vgpr6
	s_or_saveexec_b64 s[6:7], s[6:7]
	v_mov_b32_e32 v12, s10
	s_xor_b64 exec, exec, s[6:7]
	s_cbranch_execz .LBB12_694
.LBB12_2744:
	v_cmp_ne_u16_e32 vcc, 0, v6
	s_andn2_b64 s[4:5], s[4:5], exec
	s_and_b64 s[8:9], vcc, exec
	v_mov_b32_e32 v12, 0
	s_or_b64 s[4:5], s[4:5], s[8:9]
	s_or_b64 exec, exec, s[6:7]
	s_and_saveexec_b64 s[6:7], s[4:5]
	s_cbranch_execnz .LBB12_695
	s_branch .LBB12_696
.LBB12_2745:
	s_movk_i32 s4, 0x80
	v_cmp_eq_u16_sdwa s[12:13], v7, s4 src0_sel:BYTE_3 src1_sel:DWORD
	s_mov_b64 s[4:5], -1
                                        ; implicit-def: $sgpr10
	s_and_saveexec_b64 s[8:9], s[12:13]
; %bb.2746:
	s_mov_b32 s10, 0x7f800001
	s_xor_b64 s[4:5], exec, -1
; %bb.2747:
	s_or_b64 exec, exec, s[8:9]
	s_and_b64 s[4:5], s[4:5], exec
	s_or_saveexec_b64 s[6:7], s[6:7]
	v_mov_b32_e32 v2, s10
	s_xor_b64 exec, exec, s[6:7]
	s_cbranch_execz .LBB12_698
.LBB12_2748:
	v_mov_b32_e32 v2, 0
	v_cmp_ne_u16_sdwa s[8:9], v7, v2 src0_sel:BYTE_3 src1_sel:DWORD
	s_andn2_b64 s[4:5], s[4:5], exec
	s_and_b64 s[8:9], s[8:9], exec
	s_or_b64 s[4:5], s[4:5], s[8:9]
	s_or_b64 exec, exec, s[6:7]
	s_and_saveexec_b64 s[6:7], s[4:5]
	s_cbranch_execnz .LBB12_699
	s_branch .LBB12_700
.LBB12_2749:
	s_movk_i32 s4, 0x80
	v_cmp_eq_u16_sdwa s[12:13], v3, s4 src0_sel:BYTE_3 src1_sel:DWORD
	s_mov_b64 s[4:5], -1
                                        ; implicit-def: $sgpr10
	s_and_saveexec_b64 s[8:9], s[12:13]
; %bb.2750:
	s_mov_b32 s10, 0x7f800001
	s_xor_b64 s[4:5], exec, -1
; %bb.2751:
	s_or_b64 exec, exec, s[8:9]
	s_and_b64 s[4:5], s[4:5], exec
	s_or_saveexec_b64 s[6:7], s[6:7]
	v_mov_b32_e32 v6, s10
	s_xor_b64 exec, exec, s[6:7]
	s_cbranch_execz .LBB12_702
.LBB12_2752:
	v_mov_b32_e32 v6, 0
	v_cmp_ne_u16_sdwa s[8:9], v3, v6 src0_sel:BYTE_3 src1_sel:DWORD
	s_andn2_b64 s[4:5], s[4:5], exec
	s_and_b64 s[8:9], s[8:9], exec
	s_or_b64 s[4:5], s[4:5], s[8:9]
	s_or_b64 exec, exec, s[6:7]
	s_and_saveexec_b64 s[6:7], s[4:5]
	s_cbranch_execnz .LBB12_703
	s_branch .LBB12_704
.LBB12_2753:
	s_movk_i32 s4, 0x80
	v_cmp_eq_u16_sdwa s[12:13], v8, s4 src0_sel:BYTE_0 src1_sel:DWORD
	s_mov_b64 s[4:5], -1
                                        ; implicit-def: $sgpr10
	s_and_saveexec_b64 s[8:9], s[12:13]
; %bb.2754:
	s_mov_b32 s10, 0x7f800001
	s_xor_b64 s[4:5], exec, -1
; %bb.2755:
	s_or_b64 exec, exec, s[8:9]
	s_and_b64 s[4:5], s[4:5], exec
	s_or_saveexec_b64 s[6:7], s[6:7]
	v_mov_b32_e32 v2, s10
	s_xor_b64 exec, exec, s[6:7]
	s_cbranch_execz .LBB12_706
.LBB12_2756:
	v_mov_b32_e32 v2, 0
	v_cmp_ne_u16_sdwa s[8:9], v8, v2 src0_sel:BYTE_0 src1_sel:DWORD
	s_andn2_b64 s[4:5], s[4:5], exec
	s_and_b64 s[8:9], s[8:9], exec
	s_or_b64 s[4:5], s[4:5], s[8:9]
	s_or_b64 exec, exec, s[6:7]
	s_and_saveexec_b64 s[6:7], s[4:5]
	s_cbranch_execnz .LBB12_707
	s_branch .LBB12_708
.LBB12_2757:
	s_movk_i32 s4, 0x80
	v_cmp_eq_u16_sdwa s[12:13], v4, s4 src0_sel:BYTE_0 src1_sel:DWORD
	s_mov_b64 s[4:5], -1
                                        ; implicit-def: $sgpr10
	s_and_saveexec_b64 s[8:9], s[12:13]
; %bb.2758:
	s_mov_b32 s10, 0x7f800001
	s_xor_b64 s[4:5], exec, -1
; %bb.2759:
	s_or_b64 exec, exec, s[8:9]
	s_and_b64 s[4:5], s[4:5], exec
	s_or_saveexec_b64 s[6:7], s[6:7]
	v_mov_b32_e32 v3, s10
	s_xor_b64 exec, exec, s[6:7]
	s_cbranch_execz .LBB12_710
.LBB12_2760:
	v_mov_b32_e32 v3, 0
	v_cmp_ne_u16_sdwa s[8:9], v4, v3 src0_sel:BYTE_0 src1_sel:DWORD
	s_andn2_b64 s[4:5], s[4:5], exec
	s_and_b64 s[8:9], s[8:9], exec
	s_or_b64 s[4:5], s[4:5], s[8:9]
	s_or_b64 exec, exec, s[6:7]
	s_and_saveexec_b64 s[6:7], s[4:5]
	s_cbranch_execnz .LBB12_711
	s_branch .LBB12_712
.LBB12_2761:
	s_movk_i32 s4, 0x80
	v_cmp_eq_u16_sdwa s[12:13], v3, s4 src0_sel:BYTE_0 src1_sel:DWORD
	s_mov_b64 s[4:5], -1
                                        ; implicit-def: $sgpr10
	s_and_saveexec_b64 s[8:9], s[12:13]
; %bb.2762:
	s_mov_b32 s10, 0x7f800001
	s_xor_b64 s[4:5], exec, -1
; %bb.2763:
	s_or_b64 exec, exec, s[8:9]
	s_and_b64 s[4:5], s[4:5], exec
	s_or_saveexec_b64 s[6:7], s[6:7]
	v_mov_b32_e32 v2, s10
	s_xor_b64 exec, exec, s[6:7]
	s_cbranch_execz .LBB12_714
.LBB12_2764:
	v_mov_b32_e32 v2, 0
	v_cmp_ne_u16_sdwa s[8:9], v3, v2 src0_sel:BYTE_0 src1_sel:DWORD
	s_andn2_b64 s[4:5], s[4:5], exec
	s_and_b64 s[8:9], s[8:9], exec
	s_or_b64 s[4:5], s[4:5], s[8:9]
	s_or_b64 exec, exec, s[6:7]
	s_and_saveexec_b64 s[6:7], s[4:5]
	s_cbranch_execnz .LBB12_715
	s_branch .LBB12_716
.LBB12_2765:
	s_movk_i32 s4, 0x80
	v_cmp_eq_u16_sdwa s[12:13], v3, s4 src0_sel:BYTE_0 src1_sel:DWORD
	s_mov_b64 s[4:5], -1
                                        ; implicit-def: $sgpr10
	s_and_saveexec_b64 s[8:9], s[12:13]
; %bb.2766:
	s_mov_b32 s10, 0x7f800001
	s_xor_b64 s[4:5], exec, -1
; %bb.2767:
	s_or_b64 exec, exec, s[8:9]
	s_and_b64 s[4:5], s[4:5], exec
	s_or_saveexec_b64 s[6:7], s[6:7]
	v_mov_b32_e32 v6, s10
	s_xor_b64 exec, exec, s[6:7]
	s_cbranch_execz .LBB12_718
.LBB12_2768:
	v_mov_b32_e32 v6, 0
	v_cmp_ne_u16_sdwa s[8:9], v3, v6 src0_sel:BYTE_0 src1_sel:DWORD
	s_andn2_b64 s[4:5], s[4:5], exec
	s_and_b64 s[8:9], s[8:9], exec
	s_or_b64 s[4:5], s[4:5], s[8:9]
	s_or_b64 exec, exec, s[6:7]
	s_and_saveexec_b64 s[6:7], s[4:5]
	s_cbranch_execnz .LBB12_719
	s_branch .LBB12_720
.LBB12_2769:
	s_movk_i32 s4, 0x80
	v_cmp_eq_u16_e32 vcc, s4, v3
	s_mov_b64 s[4:5], -1
                                        ; implicit-def: $sgpr10
	s_and_saveexec_b64 s[8:9], vcc
; %bb.2770:
	s_mov_b32 s10, 0x7f800001
	s_xor_b64 s[4:5], exec, -1
; %bb.2771:
	s_or_b64 exec, exec, s[8:9]
	s_and_b64 s[4:5], s[4:5], exec
                                        ; implicit-def: $vgpr3
	s_or_saveexec_b64 s[6:7], s[6:7]
	v_mov_b32_e32 v2, s10
	s_xor_b64 exec, exec, s[6:7]
	s_cbranch_execz .LBB12_722
.LBB12_2772:
	v_cmp_ne_u16_e32 vcc, 0, v3
	s_andn2_b64 s[4:5], s[4:5], exec
	s_and_b64 s[8:9], vcc, exec
	v_mov_b32_e32 v2, 0
	s_or_b64 s[4:5], s[4:5], s[8:9]
	s_or_b64 exec, exec, s[6:7]
	s_and_saveexec_b64 s[6:7], s[4:5]
	s_cbranch_execnz .LBB12_723
	s_branch .LBB12_724
.LBB12_2773:
	s_movk_i32 s4, 0x80
	v_cmp_eq_u16_e32 vcc, s4, v3
	s_mov_b64 s[4:5], -1
                                        ; implicit-def: $sgpr10
	s_and_saveexec_b64 s[8:9], vcc
; %bb.2774:
	s_mov_b32 s10, 0x7f800001
	s_xor_b64 s[4:5], exec, -1
; %bb.2775:
	s_or_b64 exec, exec, s[8:9]
	s_and_b64 s[4:5], s[4:5], exec
                                        ; implicit-def: $vgpr3
	s_or_saveexec_b64 s[6:7], s[6:7]
	v_mov_b32_e32 v6, s10
	s_xor_b64 exec, exec, s[6:7]
	s_cbranch_execz .LBB12_726
.LBB12_2776:
	v_cmp_ne_u16_e32 vcc, 0, v3
	s_andn2_b64 s[4:5], s[4:5], exec
	s_and_b64 s[8:9], vcc, exec
	v_mov_b32_e32 v6, 0
	s_or_b64 s[4:5], s[4:5], s[8:9]
	s_or_b64 exec, exec, s[6:7]
	s_and_saveexec_b64 s[6:7], s[4:5]
	s_cbranch_execnz .LBB12_727
	s_branch .LBB12_728
.LBB12_2777:
	s_movk_i32 s4, 0x80
	v_cmp_eq_u16_sdwa s[12:13], v8, s4 src0_sel:BYTE_3 src1_sel:DWORD
	s_mov_b64 s[4:5], -1
                                        ; implicit-def: $sgpr10
	s_and_saveexec_b64 s[8:9], s[12:13]
; %bb.2778:
	s_mov_b32 s10, 0x7f800001
	s_xor_b64 s[4:5], exec, -1
; %bb.2779:
	s_or_b64 exec, exec, s[8:9]
	s_and_b64 s[4:5], s[4:5], exec
	s_or_saveexec_b64 s[6:7], s[6:7]
	v_mov_b32_e32 v2, s10
	s_xor_b64 exec, exec, s[6:7]
	s_cbranch_execz .LBB12_730
.LBB12_2780:
	v_mov_b32_e32 v2, 0
	v_cmp_ne_u16_sdwa s[8:9], v8, v2 src0_sel:BYTE_3 src1_sel:DWORD
	s_andn2_b64 s[4:5], s[4:5], exec
	s_and_b64 s[8:9], s[8:9], exec
	s_or_b64 s[4:5], s[4:5], s[8:9]
	s_or_b64 exec, exec, s[6:7]
	s_and_saveexec_b64 s[6:7], s[4:5]
	s_cbranch_execnz .LBB12_731
	s_branch .LBB12_732
.LBB12_2781:
	s_movk_i32 s4, 0x80
	v_cmp_eq_u16_sdwa s[12:13], v4, s4 src0_sel:BYTE_3 src1_sel:DWORD
	s_mov_b64 s[4:5], -1
                                        ; implicit-def: $sgpr10
	s_and_saveexec_b64 s[8:9], s[12:13]
; %bb.2782:
	s_mov_b32 s10, 0x7f800001
	s_xor_b64 s[4:5], exec, -1
; %bb.2783:
	s_or_b64 exec, exec, s[8:9]
	s_and_b64 s[4:5], s[4:5], exec
	s_or_saveexec_b64 s[6:7], s[6:7]
	v_mov_b32_e32 v3, s10
	s_xor_b64 exec, exec, s[6:7]
	s_cbranch_execz .LBB12_734
.LBB12_2784:
	v_mov_b32_e32 v3, 0
	v_cmp_ne_u16_sdwa s[8:9], v4, v3 src0_sel:BYTE_3 src1_sel:DWORD
	s_andn2_b64 s[4:5], s[4:5], exec
	s_and_b64 s[8:9], s[8:9], exec
	s_or_b64 s[4:5], s[4:5], s[8:9]
	s_or_b64 exec, exec, s[6:7]
	s_and_saveexec_b64 s[6:7], s[4:5]
	s_cbranch_execnz .LBB12_735
	s_branch .LBB12_736
.LBB12_2785:
	s_movk_i32 s4, 0x80
	v_cmp_eq_u16_sdwa s[12:13], v9, s4 src0_sel:BYTE_0 src1_sel:DWORD
	s_mov_b64 s[4:5], -1
                                        ; implicit-def: $sgpr10
	s_and_saveexec_b64 s[8:9], s[12:13]
; %bb.2786:
	s_mov_b32 s10, 0x7f800001
	s_xor_b64 s[4:5], exec, -1
; %bb.2787:
	s_or_b64 exec, exec, s[8:9]
	s_and_b64 s[4:5], s[4:5], exec
	s_or_saveexec_b64 s[6:7], s[6:7]
	v_mov_b32_e32 v2, s10
	s_xor_b64 exec, exec, s[6:7]
	s_cbranch_execz .LBB12_738
.LBB12_2788:
	v_mov_b32_e32 v2, 0
	v_cmp_ne_u16_sdwa s[8:9], v9, v2 src0_sel:BYTE_0 src1_sel:DWORD
	s_andn2_b64 s[4:5], s[4:5], exec
	s_and_b64 s[8:9], s[8:9], exec
	s_or_b64 s[4:5], s[4:5], s[8:9]
	s_or_b64 exec, exec, s[6:7]
	s_and_saveexec_b64 s[6:7], s[4:5]
	s_cbranch_execnz .LBB12_739
	s_branch .LBB12_740
.LBB12_2789:
	s_movk_i32 s4, 0x80
	v_cmp_eq_u16_sdwa s[12:13], v5, s4 src0_sel:BYTE_0 src1_sel:DWORD
	s_mov_b64 s[4:5], -1
                                        ; implicit-def: $sgpr10
	s_and_saveexec_b64 s[8:9], s[12:13]
; %bb.2790:
	s_mov_b32 s10, 0x7f800001
	s_xor_b64 s[4:5], exec, -1
; %bb.2791:
	s_or_b64 exec, exec, s[8:9]
	s_and_b64 s[4:5], s[4:5], exec
	s_or_saveexec_b64 s[6:7], s[6:7]
	v_mov_b32_e32 v3, s10
	s_xor_b64 exec, exec, s[6:7]
	s_cbranch_execz .LBB12_742
.LBB12_2792:
	v_mov_b32_e32 v3, 0
	v_cmp_ne_u16_sdwa s[8:9], v5, v3 src0_sel:BYTE_0 src1_sel:DWORD
	s_andn2_b64 s[4:5], s[4:5], exec
	s_and_b64 s[8:9], s[8:9], exec
	s_or_b64 s[4:5], s[4:5], s[8:9]
	s_or_b64 exec, exec, s[6:7]
	s_and_saveexec_b64 s[6:7], s[4:5]
	s_cbranch_execnz .LBB12_743
	s_branch .LBB12_744
.LBB12_2793:
	s_movk_i32 s4, 0x80
	v_cmp_eq_u16_sdwa s[12:13], v3, s4 src0_sel:BYTE_0 src1_sel:DWORD
	s_mov_b64 s[4:5], -1
                                        ; implicit-def: $sgpr10
	s_and_saveexec_b64 s[8:9], s[12:13]
; %bb.2794:
	s_mov_b32 s10, 0x7f800001
	s_xor_b64 s[4:5], exec, -1
; %bb.2795:
	s_or_b64 exec, exec, s[8:9]
	s_and_b64 s[4:5], s[4:5], exec
	s_or_saveexec_b64 s[6:7], s[6:7]
	v_mov_b32_e32 v2, s10
	s_xor_b64 exec, exec, s[6:7]
	s_cbranch_execz .LBB12_746
.LBB12_2796:
	v_mov_b32_e32 v2, 0
	v_cmp_ne_u16_sdwa s[8:9], v3, v2 src0_sel:BYTE_0 src1_sel:DWORD
	s_andn2_b64 s[4:5], s[4:5], exec
	s_and_b64 s[8:9], s[8:9], exec
	s_or_b64 s[4:5], s[4:5], s[8:9]
	s_or_b64 exec, exec, s[6:7]
	s_and_saveexec_b64 s[6:7], s[4:5]
	s_cbranch_execnz .LBB12_747
	s_branch .LBB12_748
.LBB12_2797:
	s_movk_i32 s4, 0x80
	v_cmp_eq_u16_sdwa s[12:13], v3, s4 src0_sel:BYTE_0 src1_sel:DWORD
	s_mov_b64 s[4:5], -1
                                        ; implicit-def: $sgpr10
	s_and_saveexec_b64 s[8:9], s[12:13]
; %bb.2798:
	s_mov_b32 s10, 0x7f800001
	s_xor_b64 s[4:5], exec, -1
; %bb.2799:
	s_or_b64 exec, exec, s[8:9]
	s_and_b64 s[4:5], s[4:5], exec
	s_or_saveexec_b64 s[6:7], s[6:7]
	v_mov_b32_e32 v4, s10
	s_xor_b64 exec, exec, s[6:7]
	s_cbranch_execz .LBB12_750
.LBB12_2800:
	v_mov_b32_e32 v4, 0
	v_cmp_ne_u16_sdwa s[8:9], v3, v4 src0_sel:BYTE_0 src1_sel:DWORD
	s_andn2_b64 s[4:5], s[4:5], exec
	s_and_b64 s[8:9], s[8:9], exec
	s_or_b64 s[4:5], s[4:5], s[8:9]
	s_or_b64 exec, exec, s[6:7]
	s_and_saveexec_b64 s[6:7], s[4:5]
	s_cbranch_execnz .LBB12_751
	s_branch .LBB12_752
.LBB12_2801:
	s_movk_i32 s4, 0x80
	v_cmp_eq_u16_e32 vcc, s4, v3
	s_mov_b64 s[4:5], -1
                                        ; implicit-def: $sgpr10
	s_and_saveexec_b64 s[8:9], vcc
; %bb.2802:
	s_mov_b32 s10, 0x7f800001
	s_xor_b64 s[4:5], exec, -1
; %bb.2803:
	s_or_b64 exec, exec, s[8:9]
	s_and_b64 s[4:5], s[4:5], exec
                                        ; implicit-def: $vgpr3
	s_or_saveexec_b64 s[6:7], s[6:7]
	v_mov_b32_e32 v2, s10
	s_xor_b64 exec, exec, s[6:7]
	s_cbranch_execz .LBB12_754
.LBB12_2804:
	v_cmp_ne_u16_e32 vcc, 0, v3
	s_andn2_b64 s[4:5], s[4:5], exec
	s_and_b64 s[8:9], vcc, exec
	v_mov_b32_e32 v2, 0
	s_or_b64 s[4:5], s[4:5], s[8:9]
	s_or_b64 exec, exec, s[6:7]
	s_and_saveexec_b64 s[6:7], s[4:5]
	s_cbranch_execnz .LBB12_755
	s_branch .LBB12_756
.LBB12_2805:
	s_movk_i32 s4, 0x80
	v_cmp_eq_u16_e32 vcc, s4, v3
	s_mov_b64 s[4:5], -1
                                        ; implicit-def: $sgpr10
	s_and_saveexec_b64 s[8:9], vcc
; %bb.2806:
	s_mov_b32 s10, 0x7f800001
	s_xor_b64 s[4:5], exec, -1
; %bb.2807:
	s_or_b64 exec, exec, s[8:9]
	s_and_b64 s[4:5], s[4:5], exec
                                        ; implicit-def: $vgpr3
	s_or_saveexec_b64 s[6:7], s[6:7]
	v_mov_b32_e32 v4, s10
	s_xor_b64 exec, exec, s[6:7]
	s_cbranch_execz .LBB12_758
.LBB12_2808:
	v_cmp_ne_u16_e32 vcc, 0, v3
	s_andn2_b64 s[4:5], s[4:5], exec
	s_and_b64 s[8:9], vcc, exec
	v_mov_b32_e32 v4, 0
	s_or_b64 s[4:5], s[4:5], s[8:9]
	s_or_b64 exec, exec, s[6:7]
	s_and_saveexec_b64 s[6:7], s[4:5]
	s_cbranch_execnz .LBB12_759
	s_branch .LBB12_760
.LBB12_2809:
	s_movk_i32 s4, 0x80
	v_cmp_eq_u16_sdwa s[12:13], v9, s4 src0_sel:BYTE_3 src1_sel:DWORD
	s_mov_b64 s[4:5], -1
                                        ; implicit-def: $sgpr10
	s_and_saveexec_b64 s[8:9], s[12:13]
; %bb.2810:
	s_mov_b32 s10, 0x7f800001
	s_xor_b64 s[4:5], exec, -1
; %bb.2811:
	s_or_b64 exec, exec, s[8:9]
	s_and_b64 s[4:5], s[4:5], exec
	s_or_saveexec_b64 s[6:7], s[6:7]
	v_mov_b32_e32 v2, s10
	s_xor_b64 exec, exec, s[6:7]
	s_cbranch_execz .LBB12_762
.LBB12_2812:
	v_mov_b32_e32 v2, 0
	v_cmp_ne_u16_sdwa s[8:9], v9, v2 src0_sel:BYTE_3 src1_sel:DWORD
	s_andn2_b64 s[4:5], s[4:5], exec
	s_and_b64 s[8:9], s[8:9], exec
	s_or_b64 s[4:5], s[4:5], s[8:9]
	s_or_b64 exec, exec, s[6:7]
	s_and_saveexec_b64 s[6:7], s[4:5]
	s_cbranch_execnz .LBB12_763
	s_branch .LBB12_764
.LBB12_2813:
	s_movk_i32 s4, 0x80
	v_cmp_eq_u16_sdwa s[12:13], v5, s4 src0_sel:BYTE_3 src1_sel:DWORD
	s_mov_b64 s[4:5], -1
                                        ; implicit-def: $sgpr10
	s_and_saveexec_b64 s[8:9], s[12:13]
; %bb.2814:
	s_mov_b32 s10, 0x7f800001
	s_xor_b64 s[4:5], exec, -1
; %bb.2815:
	s_or_b64 exec, exec, s[8:9]
	s_and_b64 s[4:5], s[4:5], exec
	s_or_saveexec_b64 s[6:7], s[6:7]
	v_mov_b32_e32 v3, s10
	s_xor_b64 exec, exec, s[6:7]
	s_cbranch_execz .LBB12_766
.LBB12_2816:
	v_mov_b32_e32 v3, 0
	v_cmp_ne_u16_sdwa s[8:9], v5, v3 src0_sel:BYTE_3 src1_sel:DWORD
	s_andn2_b64 s[4:5], s[4:5], exec
	s_and_b64 s[8:9], s[8:9], exec
	s_or_b64 s[4:5], s[4:5], s[8:9]
	s_or_b64 exec, exec, s[6:7]
	s_and_saveexec_b64 s[6:7], s[4:5]
	s_cbranch_execnz .LBB12_767
	s_branch .LBB12_768
.LBB12_2817:
	s_movk_i32 s4, 0x80
	v_cmp_eq_u16_sdwa s[12:13], v6, s4 src0_sel:BYTE_0 src1_sel:DWORD
	s_mov_b64 s[4:5], -1
                                        ; implicit-def: $sgpr10
	s_and_saveexec_b64 s[8:9], s[12:13]
; %bb.2818:
	s_mov_b32 s10, 0x7f800001
	s_xor_b64 s[4:5], exec, -1
; %bb.2819:
	s_or_b64 exec, exec, s[8:9]
	s_and_b64 s[4:5], s[4:5], exec
	s_or_saveexec_b64 s[6:7], s[6:7]
	v_mov_b32_e32 v12, s10
	s_xor_b64 exec, exec, s[6:7]
	s_cbranch_execz .LBB12_770
.LBB12_2820:
	v_mov_b32_e32 v12, 0
	v_cmp_ne_u16_sdwa s[8:9], v6, v12 src0_sel:BYTE_0 src1_sel:DWORD
	s_andn2_b64 s[4:5], s[4:5], exec
	s_and_b64 s[8:9], s[8:9], exec
	s_or_b64 s[4:5], s[4:5], s[8:9]
	s_or_b64 exec, exec, s[6:7]
	s_and_saveexec_b64 s[6:7], s[4:5]
	s_cbranch_execnz .LBB12_771
	s_branch .LBB12_772
.LBB12_2821:
	s_movk_i32 s4, 0x80
	v_cmp_eq_u16_sdwa s[12:13], v2, s4 src0_sel:BYTE_0 src1_sel:DWORD
	s_mov_b64 s[4:5], -1
                                        ; implicit-def: $sgpr10
	s_and_saveexec_b64 s[8:9], s[12:13]
; %bb.2822:
	s_mov_b32 s10, 0x7f800001
	s_xor_b64 s[4:5], exec, -1
; %bb.2823:
	s_or_b64 exec, exec, s[8:9]
	s_and_b64 s[4:5], s[4:5], exec
	s_or_saveexec_b64 s[6:7], s[6:7]
	v_mov_b32_e32 v13, s10
	s_xor_b64 exec, exec, s[6:7]
	s_cbranch_execz .LBB12_774
.LBB12_2824:
	v_mov_b32_e32 v13, 0
	v_cmp_ne_u16_sdwa s[8:9], v2, v13 src0_sel:BYTE_0 src1_sel:DWORD
	s_andn2_b64 s[4:5], s[4:5], exec
	s_and_b64 s[8:9], s[8:9], exec
	s_or_b64 s[4:5], s[4:5], s[8:9]
	s_or_b64 exec, exec, s[6:7]
	s_and_saveexec_b64 s[6:7], s[4:5]
	s_cbranch_execnz .LBB12_775
	s_branch .LBB12_776
.LBB12_2825:
	s_movk_i32 s4, 0x80
	v_cmp_eq_u16_sdwa s[12:13], v13, s4 src0_sel:BYTE_0 src1_sel:DWORD
	s_mov_b64 s[4:5], -1
                                        ; implicit-def: $sgpr10
	s_and_saveexec_b64 s[8:9], s[12:13]
; %bb.2826:
	s_mov_b32 s10, 0x7f800001
	s_xor_b64 s[4:5], exec, -1
; %bb.2827:
	s_or_b64 exec, exec, s[8:9]
	s_and_b64 s[4:5], s[4:5], exec
	s_or_saveexec_b64 s[6:7], s[6:7]
	v_mov_b32_e32 v12, s10
	s_xor_b64 exec, exec, s[6:7]
	s_cbranch_execz .LBB12_778
.LBB12_2828:
	v_mov_b32_e32 v12, 0
	v_cmp_ne_u16_sdwa s[8:9], v13, v12 src0_sel:BYTE_0 src1_sel:DWORD
	s_andn2_b64 s[4:5], s[4:5], exec
	s_and_b64 s[8:9], s[8:9], exec
	s_or_b64 s[4:5], s[4:5], s[8:9]
	s_or_b64 exec, exec, s[6:7]
	s_and_saveexec_b64 s[6:7], s[4:5]
	s_cbranch_execnz .LBB12_779
	s_branch .LBB12_780
.LBB12_2829:
	s_movk_i32 s4, 0x80
	v_cmp_eq_u16_sdwa s[12:13], v13, s4 src0_sel:BYTE_0 src1_sel:DWORD
	s_mov_b64 s[4:5], -1
                                        ; implicit-def: $sgpr10
	s_and_saveexec_b64 s[8:9], s[12:13]
; %bb.2830:
	s_mov_b32 s10, 0x7f800001
	s_xor_b64 s[4:5], exec, -1
; %bb.2831:
	s_or_b64 exec, exec, s[8:9]
	s_and_b64 s[4:5], s[4:5], exec
	s_or_saveexec_b64 s[6:7], s[6:7]
	v_mov_b32_e32 v14, s10
	s_xor_b64 exec, exec, s[6:7]
	s_cbranch_execz .LBB12_782
.LBB12_2832:
	v_mov_b32_e32 v14, 0
	v_cmp_ne_u16_sdwa s[8:9], v13, v14 src0_sel:BYTE_0 src1_sel:DWORD
	s_andn2_b64 s[4:5], s[4:5], exec
	s_and_b64 s[8:9], s[8:9], exec
	s_or_b64 s[4:5], s[4:5], s[8:9]
	s_or_b64 exec, exec, s[6:7]
	s_and_saveexec_b64 s[6:7], s[4:5]
	s_cbranch_execnz .LBB12_783
	s_branch .LBB12_784
.LBB12_2833:
	s_movk_i32 s4, 0x80
	v_cmp_eq_u16_e32 vcc, s4, v13
	s_mov_b64 s[4:5], -1
                                        ; implicit-def: $sgpr10
	s_and_saveexec_b64 s[8:9], vcc
; %bb.2834:
	s_mov_b32 s10, 0x7f800001
	s_xor_b64 s[4:5], exec, -1
; %bb.2835:
	s_or_b64 exec, exec, s[8:9]
	s_and_b64 s[4:5], s[4:5], exec
                                        ; implicit-def: $vgpr13
	s_or_saveexec_b64 s[6:7], s[6:7]
	v_mov_b32_e32 v12, s10
	s_xor_b64 exec, exec, s[6:7]
	s_cbranch_execz .LBB12_786
.LBB12_2836:
	v_cmp_ne_u16_e32 vcc, 0, v13
	s_andn2_b64 s[4:5], s[4:5], exec
	s_and_b64 s[8:9], vcc, exec
	v_mov_b32_e32 v12, 0
	s_or_b64 s[4:5], s[4:5], s[8:9]
	s_or_b64 exec, exec, s[6:7]
	s_and_saveexec_b64 s[6:7], s[4:5]
	s_cbranch_execnz .LBB12_787
	s_branch .LBB12_788
.LBB12_2837:
	s_movk_i32 s4, 0x80
	v_cmp_eq_u16_e32 vcc, s4, v13
	s_mov_b64 s[4:5], -1
                                        ; implicit-def: $sgpr10
	s_and_saveexec_b64 s[8:9], vcc
; %bb.2838:
	s_mov_b32 s10, 0x7f800001
	s_xor_b64 s[4:5], exec, -1
; %bb.2839:
	s_or_b64 exec, exec, s[8:9]
	s_and_b64 s[4:5], s[4:5], exec
                                        ; implicit-def: $vgpr13
	s_or_saveexec_b64 s[6:7], s[6:7]
	v_mov_b32_e32 v14, s10
	s_xor_b64 exec, exec, s[6:7]
	s_cbranch_execz .LBB12_790
.LBB12_2840:
	v_cmp_ne_u16_e32 vcc, 0, v13
	s_andn2_b64 s[4:5], s[4:5], exec
	s_and_b64 s[8:9], vcc, exec
	v_mov_b32_e32 v14, 0
	s_or_b64 s[4:5], s[4:5], s[8:9]
	s_or_b64 exec, exec, s[6:7]
	s_and_saveexec_b64 s[6:7], s[4:5]
	s_cbranch_execnz .LBB12_791
	s_branch .LBB12_792
.LBB12_2841:
	s_movk_i32 s4, 0x80
	v_cmp_eq_u16_sdwa s[12:13], v6, s4 src0_sel:BYTE_3 src1_sel:DWORD
	s_mov_b64 s[4:5], -1
                                        ; implicit-def: $sgpr10
	s_and_saveexec_b64 s[8:9], s[12:13]
; %bb.2842:
	s_mov_b32 s10, 0x7f800001
	s_xor_b64 s[4:5], exec, -1
; %bb.2843:
	s_or_b64 exec, exec, s[8:9]
	s_and_b64 s[4:5], s[4:5], exec
	s_or_saveexec_b64 s[6:7], s[6:7]
	v_mov_b32_e32 v12, s10
	s_xor_b64 exec, exec, s[6:7]
	s_cbranch_execz .LBB12_794
.LBB12_2844:
	v_mov_b32_e32 v12, 0
	v_cmp_ne_u16_sdwa s[8:9], v6, v12 src0_sel:BYTE_3 src1_sel:DWORD
	s_andn2_b64 s[4:5], s[4:5], exec
	s_and_b64 s[8:9], s[8:9], exec
	s_or_b64 s[4:5], s[4:5], s[8:9]
	s_or_b64 exec, exec, s[6:7]
	s_and_saveexec_b64 s[6:7], s[4:5]
	s_cbranch_execnz .LBB12_795
	s_branch .LBB12_796
.LBB12_2845:
	s_movk_i32 s4, 0x80
	v_cmp_eq_u16_sdwa s[12:13], v2, s4 src0_sel:BYTE_3 src1_sel:DWORD
	s_mov_b64 s[4:5], -1
                                        ; implicit-def: $sgpr10
	s_and_saveexec_b64 s[8:9], s[12:13]
; %bb.2846:
	s_mov_b32 s10, 0x7f800001
	s_xor_b64 s[4:5], exec, -1
; %bb.2847:
	s_or_b64 exec, exec, s[8:9]
	s_and_b64 s[4:5], s[4:5], exec
	s_or_saveexec_b64 s[6:7], s[6:7]
	v_mov_b32_e32 v6, s10
	s_xor_b64 exec, exec, s[6:7]
	s_cbranch_execz .LBB12_798
.LBB12_2848:
	v_mov_b32_e32 v6, 0
	v_cmp_ne_u16_sdwa s[8:9], v2, v6 src0_sel:BYTE_3 src1_sel:DWORD
	s_andn2_b64 s[4:5], s[4:5], exec
	s_and_b64 s[8:9], s[8:9], exec
	s_or_b64 s[4:5], s[4:5], s[8:9]
	s_or_b64 exec, exec, s[6:7]
	s_and_saveexec_b64 s[6:7], s[4:5]
	s_cbranch_execnz .LBB12_799
	s_branch .LBB12_800
.LBB12_2849:
	s_movk_i32 s4, 0x80
	v_cmp_eq_u16_sdwa s[12:13], v7, s4 src0_sel:BYTE_0 src1_sel:DWORD
	s_mov_b64 s[4:5], -1
                                        ; implicit-def: $sgpr10
	s_and_saveexec_b64 s[8:9], s[12:13]
; %bb.2850:
	s_mov_b32 s10, 0x7f800001
	s_xor_b64 s[4:5], exec, -1
; %bb.2851:
	s_or_b64 exec, exec, s[8:9]
	s_and_b64 s[4:5], s[4:5], exec
	s_or_saveexec_b64 s[6:7], s[6:7]
	v_mov_b32_e32 v2, s10
	s_xor_b64 exec, exec, s[6:7]
	s_cbranch_execz .LBB12_802
.LBB12_2852:
	v_mov_b32_e32 v2, 0
	v_cmp_ne_u16_sdwa s[8:9], v7, v2 src0_sel:BYTE_0 src1_sel:DWORD
	s_andn2_b64 s[4:5], s[4:5], exec
	s_and_b64 s[8:9], s[8:9], exec
	s_or_b64 s[4:5], s[4:5], s[8:9]
	s_or_b64 exec, exec, s[6:7]
	s_and_saveexec_b64 s[6:7], s[4:5]
	s_cbranch_execnz .LBB12_803
	s_branch .LBB12_804
.LBB12_2853:
	s_movk_i32 s4, 0x80
	v_cmp_eq_u16_sdwa s[12:13], v3, s4 src0_sel:BYTE_0 src1_sel:DWORD
	s_mov_b64 s[4:5], -1
                                        ; implicit-def: $sgpr10
	s_and_saveexec_b64 s[8:9], s[12:13]
; %bb.2854:
	s_mov_b32 s10, 0x7f800001
	s_xor_b64 s[4:5], exec, -1
; %bb.2855:
	s_or_b64 exec, exec, s[8:9]
	s_and_b64 s[4:5], s[4:5], exec
	s_or_saveexec_b64 s[6:7], s[6:7]
	v_mov_b32_e32 v6, s10
	s_xor_b64 exec, exec, s[6:7]
	s_cbranch_execz .LBB12_806
.LBB12_2856:
	v_mov_b32_e32 v6, 0
	v_cmp_ne_u16_sdwa s[8:9], v3, v6 src0_sel:BYTE_0 src1_sel:DWORD
	s_andn2_b64 s[4:5], s[4:5], exec
	s_and_b64 s[8:9], s[8:9], exec
	s_or_b64 s[4:5], s[4:5], s[8:9]
	s_or_b64 exec, exec, s[6:7]
	s_and_saveexec_b64 s[6:7], s[4:5]
	s_cbranch_execnz .LBB12_807
	s_branch .LBB12_808
.LBB12_2857:
	s_movk_i32 s4, 0x80
	v_cmp_eq_u16_sdwa s[12:13], v6, s4 src0_sel:BYTE_0 src1_sel:DWORD
	s_mov_b64 s[4:5], -1
                                        ; implicit-def: $sgpr10
	s_and_saveexec_b64 s[8:9], s[12:13]
; %bb.2858:
	s_mov_b32 s10, 0x7f800001
	s_xor_b64 s[4:5], exec, -1
; %bb.2859:
	s_or_b64 exec, exec, s[8:9]
	s_and_b64 s[4:5], s[4:5], exec
	s_or_saveexec_b64 s[6:7], s[6:7]
	v_mov_b32_e32 v2, s10
	s_xor_b64 exec, exec, s[6:7]
	s_cbranch_execz .LBB12_810
.LBB12_2860:
	v_mov_b32_e32 v2, 0
	v_cmp_ne_u16_sdwa s[8:9], v6, v2 src0_sel:BYTE_0 src1_sel:DWORD
	s_andn2_b64 s[4:5], s[4:5], exec
	s_and_b64 s[8:9], s[8:9], exec
	s_or_b64 s[4:5], s[4:5], s[8:9]
	s_or_b64 exec, exec, s[6:7]
	s_and_saveexec_b64 s[6:7], s[4:5]
	s_cbranch_execnz .LBB12_811
	s_branch .LBB12_812
.LBB12_2861:
	s_movk_i32 s4, 0x80
	v_cmp_eq_u16_sdwa s[12:13], v6, s4 src0_sel:BYTE_0 src1_sel:DWORD
	s_mov_b64 s[4:5], -1
                                        ; implicit-def: $sgpr10
	s_and_saveexec_b64 s[8:9], s[12:13]
; %bb.2862:
	s_mov_b32 s10, 0x7f800001
	s_xor_b64 s[4:5], exec, -1
; %bb.2863:
	s_or_b64 exec, exec, s[8:9]
	s_and_b64 s[4:5], s[4:5], exec
	s_or_saveexec_b64 s[6:7], s[6:7]
	v_mov_b32_e32 v12, s10
	s_xor_b64 exec, exec, s[6:7]
	s_cbranch_execz .LBB12_814
.LBB12_2864:
	v_mov_b32_e32 v12, 0
	v_cmp_ne_u16_sdwa s[8:9], v6, v12 src0_sel:BYTE_0 src1_sel:DWORD
	s_andn2_b64 s[4:5], s[4:5], exec
	s_and_b64 s[8:9], s[8:9], exec
	s_or_b64 s[4:5], s[4:5], s[8:9]
	s_or_b64 exec, exec, s[6:7]
	s_and_saveexec_b64 s[6:7], s[4:5]
	s_cbranch_execnz .LBB12_815
	s_branch .LBB12_816
.LBB12_2865:
	s_movk_i32 s4, 0x80
	v_cmp_eq_u16_e32 vcc, s4, v6
	s_mov_b64 s[4:5], -1
                                        ; implicit-def: $sgpr10
	s_and_saveexec_b64 s[8:9], vcc
; %bb.2866:
	s_mov_b32 s10, 0x7f800001
	s_xor_b64 s[4:5], exec, -1
; %bb.2867:
	s_or_b64 exec, exec, s[8:9]
	s_and_b64 s[4:5], s[4:5], exec
                                        ; implicit-def: $vgpr6
	s_or_saveexec_b64 s[6:7], s[6:7]
	v_mov_b32_e32 v2, s10
	s_xor_b64 exec, exec, s[6:7]
	s_cbranch_execz .LBB12_818
.LBB12_2868:
	v_cmp_ne_u16_e32 vcc, 0, v6
	s_andn2_b64 s[4:5], s[4:5], exec
	s_and_b64 s[8:9], vcc, exec
	v_mov_b32_e32 v2, 0
	s_or_b64 s[4:5], s[4:5], s[8:9]
	s_or_b64 exec, exec, s[6:7]
	s_and_saveexec_b64 s[6:7], s[4:5]
	s_cbranch_execnz .LBB12_819
	s_branch .LBB12_820
.LBB12_2869:
	s_movk_i32 s4, 0x80
	v_cmp_eq_u16_e32 vcc, s4, v6
	s_mov_b64 s[4:5], -1
                                        ; implicit-def: $sgpr10
	s_and_saveexec_b64 s[8:9], vcc
; %bb.2870:
	s_mov_b32 s10, 0x7f800001
	s_xor_b64 s[4:5], exec, -1
; %bb.2871:
	s_or_b64 exec, exec, s[8:9]
	s_and_b64 s[4:5], s[4:5], exec
                                        ; implicit-def: $vgpr6
	s_or_saveexec_b64 s[6:7], s[6:7]
	v_mov_b32_e32 v12, s10
	s_xor_b64 exec, exec, s[6:7]
	s_cbranch_execz .LBB12_822
.LBB12_2872:
	v_cmp_ne_u16_e32 vcc, 0, v6
	s_andn2_b64 s[4:5], s[4:5], exec
	s_and_b64 s[8:9], vcc, exec
	v_mov_b32_e32 v12, 0
	s_or_b64 s[4:5], s[4:5], s[8:9]
	s_or_b64 exec, exec, s[6:7]
	s_and_saveexec_b64 s[6:7], s[4:5]
	s_cbranch_execnz .LBB12_823
	s_branch .LBB12_824
.LBB12_2873:
	s_movk_i32 s4, 0x80
	v_cmp_eq_u16_sdwa s[12:13], v7, s4 src0_sel:BYTE_3 src1_sel:DWORD
	s_mov_b64 s[4:5], -1
                                        ; implicit-def: $sgpr10
	s_and_saveexec_b64 s[8:9], s[12:13]
; %bb.2874:
	s_mov_b32 s10, 0x7f800001
	s_xor_b64 s[4:5], exec, -1
; %bb.2875:
	s_or_b64 exec, exec, s[8:9]
	s_and_b64 s[4:5], s[4:5], exec
	s_or_saveexec_b64 s[6:7], s[6:7]
	v_mov_b32_e32 v2, s10
	s_xor_b64 exec, exec, s[6:7]
	s_cbranch_execz .LBB12_826
.LBB12_2876:
	v_mov_b32_e32 v2, 0
	v_cmp_ne_u16_sdwa s[8:9], v7, v2 src0_sel:BYTE_3 src1_sel:DWORD
	s_andn2_b64 s[4:5], s[4:5], exec
	s_and_b64 s[8:9], s[8:9], exec
	s_or_b64 s[4:5], s[4:5], s[8:9]
	s_or_b64 exec, exec, s[6:7]
	s_and_saveexec_b64 s[6:7], s[4:5]
	s_cbranch_execnz .LBB12_827
	s_branch .LBB12_828
.LBB12_2877:
	s_movk_i32 s4, 0x80
	v_cmp_eq_u16_sdwa s[12:13], v3, s4 src0_sel:BYTE_3 src1_sel:DWORD
	s_mov_b64 s[4:5], -1
                                        ; implicit-def: $sgpr10
	s_and_saveexec_b64 s[8:9], s[12:13]
; %bb.2878:
	s_mov_b32 s10, 0x7f800001
	s_xor_b64 s[4:5], exec, -1
; %bb.2879:
	s_or_b64 exec, exec, s[8:9]
	s_and_b64 s[4:5], s[4:5], exec
	s_or_saveexec_b64 s[6:7], s[6:7]
	v_mov_b32_e32 v6, s10
	s_xor_b64 exec, exec, s[6:7]
	s_cbranch_execz .LBB12_830
.LBB12_2880:
	v_mov_b32_e32 v6, 0
	v_cmp_ne_u16_sdwa s[8:9], v3, v6 src0_sel:BYTE_3 src1_sel:DWORD
	s_andn2_b64 s[4:5], s[4:5], exec
	s_and_b64 s[8:9], s[8:9], exec
	s_or_b64 s[4:5], s[4:5], s[8:9]
	s_or_b64 exec, exec, s[6:7]
	s_and_saveexec_b64 s[6:7], s[4:5]
	s_cbranch_execnz .LBB12_831
	s_branch .LBB12_832
.LBB12_2881:
	s_movk_i32 s4, 0x80
	v_cmp_eq_u16_sdwa s[12:13], v8, s4 src0_sel:BYTE_0 src1_sel:DWORD
	s_mov_b64 s[4:5], -1
                                        ; implicit-def: $sgpr10
	s_and_saveexec_b64 s[8:9], s[12:13]
; %bb.2882:
	s_mov_b32 s10, 0x7f800001
	s_xor_b64 s[4:5], exec, -1
; %bb.2883:
	s_or_b64 exec, exec, s[8:9]
	s_and_b64 s[4:5], s[4:5], exec
	s_or_saveexec_b64 s[6:7], s[6:7]
	v_mov_b32_e32 v2, s10
	s_xor_b64 exec, exec, s[6:7]
	s_cbranch_execz .LBB12_834
.LBB12_2884:
	v_mov_b32_e32 v2, 0
	v_cmp_ne_u16_sdwa s[8:9], v8, v2 src0_sel:BYTE_0 src1_sel:DWORD
	s_andn2_b64 s[4:5], s[4:5], exec
	s_and_b64 s[8:9], s[8:9], exec
	s_or_b64 s[4:5], s[4:5], s[8:9]
	s_or_b64 exec, exec, s[6:7]
	s_and_saveexec_b64 s[6:7], s[4:5]
	s_cbranch_execnz .LBB12_835
	s_branch .LBB12_836
.LBB12_2885:
	s_movk_i32 s4, 0x80
	v_cmp_eq_u16_sdwa s[12:13], v4, s4 src0_sel:BYTE_0 src1_sel:DWORD
	s_mov_b64 s[4:5], -1
                                        ; implicit-def: $sgpr10
	s_and_saveexec_b64 s[8:9], s[12:13]
; %bb.2886:
	s_mov_b32 s10, 0x7f800001
	s_xor_b64 s[4:5], exec, -1
; %bb.2887:
	s_or_b64 exec, exec, s[8:9]
	s_and_b64 s[4:5], s[4:5], exec
	s_or_saveexec_b64 s[6:7], s[6:7]
	v_mov_b32_e32 v3, s10
	s_xor_b64 exec, exec, s[6:7]
	s_cbranch_execz .LBB12_838
.LBB12_2888:
	v_mov_b32_e32 v3, 0
	v_cmp_ne_u16_sdwa s[8:9], v4, v3 src0_sel:BYTE_0 src1_sel:DWORD
	s_andn2_b64 s[4:5], s[4:5], exec
	s_and_b64 s[8:9], s[8:9], exec
	s_or_b64 s[4:5], s[4:5], s[8:9]
	s_or_b64 exec, exec, s[6:7]
	s_and_saveexec_b64 s[6:7], s[4:5]
	s_cbranch_execnz .LBB12_839
	s_branch .LBB12_840
.LBB12_2889:
	s_movk_i32 s4, 0x80
	v_cmp_eq_u16_sdwa s[12:13], v3, s4 src0_sel:BYTE_0 src1_sel:DWORD
	s_mov_b64 s[4:5], -1
                                        ; implicit-def: $sgpr10
	s_and_saveexec_b64 s[8:9], s[12:13]
; %bb.2890:
	s_mov_b32 s10, 0x7f800001
	s_xor_b64 s[4:5], exec, -1
; %bb.2891:
	s_or_b64 exec, exec, s[8:9]
	s_and_b64 s[4:5], s[4:5], exec
	s_or_saveexec_b64 s[6:7], s[6:7]
	v_mov_b32_e32 v2, s10
	s_xor_b64 exec, exec, s[6:7]
	s_cbranch_execz .LBB12_842
.LBB12_2892:
	v_mov_b32_e32 v2, 0
	v_cmp_ne_u16_sdwa s[8:9], v3, v2 src0_sel:BYTE_0 src1_sel:DWORD
	s_andn2_b64 s[4:5], s[4:5], exec
	s_and_b64 s[8:9], s[8:9], exec
	s_or_b64 s[4:5], s[4:5], s[8:9]
	s_or_b64 exec, exec, s[6:7]
	s_and_saveexec_b64 s[6:7], s[4:5]
	s_cbranch_execnz .LBB12_843
	s_branch .LBB12_844
.LBB12_2893:
	s_movk_i32 s4, 0x80
	v_cmp_eq_u16_sdwa s[12:13], v3, s4 src0_sel:BYTE_0 src1_sel:DWORD
	s_mov_b64 s[4:5], -1
                                        ; implicit-def: $sgpr10
	s_and_saveexec_b64 s[8:9], s[12:13]
; %bb.2894:
	s_mov_b32 s10, 0x7f800001
	s_xor_b64 s[4:5], exec, -1
; %bb.2895:
	s_or_b64 exec, exec, s[8:9]
	s_and_b64 s[4:5], s[4:5], exec
	s_or_saveexec_b64 s[6:7], s[6:7]
	v_mov_b32_e32 v6, s10
	s_xor_b64 exec, exec, s[6:7]
	s_cbranch_execz .LBB12_846
.LBB12_2896:
	v_mov_b32_e32 v6, 0
	v_cmp_ne_u16_sdwa s[8:9], v3, v6 src0_sel:BYTE_0 src1_sel:DWORD
	s_andn2_b64 s[4:5], s[4:5], exec
	s_and_b64 s[8:9], s[8:9], exec
	s_or_b64 s[4:5], s[4:5], s[8:9]
	s_or_b64 exec, exec, s[6:7]
	s_and_saveexec_b64 s[6:7], s[4:5]
	s_cbranch_execnz .LBB12_847
	s_branch .LBB12_848
.LBB12_2897:
	s_movk_i32 s4, 0x80
	v_cmp_eq_u16_e32 vcc, s4, v3
	s_mov_b64 s[4:5], -1
                                        ; implicit-def: $sgpr10
	s_and_saveexec_b64 s[8:9], vcc
; %bb.2898:
	s_mov_b32 s10, 0x7f800001
	s_xor_b64 s[4:5], exec, -1
; %bb.2899:
	s_or_b64 exec, exec, s[8:9]
	s_and_b64 s[4:5], s[4:5], exec
                                        ; implicit-def: $vgpr3
	s_or_saveexec_b64 s[6:7], s[6:7]
	v_mov_b32_e32 v2, s10
	s_xor_b64 exec, exec, s[6:7]
	s_cbranch_execz .LBB12_850
.LBB12_2900:
	v_cmp_ne_u16_e32 vcc, 0, v3
	s_andn2_b64 s[4:5], s[4:5], exec
	s_and_b64 s[8:9], vcc, exec
	v_mov_b32_e32 v2, 0
	s_or_b64 s[4:5], s[4:5], s[8:9]
	s_or_b64 exec, exec, s[6:7]
	s_and_saveexec_b64 s[6:7], s[4:5]
	s_cbranch_execnz .LBB12_851
	s_branch .LBB12_852
.LBB12_2901:
	s_movk_i32 s4, 0x80
	v_cmp_eq_u16_e32 vcc, s4, v3
	s_mov_b64 s[4:5], -1
                                        ; implicit-def: $sgpr10
	s_and_saveexec_b64 s[8:9], vcc
; %bb.2902:
	s_mov_b32 s10, 0x7f800001
	s_xor_b64 s[4:5], exec, -1
; %bb.2903:
	s_or_b64 exec, exec, s[8:9]
	s_and_b64 s[4:5], s[4:5], exec
                                        ; implicit-def: $vgpr3
	s_or_saveexec_b64 s[6:7], s[6:7]
	v_mov_b32_e32 v6, s10
	s_xor_b64 exec, exec, s[6:7]
	s_cbranch_execz .LBB12_854
.LBB12_2904:
	v_cmp_ne_u16_e32 vcc, 0, v3
	s_andn2_b64 s[4:5], s[4:5], exec
	s_and_b64 s[8:9], vcc, exec
	v_mov_b32_e32 v6, 0
	s_or_b64 s[4:5], s[4:5], s[8:9]
	s_or_b64 exec, exec, s[6:7]
	s_and_saveexec_b64 s[6:7], s[4:5]
	s_cbranch_execnz .LBB12_855
	s_branch .LBB12_856
.LBB12_2905:
	s_movk_i32 s4, 0x80
	v_cmp_eq_u16_sdwa s[12:13], v8, s4 src0_sel:BYTE_3 src1_sel:DWORD
	s_mov_b64 s[4:5], -1
                                        ; implicit-def: $sgpr10
	s_and_saveexec_b64 s[8:9], s[12:13]
; %bb.2906:
	s_mov_b32 s10, 0x7f800001
	s_xor_b64 s[4:5], exec, -1
; %bb.2907:
	s_or_b64 exec, exec, s[8:9]
	s_and_b64 s[4:5], s[4:5], exec
	s_or_saveexec_b64 s[6:7], s[6:7]
	v_mov_b32_e32 v2, s10
	s_xor_b64 exec, exec, s[6:7]
	s_cbranch_execz .LBB12_858
.LBB12_2908:
	v_mov_b32_e32 v2, 0
	v_cmp_ne_u16_sdwa s[8:9], v8, v2 src0_sel:BYTE_3 src1_sel:DWORD
	s_andn2_b64 s[4:5], s[4:5], exec
	s_and_b64 s[8:9], s[8:9], exec
	s_or_b64 s[4:5], s[4:5], s[8:9]
	s_or_b64 exec, exec, s[6:7]
	s_and_saveexec_b64 s[6:7], s[4:5]
	s_cbranch_execnz .LBB12_859
	s_branch .LBB12_860
.LBB12_2909:
	s_movk_i32 s4, 0x80
	v_cmp_eq_u16_sdwa s[12:13], v4, s4 src0_sel:BYTE_3 src1_sel:DWORD
	s_mov_b64 s[4:5], -1
                                        ; implicit-def: $sgpr10
	s_and_saveexec_b64 s[8:9], s[12:13]
; %bb.2910:
	s_mov_b32 s10, 0x7f800001
	s_xor_b64 s[4:5], exec, -1
; %bb.2911:
	s_or_b64 exec, exec, s[8:9]
	s_and_b64 s[4:5], s[4:5], exec
	s_or_saveexec_b64 s[6:7], s[6:7]
	v_mov_b32_e32 v3, s10
	s_xor_b64 exec, exec, s[6:7]
	s_cbranch_execz .LBB12_862
.LBB12_2912:
	v_mov_b32_e32 v3, 0
	v_cmp_ne_u16_sdwa s[8:9], v4, v3 src0_sel:BYTE_3 src1_sel:DWORD
	s_andn2_b64 s[4:5], s[4:5], exec
	s_and_b64 s[8:9], s[8:9], exec
	s_or_b64 s[4:5], s[4:5], s[8:9]
	s_or_b64 exec, exec, s[6:7]
	s_and_saveexec_b64 s[6:7], s[4:5]
	s_cbranch_execnz .LBB12_863
	s_branch .LBB12_864
.LBB12_2913:
	s_movk_i32 s4, 0x80
	v_cmp_eq_u16_sdwa s[12:13], v9, s4 src0_sel:BYTE_0 src1_sel:DWORD
	s_mov_b64 s[4:5], -1
                                        ; implicit-def: $sgpr10
	s_and_saveexec_b64 s[8:9], s[12:13]
; %bb.2914:
	s_mov_b32 s10, 0x7f800001
	s_xor_b64 s[4:5], exec, -1
; %bb.2915:
	s_or_b64 exec, exec, s[8:9]
	s_and_b64 s[4:5], s[4:5], exec
	s_or_saveexec_b64 s[6:7], s[6:7]
	v_mov_b32_e32 v2, s10
	s_xor_b64 exec, exec, s[6:7]
	s_cbranch_execz .LBB12_866
.LBB12_2916:
	v_mov_b32_e32 v2, 0
	v_cmp_ne_u16_sdwa s[8:9], v9, v2 src0_sel:BYTE_0 src1_sel:DWORD
	s_andn2_b64 s[4:5], s[4:5], exec
	s_and_b64 s[8:9], s[8:9], exec
	s_or_b64 s[4:5], s[4:5], s[8:9]
	s_or_b64 exec, exec, s[6:7]
	s_and_saveexec_b64 s[6:7], s[4:5]
	s_cbranch_execnz .LBB12_867
	s_branch .LBB12_868
.LBB12_2917:
	s_movk_i32 s4, 0x80
	v_cmp_eq_u16_sdwa s[12:13], v5, s4 src0_sel:BYTE_0 src1_sel:DWORD
	s_mov_b64 s[4:5], -1
                                        ; implicit-def: $sgpr10
	s_and_saveexec_b64 s[8:9], s[12:13]
; %bb.2918:
	s_mov_b32 s10, 0x7f800001
	s_xor_b64 s[4:5], exec, -1
; %bb.2919:
	s_or_b64 exec, exec, s[8:9]
	s_and_b64 s[4:5], s[4:5], exec
	s_or_saveexec_b64 s[6:7], s[6:7]
	v_mov_b32_e32 v3, s10
	s_xor_b64 exec, exec, s[6:7]
	s_cbranch_execz .LBB12_870
.LBB12_2920:
	v_mov_b32_e32 v3, 0
	v_cmp_ne_u16_sdwa s[8:9], v5, v3 src0_sel:BYTE_0 src1_sel:DWORD
	s_andn2_b64 s[4:5], s[4:5], exec
	s_and_b64 s[8:9], s[8:9], exec
	s_or_b64 s[4:5], s[4:5], s[8:9]
	s_or_b64 exec, exec, s[6:7]
	s_and_saveexec_b64 s[6:7], s[4:5]
	s_cbranch_execnz .LBB12_871
	s_branch .LBB12_872
.LBB12_2921:
	s_movk_i32 s4, 0x80
	v_cmp_eq_u16_sdwa s[12:13], v3, s4 src0_sel:BYTE_0 src1_sel:DWORD
	s_mov_b64 s[4:5], -1
                                        ; implicit-def: $sgpr10
	s_and_saveexec_b64 s[8:9], s[12:13]
; %bb.2922:
	s_mov_b32 s10, 0x7f800001
	s_xor_b64 s[4:5], exec, -1
; %bb.2923:
	s_or_b64 exec, exec, s[8:9]
	s_and_b64 s[4:5], s[4:5], exec
	s_or_saveexec_b64 s[6:7], s[6:7]
	v_mov_b32_e32 v2, s10
	s_xor_b64 exec, exec, s[6:7]
	s_cbranch_execz .LBB12_874
.LBB12_2924:
	v_mov_b32_e32 v2, 0
	v_cmp_ne_u16_sdwa s[8:9], v3, v2 src0_sel:BYTE_0 src1_sel:DWORD
	s_andn2_b64 s[4:5], s[4:5], exec
	s_and_b64 s[8:9], s[8:9], exec
	s_or_b64 s[4:5], s[4:5], s[8:9]
	s_or_b64 exec, exec, s[6:7]
	s_and_saveexec_b64 s[6:7], s[4:5]
	s_cbranch_execnz .LBB12_875
	s_branch .LBB12_876
.LBB12_2925:
	s_movk_i32 s4, 0x80
	v_cmp_eq_u16_sdwa s[12:13], v3, s4 src0_sel:BYTE_0 src1_sel:DWORD
	s_mov_b64 s[4:5], -1
                                        ; implicit-def: $sgpr10
	s_and_saveexec_b64 s[8:9], s[12:13]
; %bb.2926:
	s_mov_b32 s10, 0x7f800001
	s_xor_b64 s[4:5], exec, -1
; %bb.2927:
	s_or_b64 exec, exec, s[8:9]
	s_and_b64 s[4:5], s[4:5], exec
	s_or_saveexec_b64 s[6:7], s[6:7]
	v_mov_b32_e32 v4, s10
	s_xor_b64 exec, exec, s[6:7]
	s_cbranch_execz .LBB12_878
.LBB12_2928:
	v_mov_b32_e32 v4, 0
	v_cmp_ne_u16_sdwa s[8:9], v3, v4 src0_sel:BYTE_0 src1_sel:DWORD
	s_andn2_b64 s[4:5], s[4:5], exec
	s_and_b64 s[8:9], s[8:9], exec
	s_or_b64 s[4:5], s[4:5], s[8:9]
	s_or_b64 exec, exec, s[6:7]
	s_and_saveexec_b64 s[6:7], s[4:5]
	s_cbranch_execnz .LBB12_879
	s_branch .LBB12_880
.LBB12_2929:
	s_movk_i32 s4, 0x80
	v_cmp_eq_u16_e32 vcc, s4, v3
	s_mov_b64 s[4:5], -1
                                        ; implicit-def: $sgpr10
	s_and_saveexec_b64 s[8:9], vcc
; %bb.2930:
	s_mov_b32 s10, 0x7f800001
	s_xor_b64 s[4:5], exec, -1
; %bb.2931:
	s_or_b64 exec, exec, s[8:9]
	s_and_b64 s[4:5], s[4:5], exec
                                        ; implicit-def: $vgpr3
	s_or_saveexec_b64 s[6:7], s[6:7]
	v_mov_b32_e32 v2, s10
	s_xor_b64 exec, exec, s[6:7]
	s_cbranch_execz .LBB12_882
.LBB12_2932:
	v_cmp_ne_u16_e32 vcc, 0, v3
	s_andn2_b64 s[4:5], s[4:5], exec
	s_and_b64 s[8:9], vcc, exec
	v_mov_b32_e32 v2, 0
	s_or_b64 s[4:5], s[4:5], s[8:9]
	s_or_b64 exec, exec, s[6:7]
	s_and_saveexec_b64 s[6:7], s[4:5]
	s_cbranch_execnz .LBB12_883
	s_branch .LBB12_884
.LBB12_2933:
	s_movk_i32 s4, 0x80
	v_cmp_eq_u16_e32 vcc, s4, v3
	s_mov_b64 s[4:5], -1
                                        ; implicit-def: $sgpr10
	s_and_saveexec_b64 s[8:9], vcc
; %bb.2934:
	s_mov_b32 s10, 0x7f800001
	s_xor_b64 s[4:5], exec, -1
; %bb.2935:
	s_or_b64 exec, exec, s[8:9]
	s_and_b64 s[4:5], s[4:5], exec
                                        ; implicit-def: $vgpr3
	s_or_saveexec_b64 s[6:7], s[6:7]
	v_mov_b32_e32 v4, s10
	s_xor_b64 exec, exec, s[6:7]
	s_cbranch_execz .LBB12_886
.LBB12_2936:
	v_cmp_ne_u16_e32 vcc, 0, v3
	s_andn2_b64 s[4:5], s[4:5], exec
	s_and_b64 s[8:9], vcc, exec
	v_mov_b32_e32 v4, 0
	s_or_b64 s[4:5], s[4:5], s[8:9]
	s_or_b64 exec, exec, s[6:7]
	s_and_saveexec_b64 s[6:7], s[4:5]
	s_cbranch_execnz .LBB12_887
	s_branch .LBB12_888
.LBB12_2937:
	s_movk_i32 s4, 0x80
	v_cmp_eq_u16_sdwa s[12:13], v9, s4 src0_sel:BYTE_3 src1_sel:DWORD
	s_mov_b64 s[4:5], -1
                                        ; implicit-def: $sgpr10
	s_and_saveexec_b64 s[8:9], s[12:13]
; %bb.2938:
	s_mov_b32 s10, 0x7f800001
	s_xor_b64 s[4:5], exec, -1
; %bb.2939:
	s_or_b64 exec, exec, s[8:9]
	s_and_b64 s[4:5], s[4:5], exec
	s_or_saveexec_b64 s[6:7], s[6:7]
	v_mov_b32_e32 v2, s10
	s_xor_b64 exec, exec, s[6:7]
	s_cbranch_execz .LBB12_890
.LBB12_2940:
	v_mov_b32_e32 v2, 0
	v_cmp_ne_u16_sdwa s[8:9], v9, v2 src0_sel:BYTE_3 src1_sel:DWORD
	s_andn2_b64 s[4:5], s[4:5], exec
	s_and_b64 s[8:9], s[8:9], exec
	s_or_b64 s[4:5], s[4:5], s[8:9]
	s_or_b64 exec, exec, s[6:7]
	s_and_saveexec_b64 s[6:7], s[4:5]
	s_cbranch_execnz .LBB12_891
	s_branch .LBB12_892
.LBB12_2941:
	s_movk_i32 s4, 0x80
	v_cmp_eq_u16_sdwa s[12:13], v5, s4 src0_sel:BYTE_3 src1_sel:DWORD
	s_mov_b64 s[4:5], -1
                                        ; implicit-def: $sgpr10
	s_and_saveexec_b64 s[8:9], s[12:13]
; %bb.2942:
	s_mov_b32 s10, 0x7f800001
	s_xor_b64 s[4:5], exec, -1
; %bb.2943:
	s_or_b64 exec, exec, s[8:9]
	s_and_b64 s[4:5], s[4:5], exec
	s_or_saveexec_b64 s[6:7], s[6:7]
	v_mov_b32_e32 v3, s10
	s_xor_b64 exec, exec, s[6:7]
	s_cbranch_execz .LBB12_894
.LBB12_2944:
	v_mov_b32_e32 v3, 0
	v_cmp_ne_u16_sdwa s[8:9], v5, v3 src0_sel:BYTE_3 src1_sel:DWORD
	s_andn2_b64 s[4:5], s[4:5], exec
	s_and_b64 s[8:9], s[8:9], exec
	s_or_b64 s[4:5], s[4:5], s[8:9]
	s_or_b64 exec, exec, s[6:7]
	s_and_saveexec_b64 s[6:7], s[4:5]
	s_cbranch_execnz .LBB12_895
	s_branch .LBB12_896
.LBB12_2945:
	s_movk_i32 s4, 0x80
	v_cmp_eq_u16_sdwa s[12:13], v6, s4 src0_sel:BYTE_0 src1_sel:DWORD
	s_mov_b64 s[4:5], -1
                                        ; implicit-def: $sgpr10
	s_and_saveexec_b64 s[8:9], s[12:13]
; %bb.2946:
	s_mov_b32 s10, 0x7f800001
	s_xor_b64 s[4:5], exec, -1
; %bb.2947:
	s_or_b64 exec, exec, s[8:9]
	s_and_b64 s[4:5], s[4:5], exec
	s_or_saveexec_b64 s[6:7], s[6:7]
	v_mov_b32_e32 v12, s10
	s_xor_b64 exec, exec, s[6:7]
	s_cbranch_execz .LBB12_898
.LBB12_2948:
	v_mov_b32_e32 v12, 0
	v_cmp_ne_u16_sdwa s[8:9], v6, v12 src0_sel:BYTE_0 src1_sel:DWORD
	s_andn2_b64 s[4:5], s[4:5], exec
	s_and_b64 s[8:9], s[8:9], exec
	s_or_b64 s[4:5], s[4:5], s[8:9]
	s_or_b64 exec, exec, s[6:7]
	s_and_saveexec_b64 s[6:7], s[4:5]
	s_cbranch_execnz .LBB12_899
	s_branch .LBB12_900
.LBB12_2949:
	s_movk_i32 s4, 0x80
	v_cmp_eq_u16_sdwa s[12:13], v2, s4 src0_sel:BYTE_0 src1_sel:DWORD
	s_mov_b64 s[4:5], -1
                                        ; implicit-def: $sgpr10
	s_and_saveexec_b64 s[8:9], s[12:13]
; %bb.2950:
	s_mov_b32 s10, 0x7f800001
	s_xor_b64 s[4:5], exec, -1
; %bb.2951:
	s_or_b64 exec, exec, s[8:9]
	s_and_b64 s[4:5], s[4:5], exec
	s_or_saveexec_b64 s[6:7], s[6:7]
	v_mov_b32_e32 v13, s10
	s_xor_b64 exec, exec, s[6:7]
	s_cbranch_execz .LBB12_902
.LBB12_2952:
	v_mov_b32_e32 v13, 0
	v_cmp_ne_u16_sdwa s[8:9], v2, v13 src0_sel:BYTE_0 src1_sel:DWORD
	s_andn2_b64 s[4:5], s[4:5], exec
	s_and_b64 s[8:9], s[8:9], exec
	s_or_b64 s[4:5], s[4:5], s[8:9]
	s_or_b64 exec, exec, s[6:7]
	s_and_saveexec_b64 s[6:7], s[4:5]
	s_cbranch_execnz .LBB12_903
	s_branch .LBB12_904
.LBB12_2953:
	s_movk_i32 s4, 0x80
	v_cmp_eq_u16_sdwa s[12:13], v13, s4 src0_sel:BYTE_0 src1_sel:DWORD
	s_mov_b64 s[4:5], -1
                                        ; implicit-def: $sgpr10
	s_and_saveexec_b64 s[8:9], s[12:13]
; %bb.2954:
	s_mov_b32 s10, 0x7f800001
	s_xor_b64 s[4:5], exec, -1
; %bb.2955:
	s_or_b64 exec, exec, s[8:9]
	s_and_b64 s[4:5], s[4:5], exec
	s_or_saveexec_b64 s[6:7], s[6:7]
	v_mov_b32_e32 v12, s10
	s_xor_b64 exec, exec, s[6:7]
	s_cbranch_execz .LBB12_906
.LBB12_2956:
	v_mov_b32_e32 v12, 0
	v_cmp_ne_u16_sdwa s[8:9], v13, v12 src0_sel:BYTE_0 src1_sel:DWORD
	s_andn2_b64 s[4:5], s[4:5], exec
	s_and_b64 s[8:9], s[8:9], exec
	s_or_b64 s[4:5], s[4:5], s[8:9]
	s_or_b64 exec, exec, s[6:7]
	s_and_saveexec_b64 s[6:7], s[4:5]
	s_cbranch_execnz .LBB12_907
	s_branch .LBB12_908
.LBB12_2957:
	s_movk_i32 s4, 0x80
	v_cmp_eq_u16_sdwa s[12:13], v13, s4 src0_sel:BYTE_0 src1_sel:DWORD
	s_mov_b64 s[4:5], -1
                                        ; implicit-def: $sgpr10
	s_and_saveexec_b64 s[8:9], s[12:13]
; %bb.2958:
	s_mov_b32 s10, 0x7f800001
	s_xor_b64 s[4:5], exec, -1
; %bb.2959:
	s_or_b64 exec, exec, s[8:9]
	s_and_b64 s[4:5], s[4:5], exec
	s_or_saveexec_b64 s[6:7], s[6:7]
	v_mov_b32_e32 v14, s10
	s_xor_b64 exec, exec, s[6:7]
	s_cbranch_execz .LBB12_910
.LBB12_2960:
	v_mov_b32_e32 v14, 0
	v_cmp_ne_u16_sdwa s[8:9], v13, v14 src0_sel:BYTE_0 src1_sel:DWORD
	s_andn2_b64 s[4:5], s[4:5], exec
	s_and_b64 s[8:9], s[8:9], exec
	s_or_b64 s[4:5], s[4:5], s[8:9]
	s_or_b64 exec, exec, s[6:7]
	s_and_saveexec_b64 s[6:7], s[4:5]
	s_cbranch_execnz .LBB12_911
	s_branch .LBB12_912
.LBB12_2961:
	s_movk_i32 s4, 0x80
	v_cmp_eq_u16_e32 vcc, s4, v13
	s_mov_b64 s[4:5], -1
                                        ; implicit-def: $sgpr10
	s_and_saveexec_b64 s[8:9], vcc
; %bb.2962:
	s_mov_b32 s10, 0x7f800001
	s_xor_b64 s[4:5], exec, -1
; %bb.2963:
	s_or_b64 exec, exec, s[8:9]
	s_and_b64 s[4:5], s[4:5], exec
                                        ; implicit-def: $vgpr13
	s_or_saveexec_b64 s[6:7], s[6:7]
	v_mov_b32_e32 v12, s10
	s_xor_b64 exec, exec, s[6:7]
	s_cbranch_execz .LBB12_914
.LBB12_2964:
	v_cmp_ne_u16_e32 vcc, 0, v13
	s_andn2_b64 s[4:5], s[4:5], exec
	s_and_b64 s[8:9], vcc, exec
	v_mov_b32_e32 v12, 0
	s_or_b64 s[4:5], s[4:5], s[8:9]
	s_or_b64 exec, exec, s[6:7]
	s_and_saveexec_b64 s[6:7], s[4:5]
	s_cbranch_execnz .LBB12_915
	s_branch .LBB12_916
.LBB12_2965:
	s_movk_i32 s4, 0x80
	v_cmp_eq_u16_e32 vcc, s4, v13
	s_mov_b64 s[4:5], -1
                                        ; implicit-def: $sgpr10
	s_and_saveexec_b64 s[8:9], vcc
; %bb.2966:
	s_mov_b32 s10, 0x7f800001
	s_xor_b64 s[4:5], exec, -1
; %bb.2967:
	s_or_b64 exec, exec, s[8:9]
	s_and_b64 s[4:5], s[4:5], exec
                                        ; implicit-def: $vgpr13
	s_or_saveexec_b64 s[6:7], s[6:7]
	v_mov_b32_e32 v14, s10
	s_xor_b64 exec, exec, s[6:7]
	s_cbranch_execz .LBB12_918
.LBB12_2968:
	v_cmp_ne_u16_e32 vcc, 0, v13
	s_andn2_b64 s[4:5], s[4:5], exec
	s_and_b64 s[8:9], vcc, exec
	v_mov_b32_e32 v14, 0
	s_or_b64 s[4:5], s[4:5], s[8:9]
	s_or_b64 exec, exec, s[6:7]
	s_and_saveexec_b64 s[6:7], s[4:5]
	s_cbranch_execnz .LBB12_919
	s_branch .LBB12_920
.LBB12_2969:
	s_movk_i32 s4, 0x80
	v_cmp_eq_u16_sdwa s[12:13], v6, s4 src0_sel:BYTE_3 src1_sel:DWORD
	s_mov_b64 s[4:5], -1
                                        ; implicit-def: $sgpr10
	s_and_saveexec_b64 s[8:9], s[12:13]
; %bb.2970:
	s_mov_b32 s10, 0x7f800001
	s_xor_b64 s[4:5], exec, -1
; %bb.2971:
	s_or_b64 exec, exec, s[8:9]
	s_and_b64 s[4:5], s[4:5], exec
	s_or_saveexec_b64 s[6:7], s[6:7]
	v_mov_b32_e32 v12, s10
	s_xor_b64 exec, exec, s[6:7]
	s_cbranch_execz .LBB12_922
.LBB12_2972:
	v_mov_b32_e32 v12, 0
	v_cmp_ne_u16_sdwa s[8:9], v6, v12 src0_sel:BYTE_3 src1_sel:DWORD
	s_andn2_b64 s[4:5], s[4:5], exec
	s_and_b64 s[8:9], s[8:9], exec
	s_or_b64 s[4:5], s[4:5], s[8:9]
	s_or_b64 exec, exec, s[6:7]
	s_and_saveexec_b64 s[6:7], s[4:5]
	s_cbranch_execnz .LBB12_923
	s_branch .LBB12_924
.LBB12_2973:
	s_movk_i32 s4, 0x80
	v_cmp_eq_u16_sdwa s[12:13], v2, s4 src0_sel:BYTE_3 src1_sel:DWORD
	s_mov_b64 s[4:5], -1
                                        ; implicit-def: $sgpr10
	s_and_saveexec_b64 s[8:9], s[12:13]
; %bb.2974:
	s_mov_b32 s10, 0x7f800001
	s_xor_b64 s[4:5], exec, -1
; %bb.2975:
	s_or_b64 exec, exec, s[8:9]
	s_and_b64 s[4:5], s[4:5], exec
	s_or_saveexec_b64 s[6:7], s[6:7]
	v_mov_b32_e32 v6, s10
	s_xor_b64 exec, exec, s[6:7]
	s_cbranch_execz .LBB12_926
.LBB12_2976:
	v_mov_b32_e32 v6, 0
	v_cmp_ne_u16_sdwa s[8:9], v2, v6 src0_sel:BYTE_3 src1_sel:DWORD
	s_andn2_b64 s[4:5], s[4:5], exec
	s_and_b64 s[8:9], s[8:9], exec
	s_or_b64 s[4:5], s[4:5], s[8:9]
	s_or_b64 exec, exec, s[6:7]
	s_and_saveexec_b64 s[6:7], s[4:5]
	s_cbranch_execnz .LBB12_927
	s_branch .LBB12_928
.LBB12_2977:
	s_movk_i32 s4, 0x80
	v_cmp_eq_u16_sdwa s[12:13], v7, s4 src0_sel:BYTE_0 src1_sel:DWORD
	s_mov_b64 s[4:5], -1
                                        ; implicit-def: $sgpr10
	s_and_saveexec_b64 s[8:9], s[12:13]
; %bb.2978:
	s_mov_b32 s10, 0x7f800001
	s_xor_b64 s[4:5], exec, -1
; %bb.2979:
	s_or_b64 exec, exec, s[8:9]
	s_and_b64 s[4:5], s[4:5], exec
	s_or_saveexec_b64 s[6:7], s[6:7]
	v_mov_b32_e32 v2, s10
	s_xor_b64 exec, exec, s[6:7]
	s_cbranch_execz .LBB12_930
.LBB12_2980:
	v_mov_b32_e32 v2, 0
	v_cmp_ne_u16_sdwa s[8:9], v7, v2 src0_sel:BYTE_0 src1_sel:DWORD
	s_andn2_b64 s[4:5], s[4:5], exec
	s_and_b64 s[8:9], s[8:9], exec
	s_or_b64 s[4:5], s[4:5], s[8:9]
	s_or_b64 exec, exec, s[6:7]
	s_and_saveexec_b64 s[6:7], s[4:5]
	s_cbranch_execnz .LBB12_931
	s_branch .LBB12_932
.LBB12_2981:
	s_movk_i32 s4, 0x80
	v_cmp_eq_u16_sdwa s[12:13], v3, s4 src0_sel:BYTE_0 src1_sel:DWORD
	s_mov_b64 s[4:5], -1
                                        ; implicit-def: $sgpr10
	s_and_saveexec_b64 s[8:9], s[12:13]
; %bb.2982:
	s_mov_b32 s10, 0x7f800001
	s_xor_b64 s[4:5], exec, -1
; %bb.2983:
	s_or_b64 exec, exec, s[8:9]
	s_and_b64 s[4:5], s[4:5], exec
	s_or_saveexec_b64 s[6:7], s[6:7]
	v_mov_b32_e32 v6, s10
	s_xor_b64 exec, exec, s[6:7]
	s_cbranch_execz .LBB12_934
.LBB12_2984:
	v_mov_b32_e32 v6, 0
	v_cmp_ne_u16_sdwa s[8:9], v3, v6 src0_sel:BYTE_0 src1_sel:DWORD
	s_andn2_b64 s[4:5], s[4:5], exec
	s_and_b64 s[8:9], s[8:9], exec
	s_or_b64 s[4:5], s[4:5], s[8:9]
	s_or_b64 exec, exec, s[6:7]
	s_and_saveexec_b64 s[6:7], s[4:5]
	s_cbranch_execnz .LBB12_935
	s_branch .LBB12_936
.LBB12_2985:
	s_movk_i32 s4, 0x80
	v_cmp_eq_u16_sdwa s[12:13], v6, s4 src0_sel:BYTE_0 src1_sel:DWORD
	s_mov_b64 s[4:5], -1
                                        ; implicit-def: $sgpr10
	s_and_saveexec_b64 s[8:9], s[12:13]
; %bb.2986:
	s_mov_b32 s10, 0x7f800001
	s_xor_b64 s[4:5], exec, -1
; %bb.2987:
	s_or_b64 exec, exec, s[8:9]
	s_and_b64 s[4:5], s[4:5], exec
	s_or_saveexec_b64 s[6:7], s[6:7]
	v_mov_b32_e32 v2, s10
	s_xor_b64 exec, exec, s[6:7]
	s_cbranch_execz .LBB12_938
.LBB12_2988:
	v_mov_b32_e32 v2, 0
	v_cmp_ne_u16_sdwa s[8:9], v6, v2 src0_sel:BYTE_0 src1_sel:DWORD
	s_andn2_b64 s[4:5], s[4:5], exec
	s_and_b64 s[8:9], s[8:9], exec
	s_or_b64 s[4:5], s[4:5], s[8:9]
	s_or_b64 exec, exec, s[6:7]
	s_and_saveexec_b64 s[6:7], s[4:5]
	s_cbranch_execnz .LBB12_939
	s_branch .LBB12_940
.LBB12_2989:
	s_movk_i32 s4, 0x80
	v_cmp_eq_u16_sdwa s[12:13], v6, s4 src0_sel:BYTE_0 src1_sel:DWORD
	s_mov_b64 s[4:5], -1
                                        ; implicit-def: $sgpr10
	s_and_saveexec_b64 s[8:9], s[12:13]
; %bb.2990:
	s_mov_b32 s10, 0x7f800001
	s_xor_b64 s[4:5], exec, -1
; %bb.2991:
	s_or_b64 exec, exec, s[8:9]
	s_and_b64 s[4:5], s[4:5], exec
	s_or_saveexec_b64 s[6:7], s[6:7]
	v_mov_b32_e32 v12, s10
	s_xor_b64 exec, exec, s[6:7]
	s_cbranch_execz .LBB12_942
.LBB12_2992:
	v_mov_b32_e32 v12, 0
	v_cmp_ne_u16_sdwa s[8:9], v6, v12 src0_sel:BYTE_0 src1_sel:DWORD
	s_andn2_b64 s[4:5], s[4:5], exec
	s_and_b64 s[8:9], s[8:9], exec
	s_or_b64 s[4:5], s[4:5], s[8:9]
	s_or_b64 exec, exec, s[6:7]
	s_and_saveexec_b64 s[6:7], s[4:5]
	s_cbranch_execnz .LBB12_943
	s_branch .LBB12_944
.LBB12_2993:
	s_movk_i32 s4, 0x80
	v_cmp_eq_u16_e32 vcc, s4, v6
	s_mov_b64 s[4:5], -1
                                        ; implicit-def: $sgpr10
	s_and_saveexec_b64 s[8:9], vcc
; %bb.2994:
	s_mov_b32 s10, 0x7f800001
	s_xor_b64 s[4:5], exec, -1
; %bb.2995:
	s_or_b64 exec, exec, s[8:9]
	s_and_b64 s[4:5], s[4:5], exec
                                        ; implicit-def: $vgpr6
	s_or_saveexec_b64 s[6:7], s[6:7]
	v_mov_b32_e32 v2, s10
	s_xor_b64 exec, exec, s[6:7]
	s_cbranch_execz .LBB12_946
.LBB12_2996:
	v_cmp_ne_u16_e32 vcc, 0, v6
	s_andn2_b64 s[4:5], s[4:5], exec
	s_and_b64 s[8:9], vcc, exec
	v_mov_b32_e32 v2, 0
	s_or_b64 s[4:5], s[4:5], s[8:9]
	s_or_b64 exec, exec, s[6:7]
	s_and_saveexec_b64 s[6:7], s[4:5]
	s_cbranch_execnz .LBB12_947
	s_branch .LBB12_948
.LBB12_2997:
	s_movk_i32 s4, 0x80
	v_cmp_eq_u16_e32 vcc, s4, v6
	s_mov_b64 s[4:5], -1
                                        ; implicit-def: $sgpr10
	s_and_saveexec_b64 s[8:9], vcc
; %bb.2998:
	s_mov_b32 s10, 0x7f800001
	s_xor_b64 s[4:5], exec, -1
; %bb.2999:
	s_or_b64 exec, exec, s[8:9]
	s_and_b64 s[4:5], s[4:5], exec
                                        ; implicit-def: $vgpr6
	s_or_saveexec_b64 s[6:7], s[6:7]
	v_mov_b32_e32 v12, s10
	s_xor_b64 exec, exec, s[6:7]
	s_cbranch_execz .LBB12_950
.LBB12_3000:
	v_cmp_ne_u16_e32 vcc, 0, v6
	s_andn2_b64 s[4:5], s[4:5], exec
	s_and_b64 s[8:9], vcc, exec
	v_mov_b32_e32 v12, 0
	s_or_b64 s[4:5], s[4:5], s[8:9]
	s_or_b64 exec, exec, s[6:7]
	s_and_saveexec_b64 s[6:7], s[4:5]
	s_cbranch_execnz .LBB12_951
	s_branch .LBB12_952
.LBB12_3001:
	s_movk_i32 s4, 0x80
	v_cmp_eq_u16_sdwa s[12:13], v7, s4 src0_sel:BYTE_3 src1_sel:DWORD
	s_mov_b64 s[4:5], -1
                                        ; implicit-def: $sgpr10
	s_and_saveexec_b64 s[8:9], s[12:13]
; %bb.3002:
	s_mov_b32 s10, 0x7f800001
	s_xor_b64 s[4:5], exec, -1
; %bb.3003:
	s_or_b64 exec, exec, s[8:9]
	s_and_b64 s[4:5], s[4:5], exec
	s_or_saveexec_b64 s[6:7], s[6:7]
	v_mov_b32_e32 v2, s10
	s_xor_b64 exec, exec, s[6:7]
	s_cbranch_execz .LBB12_954
.LBB12_3004:
	v_mov_b32_e32 v2, 0
	v_cmp_ne_u16_sdwa s[8:9], v7, v2 src0_sel:BYTE_3 src1_sel:DWORD
	s_andn2_b64 s[4:5], s[4:5], exec
	s_and_b64 s[8:9], s[8:9], exec
	s_or_b64 s[4:5], s[4:5], s[8:9]
	s_or_b64 exec, exec, s[6:7]
	s_and_saveexec_b64 s[6:7], s[4:5]
	s_cbranch_execnz .LBB12_955
	s_branch .LBB12_956
.LBB12_3005:
	s_movk_i32 s4, 0x80
	v_cmp_eq_u16_sdwa s[12:13], v3, s4 src0_sel:BYTE_3 src1_sel:DWORD
	s_mov_b64 s[4:5], -1
                                        ; implicit-def: $sgpr10
	s_and_saveexec_b64 s[8:9], s[12:13]
; %bb.3006:
	s_mov_b32 s10, 0x7f800001
	s_xor_b64 s[4:5], exec, -1
; %bb.3007:
	s_or_b64 exec, exec, s[8:9]
	s_and_b64 s[4:5], s[4:5], exec
	s_or_saveexec_b64 s[6:7], s[6:7]
	v_mov_b32_e32 v6, s10
	s_xor_b64 exec, exec, s[6:7]
	s_cbranch_execz .LBB12_958
.LBB12_3008:
	v_mov_b32_e32 v6, 0
	v_cmp_ne_u16_sdwa s[8:9], v3, v6 src0_sel:BYTE_3 src1_sel:DWORD
	s_andn2_b64 s[4:5], s[4:5], exec
	s_and_b64 s[8:9], s[8:9], exec
	s_or_b64 s[4:5], s[4:5], s[8:9]
	s_or_b64 exec, exec, s[6:7]
	s_and_saveexec_b64 s[6:7], s[4:5]
	s_cbranch_execnz .LBB12_959
	s_branch .LBB12_960
.LBB12_3009:
	s_movk_i32 s4, 0x80
	v_cmp_eq_u16_sdwa s[12:13], v8, s4 src0_sel:BYTE_0 src1_sel:DWORD
	s_mov_b64 s[4:5], -1
                                        ; implicit-def: $sgpr10
	s_and_saveexec_b64 s[8:9], s[12:13]
; %bb.3010:
	s_mov_b32 s10, 0x7f800001
	s_xor_b64 s[4:5], exec, -1
; %bb.3011:
	s_or_b64 exec, exec, s[8:9]
	s_and_b64 s[4:5], s[4:5], exec
	s_or_saveexec_b64 s[6:7], s[6:7]
	v_mov_b32_e32 v2, s10
	s_xor_b64 exec, exec, s[6:7]
	s_cbranch_execz .LBB12_962
.LBB12_3012:
	v_mov_b32_e32 v2, 0
	v_cmp_ne_u16_sdwa s[8:9], v8, v2 src0_sel:BYTE_0 src1_sel:DWORD
	s_andn2_b64 s[4:5], s[4:5], exec
	s_and_b64 s[8:9], s[8:9], exec
	s_or_b64 s[4:5], s[4:5], s[8:9]
	s_or_b64 exec, exec, s[6:7]
	s_and_saveexec_b64 s[6:7], s[4:5]
	s_cbranch_execnz .LBB12_963
	s_branch .LBB12_964
.LBB12_3013:
	s_movk_i32 s4, 0x80
	v_cmp_eq_u16_sdwa s[12:13], v4, s4 src0_sel:BYTE_0 src1_sel:DWORD
	s_mov_b64 s[4:5], -1
                                        ; implicit-def: $sgpr10
	s_and_saveexec_b64 s[8:9], s[12:13]
; %bb.3014:
	s_mov_b32 s10, 0x7f800001
	s_xor_b64 s[4:5], exec, -1
; %bb.3015:
	s_or_b64 exec, exec, s[8:9]
	s_and_b64 s[4:5], s[4:5], exec
	s_or_saveexec_b64 s[6:7], s[6:7]
	v_mov_b32_e32 v3, s10
	s_xor_b64 exec, exec, s[6:7]
	s_cbranch_execz .LBB12_966
.LBB12_3016:
	v_mov_b32_e32 v3, 0
	v_cmp_ne_u16_sdwa s[8:9], v4, v3 src0_sel:BYTE_0 src1_sel:DWORD
	s_andn2_b64 s[4:5], s[4:5], exec
	s_and_b64 s[8:9], s[8:9], exec
	s_or_b64 s[4:5], s[4:5], s[8:9]
	s_or_b64 exec, exec, s[6:7]
	s_and_saveexec_b64 s[6:7], s[4:5]
	s_cbranch_execnz .LBB12_967
	s_branch .LBB12_968
.LBB12_3017:
	s_movk_i32 s4, 0x80
	v_cmp_eq_u16_sdwa s[12:13], v3, s4 src0_sel:BYTE_0 src1_sel:DWORD
	s_mov_b64 s[4:5], -1
                                        ; implicit-def: $sgpr10
	s_and_saveexec_b64 s[8:9], s[12:13]
; %bb.3018:
	s_mov_b32 s10, 0x7f800001
	s_xor_b64 s[4:5], exec, -1
; %bb.3019:
	s_or_b64 exec, exec, s[8:9]
	s_and_b64 s[4:5], s[4:5], exec
	s_or_saveexec_b64 s[6:7], s[6:7]
	v_mov_b32_e32 v2, s10
	s_xor_b64 exec, exec, s[6:7]
	s_cbranch_execz .LBB12_970
.LBB12_3020:
	v_mov_b32_e32 v2, 0
	v_cmp_ne_u16_sdwa s[8:9], v3, v2 src0_sel:BYTE_0 src1_sel:DWORD
	s_andn2_b64 s[4:5], s[4:5], exec
	s_and_b64 s[8:9], s[8:9], exec
	s_or_b64 s[4:5], s[4:5], s[8:9]
	s_or_b64 exec, exec, s[6:7]
	s_and_saveexec_b64 s[6:7], s[4:5]
	s_cbranch_execnz .LBB12_971
	s_branch .LBB12_972
.LBB12_3021:
	s_movk_i32 s4, 0x80
	v_cmp_eq_u16_sdwa s[12:13], v3, s4 src0_sel:BYTE_0 src1_sel:DWORD
	s_mov_b64 s[4:5], -1
                                        ; implicit-def: $sgpr10
	s_and_saveexec_b64 s[8:9], s[12:13]
; %bb.3022:
	s_mov_b32 s10, 0x7f800001
	s_xor_b64 s[4:5], exec, -1
; %bb.3023:
	s_or_b64 exec, exec, s[8:9]
	s_and_b64 s[4:5], s[4:5], exec
	s_or_saveexec_b64 s[6:7], s[6:7]
	v_mov_b32_e32 v6, s10
	s_xor_b64 exec, exec, s[6:7]
	s_cbranch_execz .LBB12_974
.LBB12_3024:
	v_mov_b32_e32 v6, 0
	v_cmp_ne_u16_sdwa s[8:9], v3, v6 src0_sel:BYTE_0 src1_sel:DWORD
	s_andn2_b64 s[4:5], s[4:5], exec
	s_and_b64 s[8:9], s[8:9], exec
	s_or_b64 s[4:5], s[4:5], s[8:9]
	s_or_b64 exec, exec, s[6:7]
	s_and_saveexec_b64 s[6:7], s[4:5]
	s_cbranch_execnz .LBB12_975
	s_branch .LBB12_976
.LBB12_3025:
	s_movk_i32 s4, 0x80
	v_cmp_eq_u16_e32 vcc, s4, v3
	s_mov_b64 s[4:5], -1
                                        ; implicit-def: $sgpr10
	s_and_saveexec_b64 s[8:9], vcc
; %bb.3026:
	s_mov_b32 s10, 0x7f800001
	s_xor_b64 s[4:5], exec, -1
; %bb.3027:
	s_or_b64 exec, exec, s[8:9]
	s_and_b64 s[4:5], s[4:5], exec
                                        ; implicit-def: $vgpr3
	s_or_saveexec_b64 s[6:7], s[6:7]
	v_mov_b32_e32 v2, s10
	s_xor_b64 exec, exec, s[6:7]
	s_cbranch_execz .LBB12_978
.LBB12_3028:
	v_cmp_ne_u16_e32 vcc, 0, v3
	s_andn2_b64 s[4:5], s[4:5], exec
	s_and_b64 s[8:9], vcc, exec
	v_mov_b32_e32 v2, 0
	s_or_b64 s[4:5], s[4:5], s[8:9]
	s_or_b64 exec, exec, s[6:7]
	s_and_saveexec_b64 s[6:7], s[4:5]
	s_cbranch_execnz .LBB12_979
	s_branch .LBB12_980
.LBB12_3029:
	s_movk_i32 s4, 0x80
	v_cmp_eq_u16_e32 vcc, s4, v3
	s_mov_b64 s[4:5], -1
                                        ; implicit-def: $sgpr10
	s_and_saveexec_b64 s[8:9], vcc
; %bb.3030:
	s_mov_b32 s10, 0x7f800001
	s_xor_b64 s[4:5], exec, -1
; %bb.3031:
	s_or_b64 exec, exec, s[8:9]
	s_and_b64 s[4:5], s[4:5], exec
                                        ; implicit-def: $vgpr3
	s_or_saveexec_b64 s[6:7], s[6:7]
	v_mov_b32_e32 v6, s10
	s_xor_b64 exec, exec, s[6:7]
	s_cbranch_execz .LBB12_982
.LBB12_3032:
	v_cmp_ne_u16_e32 vcc, 0, v3
	s_andn2_b64 s[4:5], s[4:5], exec
	s_and_b64 s[8:9], vcc, exec
	v_mov_b32_e32 v6, 0
	s_or_b64 s[4:5], s[4:5], s[8:9]
	s_or_b64 exec, exec, s[6:7]
	s_and_saveexec_b64 s[6:7], s[4:5]
	s_cbranch_execnz .LBB12_983
	s_branch .LBB12_984
.LBB12_3033:
	s_movk_i32 s4, 0x80
	v_cmp_eq_u16_sdwa s[12:13], v8, s4 src0_sel:BYTE_3 src1_sel:DWORD
	s_mov_b64 s[4:5], -1
                                        ; implicit-def: $sgpr10
	s_and_saveexec_b64 s[8:9], s[12:13]
; %bb.3034:
	s_mov_b32 s10, 0x7f800001
	s_xor_b64 s[4:5], exec, -1
; %bb.3035:
	s_or_b64 exec, exec, s[8:9]
	s_and_b64 s[4:5], s[4:5], exec
	s_or_saveexec_b64 s[6:7], s[6:7]
	v_mov_b32_e32 v2, s10
	s_xor_b64 exec, exec, s[6:7]
	s_cbranch_execz .LBB12_986
.LBB12_3036:
	v_mov_b32_e32 v2, 0
	v_cmp_ne_u16_sdwa s[8:9], v8, v2 src0_sel:BYTE_3 src1_sel:DWORD
	s_andn2_b64 s[4:5], s[4:5], exec
	s_and_b64 s[8:9], s[8:9], exec
	s_or_b64 s[4:5], s[4:5], s[8:9]
	s_or_b64 exec, exec, s[6:7]
	s_and_saveexec_b64 s[6:7], s[4:5]
	s_cbranch_execnz .LBB12_987
	s_branch .LBB12_988
.LBB12_3037:
	s_movk_i32 s4, 0x80
	v_cmp_eq_u16_sdwa s[12:13], v4, s4 src0_sel:BYTE_3 src1_sel:DWORD
	s_mov_b64 s[4:5], -1
                                        ; implicit-def: $sgpr10
	s_and_saveexec_b64 s[8:9], s[12:13]
; %bb.3038:
	s_mov_b32 s10, 0x7f800001
	s_xor_b64 s[4:5], exec, -1
; %bb.3039:
	s_or_b64 exec, exec, s[8:9]
	s_and_b64 s[4:5], s[4:5], exec
	s_or_saveexec_b64 s[6:7], s[6:7]
	v_mov_b32_e32 v3, s10
	s_xor_b64 exec, exec, s[6:7]
	s_cbranch_execz .LBB12_990
.LBB12_3040:
	v_mov_b32_e32 v3, 0
	v_cmp_ne_u16_sdwa s[8:9], v4, v3 src0_sel:BYTE_3 src1_sel:DWORD
	s_andn2_b64 s[4:5], s[4:5], exec
	s_and_b64 s[8:9], s[8:9], exec
	s_or_b64 s[4:5], s[4:5], s[8:9]
	s_or_b64 exec, exec, s[6:7]
	s_and_saveexec_b64 s[6:7], s[4:5]
	s_cbranch_execnz .LBB12_991
	s_branch .LBB12_992
.LBB12_3041:
	s_movk_i32 s4, 0x80
	v_cmp_eq_u16_sdwa s[12:13], v9, s4 src0_sel:BYTE_0 src1_sel:DWORD
	s_mov_b64 s[4:5], -1
                                        ; implicit-def: $sgpr10
	s_and_saveexec_b64 s[8:9], s[12:13]
; %bb.3042:
	s_mov_b32 s10, 0x7f800001
	s_xor_b64 s[4:5], exec, -1
; %bb.3043:
	s_or_b64 exec, exec, s[8:9]
	s_and_b64 s[4:5], s[4:5], exec
	s_or_saveexec_b64 s[6:7], s[6:7]
	v_mov_b32_e32 v2, s10
	s_xor_b64 exec, exec, s[6:7]
	s_cbranch_execz .LBB12_994
.LBB12_3044:
	v_mov_b32_e32 v2, 0
	v_cmp_ne_u16_sdwa s[8:9], v9, v2 src0_sel:BYTE_0 src1_sel:DWORD
	s_andn2_b64 s[4:5], s[4:5], exec
	s_and_b64 s[8:9], s[8:9], exec
	s_or_b64 s[4:5], s[4:5], s[8:9]
	s_or_b64 exec, exec, s[6:7]
	s_and_saveexec_b64 s[6:7], s[4:5]
	s_cbranch_execnz .LBB12_995
	s_branch .LBB12_996
.LBB12_3045:
	s_movk_i32 s4, 0x80
	v_cmp_eq_u16_sdwa s[12:13], v5, s4 src0_sel:BYTE_0 src1_sel:DWORD
	s_mov_b64 s[4:5], -1
                                        ; implicit-def: $sgpr10
	s_and_saveexec_b64 s[8:9], s[12:13]
; %bb.3046:
	s_mov_b32 s10, 0x7f800001
	s_xor_b64 s[4:5], exec, -1
; %bb.3047:
	s_or_b64 exec, exec, s[8:9]
	s_and_b64 s[4:5], s[4:5], exec
	s_or_saveexec_b64 s[6:7], s[6:7]
	v_mov_b32_e32 v3, s10
	s_xor_b64 exec, exec, s[6:7]
	s_cbranch_execz .LBB12_998
.LBB12_3048:
	v_mov_b32_e32 v3, 0
	v_cmp_ne_u16_sdwa s[8:9], v5, v3 src0_sel:BYTE_0 src1_sel:DWORD
	s_andn2_b64 s[4:5], s[4:5], exec
	s_and_b64 s[8:9], s[8:9], exec
	s_or_b64 s[4:5], s[4:5], s[8:9]
	s_or_b64 exec, exec, s[6:7]
	s_and_saveexec_b64 s[6:7], s[4:5]
	s_cbranch_execnz .LBB12_999
	s_branch .LBB12_1000
.LBB12_3049:
	s_movk_i32 s4, 0x80
	v_cmp_eq_u16_sdwa s[12:13], v3, s4 src0_sel:BYTE_0 src1_sel:DWORD
	s_mov_b64 s[4:5], -1
                                        ; implicit-def: $sgpr10
	s_and_saveexec_b64 s[8:9], s[12:13]
; %bb.3050:
	s_mov_b32 s10, 0x7f800001
	s_xor_b64 s[4:5], exec, -1
; %bb.3051:
	s_or_b64 exec, exec, s[8:9]
	s_and_b64 s[4:5], s[4:5], exec
	s_or_saveexec_b64 s[6:7], s[6:7]
	v_mov_b32_e32 v2, s10
	s_xor_b64 exec, exec, s[6:7]
	s_cbranch_execz .LBB12_1002
.LBB12_3052:
	v_mov_b32_e32 v2, 0
	v_cmp_ne_u16_sdwa s[8:9], v3, v2 src0_sel:BYTE_0 src1_sel:DWORD
	s_andn2_b64 s[4:5], s[4:5], exec
	s_and_b64 s[8:9], s[8:9], exec
	s_or_b64 s[4:5], s[4:5], s[8:9]
	s_or_b64 exec, exec, s[6:7]
	s_and_saveexec_b64 s[6:7], s[4:5]
	s_cbranch_execnz .LBB12_1003
	s_branch .LBB12_1004
.LBB12_3053:
	s_movk_i32 s4, 0x80
	v_cmp_eq_u16_sdwa s[12:13], v3, s4 src0_sel:BYTE_0 src1_sel:DWORD
	s_mov_b64 s[4:5], -1
                                        ; implicit-def: $sgpr10
	s_and_saveexec_b64 s[8:9], s[12:13]
; %bb.3054:
	s_mov_b32 s10, 0x7f800001
	s_xor_b64 s[4:5], exec, -1
; %bb.3055:
	s_or_b64 exec, exec, s[8:9]
	s_and_b64 s[4:5], s[4:5], exec
	s_or_saveexec_b64 s[6:7], s[6:7]
	v_mov_b32_e32 v4, s10
	s_xor_b64 exec, exec, s[6:7]
	s_cbranch_execz .LBB12_1006
.LBB12_3056:
	v_mov_b32_e32 v4, 0
	v_cmp_ne_u16_sdwa s[8:9], v3, v4 src0_sel:BYTE_0 src1_sel:DWORD
	s_andn2_b64 s[4:5], s[4:5], exec
	s_and_b64 s[8:9], s[8:9], exec
	s_or_b64 s[4:5], s[4:5], s[8:9]
	s_or_b64 exec, exec, s[6:7]
	s_and_saveexec_b64 s[6:7], s[4:5]
	s_cbranch_execnz .LBB12_1007
	s_branch .LBB12_1008
.LBB12_3057:
	s_movk_i32 s4, 0x80
	v_cmp_eq_u16_e32 vcc, s4, v3
	s_mov_b64 s[4:5], -1
                                        ; implicit-def: $sgpr10
	s_and_saveexec_b64 s[8:9], vcc
; %bb.3058:
	s_mov_b32 s10, 0x7f800001
	s_xor_b64 s[4:5], exec, -1
; %bb.3059:
	s_or_b64 exec, exec, s[8:9]
	s_and_b64 s[4:5], s[4:5], exec
                                        ; implicit-def: $vgpr3
	s_or_saveexec_b64 s[6:7], s[6:7]
	v_mov_b32_e32 v2, s10
	s_xor_b64 exec, exec, s[6:7]
	s_cbranch_execz .LBB12_1010
.LBB12_3060:
	v_cmp_ne_u16_e32 vcc, 0, v3
	s_andn2_b64 s[4:5], s[4:5], exec
	s_and_b64 s[8:9], vcc, exec
	v_mov_b32_e32 v2, 0
	s_or_b64 s[4:5], s[4:5], s[8:9]
	s_or_b64 exec, exec, s[6:7]
	s_and_saveexec_b64 s[6:7], s[4:5]
	s_cbranch_execnz .LBB12_1011
	s_branch .LBB12_1012
.LBB12_3061:
	s_movk_i32 s4, 0x80
	v_cmp_eq_u16_e32 vcc, s4, v3
	s_mov_b64 s[4:5], -1
                                        ; implicit-def: $sgpr10
	s_and_saveexec_b64 s[8:9], vcc
; %bb.3062:
	s_mov_b32 s10, 0x7f800001
	s_xor_b64 s[4:5], exec, -1
; %bb.3063:
	s_or_b64 exec, exec, s[8:9]
	s_and_b64 s[4:5], s[4:5], exec
                                        ; implicit-def: $vgpr3
	s_or_saveexec_b64 s[6:7], s[6:7]
	v_mov_b32_e32 v4, s10
	s_xor_b64 exec, exec, s[6:7]
	s_cbranch_execz .LBB12_1014
.LBB12_3064:
	v_cmp_ne_u16_e32 vcc, 0, v3
	s_andn2_b64 s[4:5], s[4:5], exec
	s_and_b64 s[8:9], vcc, exec
	v_mov_b32_e32 v4, 0
	s_or_b64 s[4:5], s[4:5], s[8:9]
	s_or_b64 exec, exec, s[6:7]
	s_and_saveexec_b64 s[6:7], s[4:5]
	s_cbranch_execnz .LBB12_1015
	s_branch .LBB12_1016
.LBB12_3065:
	s_movk_i32 s4, 0x80
	v_cmp_eq_u16_sdwa s[12:13], v9, s4 src0_sel:BYTE_3 src1_sel:DWORD
	s_mov_b64 s[4:5], -1
                                        ; implicit-def: $sgpr10
	s_and_saveexec_b64 s[8:9], s[12:13]
; %bb.3066:
	s_mov_b32 s10, 0x7f800001
	s_xor_b64 s[4:5], exec, -1
; %bb.3067:
	s_or_b64 exec, exec, s[8:9]
	s_and_b64 s[4:5], s[4:5], exec
	s_or_saveexec_b64 s[6:7], s[6:7]
	v_mov_b32_e32 v2, s10
	s_xor_b64 exec, exec, s[6:7]
	s_cbranch_execz .LBB12_1018
.LBB12_3068:
	v_mov_b32_e32 v2, 0
	v_cmp_ne_u16_sdwa s[8:9], v9, v2 src0_sel:BYTE_3 src1_sel:DWORD
	s_andn2_b64 s[4:5], s[4:5], exec
	s_and_b64 s[8:9], s[8:9], exec
	s_or_b64 s[4:5], s[4:5], s[8:9]
	s_or_b64 exec, exec, s[6:7]
	s_and_saveexec_b64 s[6:7], s[4:5]
	s_cbranch_execnz .LBB12_1019
	s_branch .LBB12_1020
.LBB12_3069:
	s_movk_i32 s4, 0x80
	v_cmp_eq_u16_sdwa s[12:13], v5, s4 src0_sel:BYTE_3 src1_sel:DWORD
	s_mov_b64 s[4:5], -1
                                        ; implicit-def: $sgpr10
	s_and_saveexec_b64 s[8:9], s[12:13]
; %bb.3070:
	s_mov_b32 s10, 0x7f800001
	s_xor_b64 s[4:5], exec, -1
; %bb.3071:
	s_or_b64 exec, exec, s[8:9]
	s_and_b64 s[4:5], s[4:5], exec
	s_or_saveexec_b64 s[6:7], s[6:7]
	v_mov_b32_e32 v3, s10
	s_xor_b64 exec, exec, s[6:7]
	s_cbranch_execz .LBB12_1022
.LBB12_3072:
	v_mov_b32_e32 v3, 0
	v_cmp_ne_u16_sdwa s[8:9], v5, v3 src0_sel:BYTE_3 src1_sel:DWORD
	s_andn2_b64 s[4:5], s[4:5], exec
	s_and_b64 s[8:9], s[8:9], exec
	s_or_b64 s[4:5], s[4:5], s[8:9]
	s_or_b64 exec, exec, s[6:7]
	s_and_saveexec_b64 s[6:7], s[4:5]
	s_cbranch_execnz .LBB12_1023
	s_branch .LBB12_1024
.LBB12_3073:
	s_movk_i32 s4, 0x80
	v_cmp_eq_u16_sdwa s[12:13], v6, s4 src0_sel:BYTE_0 src1_sel:DWORD
	s_mov_b64 s[4:5], -1
                                        ; implicit-def: $sgpr10
	s_and_saveexec_b64 s[8:9], s[12:13]
; %bb.3074:
	s_mov_b32 s10, 0x7f800001
	s_xor_b64 s[4:5], exec, -1
; %bb.3075:
	s_or_b64 exec, exec, s[8:9]
	s_and_b64 s[4:5], s[4:5], exec
	s_or_saveexec_b64 s[6:7], s[6:7]
	v_mov_b32_e32 v12, s10
	s_xor_b64 exec, exec, s[6:7]
	s_cbranch_execz .LBB12_1026
.LBB12_3076:
	v_mov_b32_e32 v12, 0
	v_cmp_ne_u16_sdwa s[8:9], v6, v12 src0_sel:BYTE_0 src1_sel:DWORD
	s_andn2_b64 s[4:5], s[4:5], exec
	s_and_b64 s[8:9], s[8:9], exec
	s_or_b64 s[4:5], s[4:5], s[8:9]
	s_or_b64 exec, exec, s[6:7]
	s_and_saveexec_b64 s[6:7], s[4:5]
	s_cbranch_execnz .LBB12_1027
	s_branch .LBB12_1028
.LBB12_3077:
	s_movk_i32 s4, 0x80
	v_cmp_eq_u16_sdwa s[12:13], v2, s4 src0_sel:BYTE_0 src1_sel:DWORD
	s_mov_b64 s[4:5], -1
                                        ; implicit-def: $sgpr10
	s_and_saveexec_b64 s[8:9], s[12:13]
; %bb.3078:
	s_mov_b32 s10, 0x7f800001
	s_xor_b64 s[4:5], exec, -1
; %bb.3079:
	s_or_b64 exec, exec, s[8:9]
	s_and_b64 s[4:5], s[4:5], exec
	s_or_saveexec_b64 s[6:7], s[6:7]
	v_mov_b32_e32 v13, s10
	s_xor_b64 exec, exec, s[6:7]
	s_cbranch_execz .LBB12_1030
.LBB12_3080:
	v_mov_b32_e32 v13, 0
	v_cmp_ne_u16_sdwa s[8:9], v2, v13 src0_sel:BYTE_0 src1_sel:DWORD
	s_andn2_b64 s[4:5], s[4:5], exec
	s_and_b64 s[8:9], s[8:9], exec
	s_or_b64 s[4:5], s[4:5], s[8:9]
	s_or_b64 exec, exec, s[6:7]
	s_and_saveexec_b64 s[6:7], s[4:5]
	s_cbranch_execnz .LBB12_1031
	s_branch .LBB12_1032
.LBB12_3081:
	s_movk_i32 s4, 0x80
	v_cmp_eq_u16_sdwa s[12:13], v13, s4 src0_sel:BYTE_0 src1_sel:DWORD
	s_mov_b64 s[4:5], -1
                                        ; implicit-def: $sgpr10
	s_and_saveexec_b64 s[8:9], s[12:13]
; %bb.3082:
	s_mov_b32 s10, 0x7f800001
	s_xor_b64 s[4:5], exec, -1
; %bb.3083:
	s_or_b64 exec, exec, s[8:9]
	s_and_b64 s[4:5], s[4:5], exec
	s_or_saveexec_b64 s[6:7], s[6:7]
	v_mov_b32_e32 v12, s10
	s_xor_b64 exec, exec, s[6:7]
	s_cbranch_execz .LBB12_1034
.LBB12_3084:
	v_mov_b32_e32 v12, 0
	v_cmp_ne_u16_sdwa s[8:9], v13, v12 src0_sel:BYTE_0 src1_sel:DWORD
	s_andn2_b64 s[4:5], s[4:5], exec
	s_and_b64 s[8:9], s[8:9], exec
	s_or_b64 s[4:5], s[4:5], s[8:9]
	s_or_b64 exec, exec, s[6:7]
	s_and_saveexec_b64 s[6:7], s[4:5]
	s_cbranch_execnz .LBB12_1035
	s_branch .LBB12_1036
.LBB12_3085:
	s_movk_i32 s4, 0x80
	v_cmp_eq_u16_sdwa s[12:13], v13, s4 src0_sel:BYTE_0 src1_sel:DWORD
	s_mov_b64 s[4:5], -1
                                        ; implicit-def: $sgpr10
	s_and_saveexec_b64 s[8:9], s[12:13]
; %bb.3086:
	s_mov_b32 s10, 0x7f800001
	s_xor_b64 s[4:5], exec, -1
; %bb.3087:
	s_or_b64 exec, exec, s[8:9]
	s_and_b64 s[4:5], s[4:5], exec
	s_or_saveexec_b64 s[6:7], s[6:7]
	v_mov_b32_e32 v14, s10
	s_xor_b64 exec, exec, s[6:7]
	s_cbranch_execz .LBB12_1038
.LBB12_3088:
	v_mov_b32_e32 v14, 0
	v_cmp_ne_u16_sdwa s[8:9], v13, v14 src0_sel:BYTE_0 src1_sel:DWORD
	s_andn2_b64 s[4:5], s[4:5], exec
	s_and_b64 s[8:9], s[8:9], exec
	s_or_b64 s[4:5], s[4:5], s[8:9]
	s_or_b64 exec, exec, s[6:7]
	s_and_saveexec_b64 s[6:7], s[4:5]
	s_cbranch_execnz .LBB12_1039
	s_branch .LBB12_1040
.LBB12_3089:
	s_movk_i32 s4, 0x80
	v_cmp_eq_u16_e32 vcc, s4, v13
	s_mov_b64 s[4:5], -1
                                        ; implicit-def: $sgpr10
	s_and_saveexec_b64 s[8:9], vcc
; %bb.3090:
	s_mov_b32 s10, 0x7f800001
	s_xor_b64 s[4:5], exec, -1
; %bb.3091:
	s_or_b64 exec, exec, s[8:9]
	s_and_b64 s[4:5], s[4:5], exec
                                        ; implicit-def: $vgpr13
	s_or_saveexec_b64 s[6:7], s[6:7]
	v_mov_b32_e32 v12, s10
	s_xor_b64 exec, exec, s[6:7]
	s_cbranch_execz .LBB12_1042
.LBB12_3092:
	v_cmp_ne_u16_e32 vcc, 0, v13
	s_andn2_b64 s[4:5], s[4:5], exec
	s_and_b64 s[8:9], vcc, exec
	v_mov_b32_e32 v12, 0
	s_or_b64 s[4:5], s[4:5], s[8:9]
	s_or_b64 exec, exec, s[6:7]
	s_and_saveexec_b64 s[6:7], s[4:5]
	s_cbranch_execnz .LBB12_1043
	s_branch .LBB12_1044
.LBB12_3093:
	s_movk_i32 s4, 0x80
	v_cmp_eq_u16_e32 vcc, s4, v13
	s_mov_b64 s[4:5], -1
                                        ; implicit-def: $sgpr10
	s_and_saveexec_b64 s[8:9], vcc
; %bb.3094:
	s_mov_b32 s10, 0x7f800001
	s_xor_b64 s[4:5], exec, -1
; %bb.3095:
	s_or_b64 exec, exec, s[8:9]
	s_and_b64 s[4:5], s[4:5], exec
                                        ; implicit-def: $vgpr13
	s_or_saveexec_b64 s[6:7], s[6:7]
	v_mov_b32_e32 v14, s10
	s_xor_b64 exec, exec, s[6:7]
	s_cbranch_execz .LBB12_1046
.LBB12_3096:
	v_cmp_ne_u16_e32 vcc, 0, v13
	s_andn2_b64 s[4:5], s[4:5], exec
	s_and_b64 s[8:9], vcc, exec
	v_mov_b32_e32 v14, 0
	s_or_b64 s[4:5], s[4:5], s[8:9]
	s_or_b64 exec, exec, s[6:7]
	s_and_saveexec_b64 s[6:7], s[4:5]
	s_cbranch_execnz .LBB12_1047
	s_branch .LBB12_1048
.LBB12_3097:
	s_movk_i32 s4, 0x80
	v_cmp_eq_u16_sdwa s[12:13], v6, s4 src0_sel:BYTE_3 src1_sel:DWORD
	s_mov_b64 s[4:5], -1
                                        ; implicit-def: $sgpr10
	s_and_saveexec_b64 s[8:9], s[12:13]
; %bb.3098:
	s_mov_b32 s10, 0x7f800001
	s_xor_b64 s[4:5], exec, -1
; %bb.3099:
	s_or_b64 exec, exec, s[8:9]
	s_and_b64 s[4:5], s[4:5], exec
	s_or_saveexec_b64 s[6:7], s[6:7]
	v_mov_b32_e32 v12, s10
	s_xor_b64 exec, exec, s[6:7]
	s_cbranch_execz .LBB12_1050
.LBB12_3100:
	v_mov_b32_e32 v12, 0
	v_cmp_ne_u16_sdwa s[8:9], v6, v12 src0_sel:BYTE_3 src1_sel:DWORD
	s_andn2_b64 s[4:5], s[4:5], exec
	s_and_b64 s[8:9], s[8:9], exec
	s_or_b64 s[4:5], s[4:5], s[8:9]
	s_or_b64 exec, exec, s[6:7]
	s_and_saveexec_b64 s[6:7], s[4:5]
	s_cbranch_execnz .LBB12_1051
	s_branch .LBB12_1052
.LBB12_3101:
	s_movk_i32 s4, 0x80
	v_cmp_eq_u16_sdwa s[12:13], v2, s4 src0_sel:BYTE_3 src1_sel:DWORD
	s_mov_b64 s[4:5], -1
                                        ; implicit-def: $sgpr10
	s_and_saveexec_b64 s[8:9], s[12:13]
; %bb.3102:
	s_mov_b32 s10, 0x7f800001
	s_xor_b64 s[4:5], exec, -1
; %bb.3103:
	s_or_b64 exec, exec, s[8:9]
	s_and_b64 s[4:5], s[4:5], exec
	s_or_saveexec_b64 s[6:7], s[6:7]
	v_mov_b32_e32 v6, s10
	s_xor_b64 exec, exec, s[6:7]
	s_cbranch_execz .LBB12_1054
.LBB12_3104:
	v_mov_b32_e32 v6, 0
	v_cmp_ne_u16_sdwa s[8:9], v2, v6 src0_sel:BYTE_3 src1_sel:DWORD
	s_andn2_b64 s[4:5], s[4:5], exec
	s_and_b64 s[8:9], s[8:9], exec
	s_or_b64 s[4:5], s[4:5], s[8:9]
	s_or_b64 exec, exec, s[6:7]
	s_and_saveexec_b64 s[6:7], s[4:5]
	s_cbranch_execnz .LBB12_1055
	s_branch .LBB12_1056
.LBB12_3105:
	s_movk_i32 s4, 0x80
	v_cmp_eq_u16_sdwa s[12:13], v7, s4 src0_sel:BYTE_0 src1_sel:DWORD
	s_mov_b64 s[4:5], -1
                                        ; implicit-def: $sgpr10
	s_and_saveexec_b64 s[8:9], s[12:13]
; %bb.3106:
	s_mov_b32 s10, 0x7f800001
	s_xor_b64 s[4:5], exec, -1
; %bb.3107:
	s_or_b64 exec, exec, s[8:9]
	s_and_b64 s[4:5], s[4:5], exec
	s_or_saveexec_b64 s[6:7], s[6:7]
	v_mov_b32_e32 v2, s10
	s_xor_b64 exec, exec, s[6:7]
	s_cbranch_execz .LBB12_1058
.LBB12_3108:
	v_mov_b32_e32 v2, 0
	v_cmp_ne_u16_sdwa s[8:9], v7, v2 src0_sel:BYTE_0 src1_sel:DWORD
	s_andn2_b64 s[4:5], s[4:5], exec
	s_and_b64 s[8:9], s[8:9], exec
	s_or_b64 s[4:5], s[4:5], s[8:9]
	s_or_b64 exec, exec, s[6:7]
	s_and_saveexec_b64 s[6:7], s[4:5]
	s_cbranch_execnz .LBB12_1059
	s_branch .LBB12_1060
.LBB12_3109:
	s_movk_i32 s4, 0x80
	v_cmp_eq_u16_sdwa s[12:13], v3, s4 src0_sel:BYTE_0 src1_sel:DWORD
	s_mov_b64 s[4:5], -1
                                        ; implicit-def: $sgpr10
	s_and_saveexec_b64 s[8:9], s[12:13]
; %bb.3110:
	s_mov_b32 s10, 0x7f800001
	s_xor_b64 s[4:5], exec, -1
; %bb.3111:
	s_or_b64 exec, exec, s[8:9]
	s_and_b64 s[4:5], s[4:5], exec
	s_or_saveexec_b64 s[6:7], s[6:7]
	v_mov_b32_e32 v6, s10
	s_xor_b64 exec, exec, s[6:7]
	s_cbranch_execz .LBB12_1062
.LBB12_3112:
	v_mov_b32_e32 v6, 0
	v_cmp_ne_u16_sdwa s[8:9], v3, v6 src0_sel:BYTE_0 src1_sel:DWORD
	s_andn2_b64 s[4:5], s[4:5], exec
	s_and_b64 s[8:9], s[8:9], exec
	s_or_b64 s[4:5], s[4:5], s[8:9]
	s_or_b64 exec, exec, s[6:7]
	s_and_saveexec_b64 s[6:7], s[4:5]
	s_cbranch_execnz .LBB12_1063
	s_branch .LBB12_1064
.LBB12_3113:
	s_movk_i32 s4, 0x80
	v_cmp_eq_u16_sdwa s[12:13], v6, s4 src0_sel:BYTE_0 src1_sel:DWORD
	s_mov_b64 s[4:5], -1
                                        ; implicit-def: $sgpr10
	s_and_saveexec_b64 s[8:9], s[12:13]
; %bb.3114:
	s_mov_b32 s10, 0x7f800001
	s_xor_b64 s[4:5], exec, -1
; %bb.3115:
	s_or_b64 exec, exec, s[8:9]
	s_and_b64 s[4:5], s[4:5], exec
	s_or_saveexec_b64 s[6:7], s[6:7]
	v_mov_b32_e32 v2, s10
	s_xor_b64 exec, exec, s[6:7]
	s_cbranch_execz .LBB12_1066
.LBB12_3116:
	v_mov_b32_e32 v2, 0
	v_cmp_ne_u16_sdwa s[8:9], v6, v2 src0_sel:BYTE_0 src1_sel:DWORD
	s_andn2_b64 s[4:5], s[4:5], exec
	s_and_b64 s[8:9], s[8:9], exec
	s_or_b64 s[4:5], s[4:5], s[8:9]
	s_or_b64 exec, exec, s[6:7]
	s_and_saveexec_b64 s[6:7], s[4:5]
	s_cbranch_execnz .LBB12_1067
	s_branch .LBB12_1068
.LBB12_3117:
	s_movk_i32 s4, 0x80
	v_cmp_eq_u16_sdwa s[12:13], v6, s4 src0_sel:BYTE_0 src1_sel:DWORD
	s_mov_b64 s[4:5], -1
                                        ; implicit-def: $sgpr10
	s_and_saveexec_b64 s[8:9], s[12:13]
; %bb.3118:
	s_mov_b32 s10, 0x7f800001
	s_xor_b64 s[4:5], exec, -1
; %bb.3119:
	s_or_b64 exec, exec, s[8:9]
	s_and_b64 s[4:5], s[4:5], exec
	s_or_saveexec_b64 s[6:7], s[6:7]
	v_mov_b32_e32 v12, s10
	s_xor_b64 exec, exec, s[6:7]
	s_cbranch_execz .LBB12_1070
.LBB12_3120:
	v_mov_b32_e32 v12, 0
	v_cmp_ne_u16_sdwa s[8:9], v6, v12 src0_sel:BYTE_0 src1_sel:DWORD
	s_andn2_b64 s[4:5], s[4:5], exec
	s_and_b64 s[8:9], s[8:9], exec
	s_or_b64 s[4:5], s[4:5], s[8:9]
	s_or_b64 exec, exec, s[6:7]
	s_and_saveexec_b64 s[6:7], s[4:5]
	s_cbranch_execnz .LBB12_1071
	s_branch .LBB12_1072
.LBB12_3121:
	s_movk_i32 s4, 0x80
	v_cmp_eq_u16_e32 vcc, s4, v6
	s_mov_b64 s[4:5], -1
                                        ; implicit-def: $sgpr10
	s_and_saveexec_b64 s[8:9], vcc
; %bb.3122:
	s_mov_b32 s10, 0x7f800001
	s_xor_b64 s[4:5], exec, -1
; %bb.3123:
	s_or_b64 exec, exec, s[8:9]
	s_and_b64 s[4:5], s[4:5], exec
                                        ; implicit-def: $vgpr6
	s_or_saveexec_b64 s[6:7], s[6:7]
	v_mov_b32_e32 v2, s10
	s_xor_b64 exec, exec, s[6:7]
	s_cbranch_execz .LBB12_1074
.LBB12_3124:
	v_cmp_ne_u16_e32 vcc, 0, v6
	s_andn2_b64 s[4:5], s[4:5], exec
	s_and_b64 s[8:9], vcc, exec
	v_mov_b32_e32 v2, 0
	s_or_b64 s[4:5], s[4:5], s[8:9]
	s_or_b64 exec, exec, s[6:7]
	s_and_saveexec_b64 s[6:7], s[4:5]
	s_cbranch_execnz .LBB12_1075
	s_branch .LBB12_1076
.LBB12_3125:
	s_movk_i32 s4, 0x80
	v_cmp_eq_u16_e32 vcc, s4, v6
	s_mov_b64 s[4:5], -1
                                        ; implicit-def: $sgpr10
	s_and_saveexec_b64 s[8:9], vcc
; %bb.3126:
	s_mov_b32 s10, 0x7f800001
	s_xor_b64 s[4:5], exec, -1
; %bb.3127:
	s_or_b64 exec, exec, s[8:9]
	s_and_b64 s[4:5], s[4:5], exec
                                        ; implicit-def: $vgpr6
	s_or_saveexec_b64 s[6:7], s[6:7]
	v_mov_b32_e32 v12, s10
	s_xor_b64 exec, exec, s[6:7]
	s_cbranch_execz .LBB12_1078
.LBB12_3128:
	v_cmp_ne_u16_e32 vcc, 0, v6
	s_andn2_b64 s[4:5], s[4:5], exec
	s_and_b64 s[8:9], vcc, exec
	v_mov_b32_e32 v12, 0
	s_or_b64 s[4:5], s[4:5], s[8:9]
	s_or_b64 exec, exec, s[6:7]
	s_and_saveexec_b64 s[6:7], s[4:5]
	s_cbranch_execnz .LBB12_1079
	s_branch .LBB12_1080
.LBB12_3129:
	s_movk_i32 s4, 0x80
	v_cmp_eq_u16_sdwa s[12:13], v7, s4 src0_sel:BYTE_3 src1_sel:DWORD
	s_mov_b64 s[4:5], -1
                                        ; implicit-def: $sgpr10
	s_and_saveexec_b64 s[8:9], s[12:13]
; %bb.3130:
	s_mov_b32 s10, 0x7f800001
	s_xor_b64 s[4:5], exec, -1
; %bb.3131:
	s_or_b64 exec, exec, s[8:9]
	s_and_b64 s[4:5], s[4:5], exec
	s_or_saveexec_b64 s[6:7], s[6:7]
	v_mov_b32_e32 v2, s10
	s_xor_b64 exec, exec, s[6:7]
	s_cbranch_execz .LBB12_1082
.LBB12_3132:
	v_mov_b32_e32 v2, 0
	v_cmp_ne_u16_sdwa s[8:9], v7, v2 src0_sel:BYTE_3 src1_sel:DWORD
	s_andn2_b64 s[4:5], s[4:5], exec
	s_and_b64 s[8:9], s[8:9], exec
	s_or_b64 s[4:5], s[4:5], s[8:9]
	s_or_b64 exec, exec, s[6:7]
	s_and_saveexec_b64 s[6:7], s[4:5]
	s_cbranch_execnz .LBB12_1083
	s_branch .LBB12_1084
.LBB12_3133:
	s_movk_i32 s4, 0x80
	v_cmp_eq_u16_sdwa s[12:13], v3, s4 src0_sel:BYTE_3 src1_sel:DWORD
	s_mov_b64 s[4:5], -1
                                        ; implicit-def: $sgpr10
	s_and_saveexec_b64 s[8:9], s[12:13]
; %bb.3134:
	s_mov_b32 s10, 0x7f800001
	s_xor_b64 s[4:5], exec, -1
; %bb.3135:
	s_or_b64 exec, exec, s[8:9]
	s_and_b64 s[4:5], s[4:5], exec
	s_or_saveexec_b64 s[6:7], s[6:7]
	v_mov_b32_e32 v6, s10
	s_xor_b64 exec, exec, s[6:7]
	s_cbranch_execz .LBB12_1086
.LBB12_3136:
	v_mov_b32_e32 v6, 0
	v_cmp_ne_u16_sdwa s[8:9], v3, v6 src0_sel:BYTE_3 src1_sel:DWORD
	s_andn2_b64 s[4:5], s[4:5], exec
	s_and_b64 s[8:9], s[8:9], exec
	s_or_b64 s[4:5], s[4:5], s[8:9]
	s_or_b64 exec, exec, s[6:7]
	s_and_saveexec_b64 s[6:7], s[4:5]
	s_cbranch_execnz .LBB12_1087
	s_branch .LBB12_1088
.LBB12_3137:
	s_movk_i32 s4, 0x80
	v_cmp_eq_u16_sdwa s[12:13], v8, s4 src0_sel:BYTE_0 src1_sel:DWORD
	s_mov_b64 s[4:5], -1
                                        ; implicit-def: $sgpr10
	s_and_saveexec_b64 s[8:9], s[12:13]
; %bb.3138:
	s_mov_b32 s10, 0x7f800001
	s_xor_b64 s[4:5], exec, -1
; %bb.3139:
	s_or_b64 exec, exec, s[8:9]
	s_and_b64 s[4:5], s[4:5], exec
	s_or_saveexec_b64 s[6:7], s[6:7]
	v_mov_b32_e32 v2, s10
	s_xor_b64 exec, exec, s[6:7]
	s_cbranch_execz .LBB12_1090
.LBB12_3140:
	v_mov_b32_e32 v2, 0
	v_cmp_ne_u16_sdwa s[8:9], v8, v2 src0_sel:BYTE_0 src1_sel:DWORD
	s_andn2_b64 s[4:5], s[4:5], exec
	s_and_b64 s[8:9], s[8:9], exec
	s_or_b64 s[4:5], s[4:5], s[8:9]
	s_or_b64 exec, exec, s[6:7]
	s_and_saveexec_b64 s[6:7], s[4:5]
	s_cbranch_execnz .LBB12_1091
	s_branch .LBB12_1092
.LBB12_3141:
	s_movk_i32 s4, 0x80
	v_cmp_eq_u16_sdwa s[12:13], v4, s4 src0_sel:BYTE_0 src1_sel:DWORD
	s_mov_b64 s[4:5], -1
                                        ; implicit-def: $sgpr10
	s_and_saveexec_b64 s[8:9], s[12:13]
; %bb.3142:
	s_mov_b32 s10, 0x7f800001
	s_xor_b64 s[4:5], exec, -1
; %bb.3143:
	s_or_b64 exec, exec, s[8:9]
	s_and_b64 s[4:5], s[4:5], exec
	s_or_saveexec_b64 s[6:7], s[6:7]
	v_mov_b32_e32 v3, s10
	s_xor_b64 exec, exec, s[6:7]
	s_cbranch_execz .LBB12_1094
.LBB12_3144:
	v_mov_b32_e32 v3, 0
	v_cmp_ne_u16_sdwa s[8:9], v4, v3 src0_sel:BYTE_0 src1_sel:DWORD
	s_andn2_b64 s[4:5], s[4:5], exec
	s_and_b64 s[8:9], s[8:9], exec
	s_or_b64 s[4:5], s[4:5], s[8:9]
	s_or_b64 exec, exec, s[6:7]
	s_and_saveexec_b64 s[6:7], s[4:5]
	s_cbranch_execnz .LBB12_1095
	s_branch .LBB12_1096
.LBB12_3145:
	s_movk_i32 s4, 0x80
	v_cmp_eq_u16_sdwa s[12:13], v3, s4 src0_sel:BYTE_0 src1_sel:DWORD
	s_mov_b64 s[4:5], -1
                                        ; implicit-def: $sgpr10
	s_and_saveexec_b64 s[8:9], s[12:13]
; %bb.3146:
	s_mov_b32 s10, 0x7f800001
	s_xor_b64 s[4:5], exec, -1
; %bb.3147:
	s_or_b64 exec, exec, s[8:9]
	s_and_b64 s[4:5], s[4:5], exec
	s_or_saveexec_b64 s[6:7], s[6:7]
	v_mov_b32_e32 v2, s10
	s_xor_b64 exec, exec, s[6:7]
	s_cbranch_execz .LBB12_1098
.LBB12_3148:
	v_mov_b32_e32 v2, 0
	v_cmp_ne_u16_sdwa s[8:9], v3, v2 src0_sel:BYTE_0 src1_sel:DWORD
	s_andn2_b64 s[4:5], s[4:5], exec
	s_and_b64 s[8:9], s[8:9], exec
	s_or_b64 s[4:5], s[4:5], s[8:9]
	s_or_b64 exec, exec, s[6:7]
	s_and_saveexec_b64 s[6:7], s[4:5]
	s_cbranch_execnz .LBB12_1099
	s_branch .LBB12_1100
.LBB12_3149:
	s_movk_i32 s4, 0x80
	v_cmp_eq_u16_sdwa s[12:13], v3, s4 src0_sel:BYTE_0 src1_sel:DWORD
	s_mov_b64 s[4:5], -1
                                        ; implicit-def: $sgpr10
	s_and_saveexec_b64 s[8:9], s[12:13]
; %bb.3150:
	s_mov_b32 s10, 0x7f800001
	s_xor_b64 s[4:5], exec, -1
; %bb.3151:
	s_or_b64 exec, exec, s[8:9]
	s_and_b64 s[4:5], s[4:5], exec
	s_or_saveexec_b64 s[6:7], s[6:7]
	v_mov_b32_e32 v6, s10
	s_xor_b64 exec, exec, s[6:7]
	s_cbranch_execz .LBB12_1102
.LBB12_3152:
	v_mov_b32_e32 v6, 0
	v_cmp_ne_u16_sdwa s[8:9], v3, v6 src0_sel:BYTE_0 src1_sel:DWORD
	s_andn2_b64 s[4:5], s[4:5], exec
	s_and_b64 s[8:9], s[8:9], exec
	s_or_b64 s[4:5], s[4:5], s[8:9]
	s_or_b64 exec, exec, s[6:7]
	s_and_saveexec_b64 s[6:7], s[4:5]
	s_cbranch_execnz .LBB12_1103
	s_branch .LBB12_1104
.LBB12_3153:
	s_movk_i32 s4, 0x80
	v_cmp_eq_u16_e32 vcc, s4, v3
	s_mov_b64 s[4:5], -1
                                        ; implicit-def: $sgpr10
	s_and_saveexec_b64 s[8:9], vcc
; %bb.3154:
	s_mov_b32 s10, 0x7f800001
	s_xor_b64 s[4:5], exec, -1
; %bb.3155:
	s_or_b64 exec, exec, s[8:9]
	s_and_b64 s[4:5], s[4:5], exec
                                        ; implicit-def: $vgpr3
	s_or_saveexec_b64 s[6:7], s[6:7]
	v_mov_b32_e32 v2, s10
	s_xor_b64 exec, exec, s[6:7]
	s_cbranch_execz .LBB12_1106
.LBB12_3156:
	v_cmp_ne_u16_e32 vcc, 0, v3
	s_andn2_b64 s[4:5], s[4:5], exec
	s_and_b64 s[8:9], vcc, exec
	v_mov_b32_e32 v2, 0
	s_or_b64 s[4:5], s[4:5], s[8:9]
	s_or_b64 exec, exec, s[6:7]
	s_and_saveexec_b64 s[6:7], s[4:5]
	s_cbranch_execnz .LBB12_1107
	s_branch .LBB12_1108
.LBB12_3157:
	s_movk_i32 s4, 0x80
	v_cmp_eq_u16_e32 vcc, s4, v3
	s_mov_b64 s[4:5], -1
                                        ; implicit-def: $sgpr10
	s_and_saveexec_b64 s[8:9], vcc
; %bb.3158:
	s_mov_b32 s10, 0x7f800001
	s_xor_b64 s[4:5], exec, -1
; %bb.3159:
	s_or_b64 exec, exec, s[8:9]
	s_and_b64 s[4:5], s[4:5], exec
                                        ; implicit-def: $vgpr3
	s_or_saveexec_b64 s[6:7], s[6:7]
	v_mov_b32_e32 v6, s10
	s_xor_b64 exec, exec, s[6:7]
	s_cbranch_execz .LBB12_1110
.LBB12_3160:
	v_cmp_ne_u16_e32 vcc, 0, v3
	s_andn2_b64 s[4:5], s[4:5], exec
	s_and_b64 s[8:9], vcc, exec
	v_mov_b32_e32 v6, 0
	s_or_b64 s[4:5], s[4:5], s[8:9]
	s_or_b64 exec, exec, s[6:7]
	s_and_saveexec_b64 s[6:7], s[4:5]
	s_cbranch_execnz .LBB12_1111
	s_branch .LBB12_1112
.LBB12_3161:
	s_movk_i32 s4, 0x80
	v_cmp_eq_u16_sdwa s[12:13], v8, s4 src0_sel:BYTE_3 src1_sel:DWORD
	s_mov_b64 s[4:5], -1
                                        ; implicit-def: $sgpr10
	s_and_saveexec_b64 s[8:9], s[12:13]
; %bb.3162:
	s_mov_b32 s10, 0x7f800001
	s_xor_b64 s[4:5], exec, -1
; %bb.3163:
	s_or_b64 exec, exec, s[8:9]
	s_and_b64 s[4:5], s[4:5], exec
	s_or_saveexec_b64 s[6:7], s[6:7]
	v_mov_b32_e32 v2, s10
	s_xor_b64 exec, exec, s[6:7]
	s_cbranch_execz .LBB12_1114
.LBB12_3164:
	v_mov_b32_e32 v2, 0
	v_cmp_ne_u16_sdwa s[8:9], v8, v2 src0_sel:BYTE_3 src1_sel:DWORD
	s_andn2_b64 s[4:5], s[4:5], exec
	s_and_b64 s[8:9], s[8:9], exec
	s_or_b64 s[4:5], s[4:5], s[8:9]
	s_or_b64 exec, exec, s[6:7]
	s_and_saveexec_b64 s[6:7], s[4:5]
	s_cbranch_execnz .LBB12_1115
	s_branch .LBB12_1116
.LBB12_3165:
	s_movk_i32 s4, 0x80
	v_cmp_eq_u16_sdwa s[12:13], v4, s4 src0_sel:BYTE_3 src1_sel:DWORD
	s_mov_b64 s[4:5], -1
                                        ; implicit-def: $sgpr10
	s_and_saveexec_b64 s[8:9], s[12:13]
; %bb.3166:
	s_mov_b32 s10, 0x7f800001
	s_xor_b64 s[4:5], exec, -1
; %bb.3167:
	s_or_b64 exec, exec, s[8:9]
	s_and_b64 s[4:5], s[4:5], exec
	s_or_saveexec_b64 s[6:7], s[6:7]
	v_mov_b32_e32 v3, s10
	s_xor_b64 exec, exec, s[6:7]
	s_cbranch_execz .LBB12_1118
.LBB12_3168:
	v_mov_b32_e32 v3, 0
	v_cmp_ne_u16_sdwa s[8:9], v4, v3 src0_sel:BYTE_3 src1_sel:DWORD
	s_andn2_b64 s[4:5], s[4:5], exec
	s_and_b64 s[8:9], s[8:9], exec
	s_or_b64 s[4:5], s[4:5], s[8:9]
	s_or_b64 exec, exec, s[6:7]
	s_and_saveexec_b64 s[6:7], s[4:5]
	s_cbranch_execnz .LBB12_1119
	s_branch .LBB12_1120
.LBB12_3169:
	s_movk_i32 s4, 0x80
	v_cmp_eq_u16_sdwa s[12:13], v9, s4 src0_sel:BYTE_0 src1_sel:DWORD
	s_mov_b64 s[4:5], -1
                                        ; implicit-def: $sgpr10
	s_and_saveexec_b64 s[8:9], s[12:13]
; %bb.3170:
	s_mov_b32 s10, 0x7f800001
	s_xor_b64 s[4:5], exec, -1
; %bb.3171:
	s_or_b64 exec, exec, s[8:9]
	s_and_b64 s[4:5], s[4:5], exec
	s_or_saveexec_b64 s[6:7], s[6:7]
	v_mov_b32_e32 v2, s10
	s_xor_b64 exec, exec, s[6:7]
	s_cbranch_execz .LBB12_1122
.LBB12_3172:
	v_mov_b32_e32 v2, 0
	v_cmp_ne_u16_sdwa s[8:9], v9, v2 src0_sel:BYTE_0 src1_sel:DWORD
	s_andn2_b64 s[4:5], s[4:5], exec
	s_and_b64 s[8:9], s[8:9], exec
	s_or_b64 s[4:5], s[4:5], s[8:9]
	s_or_b64 exec, exec, s[6:7]
	s_and_saveexec_b64 s[6:7], s[4:5]
	s_cbranch_execnz .LBB12_1123
	s_branch .LBB12_1124
.LBB12_3173:
	s_movk_i32 s4, 0x80
	v_cmp_eq_u16_sdwa s[12:13], v5, s4 src0_sel:BYTE_0 src1_sel:DWORD
	s_mov_b64 s[4:5], -1
                                        ; implicit-def: $sgpr10
	s_and_saveexec_b64 s[8:9], s[12:13]
; %bb.3174:
	s_mov_b32 s10, 0x7f800001
	s_xor_b64 s[4:5], exec, -1
; %bb.3175:
	s_or_b64 exec, exec, s[8:9]
	s_and_b64 s[4:5], s[4:5], exec
	s_or_saveexec_b64 s[6:7], s[6:7]
	v_mov_b32_e32 v3, s10
	s_xor_b64 exec, exec, s[6:7]
	s_cbranch_execz .LBB12_1126
.LBB12_3176:
	v_mov_b32_e32 v3, 0
	v_cmp_ne_u16_sdwa s[8:9], v5, v3 src0_sel:BYTE_0 src1_sel:DWORD
	s_andn2_b64 s[4:5], s[4:5], exec
	s_and_b64 s[8:9], s[8:9], exec
	s_or_b64 s[4:5], s[4:5], s[8:9]
	s_or_b64 exec, exec, s[6:7]
	s_and_saveexec_b64 s[6:7], s[4:5]
	s_cbranch_execnz .LBB12_1127
	s_branch .LBB12_1128
.LBB12_3177:
	s_movk_i32 s4, 0x80
	v_cmp_eq_u16_sdwa s[12:13], v3, s4 src0_sel:BYTE_0 src1_sel:DWORD
	s_mov_b64 s[4:5], -1
                                        ; implicit-def: $sgpr10
	s_and_saveexec_b64 s[8:9], s[12:13]
; %bb.3178:
	s_mov_b32 s10, 0x7f800001
	s_xor_b64 s[4:5], exec, -1
; %bb.3179:
	s_or_b64 exec, exec, s[8:9]
	s_and_b64 s[4:5], s[4:5], exec
	s_or_saveexec_b64 s[6:7], s[6:7]
	v_mov_b32_e32 v2, s10
	s_xor_b64 exec, exec, s[6:7]
	s_cbranch_execz .LBB12_1130
.LBB12_3180:
	v_mov_b32_e32 v2, 0
	v_cmp_ne_u16_sdwa s[8:9], v3, v2 src0_sel:BYTE_0 src1_sel:DWORD
	s_andn2_b64 s[4:5], s[4:5], exec
	s_and_b64 s[8:9], s[8:9], exec
	s_or_b64 s[4:5], s[4:5], s[8:9]
	s_or_b64 exec, exec, s[6:7]
	s_and_saveexec_b64 s[6:7], s[4:5]
	s_cbranch_execnz .LBB12_1131
	s_branch .LBB12_1132
.LBB12_3181:
	s_movk_i32 s4, 0x80
	v_cmp_eq_u16_sdwa s[12:13], v3, s4 src0_sel:BYTE_0 src1_sel:DWORD
	s_mov_b64 s[4:5], -1
                                        ; implicit-def: $sgpr10
	s_and_saveexec_b64 s[8:9], s[12:13]
; %bb.3182:
	s_mov_b32 s10, 0x7f800001
	s_xor_b64 s[4:5], exec, -1
; %bb.3183:
	s_or_b64 exec, exec, s[8:9]
	s_and_b64 s[4:5], s[4:5], exec
	s_or_saveexec_b64 s[6:7], s[6:7]
	v_mov_b32_e32 v4, s10
	s_xor_b64 exec, exec, s[6:7]
	s_cbranch_execz .LBB12_1134
.LBB12_3184:
	v_mov_b32_e32 v4, 0
	v_cmp_ne_u16_sdwa s[8:9], v3, v4 src0_sel:BYTE_0 src1_sel:DWORD
	s_andn2_b64 s[4:5], s[4:5], exec
	s_and_b64 s[8:9], s[8:9], exec
	s_or_b64 s[4:5], s[4:5], s[8:9]
	s_or_b64 exec, exec, s[6:7]
	s_and_saveexec_b64 s[6:7], s[4:5]
	s_cbranch_execnz .LBB12_1135
	s_branch .LBB12_1136
.LBB12_3185:
	s_movk_i32 s4, 0x80
	v_cmp_eq_u16_e32 vcc, s4, v3
	s_mov_b64 s[4:5], -1
                                        ; implicit-def: $sgpr10
	s_and_saveexec_b64 s[8:9], vcc
; %bb.3186:
	s_mov_b32 s10, 0x7f800001
	s_xor_b64 s[4:5], exec, -1
; %bb.3187:
	s_or_b64 exec, exec, s[8:9]
	s_and_b64 s[4:5], s[4:5], exec
                                        ; implicit-def: $vgpr3
	s_or_saveexec_b64 s[6:7], s[6:7]
	v_mov_b32_e32 v2, s10
	s_xor_b64 exec, exec, s[6:7]
	s_cbranch_execz .LBB12_1138
.LBB12_3188:
	v_cmp_ne_u16_e32 vcc, 0, v3
	s_andn2_b64 s[4:5], s[4:5], exec
	s_and_b64 s[8:9], vcc, exec
	v_mov_b32_e32 v2, 0
	s_or_b64 s[4:5], s[4:5], s[8:9]
	s_or_b64 exec, exec, s[6:7]
	s_and_saveexec_b64 s[6:7], s[4:5]
	s_cbranch_execnz .LBB12_1139
	s_branch .LBB12_1140
.LBB12_3189:
	s_movk_i32 s4, 0x80
	v_cmp_eq_u16_e32 vcc, s4, v3
	s_mov_b64 s[4:5], -1
                                        ; implicit-def: $sgpr10
	s_and_saveexec_b64 s[8:9], vcc
; %bb.3190:
	s_mov_b32 s10, 0x7f800001
	s_xor_b64 s[4:5], exec, -1
; %bb.3191:
	s_or_b64 exec, exec, s[8:9]
	s_and_b64 s[4:5], s[4:5], exec
                                        ; implicit-def: $vgpr3
	s_or_saveexec_b64 s[6:7], s[6:7]
	v_mov_b32_e32 v4, s10
	s_xor_b64 exec, exec, s[6:7]
	s_cbranch_execz .LBB12_1142
.LBB12_3192:
	v_cmp_ne_u16_e32 vcc, 0, v3
	s_andn2_b64 s[4:5], s[4:5], exec
	s_and_b64 s[8:9], vcc, exec
	v_mov_b32_e32 v4, 0
	s_or_b64 s[4:5], s[4:5], s[8:9]
	s_or_b64 exec, exec, s[6:7]
	s_and_saveexec_b64 s[6:7], s[4:5]
	s_cbranch_execnz .LBB12_1143
	s_branch .LBB12_1144
.LBB12_3193:
	s_movk_i32 s4, 0x80
	v_cmp_eq_u16_sdwa s[12:13], v9, s4 src0_sel:BYTE_3 src1_sel:DWORD
	s_mov_b64 s[4:5], -1
                                        ; implicit-def: $sgpr10
	s_and_saveexec_b64 s[8:9], s[12:13]
; %bb.3194:
	s_mov_b32 s10, 0x7f800001
	s_xor_b64 s[4:5], exec, -1
; %bb.3195:
	s_or_b64 exec, exec, s[8:9]
	s_and_b64 s[4:5], s[4:5], exec
	s_or_saveexec_b64 s[6:7], s[6:7]
	v_mov_b32_e32 v2, s10
	s_xor_b64 exec, exec, s[6:7]
	s_cbranch_execz .LBB12_1146
.LBB12_3196:
	v_mov_b32_e32 v2, 0
	v_cmp_ne_u16_sdwa s[8:9], v9, v2 src0_sel:BYTE_3 src1_sel:DWORD
	s_andn2_b64 s[4:5], s[4:5], exec
	s_and_b64 s[8:9], s[8:9], exec
	s_or_b64 s[4:5], s[4:5], s[8:9]
	s_or_b64 exec, exec, s[6:7]
	s_and_saveexec_b64 s[6:7], s[4:5]
	s_cbranch_execnz .LBB12_1147
	s_branch .LBB12_1148
.LBB12_3197:
	s_movk_i32 s4, 0x80
	v_cmp_eq_u16_sdwa s[12:13], v5, s4 src0_sel:BYTE_3 src1_sel:DWORD
	s_mov_b64 s[4:5], -1
                                        ; implicit-def: $sgpr10
	s_and_saveexec_b64 s[8:9], s[12:13]
; %bb.3198:
	s_mov_b32 s10, 0x7f800001
	s_xor_b64 s[4:5], exec, -1
; %bb.3199:
	s_or_b64 exec, exec, s[8:9]
	s_and_b64 s[4:5], s[4:5], exec
	s_or_saveexec_b64 s[6:7], s[6:7]
	v_mov_b32_e32 v3, s10
	s_xor_b64 exec, exec, s[6:7]
	s_cbranch_execz .LBB12_1150
.LBB12_3200:
	v_mov_b32_e32 v3, 0
	v_cmp_ne_u16_sdwa s[8:9], v5, v3 src0_sel:BYTE_3 src1_sel:DWORD
	s_andn2_b64 s[4:5], s[4:5], exec
	s_and_b64 s[8:9], s[8:9], exec
	s_or_b64 s[4:5], s[4:5], s[8:9]
	s_or_b64 exec, exec, s[6:7]
	s_and_saveexec_b64 s[6:7], s[4:5]
	s_cbranch_execnz .LBB12_1151
	s_branch .LBB12_1152
.LBB12_3201:
	s_movk_i32 s4, 0x80
	v_cmp_eq_u16_sdwa s[12:13], v6, s4 src0_sel:BYTE_0 src1_sel:DWORD
	s_mov_b64 s[4:5], -1
                                        ; implicit-def: $sgpr10
	s_and_saveexec_b64 s[8:9], s[12:13]
; %bb.3202:
	s_mov_b32 s10, 0x7f800001
	s_xor_b64 s[4:5], exec, -1
; %bb.3203:
	s_or_b64 exec, exec, s[8:9]
	s_and_b64 s[4:5], s[4:5], exec
	s_or_saveexec_b64 s[6:7], s[6:7]
	v_mov_b32_e32 v12, s10
	s_xor_b64 exec, exec, s[6:7]
	s_cbranch_execz .LBB12_1154
.LBB12_3204:
	v_mov_b32_e32 v12, 0
	v_cmp_ne_u16_sdwa s[8:9], v6, v12 src0_sel:BYTE_0 src1_sel:DWORD
	s_andn2_b64 s[4:5], s[4:5], exec
	s_and_b64 s[8:9], s[8:9], exec
	s_or_b64 s[4:5], s[4:5], s[8:9]
	s_or_b64 exec, exec, s[6:7]
	s_and_saveexec_b64 s[6:7], s[4:5]
	s_cbranch_execnz .LBB12_1155
	s_branch .LBB12_1156
.LBB12_3205:
	s_movk_i32 s4, 0x80
	v_cmp_eq_u16_sdwa s[12:13], v2, s4 src0_sel:BYTE_0 src1_sel:DWORD
	s_mov_b64 s[4:5], -1
                                        ; implicit-def: $sgpr10
	s_and_saveexec_b64 s[8:9], s[12:13]
; %bb.3206:
	s_mov_b32 s10, 0x7f800001
	s_xor_b64 s[4:5], exec, -1
; %bb.3207:
	s_or_b64 exec, exec, s[8:9]
	s_and_b64 s[4:5], s[4:5], exec
	s_or_saveexec_b64 s[6:7], s[6:7]
	v_mov_b32_e32 v13, s10
	s_xor_b64 exec, exec, s[6:7]
	s_cbranch_execz .LBB12_1158
.LBB12_3208:
	v_mov_b32_e32 v13, 0
	v_cmp_ne_u16_sdwa s[8:9], v2, v13 src0_sel:BYTE_0 src1_sel:DWORD
	s_andn2_b64 s[4:5], s[4:5], exec
	s_and_b64 s[8:9], s[8:9], exec
	s_or_b64 s[4:5], s[4:5], s[8:9]
	s_or_b64 exec, exec, s[6:7]
	s_and_saveexec_b64 s[6:7], s[4:5]
	s_cbranch_execnz .LBB12_1159
	s_branch .LBB12_1160
.LBB12_3209:
	s_movk_i32 s4, 0x80
	v_cmp_eq_u16_sdwa s[12:13], v13, s4 src0_sel:BYTE_0 src1_sel:DWORD
	s_mov_b64 s[4:5], -1
                                        ; implicit-def: $sgpr10
	s_and_saveexec_b64 s[8:9], s[12:13]
; %bb.3210:
	s_mov_b32 s10, 0x7f800001
	s_xor_b64 s[4:5], exec, -1
; %bb.3211:
	s_or_b64 exec, exec, s[8:9]
	s_and_b64 s[4:5], s[4:5], exec
	s_or_saveexec_b64 s[6:7], s[6:7]
	v_mov_b32_e32 v12, s10
	s_xor_b64 exec, exec, s[6:7]
	s_cbranch_execz .LBB12_1162
.LBB12_3212:
	v_mov_b32_e32 v12, 0
	v_cmp_ne_u16_sdwa s[8:9], v13, v12 src0_sel:BYTE_0 src1_sel:DWORD
	s_andn2_b64 s[4:5], s[4:5], exec
	s_and_b64 s[8:9], s[8:9], exec
	s_or_b64 s[4:5], s[4:5], s[8:9]
	s_or_b64 exec, exec, s[6:7]
	s_and_saveexec_b64 s[6:7], s[4:5]
	s_cbranch_execnz .LBB12_1163
	s_branch .LBB12_1164
.LBB12_3213:
	s_movk_i32 s4, 0x80
	v_cmp_eq_u16_sdwa s[12:13], v13, s4 src0_sel:BYTE_0 src1_sel:DWORD
	s_mov_b64 s[4:5], -1
                                        ; implicit-def: $sgpr10
	s_and_saveexec_b64 s[8:9], s[12:13]
; %bb.3214:
	s_mov_b32 s10, 0x7f800001
	s_xor_b64 s[4:5], exec, -1
; %bb.3215:
	s_or_b64 exec, exec, s[8:9]
	s_and_b64 s[4:5], s[4:5], exec
	s_or_saveexec_b64 s[6:7], s[6:7]
	v_mov_b32_e32 v14, s10
	s_xor_b64 exec, exec, s[6:7]
	s_cbranch_execz .LBB12_1166
.LBB12_3216:
	v_mov_b32_e32 v14, 0
	v_cmp_ne_u16_sdwa s[8:9], v13, v14 src0_sel:BYTE_0 src1_sel:DWORD
	s_andn2_b64 s[4:5], s[4:5], exec
	s_and_b64 s[8:9], s[8:9], exec
	s_or_b64 s[4:5], s[4:5], s[8:9]
	s_or_b64 exec, exec, s[6:7]
	s_and_saveexec_b64 s[6:7], s[4:5]
	s_cbranch_execnz .LBB12_1167
	s_branch .LBB12_1168
.LBB12_3217:
	s_movk_i32 s4, 0x80
	v_cmp_eq_u16_e32 vcc, s4, v13
	s_mov_b64 s[4:5], -1
                                        ; implicit-def: $sgpr10
	s_and_saveexec_b64 s[8:9], vcc
; %bb.3218:
	s_mov_b32 s10, 0x7f800001
	s_xor_b64 s[4:5], exec, -1
; %bb.3219:
	s_or_b64 exec, exec, s[8:9]
	s_and_b64 s[4:5], s[4:5], exec
                                        ; implicit-def: $vgpr13
	s_or_saveexec_b64 s[6:7], s[6:7]
	v_mov_b32_e32 v12, s10
	s_xor_b64 exec, exec, s[6:7]
	s_cbranch_execz .LBB12_1170
.LBB12_3220:
	v_cmp_ne_u16_e32 vcc, 0, v13
	s_andn2_b64 s[4:5], s[4:5], exec
	s_and_b64 s[8:9], vcc, exec
	v_mov_b32_e32 v12, 0
	s_or_b64 s[4:5], s[4:5], s[8:9]
	s_or_b64 exec, exec, s[6:7]
	s_and_saveexec_b64 s[6:7], s[4:5]
	s_cbranch_execnz .LBB12_1171
	s_branch .LBB12_1172
.LBB12_3221:
	s_movk_i32 s4, 0x80
	v_cmp_eq_u16_e32 vcc, s4, v13
	s_mov_b64 s[4:5], -1
                                        ; implicit-def: $sgpr10
	s_and_saveexec_b64 s[8:9], vcc
; %bb.3222:
	s_mov_b32 s10, 0x7f800001
	s_xor_b64 s[4:5], exec, -1
; %bb.3223:
	s_or_b64 exec, exec, s[8:9]
	s_and_b64 s[4:5], s[4:5], exec
                                        ; implicit-def: $vgpr13
	s_or_saveexec_b64 s[6:7], s[6:7]
	v_mov_b32_e32 v14, s10
	s_xor_b64 exec, exec, s[6:7]
	s_cbranch_execz .LBB12_1174
.LBB12_3224:
	v_cmp_ne_u16_e32 vcc, 0, v13
	s_andn2_b64 s[4:5], s[4:5], exec
	s_and_b64 s[8:9], vcc, exec
	v_mov_b32_e32 v14, 0
	s_or_b64 s[4:5], s[4:5], s[8:9]
	s_or_b64 exec, exec, s[6:7]
	s_and_saveexec_b64 s[6:7], s[4:5]
	s_cbranch_execnz .LBB12_1175
	s_branch .LBB12_1176
.LBB12_3225:
	s_movk_i32 s4, 0x80
	v_cmp_eq_u16_sdwa s[12:13], v6, s4 src0_sel:BYTE_3 src1_sel:DWORD
	s_mov_b64 s[4:5], -1
                                        ; implicit-def: $sgpr10
	s_and_saveexec_b64 s[8:9], s[12:13]
; %bb.3226:
	s_mov_b32 s10, 0x7f800001
	s_xor_b64 s[4:5], exec, -1
; %bb.3227:
	s_or_b64 exec, exec, s[8:9]
	s_and_b64 s[4:5], s[4:5], exec
	s_or_saveexec_b64 s[6:7], s[6:7]
	v_mov_b32_e32 v12, s10
	s_xor_b64 exec, exec, s[6:7]
	s_cbranch_execz .LBB12_1178
.LBB12_3228:
	v_mov_b32_e32 v12, 0
	v_cmp_ne_u16_sdwa s[8:9], v6, v12 src0_sel:BYTE_3 src1_sel:DWORD
	s_andn2_b64 s[4:5], s[4:5], exec
	s_and_b64 s[8:9], s[8:9], exec
	s_or_b64 s[4:5], s[4:5], s[8:9]
	s_or_b64 exec, exec, s[6:7]
	s_and_saveexec_b64 s[6:7], s[4:5]
	s_cbranch_execnz .LBB12_1179
	s_branch .LBB12_1180
.LBB12_3229:
	s_movk_i32 s4, 0x80
	v_cmp_eq_u16_sdwa s[12:13], v2, s4 src0_sel:BYTE_3 src1_sel:DWORD
	s_mov_b64 s[4:5], -1
                                        ; implicit-def: $sgpr10
	s_and_saveexec_b64 s[8:9], s[12:13]
; %bb.3230:
	s_mov_b32 s10, 0x7f800001
	s_xor_b64 s[4:5], exec, -1
; %bb.3231:
	s_or_b64 exec, exec, s[8:9]
	s_and_b64 s[4:5], s[4:5], exec
	s_or_saveexec_b64 s[6:7], s[6:7]
	v_mov_b32_e32 v6, s10
	s_xor_b64 exec, exec, s[6:7]
	s_cbranch_execz .LBB12_1182
.LBB12_3232:
	v_mov_b32_e32 v6, 0
	v_cmp_ne_u16_sdwa s[8:9], v2, v6 src0_sel:BYTE_3 src1_sel:DWORD
	s_andn2_b64 s[4:5], s[4:5], exec
	s_and_b64 s[8:9], s[8:9], exec
	s_or_b64 s[4:5], s[4:5], s[8:9]
	s_or_b64 exec, exec, s[6:7]
	s_and_saveexec_b64 s[6:7], s[4:5]
	s_cbranch_execnz .LBB12_1183
	s_branch .LBB12_1184
.LBB12_3233:
	s_movk_i32 s4, 0x80
	v_cmp_eq_u16_sdwa s[12:13], v7, s4 src0_sel:BYTE_0 src1_sel:DWORD
	s_mov_b64 s[4:5], -1
                                        ; implicit-def: $sgpr10
	s_and_saveexec_b64 s[8:9], s[12:13]
; %bb.3234:
	s_mov_b32 s10, 0x7f800001
	s_xor_b64 s[4:5], exec, -1
; %bb.3235:
	s_or_b64 exec, exec, s[8:9]
	s_and_b64 s[4:5], s[4:5], exec
	s_or_saveexec_b64 s[6:7], s[6:7]
	v_mov_b32_e32 v2, s10
	s_xor_b64 exec, exec, s[6:7]
	s_cbranch_execz .LBB12_1186
.LBB12_3236:
	v_mov_b32_e32 v2, 0
	v_cmp_ne_u16_sdwa s[8:9], v7, v2 src0_sel:BYTE_0 src1_sel:DWORD
	s_andn2_b64 s[4:5], s[4:5], exec
	s_and_b64 s[8:9], s[8:9], exec
	s_or_b64 s[4:5], s[4:5], s[8:9]
	s_or_b64 exec, exec, s[6:7]
	s_and_saveexec_b64 s[6:7], s[4:5]
	s_cbranch_execnz .LBB12_1187
	s_branch .LBB12_1188
.LBB12_3237:
	s_movk_i32 s4, 0x80
	v_cmp_eq_u16_sdwa s[12:13], v3, s4 src0_sel:BYTE_0 src1_sel:DWORD
	s_mov_b64 s[4:5], -1
                                        ; implicit-def: $sgpr10
	s_and_saveexec_b64 s[8:9], s[12:13]
; %bb.3238:
	s_mov_b32 s10, 0x7f800001
	s_xor_b64 s[4:5], exec, -1
; %bb.3239:
	s_or_b64 exec, exec, s[8:9]
	s_and_b64 s[4:5], s[4:5], exec
	s_or_saveexec_b64 s[6:7], s[6:7]
	v_mov_b32_e32 v6, s10
	s_xor_b64 exec, exec, s[6:7]
	s_cbranch_execz .LBB12_1190
.LBB12_3240:
	v_mov_b32_e32 v6, 0
	v_cmp_ne_u16_sdwa s[8:9], v3, v6 src0_sel:BYTE_0 src1_sel:DWORD
	s_andn2_b64 s[4:5], s[4:5], exec
	s_and_b64 s[8:9], s[8:9], exec
	s_or_b64 s[4:5], s[4:5], s[8:9]
	s_or_b64 exec, exec, s[6:7]
	s_and_saveexec_b64 s[6:7], s[4:5]
	s_cbranch_execnz .LBB12_1191
	s_branch .LBB12_1192
.LBB12_3241:
	s_movk_i32 s4, 0x80
	v_cmp_eq_u16_sdwa s[12:13], v6, s4 src0_sel:BYTE_0 src1_sel:DWORD
	s_mov_b64 s[4:5], -1
                                        ; implicit-def: $sgpr10
	s_and_saveexec_b64 s[8:9], s[12:13]
; %bb.3242:
	s_mov_b32 s10, 0x7f800001
	s_xor_b64 s[4:5], exec, -1
; %bb.3243:
	s_or_b64 exec, exec, s[8:9]
	s_and_b64 s[4:5], s[4:5], exec
	s_or_saveexec_b64 s[6:7], s[6:7]
	v_mov_b32_e32 v2, s10
	s_xor_b64 exec, exec, s[6:7]
	s_cbranch_execz .LBB12_1194
.LBB12_3244:
	v_mov_b32_e32 v2, 0
	v_cmp_ne_u16_sdwa s[8:9], v6, v2 src0_sel:BYTE_0 src1_sel:DWORD
	s_andn2_b64 s[4:5], s[4:5], exec
	s_and_b64 s[8:9], s[8:9], exec
	s_or_b64 s[4:5], s[4:5], s[8:9]
	s_or_b64 exec, exec, s[6:7]
	s_and_saveexec_b64 s[6:7], s[4:5]
	s_cbranch_execnz .LBB12_1195
	s_branch .LBB12_1196
.LBB12_3245:
	s_movk_i32 s4, 0x80
	v_cmp_eq_u16_sdwa s[12:13], v6, s4 src0_sel:BYTE_0 src1_sel:DWORD
	s_mov_b64 s[4:5], -1
                                        ; implicit-def: $sgpr10
	s_and_saveexec_b64 s[8:9], s[12:13]
; %bb.3246:
	s_mov_b32 s10, 0x7f800001
	s_xor_b64 s[4:5], exec, -1
; %bb.3247:
	s_or_b64 exec, exec, s[8:9]
	s_and_b64 s[4:5], s[4:5], exec
	s_or_saveexec_b64 s[6:7], s[6:7]
	v_mov_b32_e32 v12, s10
	s_xor_b64 exec, exec, s[6:7]
	s_cbranch_execz .LBB12_1198
.LBB12_3248:
	v_mov_b32_e32 v12, 0
	v_cmp_ne_u16_sdwa s[8:9], v6, v12 src0_sel:BYTE_0 src1_sel:DWORD
	s_andn2_b64 s[4:5], s[4:5], exec
	s_and_b64 s[8:9], s[8:9], exec
	s_or_b64 s[4:5], s[4:5], s[8:9]
	s_or_b64 exec, exec, s[6:7]
	s_and_saveexec_b64 s[6:7], s[4:5]
	s_cbranch_execnz .LBB12_1199
	s_branch .LBB12_1200
.LBB12_3249:
	s_movk_i32 s4, 0x80
	v_cmp_eq_u16_e32 vcc, s4, v6
	s_mov_b64 s[4:5], -1
                                        ; implicit-def: $sgpr10
	s_and_saveexec_b64 s[8:9], vcc
; %bb.3250:
	s_mov_b32 s10, 0x7f800001
	s_xor_b64 s[4:5], exec, -1
; %bb.3251:
	s_or_b64 exec, exec, s[8:9]
	s_and_b64 s[4:5], s[4:5], exec
                                        ; implicit-def: $vgpr6
	s_or_saveexec_b64 s[6:7], s[6:7]
	v_mov_b32_e32 v2, s10
	s_xor_b64 exec, exec, s[6:7]
	s_cbranch_execz .LBB12_1202
.LBB12_3252:
	v_cmp_ne_u16_e32 vcc, 0, v6
	s_andn2_b64 s[4:5], s[4:5], exec
	s_and_b64 s[8:9], vcc, exec
	v_mov_b32_e32 v2, 0
	s_or_b64 s[4:5], s[4:5], s[8:9]
	s_or_b64 exec, exec, s[6:7]
	s_and_saveexec_b64 s[6:7], s[4:5]
	s_cbranch_execnz .LBB12_1203
	s_branch .LBB12_1204
.LBB12_3253:
	s_movk_i32 s4, 0x80
	v_cmp_eq_u16_e32 vcc, s4, v6
	s_mov_b64 s[4:5], -1
                                        ; implicit-def: $sgpr10
	s_and_saveexec_b64 s[8:9], vcc
; %bb.3254:
	s_mov_b32 s10, 0x7f800001
	s_xor_b64 s[4:5], exec, -1
; %bb.3255:
	s_or_b64 exec, exec, s[8:9]
	s_and_b64 s[4:5], s[4:5], exec
                                        ; implicit-def: $vgpr6
	s_or_saveexec_b64 s[6:7], s[6:7]
	v_mov_b32_e32 v12, s10
	s_xor_b64 exec, exec, s[6:7]
	s_cbranch_execz .LBB12_1206
.LBB12_3256:
	v_cmp_ne_u16_e32 vcc, 0, v6
	s_andn2_b64 s[4:5], s[4:5], exec
	s_and_b64 s[8:9], vcc, exec
	v_mov_b32_e32 v12, 0
	s_or_b64 s[4:5], s[4:5], s[8:9]
	s_or_b64 exec, exec, s[6:7]
	s_and_saveexec_b64 s[6:7], s[4:5]
	s_cbranch_execnz .LBB12_1207
	s_branch .LBB12_1208
.LBB12_3257:
	s_movk_i32 s4, 0x80
	v_cmp_eq_u16_sdwa s[12:13], v7, s4 src0_sel:BYTE_3 src1_sel:DWORD
	s_mov_b64 s[4:5], -1
                                        ; implicit-def: $sgpr10
	s_and_saveexec_b64 s[8:9], s[12:13]
; %bb.3258:
	s_mov_b32 s10, 0x7f800001
	s_xor_b64 s[4:5], exec, -1
; %bb.3259:
	s_or_b64 exec, exec, s[8:9]
	s_and_b64 s[4:5], s[4:5], exec
	s_or_saveexec_b64 s[6:7], s[6:7]
	v_mov_b32_e32 v2, s10
	s_xor_b64 exec, exec, s[6:7]
	s_cbranch_execz .LBB12_1210
.LBB12_3260:
	v_mov_b32_e32 v2, 0
	v_cmp_ne_u16_sdwa s[8:9], v7, v2 src0_sel:BYTE_3 src1_sel:DWORD
	s_andn2_b64 s[4:5], s[4:5], exec
	s_and_b64 s[8:9], s[8:9], exec
	s_or_b64 s[4:5], s[4:5], s[8:9]
	s_or_b64 exec, exec, s[6:7]
	s_and_saveexec_b64 s[6:7], s[4:5]
	s_cbranch_execnz .LBB12_1211
	s_branch .LBB12_1212
.LBB12_3261:
	s_movk_i32 s4, 0x80
	v_cmp_eq_u16_sdwa s[12:13], v3, s4 src0_sel:BYTE_3 src1_sel:DWORD
	s_mov_b64 s[4:5], -1
                                        ; implicit-def: $sgpr10
	s_and_saveexec_b64 s[8:9], s[12:13]
; %bb.3262:
	s_mov_b32 s10, 0x7f800001
	s_xor_b64 s[4:5], exec, -1
; %bb.3263:
	s_or_b64 exec, exec, s[8:9]
	s_and_b64 s[4:5], s[4:5], exec
	s_or_saveexec_b64 s[6:7], s[6:7]
	v_mov_b32_e32 v6, s10
	s_xor_b64 exec, exec, s[6:7]
	s_cbranch_execz .LBB12_1214
.LBB12_3264:
	v_mov_b32_e32 v6, 0
	v_cmp_ne_u16_sdwa s[8:9], v3, v6 src0_sel:BYTE_3 src1_sel:DWORD
	s_andn2_b64 s[4:5], s[4:5], exec
	s_and_b64 s[8:9], s[8:9], exec
	s_or_b64 s[4:5], s[4:5], s[8:9]
	s_or_b64 exec, exec, s[6:7]
	s_and_saveexec_b64 s[6:7], s[4:5]
	s_cbranch_execnz .LBB12_1215
	s_branch .LBB12_1216
.LBB12_3265:
	s_movk_i32 s4, 0x80
	v_cmp_eq_u16_sdwa s[12:13], v8, s4 src0_sel:BYTE_0 src1_sel:DWORD
	s_mov_b64 s[4:5], -1
                                        ; implicit-def: $sgpr10
	s_and_saveexec_b64 s[8:9], s[12:13]
; %bb.3266:
	s_mov_b32 s10, 0x7f800001
	s_xor_b64 s[4:5], exec, -1
; %bb.3267:
	s_or_b64 exec, exec, s[8:9]
	s_and_b64 s[4:5], s[4:5], exec
	s_or_saveexec_b64 s[6:7], s[6:7]
	v_mov_b32_e32 v2, s10
	s_xor_b64 exec, exec, s[6:7]
	s_cbranch_execz .LBB12_1218
.LBB12_3268:
	v_mov_b32_e32 v2, 0
	v_cmp_ne_u16_sdwa s[8:9], v8, v2 src0_sel:BYTE_0 src1_sel:DWORD
	s_andn2_b64 s[4:5], s[4:5], exec
	s_and_b64 s[8:9], s[8:9], exec
	s_or_b64 s[4:5], s[4:5], s[8:9]
	s_or_b64 exec, exec, s[6:7]
	s_and_saveexec_b64 s[6:7], s[4:5]
	s_cbranch_execnz .LBB12_1219
	s_branch .LBB12_1220
.LBB12_3269:
	s_movk_i32 s4, 0x80
	v_cmp_eq_u16_sdwa s[12:13], v4, s4 src0_sel:BYTE_0 src1_sel:DWORD
	s_mov_b64 s[4:5], -1
                                        ; implicit-def: $sgpr10
	s_and_saveexec_b64 s[8:9], s[12:13]
; %bb.3270:
	s_mov_b32 s10, 0x7f800001
	s_xor_b64 s[4:5], exec, -1
; %bb.3271:
	s_or_b64 exec, exec, s[8:9]
	s_and_b64 s[4:5], s[4:5], exec
	s_or_saveexec_b64 s[6:7], s[6:7]
	v_mov_b32_e32 v3, s10
	s_xor_b64 exec, exec, s[6:7]
	s_cbranch_execz .LBB12_1222
.LBB12_3272:
	v_mov_b32_e32 v3, 0
	v_cmp_ne_u16_sdwa s[8:9], v4, v3 src0_sel:BYTE_0 src1_sel:DWORD
	s_andn2_b64 s[4:5], s[4:5], exec
	s_and_b64 s[8:9], s[8:9], exec
	s_or_b64 s[4:5], s[4:5], s[8:9]
	s_or_b64 exec, exec, s[6:7]
	s_and_saveexec_b64 s[6:7], s[4:5]
	s_cbranch_execnz .LBB12_1223
	s_branch .LBB12_1224
.LBB12_3273:
	s_movk_i32 s4, 0x80
	v_cmp_eq_u16_sdwa s[12:13], v3, s4 src0_sel:BYTE_0 src1_sel:DWORD
	s_mov_b64 s[4:5], -1
                                        ; implicit-def: $sgpr10
	s_and_saveexec_b64 s[8:9], s[12:13]
; %bb.3274:
	s_mov_b32 s10, 0x7f800001
	s_xor_b64 s[4:5], exec, -1
; %bb.3275:
	s_or_b64 exec, exec, s[8:9]
	s_and_b64 s[4:5], s[4:5], exec
	s_or_saveexec_b64 s[6:7], s[6:7]
	v_mov_b32_e32 v2, s10
	s_xor_b64 exec, exec, s[6:7]
	s_cbranch_execz .LBB12_1226
.LBB12_3276:
	v_mov_b32_e32 v2, 0
	v_cmp_ne_u16_sdwa s[8:9], v3, v2 src0_sel:BYTE_0 src1_sel:DWORD
	s_andn2_b64 s[4:5], s[4:5], exec
	s_and_b64 s[8:9], s[8:9], exec
	s_or_b64 s[4:5], s[4:5], s[8:9]
	s_or_b64 exec, exec, s[6:7]
	s_and_saveexec_b64 s[6:7], s[4:5]
	s_cbranch_execnz .LBB12_1227
	s_branch .LBB12_1228
.LBB12_3277:
	s_movk_i32 s4, 0x80
	v_cmp_eq_u16_sdwa s[12:13], v3, s4 src0_sel:BYTE_0 src1_sel:DWORD
	s_mov_b64 s[4:5], -1
                                        ; implicit-def: $sgpr10
	s_and_saveexec_b64 s[8:9], s[12:13]
; %bb.3278:
	s_mov_b32 s10, 0x7f800001
	s_xor_b64 s[4:5], exec, -1
; %bb.3279:
	s_or_b64 exec, exec, s[8:9]
	s_and_b64 s[4:5], s[4:5], exec
	s_or_saveexec_b64 s[6:7], s[6:7]
	v_mov_b32_e32 v6, s10
	s_xor_b64 exec, exec, s[6:7]
	s_cbranch_execz .LBB12_1230
.LBB12_3280:
	v_mov_b32_e32 v6, 0
	v_cmp_ne_u16_sdwa s[8:9], v3, v6 src0_sel:BYTE_0 src1_sel:DWORD
	s_andn2_b64 s[4:5], s[4:5], exec
	s_and_b64 s[8:9], s[8:9], exec
	s_or_b64 s[4:5], s[4:5], s[8:9]
	s_or_b64 exec, exec, s[6:7]
	s_and_saveexec_b64 s[6:7], s[4:5]
	s_cbranch_execnz .LBB12_1231
	s_branch .LBB12_1232
.LBB12_3281:
	s_movk_i32 s4, 0x80
	v_cmp_eq_u16_e32 vcc, s4, v3
	s_mov_b64 s[4:5], -1
                                        ; implicit-def: $sgpr10
	s_and_saveexec_b64 s[8:9], vcc
; %bb.3282:
	s_mov_b32 s10, 0x7f800001
	s_xor_b64 s[4:5], exec, -1
; %bb.3283:
	s_or_b64 exec, exec, s[8:9]
	s_and_b64 s[4:5], s[4:5], exec
                                        ; implicit-def: $vgpr3
	s_or_saveexec_b64 s[6:7], s[6:7]
	v_mov_b32_e32 v2, s10
	s_xor_b64 exec, exec, s[6:7]
	s_cbranch_execz .LBB12_1234
.LBB12_3284:
	v_cmp_ne_u16_e32 vcc, 0, v3
	s_andn2_b64 s[4:5], s[4:5], exec
	s_and_b64 s[8:9], vcc, exec
	v_mov_b32_e32 v2, 0
	s_or_b64 s[4:5], s[4:5], s[8:9]
	s_or_b64 exec, exec, s[6:7]
	s_and_saveexec_b64 s[6:7], s[4:5]
	s_cbranch_execnz .LBB12_1235
	s_branch .LBB12_1236
.LBB12_3285:
	s_movk_i32 s4, 0x80
	v_cmp_eq_u16_e32 vcc, s4, v3
	s_mov_b64 s[4:5], -1
                                        ; implicit-def: $sgpr10
	s_and_saveexec_b64 s[8:9], vcc
; %bb.3286:
	s_mov_b32 s10, 0x7f800001
	s_xor_b64 s[4:5], exec, -1
; %bb.3287:
	s_or_b64 exec, exec, s[8:9]
	s_and_b64 s[4:5], s[4:5], exec
                                        ; implicit-def: $vgpr3
	s_or_saveexec_b64 s[6:7], s[6:7]
	v_mov_b32_e32 v6, s10
	s_xor_b64 exec, exec, s[6:7]
	s_cbranch_execz .LBB12_1238
.LBB12_3288:
	v_cmp_ne_u16_e32 vcc, 0, v3
	s_andn2_b64 s[4:5], s[4:5], exec
	s_and_b64 s[8:9], vcc, exec
	v_mov_b32_e32 v6, 0
	s_or_b64 s[4:5], s[4:5], s[8:9]
	s_or_b64 exec, exec, s[6:7]
	s_and_saveexec_b64 s[6:7], s[4:5]
	s_cbranch_execnz .LBB12_1239
	s_branch .LBB12_1240
.LBB12_3289:
	s_movk_i32 s4, 0x80
	v_cmp_eq_u16_sdwa s[12:13], v8, s4 src0_sel:BYTE_3 src1_sel:DWORD
	s_mov_b64 s[4:5], -1
                                        ; implicit-def: $sgpr10
	s_and_saveexec_b64 s[8:9], s[12:13]
; %bb.3290:
	s_mov_b32 s10, 0x7f800001
	s_xor_b64 s[4:5], exec, -1
; %bb.3291:
	s_or_b64 exec, exec, s[8:9]
	s_and_b64 s[4:5], s[4:5], exec
	s_or_saveexec_b64 s[6:7], s[6:7]
	v_mov_b32_e32 v2, s10
	s_xor_b64 exec, exec, s[6:7]
	s_cbranch_execz .LBB12_1242
.LBB12_3292:
	v_mov_b32_e32 v2, 0
	v_cmp_ne_u16_sdwa s[8:9], v8, v2 src0_sel:BYTE_3 src1_sel:DWORD
	s_andn2_b64 s[4:5], s[4:5], exec
	s_and_b64 s[8:9], s[8:9], exec
	s_or_b64 s[4:5], s[4:5], s[8:9]
	s_or_b64 exec, exec, s[6:7]
	s_and_saveexec_b64 s[6:7], s[4:5]
	s_cbranch_execnz .LBB12_1243
	s_branch .LBB12_1244
.LBB12_3293:
	s_movk_i32 s4, 0x80
	v_cmp_eq_u16_sdwa s[12:13], v4, s4 src0_sel:BYTE_3 src1_sel:DWORD
	s_mov_b64 s[4:5], -1
                                        ; implicit-def: $sgpr10
	s_and_saveexec_b64 s[8:9], s[12:13]
; %bb.3294:
	s_mov_b32 s10, 0x7f800001
	s_xor_b64 s[4:5], exec, -1
; %bb.3295:
	s_or_b64 exec, exec, s[8:9]
	s_and_b64 s[4:5], s[4:5], exec
	s_or_saveexec_b64 s[6:7], s[6:7]
	v_mov_b32_e32 v3, s10
	s_xor_b64 exec, exec, s[6:7]
	s_cbranch_execz .LBB12_1246
.LBB12_3296:
	v_mov_b32_e32 v3, 0
	v_cmp_ne_u16_sdwa s[8:9], v4, v3 src0_sel:BYTE_3 src1_sel:DWORD
	s_andn2_b64 s[4:5], s[4:5], exec
	s_and_b64 s[8:9], s[8:9], exec
	s_or_b64 s[4:5], s[4:5], s[8:9]
	s_or_b64 exec, exec, s[6:7]
	s_and_saveexec_b64 s[6:7], s[4:5]
	s_cbranch_execnz .LBB12_1247
	s_branch .LBB12_1248
.LBB12_3297:
	s_movk_i32 s4, 0x80
	v_cmp_eq_u16_sdwa s[12:13], v9, s4 src0_sel:BYTE_0 src1_sel:DWORD
	s_mov_b64 s[4:5], -1
                                        ; implicit-def: $sgpr10
	s_and_saveexec_b64 s[8:9], s[12:13]
; %bb.3298:
	s_mov_b32 s10, 0x7f800001
	s_xor_b64 s[4:5], exec, -1
; %bb.3299:
	s_or_b64 exec, exec, s[8:9]
	s_and_b64 s[4:5], s[4:5], exec
	s_or_saveexec_b64 s[6:7], s[6:7]
	v_mov_b32_e32 v2, s10
	s_xor_b64 exec, exec, s[6:7]
	s_cbranch_execz .LBB12_1250
.LBB12_3300:
	v_mov_b32_e32 v2, 0
	v_cmp_ne_u16_sdwa s[8:9], v9, v2 src0_sel:BYTE_0 src1_sel:DWORD
	s_andn2_b64 s[4:5], s[4:5], exec
	s_and_b64 s[8:9], s[8:9], exec
	s_or_b64 s[4:5], s[4:5], s[8:9]
	s_or_b64 exec, exec, s[6:7]
	s_and_saveexec_b64 s[6:7], s[4:5]
	s_cbranch_execnz .LBB12_1251
	s_branch .LBB12_1252
.LBB12_3301:
	s_movk_i32 s4, 0x80
	v_cmp_eq_u16_sdwa s[12:13], v5, s4 src0_sel:BYTE_0 src1_sel:DWORD
	s_mov_b64 s[4:5], -1
                                        ; implicit-def: $sgpr10
	s_and_saveexec_b64 s[8:9], s[12:13]
; %bb.3302:
	s_mov_b32 s10, 0x7f800001
	s_xor_b64 s[4:5], exec, -1
; %bb.3303:
	s_or_b64 exec, exec, s[8:9]
	s_and_b64 s[4:5], s[4:5], exec
	s_or_saveexec_b64 s[6:7], s[6:7]
	v_mov_b32_e32 v3, s10
	s_xor_b64 exec, exec, s[6:7]
	s_cbranch_execz .LBB12_1254
.LBB12_3304:
	v_mov_b32_e32 v3, 0
	v_cmp_ne_u16_sdwa s[8:9], v5, v3 src0_sel:BYTE_0 src1_sel:DWORD
	s_andn2_b64 s[4:5], s[4:5], exec
	s_and_b64 s[8:9], s[8:9], exec
	s_or_b64 s[4:5], s[4:5], s[8:9]
	s_or_b64 exec, exec, s[6:7]
	s_and_saveexec_b64 s[6:7], s[4:5]
	s_cbranch_execnz .LBB12_1255
	s_branch .LBB12_1256
.LBB12_3305:
	s_movk_i32 s4, 0x80
	v_cmp_eq_u16_sdwa s[12:13], v3, s4 src0_sel:BYTE_0 src1_sel:DWORD
	s_mov_b64 s[4:5], -1
                                        ; implicit-def: $sgpr10
	s_and_saveexec_b64 s[8:9], s[12:13]
; %bb.3306:
	s_mov_b32 s10, 0x7f800001
	s_xor_b64 s[4:5], exec, -1
; %bb.3307:
	s_or_b64 exec, exec, s[8:9]
	s_and_b64 s[4:5], s[4:5], exec
	s_or_saveexec_b64 s[6:7], s[6:7]
	v_mov_b32_e32 v2, s10
	s_xor_b64 exec, exec, s[6:7]
	s_cbranch_execz .LBB12_1258
.LBB12_3308:
	v_mov_b32_e32 v2, 0
	v_cmp_ne_u16_sdwa s[8:9], v3, v2 src0_sel:BYTE_0 src1_sel:DWORD
	s_andn2_b64 s[4:5], s[4:5], exec
	s_and_b64 s[8:9], s[8:9], exec
	s_or_b64 s[4:5], s[4:5], s[8:9]
	s_or_b64 exec, exec, s[6:7]
	s_and_saveexec_b64 s[6:7], s[4:5]
	s_cbranch_execnz .LBB12_1259
	s_branch .LBB12_1260
.LBB12_3309:
	s_movk_i32 s4, 0x80
	v_cmp_eq_u16_sdwa s[12:13], v3, s4 src0_sel:BYTE_0 src1_sel:DWORD
	s_mov_b64 s[4:5], -1
                                        ; implicit-def: $sgpr10
	s_and_saveexec_b64 s[8:9], s[12:13]
; %bb.3310:
	s_mov_b32 s10, 0x7f800001
	s_xor_b64 s[4:5], exec, -1
; %bb.3311:
	s_or_b64 exec, exec, s[8:9]
	s_and_b64 s[4:5], s[4:5], exec
	s_or_saveexec_b64 s[6:7], s[6:7]
	v_mov_b32_e32 v4, s10
	s_xor_b64 exec, exec, s[6:7]
	s_cbranch_execz .LBB12_1262
.LBB12_3312:
	v_mov_b32_e32 v4, 0
	v_cmp_ne_u16_sdwa s[8:9], v3, v4 src0_sel:BYTE_0 src1_sel:DWORD
	s_andn2_b64 s[4:5], s[4:5], exec
	s_and_b64 s[8:9], s[8:9], exec
	s_or_b64 s[4:5], s[4:5], s[8:9]
	s_or_b64 exec, exec, s[6:7]
	s_and_saveexec_b64 s[6:7], s[4:5]
	s_cbranch_execnz .LBB12_1263
	s_branch .LBB12_1264
.LBB12_3313:
	s_movk_i32 s4, 0x80
	v_cmp_eq_u16_e32 vcc, s4, v3
	s_mov_b64 s[4:5], -1
                                        ; implicit-def: $sgpr10
	s_and_saveexec_b64 s[8:9], vcc
; %bb.3314:
	s_mov_b32 s10, 0x7f800001
	s_xor_b64 s[4:5], exec, -1
; %bb.3315:
	s_or_b64 exec, exec, s[8:9]
	s_and_b64 s[4:5], s[4:5], exec
                                        ; implicit-def: $vgpr3
	s_or_saveexec_b64 s[6:7], s[6:7]
	v_mov_b32_e32 v2, s10
	s_xor_b64 exec, exec, s[6:7]
	s_cbranch_execz .LBB12_1266
.LBB12_3316:
	v_cmp_ne_u16_e32 vcc, 0, v3
	s_andn2_b64 s[4:5], s[4:5], exec
	s_and_b64 s[8:9], vcc, exec
	v_mov_b32_e32 v2, 0
	s_or_b64 s[4:5], s[4:5], s[8:9]
	s_or_b64 exec, exec, s[6:7]
	s_and_saveexec_b64 s[6:7], s[4:5]
	s_cbranch_execnz .LBB12_1267
	s_branch .LBB12_1268
.LBB12_3317:
	s_movk_i32 s4, 0x80
	v_cmp_eq_u16_e32 vcc, s4, v3
	s_mov_b64 s[4:5], -1
                                        ; implicit-def: $sgpr10
	s_and_saveexec_b64 s[8:9], vcc
; %bb.3318:
	s_mov_b32 s10, 0x7f800001
	s_xor_b64 s[4:5], exec, -1
; %bb.3319:
	s_or_b64 exec, exec, s[8:9]
	s_and_b64 s[4:5], s[4:5], exec
                                        ; implicit-def: $vgpr3
	s_or_saveexec_b64 s[6:7], s[6:7]
	v_mov_b32_e32 v4, s10
	s_xor_b64 exec, exec, s[6:7]
	s_cbranch_execz .LBB12_1270
.LBB12_3320:
	v_cmp_ne_u16_e32 vcc, 0, v3
	s_andn2_b64 s[4:5], s[4:5], exec
	s_and_b64 s[8:9], vcc, exec
	v_mov_b32_e32 v4, 0
	s_or_b64 s[4:5], s[4:5], s[8:9]
	s_or_b64 exec, exec, s[6:7]
	s_and_saveexec_b64 s[6:7], s[4:5]
	s_cbranch_execnz .LBB12_1271
	s_branch .LBB12_1272
.LBB12_3321:
	s_movk_i32 s4, 0x80
	v_cmp_eq_u16_sdwa s[12:13], v9, s4 src0_sel:BYTE_3 src1_sel:DWORD
	s_mov_b64 s[4:5], -1
                                        ; implicit-def: $sgpr10
	s_and_saveexec_b64 s[8:9], s[12:13]
; %bb.3322:
	s_mov_b32 s10, 0x7f800001
	s_xor_b64 s[4:5], exec, -1
; %bb.3323:
	s_or_b64 exec, exec, s[8:9]
	s_and_b64 s[4:5], s[4:5], exec
	s_or_saveexec_b64 s[6:7], s[6:7]
	v_mov_b32_e32 v2, s10
	s_xor_b64 exec, exec, s[6:7]
	s_cbranch_execz .LBB12_1274
.LBB12_3324:
	v_mov_b32_e32 v2, 0
	v_cmp_ne_u16_sdwa s[8:9], v9, v2 src0_sel:BYTE_3 src1_sel:DWORD
	s_andn2_b64 s[4:5], s[4:5], exec
	s_and_b64 s[8:9], s[8:9], exec
	s_or_b64 s[4:5], s[4:5], s[8:9]
	s_or_b64 exec, exec, s[6:7]
	s_and_saveexec_b64 s[6:7], s[4:5]
	s_cbranch_execnz .LBB12_1275
	s_branch .LBB12_1276
.LBB12_3325:
	s_movk_i32 s4, 0x80
	v_cmp_eq_u16_sdwa s[12:13], v5, s4 src0_sel:BYTE_3 src1_sel:DWORD
	s_mov_b64 s[4:5], -1
                                        ; implicit-def: $sgpr10
	s_and_saveexec_b64 s[8:9], s[12:13]
; %bb.3326:
	s_mov_b32 s10, 0x7f800001
	s_xor_b64 s[4:5], exec, -1
; %bb.3327:
	s_or_b64 exec, exec, s[8:9]
	s_and_b64 s[4:5], s[4:5], exec
	s_or_saveexec_b64 s[6:7], s[6:7]
	v_mov_b32_e32 v3, s10
	s_xor_b64 exec, exec, s[6:7]
	s_cbranch_execz .LBB12_1278
.LBB12_3328:
	v_mov_b32_e32 v3, 0
	v_cmp_ne_u16_sdwa s[8:9], v5, v3 src0_sel:BYTE_3 src1_sel:DWORD
	s_andn2_b64 s[4:5], s[4:5], exec
	s_and_b64 s[8:9], s[8:9], exec
	s_or_b64 s[4:5], s[4:5], s[8:9]
	s_or_b64 exec, exec, s[6:7]
	s_and_saveexec_b64 s[6:7], s[4:5]
	s_cbranch_execnz .LBB12_1279
	s_branch .LBB12_1280
.LBB12_3329:
	s_movk_i32 s4, 0x80
	v_cmp_eq_u16_sdwa s[12:13], v6, s4 src0_sel:BYTE_0 src1_sel:DWORD
	s_mov_b64 s[4:5], -1
                                        ; implicit-def: $sgpr10
	s_and_saveexec_b64 s[8:9], s[12:13]
; %bb.3330:
	s_mov_b32 s10, 0x7f800001
	s_xor_b64 s[4:5], exec, -1
; %bb.3331:
	s_or_b64 exec, exec, s[8:9]
	s_and_b64 s[4:5], s[4:5], exec
	s_or_saveexec_b64 s[6:7], s[6:7]
	v_mov_b32_e32 v12, s10
	s_xor_b64 exec, exec, s[6:7]
	s_cbranch_execz .LBB12_1282
.LBB12_3332:
	v_mov_b32_e32 v12, 0
	v_cmp_ne_u16_sdwa s[8:9], v6, v12 src0_sel:BYTE_0 src1_sel:DWORD
	s_andn2_b64 s[4:5], s[4:5], exec
	s_and_b64 s[8:9], s[8:9], exec
	s_or_b64 s[4:5], s[4:5], s[8:9]
	s_or_b64 exec, exec, s[6:7]
	s_and_saveexec_b64 s[6:7], s[4:5]
	s_cbranch_execnz .LBB12_1283
	s_branch .LBB12_1284
.LBB12_3333:
	s_movk_i32 s4, 0x80
	v_cmp_eq_u16_sdwa s[12:13], v2, s4 src0_sel:BYTE_0 src1_sel:DWORD
	s_mov_b64 s[4:5], -1
                                        ; implicit-def: $sgpr10
	s_and_saveexec_b64 s[8:9], s[12:13]
; %bb.3334:
	s_mov_b32 s10, 0x7f800001
	s_xor_b64 s[4:5], exec, -1
; %bb.3335:
	s_or_b64 exec, exec, s[8:9]
	s_and_b64 s[4:5], s[4:5], exec
	s_or_saveexec_b64 s[6:7], s[6:7]
	v_mov_b32_e32 v13, s10
	s_xor_b64 exec, exec, s[6:7]
	s_cbranch_execz .LBB12_1286
.LBB12_3336:
	v_mov_b32_e32 v13, 0
	v_cmp_ne_u16_sdwa s[8:9], v2, v13 src0_sel:BYTE_0 src1_sel:DWORD
	s_andn2_b64 s[4:5], s[4:5], exec
	s_and_b64 s[8:9], s[8:9], exec
	s_or_b64 s[4:5], s[4:5], s[8:9]
	s_or_b64 exec, exec, s[6:7]
	s_and_saveexec_b64 s[6:7], s[4:5]
	s_cbranch_execnz .LBB12_1287
	s_branch .LBB12_1288
.LBB12_3337:
	s_movk_i32 s4, 0x80
	v_cmp_eq_u16_sdwa s[12:13], v13, s4 src0_sel:BYTE_0 src1_sel:DWORD
	s_mov_b64 s[4:5], -1
                                        ; implicit-def: $sgpr10
	s_and_saveexec_b64 s[8:9], s[12:13]
; %bb.3338:
	s_mov_b32 s10, 0x7f800001
	s_xor_b64 s[4:5], exec, -1
; %bb.3339:
	s_or_b64 exec, exec, s[8:9]
	s_and_b64 s[4:5], s[4:5], exec
	s_or_saveexec_b64 s[6:7], s[6:7]
	v_mov_b32_e32 v12, s10
	s_xor_b64 exec, exec, s[6:7]
	s_cbranch_execz .LBB12_1290
.LBB12_3340:
	v_mov_b32_e32 v12, 0
	v_cmp_ne_u16_sdwa s[8:9], v13, v12 src0_sel:BYTE_0 src1_sel:DWORD
	s_andn2_b64 s[4:5], s[4:5], exec
	s_and_b64 s[8:9], s[8:9], exec
	s_or_b64 s[4:5], s[4:5], s[8:9]
	s_or_b64 exec, exec, s[6:7]
	s_and_saveexec_b64 s[6:7], s[4:5]
	s_cbranch_execnz .LBB12_1291
	s_branch .LBB12_1292
.LBB12_3341:
	s_movk_i32 s4, 0x80
	v_cmp_eq_u16_sdwa s[12:13], v13, s4 src0_sel:BYTE_0 src1_sel:DWORD
	s_mov_b64 s[4:5], -1
                                        ; implicit-def: $sgpr10
	s_and_saveexec_b64 s[8:9], s[12:13]
; %bb.3342:
	s_mov_b32 s10, 0x7f800001
	s_xor_b64 s[4:5], exec, -1
; %bb.3343:
	s_or_b64 exec, exec, s[8:9]
	s_and_b64 s[4:5], s[4:5], exec
	s_or_saveexec_b64 s[6:7], s[6:7]
	v_mov_b32_e32 v14, s10
	s_xor_b64 exec, exec, s[6:7]
	s_cbranch_execz .LBB12_1294
.LBB12_3344:
	v_mov_b32_e32 v14, 0
	v_cmp_ne_u16_sdwa s[8:9], v13, v14 src0_sel:BYTE_0 src1_sel:DWORD
	s_andn2_b64 s[4:5], s[4:5], exec
	s_and_b64 s[8:9], s[8:9], exec
	s_or_b64 s[4:5], s[4:5], s[8:9]
	s_or_b64 exec, exec, s[6:7]
	s_and_saveexec_b64 s[6:7], s[4:5]
	s_cbranch_execnz .LBB12_1295
	s_branch .LBB12_1296
.LBB12_3345:
	s_movk_i32 s4, 0x80
	v_cmp_eq_u16_e32 vcc, s4, v13
	s_mov_b64 s[4:5], -1
                                        ; implicit-def: $sgpr10
	s_and_saveexec_b64 s[8:9], vcc
; %bb.3346:
	s_mov_b32 s10, 0x7f800001
	s_xor_b64 s[4:5], exec, -1
; %bb.3347:
	s_or_b64 exec, exec, s[8:9]
	s_and_b64 s[4:5], s[4:5], exec
                                        ; implicit-def: $vgpr13
	s_or_saveexec_b64 s[6:7], s[6:7]
	v_mov_b32_e32 v12, s10
	s_xor_b64 exec, exec, s[6:7]
	s_cbranch_execz .LBB12_1298
.LBB12_3348:
	v_cmp_ne_u16_e32 vcc, 0, v13
	s_andn2_b64 s[4:5], s[4:5], exec
	s_and_b64 s[8:9], vcc, exec
	v_mov_b32_e32 v12, 0
	s_or_b64 s[4:5], s[4:5], s[8:9]
	s_or_b64 exec, exec, s[6:7]
	s_and_saveexec_b64 s[6:7], s[4:5]
	s_cbranch_execnz .LBB12_1299
	s_branch .LBB12_1300
.LBB12_3349:
	s_movk_i32 s4, 0x80
	v_cmp_eq_u16_e32 vcc, s4, v13
	s_mov_b64 s[4:5], -1
                                        ; implicit-def: $sgpr10
	s_and_saveexec_b64 s[8:9], vcc
; %bb.3350:
	s_mov_b32 s10, 0x7f800001
	s_xor_b64 s[4:5], exec, -1
; %bb.3351:
	s_or_b64 exec, exec, s[8:9]
	s_and_b64 s[4:5], s[4:5], exec
                                        ; implicit-def: $vgpr13
	s_or_saveexec_b64 s[6:7], s[6:7]
	v_mov_b32_e32 v14, s10
	s_xor_b64 exec, exec, s[6:7]
	s_cbranch_execz .LBB12_1302
.LBB12_3352:
	v_cmp_ne_u16_e32 vcc, 0, v13
	s_andn2_b64 s[4:5], s[4:5], exec
	s_and_b64 s[8:9], vcc, exec
	v_mov_b32_e32 v14, 0
	s_or_b64 s[4:5], s[4:5], s[8:9]
	s_or_b64 exec, exec, s[6:7]
	s_and_saveexec_b64 s[6:7], s[4:5]
	s_cbranch_execnz .LBB12_1303
	s_branch .LBB12_1304
.LBB12_3353:
	s_movk_i32 s4, 0x80
	v_cmp_eq_u16_sdwa s[12:13], v6, s4 src0_sel:BYTE_3 src1_sel:DWORD
	s_mov_b64 s[4:5], -1
                                        ; implicit-def: $sgpr10
	s_and_saveexec_b64 s[8:9], s[12:13]
; %bb.3354:
	s_mov_b32 s10, 0x7f800001
	s_xor_b64 s[4:5], exec, -1
; %bb.3355:
	s_or_b64 exec, exec, s[8:9]
	s_and_b64 s[4:5], s[4:5], exec
	s_or_saveexec_b64 s[6:7], s[6:7]
	v_mov_b32_e32 v12, s10
	s_xor_b64 exec, exec, s[6:7]
	s_cbranch_execz .LBB12_1306
.LBB12_3356:
	v_mov_b32_e32 v12, 0
	v_cmp_ne_u16_sdwa s[8:9], v6, v12 src0_sel:BYTE_3 src1_sel:DWORD
	s_andn2_b64 s[4:5], s[4:5], exec
	s_and_b64 s[8:9], s[8:9], exec
	s_or_b64 s[4:5], s[4:5], s[8:9]
	s_or_b64 exec, exec, s[6:7]
	s_and_saveexec_b64 s[6:7], s[4:5]
	s_cbranch_execnz .LBB12_1307
	s_branch .LBB12_1308
.LBB12_3357:
	s_movk_i32 s4, 0x80
	v_cmp_eq_u16_sdwa s[12:13], v2, s4 src0_sel:BYTE_3 src1_sel:DWORD
	s_mov_b64 s[4:5], -1
                                        ; implicit-def: $sgpr10
	s_and_saveexec_b64 s[8:9], s[12:13]
; %bb.3358:
	s_mov_b32 s10, 0x7f800001
	s_xor_b64 s[4:5], exec, -1
; %bb.3359:
	s_or_b64 exec, exec, s[8:9]
	s_and_b64 s[4:5], s[4:5], exec
	s_or_saveexec_b64 s[6:7], s[6:7]
	v_mov_b32_e32 v6, s10
	s_xor_b64 exec, exec, s[6:7]
	s_cbranch_execz .LBB12_1310
.LBB12_3360:
	v_mov_b32_e32 v6, 0
	v_cmp_ne_u16_sdwa s[8:9], v2, v6 src0_sel:BYTE_3 src1_sel:DWORD
	s_andn2_b64 s[4:5], s[4:5], exec
	s_and_b64 s[8:9], s[8:9], exec
	s_or_b64 s[4:5], s[4:5], s[8:9]
	s_or_b64 exec, exec, s[6:7]
	s_and_saveexec_b64 s[6:7], s[4:5]
	s_cbranch_execnz .LBB12_1311
	s_branch .LBB12_1312
.LBB12_3361:
	s_movk_i32 s4, 0x80
	v_cmp_eq_u16_sdwa s[12:13], v7, s4 src0_sel:BYTE_0 src1_sel:DWORD
	s_mov_b64 s[4:5], -1
                                        ; implicit-def: $sgpr10
	s_and_saveexec_b64 s[8:9], s[12:13]
; %bb.3362:
	s_mov_b32 s10, 0x7f800001
	s_xor_b64 s[4:5], exec, -1
; %bb.3363:
	s_or_b64 exec, exec, s[8:9]
	s_and_b64 s[4:5], s[4:5], exec
	s_or_saveexec_b64 s[6:7], s[6:7]
	v_mov_b32_e32 v2, s10
	s_xor_b64 exec, exec, s[6:7]
	s_cbranch_execz .LBB12_1314
.LBB12_3364:
	v_mov_b32_e32 v2, 0
	v_cmp_ne_u16_sdwa s[8:9], v7, v2 src0_sel:BYTE_0 src1_sel:DWORD
	s_andn2_b64 s[4:5], s[4:5], exec
	s_and_b64 s[8:9], s[8:9], exec
	s_or_b64 s[4:5], s[4:5], s[8:9]
	s_or_b64 exec, exec, s[6:7]
	s_and_saveexec_b64 s[6:7], s[4:5]
	s_cbranch_execnz .LBB12_1315
	s_branch .LBB12_1316
.LBB12_3365:
	s_movk_i32 s4, 0x80
	v_cmp_eq_u16_sdwa s[12:13], v3, s4 src0_sel:BYTE_0 src1_sel:DWORD
	s_mov_b64 s[4:5], -1
                                        ; implicit-def: $sgpr10
	s_and_saveexec_b64 s[8:9], s[12:13]
; %bb.3366:
	s_mov_b32 s10, 0x7f800001
	s_xor_b64 s[4:5], exec, -1
; %bb.3367:
	s_or_b64 exec, exec, s[8:9]
	s_and_b64 s[4:5], s[4:5], exec
	s_or_saveexec_b64 s[6:7], s[6:7]
	v_mov_b32_e32 v6, s10
	s_xor_b64 exec, exec, s[6:7]
	s_cbranch_execz .LBB12_1318
.LBB12_3368:
	v_mov_b32_e32 v6, 0
	v_cmp_ne_u16_sdwa s[8:9], v3, v6 src0_sel:BYTE_0 src1_sel:DWORD
	s_andn2_b64 s[4:5], s[4:5], exec
	s_and_b64 s[8:9], s[8:9], exec
	s_or_b64 s[4:5], s[4:5], s[8:9]
	s_or_b64 exec, exec, s[6:7]
	s_and_saveexec_b64 s[6:7], s[4:5]
	s_cbranch_execnz .LBB12_1319
	s_branch .LBB12_1320
.LBB12_3369:
	s_movk_i32 s4, 0x80
	v_cmp_eq_u16_sdwa s[12:13], v6, s4 src0_sel:BYTE_0 src1_sel:DWORD
	s_mov_b64 s[4:5], -1
                                        ; implicit-def: $sgpr10
	s_and_saveexec_b64 s[8:9], s[12:13]
; %bb.3370:
	s_mov_b32 s10, 0x7f800001
	s_xor_b64 s[4:5], exec, -1
; %bb.3371:
	s_or_b64 exec, exec, s[8:9]
	s_and_b64 s[4:5], s[4:5], exec
	s_or_saveexec_b64 s[6:7], s[6:7]
	v_mov_b32_e32 v2, s10
	s_xor_b64 exec, exec, s[6:7]
	s_cbranch_execz .LBB12_1322
.LBB12_3372:
	v_mov_b32_e32 v2, 0
	v_cmp_ne_u16_sdwa s[8:9], v6, v2 src0_sel:BYTE_0 src1_sel:DWORD
	s_andn2_b64 s[4:5], s[4:5], exec
	s_and_b64 s[8:9], s[8:9], exec
	s_or_b64 s[4:5], s[4:5], s[8:9]
	s_or_b64 exec, exec, s[6:7]
	s_and_saveexec_b64 s[6:7], s[4:5]
	s_cbranch_execnz .LBB12_1323
	s_branch .LBB12_1324
.LBB12_3373:
	s_movk_i32 s4, 0x80
	v_cmp_eq_u16_sdwa s[12:13], v6, s4 src0_sel:BYTE_0 src1_sel:DWORD
	s_mov_b64 s[4:5], -1
                                        ; implicit-def: $sgpr10
	s_and_saveexec_b64 s[8:9], s[12:13]
; %bb.3374:
	s_mov_b32 s10, 0x7f800001
	s_xor_b64 s[4:5], exec, -1
; %bb.3375:
	s_or_b64 exec, exec, s[8:9]
	s_and_b64 s[4:5], s[4:5], exec
	s_or_saveexec_b64 s[6:7], s[6:7]
	v_mov_b32_e32 v12, s10
	s_xor_b64 exec, exec, s[6:7]
	s_cbranch_execz .LBB12_1326
.LBB12_3376:
	v_mov_b32_e32 v12, 0
	v_cmp_ne_u16_sdwa s[8:9], v6, v12 src0_sel:BYTE_0 src1_sel:DWORD
	s_andn2_b64 s[4:5], s[4:5], exec
	s_and_b64 s[8:9], s[8:9], exec
	s_or_b64 s[4:5], s[4:5], s[8:9]
	s_or_b64 exec, exec, s[6:7]
	s_and_saveexec_b64 s[6:7], s[4:5]
	s_cbranch_execnz .LBB12_1327
	s_branch .LBB12_1328
.LBB12_3377:
	s_movk_i32 s4, 0x80
	v_cmp_eq_u16_e32 vcc, s4, v6
	s_mov_b64 s[4:5], -1
                                        ; implicit-def: $sgpr10
	s_and_saveexec_b64 s[8:9], vcc
; %bb.3378:
	s_mov_b32 s10, 0x7f800001
	s_xor_b64 s[4:5], exec, -1
; %bb.3379:
	s_or_b64 exec, exec, s[8:9]
	s_and_b64 s[4:5], s[4:5], exec
                                        ; implicit-def: $vgpr6
	s_or_saveexec_b64 s[6:7], s[6:7]
	v_mov_b32_e32 v2, s10
	s_xor_b64 exec, exec, s[6:7]
	s_cbranch_execz .LBB12_1330
.LBB12_3380:
	v_cmp_ne_u16_e32 vcc, 0, v6
	s_andn2_b64 s[4:5], s[4:5], exec
	s_and_b64 s[8:9], vcc, exec
	v_mov_b32_e32 v2, 0
	s_or_b64 s[4:5], s[4:5], s[8:9]
	s_or_b64 exec, exec, s[6:7]
	s_and_saveexec_b64 s[6:7], s[4:5]
	s_cbranch_execnz .LBB12_1331
	s_branch .LBB12_1332
.LBB12_3381:
	s_movk_i32 s4, 0x80
	v_cmp_eq_u16_e32 vcc, s4, v6
	s_mov_b64 s[4:5], -1
                                        ; implicit-def: $sgpr10
	s_and_saveexec_b64 s[8:9], vcc
; %bb.3382:
	s_mov_b32 s10, 0x7f800001
	s_xor_b64 s[4:5], exec, -1
; %bb.3383:
	s_or_b64 exec, exec, s[8:9]
	s_and_b64 s[4:5], s[4:5], exec
                                        ; implicit-def: $vgpr6
	s_or_saveexec_b64 s[6:7], s[6:7]
	v_mov_b32_e32 v12, s10
	s_xor_b64 exec, exec, s[6:7]
	s_cbranch_execz .LBB12_1334
.LBB12_3384:
	v_cmp_ne_u16_e32 vcc, 0, v6
	s_andn2_b64 s[4:5], s[4:5], exec
	s_and_b64 s[8:9], vcc, exec
	v_mov_b32_e32 v12, 0
	s_or_b64 s[4:5], s[4:5], s[8:9]
	s_or_b64 exec, exec, s[6:7]
	s_and_saveexec_b64 s[6:7], s[4:5]
	s_cbranch_execnz .LBB12_1335
	s_branch .LBB12_1336
.LBB12_3385:
	s_movk_i32 s4, 0x80
	v_cmp_eq_u16_sdwa s[12:13], v7, s4 src0_sel:BYTE_3 src1_sel:DWORD
	s_mov_b64 s[4:5], -1
                                        ; implicit-def: $sgpr10
	s_and_saveexec_b64 s[8:9], s[12:13]
; %bb.3386:
	s_mov_b32 s10, 0x7f800001
	s_xor_b64 s[4:5], exec, -1
; %bb.3387:
	s_or_b64 exec, exec, s[8:9]
	s_and_b64 s[4:5], s[4:5], exec
	s_or_saveexec_b64 s[6:7], s[6:7]
	v_mov_b32_e32 v2, s10
	s_xor_b64 exec, exec, s[6:7]
	s_cbranch_execz .LBB12_1338
.LBB12_3388:
	v_mov_b32_e32 v2, 0
	v_cmp_ne_u16_sdwa s[8:9], v7, v2 src0_sel:BYTE_3 src1_sel:DWORD
	s_andn2_b64 s[4:5], s[4:5], exec
	s_and_b64 s[8:9], s[8:9], exec
	s_or_b64 s[4:5], s[4:5], s[8:9]
	s_or_b64 exec, exec, s[6:7]
	s_and_saveexec_b64 s[6:7], s[4:5]
	s_cbranch_execnz .LBB12_1339
	s_branch .LBB12_1340
.LBB12_3389:
	s_movk_i32 s4, 0x80
	v_cmp_eq_u16_sdwa s[12:13], v3, s4 src0_sel:BYTE_3 src1_sel:DWORD
	s_mov_b64 s[4:5], -1
                                        ; implicit-def: $sgpr10
	s_and_saveexec_b64 s[8:9], s[12:13]
; %bb.3390:
	s_mov_b32 s10, 0x7f800001
	s_xor_b64 s[4:5], exec, -1
; %bb.3391:
	s_or_b64 exec, exec, s[8:9]
	s_and_b64 s[4:5], s[4:5], exec
	s_or_saveexec_b64 s[6:7], s[6:7]
	v_mov_b32_e32 v6, s10
	s_xor_b64 exec, exec, s[6:7]
	s_cbranch_execz .LBB12_1342
.LBB12_3392:
	v_mov_b32_e32 v6, 0
	v_cmp_ne_u16_sdwa s[8:9], v3, v6 src0_sel:BYTE_3 src1_sel:DWORD
	s_andn2_b64 s[4:5], s[4:5], exec
	s_and_b64 s[8:9], s[8:9], exec
	s_or_b64 s[4:5], s[4:5], s[8:9]
	s_or_b64 exec, exec, s[6:7]
	s_and_saveexec_b64 s[6:7], s[4:5]
	s_cbranch_execnz .LBB12_1343
	s_branch .LBB12_1344
.LBB12_3393:
	s_movk_i32 s4, 0x80
	v_cmp_eq_u16_sdwa s[12:13], v8, s4 src0_sel:BYTE_0 src1_sel:DWORD
	s_mov_b64 s[4:5], -1
                                        ; implicit-def: $sgpr10
	s_and_saveexec_b64 s[8:9], s[12:13]
; %bb.3394:
	s_mov_b32 s10, 0x7f800001
	s_xor_b64 s[4:5], exec, -1
; %bb.3395:
	s_or_b64 exec, exec, s[8:9]
	s_and_b64 s[4:5], s[4:5], exec
	s_or_saveexec_b64 s[6:7], s[6:7]
	v_mov_b32_e32 v2, s10
	s_xor_b64 exec, exec, s[6:7]
	s_cbranch_execz .LBB12_1346
.LBB12_3396:
	v_mov_b32_e32 v2, 0
	v_cmp_ne_u16_sdwa s[8:9], v8, v2 src0_sel:BYTE_0 src1_sel:DWORD
	s_andn2_b64 s[4:5], s[4:5], exec
	s_and_b64 s[8:9], s[8:9], exec
	s_or_b64 s[4:5], s[4:5], s[8:9]
	s_or_b64 exec, exec, s[6:7]
	s_and_saveexec_b64 s[6:7], s[4:5]
	s_cbranch_execnz .LBB12_1347
	s_branch .LBB12_1348
.LBB12_3397:
	s_movk_i32 s4, 0x80
	v_cmp_eq_u16_sdwa s[12:13], v4, s4 src0_sel:BYTE_0 src1_sel:DWORD
	s_mov_b64 s[4:5], -1
                                        ; implicit-def: $sgpr10
	s_and_saveexec_b64 s[8:9], s[12:13]
; %bb.3398:
	s_mov_b32 s10, 0x7f800001
	s_xor_b64 s[4:5], exec, -1
; %bb.3399:
	s_or_b64 exec, exec, s[8:9]
	s_and_b64 s[4:5], s[4:5], exec
	s_or_saveexec_b64 s[6:7], s[6:7]
	v_mov_b32_e32 v3, s10
	s_xor_b64 exec, exec, s[6:7]
	s_cbranch_execz .LBB12_1350
.LBB12_3400:
	v_mov_b32_e32 v3, 0
	v_cmp_ne_u16_sdwa s[8:9], v4, v3 src0_sel:BYTE_0 src1_sel:DWORD
	s_andn2_b64 s[4:5], s[4:5], exec
	s_and_b64 s[8:9], s[8:9], exec
	s_or_b64 s[4:5], s[4:5], s[8:9]
	s_or_b64 exec, exec, s[6:7]
	s_and_saveexec_b64 s[6:7], s[4:5]
	s_cbranch_execnz .LBB12_1351
	s_branch .LBB12_1352
.LBB12_3401:
	s_movk_i32 s4, 0x80
	v_cmp_eq_u16_sdwa s[12:13], v3, s4 src0_sel:BYTE_0 src1_sel:DWORD
	s_mov_b64 s[4:5], -1
                                        ; implicit-def: $sgpr10
	s_and_saveexec_b64 s[8:9], s[12:13]
; %bb.3402:
	s_mov_b32 s10, 0x7f800001
	s_xor_b64 s[4:5], exec, -1
; %bb.3403:
	s_or_b64 exec, exec, s[8:9]
	s_and_b64 s[4:5], s[4:5], exec
	s_or_saveexec_b64 s[6:7], s[6:7]
	v_mov_b32_e32 v2, s10
	s_xor_b64 exec, exec, s[6:7]
	s_cbranch_execz .LBB12_1354
.LBB12_3404:
	v_mov_b32_e32 v2, 0
	v_cmp_ne_u16_sdwa s[8:9], v3, v2 src0_sel:BYTE_0 src1_sel:DWORD
	s_andn2_b64 s[4:5], s[4:5], exec
	s_and_b64 s[8:9], s[8:9], exec
	s_or_b64 s[4:5], s[4:5], s[8:9]
	s_or_b64 exec, exec, s[6:7]
	s_and_saveexec_b64 s[6:7], s[4:5]
	s_cbranch_execnz .LBB12_1355
	s_branch .LBB12_1356
.LBB12_3405:
	s_movk_i32 s4, 0x80
	v_cmp_eq_u16_sdwa s[12:13], v3, s4 src0_sel:BYTE_0 src1_sel:DWORD
	s_mov_b64 s[4:5], -1
                                        ; implicit-def: $sgpr10
	s_and_saveexec_b64 s[8:9], s[12:13]
; %bb.3406:
	s_mov_b32 s10, 0x7f800001
	s_xor_b64 s[4:5], exec, -1
; %bb.3407:
	s_or_b64 exec, exec, s[8:9]
	s_and_b64 s[4:5], s[4:5], exec
	s_or_saveexec_b64 s[6:7], s[6:7]
	v_mov_b32_e32 v6, s10
	s_xor_b64 exec, exec, s[6:7]
	s_cbranch_execz .LBB12_1358
.LBB12_3408:
	v_mov_b32_e32 v6, 0
	v_cmp_ne_u16_sdwa s[8:9], v3, v6 src0_sel:BYTE_0 src1_sel:DWORD
	s_andn2_b64 s[4:5], s[4:5], exec
	s_and_b64 s[8:9], s[8:9], exec
	s_or_b64 s[4:5], s[4:5], s[8:9]
	s_or_b64 exec, exec, s[6:7]
	s_and_saveexec_b64 s[6:7], s[4:5]
	s_cbranch_execnz .LBB12_1359
	s_branch .LBB12_1360
.LBB12_3409:
	s_movk_i32 s4, 0x80
	v_cmp_eq_u16_e32 vcc, s4, v3
	s_mov_b64 s[4:5], -1
                                        ; implicit-def: $sgpr10
	s_and_saveexec_b64 s[8:9], vcc
; %bb.3410:
	s_mov_b32 s10, 0x7f800001
	s_xor_b64 s[4:5], exec, -1
; %bb.3411:
	s_or_b64 exec, exec, s[8:9]
	s_and_b64 s[4:5], s[4:5], exec
                                        ; implicit-def: $vgpr3
	s_or_saveexec_b64 s[6:7], s[6:7]
	v_mov_b32_e32 v2, s10
	s_xor_b64 exec, exec, s[6:7]
	s_cbranch_execz .LBB12_1362
.LBB12_3412:
	v_cmp_ne_u16_e32 vcc, 0, v3
	s_andn2_b64 s[4:5], s[4:5], exec
	s_and_b64 s[8:9], vcc, exec
	v_mov_b32_e32 v2, 0
	s_or_b64 s[4:5], s[4:5], s[8:9]
	s_or_b64 exec, exec, s[6:7]
	s_and_saveexec_b64 s[6:7], s[4:5]
	s_cbranch_execnz .LBB12_1363
	s_branch .LBB12_1364
.LBB12_3413:
	s_movk_i32 s4, 0x80
	v_cmp_eq_u16_e32 vcc, s4, v3
	s_mov_b64 s[4:5], -1
                                        ; implicit-def: $sgpr10
	s_and_saveexec_b64 s[8:9], vcc
; %bb.3414:
	s_mov_b32 s10, 0x7f800001
	s_xor_b64 s[4:5], exec, -1
; %bb.3415:
	s_or_b64 exec, exec, s[8:9]
	s_and_b64 s[4:5], s[4:5], exec
                                        ; implicit-def: $vgpr3
	s_or_saveexec_b64 s[6:7], s[6:7]
	v_mov_b32_e32 v6, s10
	s_xor_b64 exec, exec, s[6:7]
	s_cbranch_execz .LBB12_1366
.LBB12_3416:
	v_cmp_ne_u16_e32 vcc, 0, v3
	s_andn2_b64 s[4:5], s[4:5], exec
	s_and_b64 s[8:9], vcc, exec
	v_mov_b32_e32 v6, 0
	s_or_b64 s[4:5], s[4:5], s[8:9]
	s_or_b64 exec, exec, s[6:7]
	s_and_saveexec_b64 s[6:7], s[4:5]
	s_cbranch_execnz .LBB12_1367
	s_branch .LBB12_1368
.LBB12_3417:
	s_movk_i32 s4, 0x80
	v_cmp_eq_u16_sdwa s[12:13], v8, s4 src0_sel:BYTE_3 src1_sel:DWORD
	s_mov_b64 s[4:5], -1
                                        ; implicit-def: $sgpr10
	s_and_saveexec_b64 s[8:9], s[12:13]
; %bb.3418:
	s_mov_b32 s10, 0x7f800001
	s_xor_b64 s[4:5], exec, -1
; %bb.3419:
	s_or_b64 exec, exec, s[8:9]
	s_and_b64 s[4:5], s[4:5], exec
	s_or_saveexec_b64 s[6:7], s[6:7]
	v_mov_b32_e32 v2, s10
	s_xor_b64 exec, exec, s[6:7]
	s_cbranch_execz .LBB12_1370
.LBB12_3420:
	v_mov_b32_e32 v2, 0
	v_cmp_ne_u16_sdwa s[8:9], v8, v2 src0_sel:BYTE_3 src1_sel:DWORD
	s_andn2_b64 s[4:5], s[4:5], exec
	s_and_b64 s[8:9], s[8:9], exec
	s_or_b64 s[4:5], s[4:5], s[8:9]
	s_or_b64 exec, exec, s[6:7]
	s_and_saveexec_b64 s[6:7], s[4:5]
	s_cbranch_execnz .LBB12_1371
	s_branch .LBB12_1372
.LBB12_3421:
	s_movk_i32 s4, 0x80
	v_cmp_eq_u16_sdwa s[12:13], v4, s4 src0_sel:BYTE_3 src1_sel:DWORD
	s_mov_b64 s[4:5], -1
                                        ; implicit-def: $sgpr10
	s_and_saveexec_b64 s[8:9], s[12:13]
; %bb.3422:
	s_mov_b32 s10, 0x7f800001
	s_xor_b64 s[4:5], exec, -1
; %bb.3423:
	s_or_b64 exec, exec, s[8:9]
	s_and_b64 s[4:5], s[4:5], exec
	s_or_saveexec_b64 s[6:7], s[6:7]
	v_mov_b32_e32 v3, s10
	s_xor_b64 exec, exec, s[6:7]
	s_cbranch_execz .LBB12_1374
.LBB12_3424:
	v_mov_b32_e32 v3, 0
	v_cmp_ne_u16_sdwa s[8:9], v4, v3 src0_sel:BYTE_3 src1_sel:DWORD
	s_andn2_b64 s[4:5], s[4:5], exec
	s_and_b64 s[8:9], s[8:9], exec
	s_or_b64 s[4:5], s[4:5], s[8:9]
	s_or_b64 exec, exec, s[6:7]
	s_and_saveexec_b64 s[6:7], s[4:5]
	s_cbranch_execnz .LBB12_1375
	s_branch .LBB12_1376
.LBB12_3425:
	s_movk_i32 s4, 0x80
	v_cmp_eq_u16_sdwa s[12:13], v9, s4 src0_sel:BYTE_0 src1_sel:DWORD
	s_mov_b64 s[4:5], -1
                                        ; implicit-def: $sgpr10
	s_and_saveexec_b64 s[8:9], s[12:13]
; %bb.3426:
	s_mov_b32 s10, 0x7f800001
	s_xor_b64 s[4:5], exec, -1
; %bb.3427:
	s_or_b64 exec, exec, s[8:9]
	s_and_b64 s[4:5], s[4:5], exec
	s_or_saveexec_b64 s[6:7], s[6:7]
	v_mov_b32_e32 v2, s10
	s_xor_b64 exec, exec, s[6:7]
	s_cbranch_execz .LBB12_1378
.LBB12_3428:
	v_mov_b32_e32 v2, 0
	v_cmp_ne_u16_sdwa s[8:9], v9, v2 src0_sel:BYTE_0 src1_sel:DWORD
	s_andn2_b64 s[4:5], s[4:5], exec
	s_and_b64 s[8:9], s[8:9], exec
	s_or_b64 s[4:5], s[4:5], s[8:9]
	s_or_b64 exec, exec, s[6:7]
	s_and_saveexec_b64 s[6:7], s[4:5]
	s_cbranch_execnz .LBB12_1379
	s_branch .LBB12_1380
.LBB12_3429:
	s_movk_i32 s4, 0x80
	v_cmp_eq_u16_sdwa s[12:13], v5, s4 src0_sel:BYTE_0 src1_sel:DWORD
	s_mov_b64 s[4:5], -1
                                        ; implicit-def: $sgpr10
	s_and_saveexec_b64 s[8:9], s[12:13]
; %bb.3430:
	s_mov_b32 s10, 0x7f800001
	s_xor_b64 s[4:5], exec, -1
; %bb.3431:
	s_or_b64 exec, exec, s[8:9]
	s_and_b64 s[4:5], s[4:5], exec
	s_or_saveexec_b64 s[6:7], s[6:7]
	v_mov_b32_e32 v3, s10
	s_xor_b64 exec, exec, s[6:7]
	s_cbranch_execz .LBB12_1382
.LBB12_3432:
	v_mov_b32_e32 v3, 0
	v_cmp_ne_u16_sdwa s[8:9], v5, v3 src0_sel:BYTE_0 src1_sel:DWORD
	s_andn2_b64 s[4:5], s[4:5], exec
	s_and_b64 s[8:9], s[8:9], exec
	s_or_b64 s[4:5], s[4:5], s[8:9]
	s_or_b64 exec, exec, s[6:7]
	s_and_saveexec_b64 s[6:7], s[4:5]
	s_cbranch_execnz .LBB12_1383
	s_branch .LBB12_1384
.LBB12_3433:
	s_movk_i32 s4, 0x80
	v_cmp_eq_u16_sdwa s[12:13], v3, s4 src0_sel:BYTE_0 src1_sel:DWORD
	s_mov_b64 s[4:5], -1
                                        ; implicit-def: $sgpr10
	s_and_saveexec_b64 s[8:9], s[12:13]
; %bb.3434:
	s_mov_b32 s10, 0x7f800001
	s_xor_b64 s[4:5], exec, -1
; %bb.3435:
	s_or_b64 exec, exec, s[8:9]
	s_and_b64 s[4:5], s[4:5], exec
	s_or_saveexec_b64 s[6:7], s[6:7]
	v_mov_b32_e32 v2, s10
	s_xor_b64 exec, exec, s[6:7]
	s_cbranch_execz .LBB12_1386
.LBB12_3436:
	v_mov_b32_e32 v2, 0
	v_cmp_ne_u16_sdwa s[8:9], v3, v2 src0_sel:BYTE_0 src1_sel:DWORD
	s_andn2_b64 s[4:5], s[4:5], exec
	s_and_b64 s[8:9], s[8:9], exec
	s_or_b64 s[4:5], s[4:5], s[8:9]
	s_or_b64 exec, exec, s[6:7]
	s_and_saveexec_b64 s[6:7], s[4:5]
	s_cbranch_execnz .LBB12_1387
	s_branch .LBB12_1388
.LBB12_3437:
	s_movk_i32 s4, 0x80
	v_cmp_eq_u16_sdwa s[12:13], v3, s4 src0_sel:BYTE_0 src1_sel:DWORD
	s_mov_b64 s[4:5], -1
                                        ; implicit-def: $sgpr10
	s_and_saveexec_b64 s[8:9], s[12:13]
; %bb.3438:
	s_mov_b32 s10, 0x7f800001
	s_xor_b64 s[4:5], exec, -1
; %bb.3439:
	s_or_b64 exec, exec, s[8:9]
	s_and_b64 s[4:5], s[4:5], exec
	s_or_saveexec_b64 s[6:7], s[6:7]
	v_mov_b32_e32 v4, s10
	s_xor_b64 exec, exec, s[6:7]
	s_cbranch_execz .LBB12_1390
.LBB12_3440:
	v_mov_b32_e32 v4, 0
	v_cmp_ne_u16_sdwa s[8:9], v3, v4 src0_sel:BYTE_0 src1_sel:DWORD
	s_andn2_b64 s[4:5], s[4:5], exec
	s_and_b64 s[8:9], s[8:9], exec
	s_or_b64 s[4:5], s[4:5], s[8:9]
	s_or_b64 exec, exec, s[6:7]
	s_and_saveexec_b64 s[6:7], s[4:5]
	s_cbranch_execnz .LBB12_1391
	s_branch .LBB12_1392
.LBB12_3441:
	s_movk_i32 s4, 0x80
	v_cmp_eq_u16_e32 vcc, s4, v3
	s_mov_b64 s[4:5], -1
                                        ; implicit-def: $sgpr10
	s_and_saveexec_b64 s[8:9], vcc
; %bb.3442:
	s_mov_b32 s10, 0x7f800001
	s_xor_b64 s[4:5], exec, -1
; %bb.3443:
	s_or_b64 exec, exec, s[8:9]
	s_and_b64 s[4:5], s[4:5], exec
                                        ; implicit-def: $vgpr3
	s_or_saveexec_b64 s[6:7], s[6:7]
	v_mov_b32_e32 v2, s10
	s_xor_b64 exec, exec, s[6:7]
	s_cbranch_execz .LBB12_1394
.LBB12_3444:
	v_cmp_ne_u16_e32 vcc, 0, v3
	s_andn2_b64 s[4:5], s[4:5], exec
	s_and_b64 s[8:9], vcc, exec
	v_mov_b32_e32 v2, 0
	s_or_b64 s[4:5], s[4:5], s[8:9]
	s_or_b64 exec, exec, s[6:7]
	s_and_saveexec_b64 s[6:7], s[4:5]
	s_cbranch_execnz .LBB12_1395
	s_branch .LBB12_1396
.LBB12_3445:
	s_movk_i32 s4, 0x80
	v_cmp_eq_u16_e32 vcc, s4, v3
	s_mov_b64 s[4:5], -1
                                        ; implicit-def: $sgpr10
	s_and_saveexec_b64 s[8:9], vcc
; %bb.3446:
	s_mov_b32 s10, 0x7f800001
	s_xor_b64 s[4:5], exec, -1
; %bb.3447:
	s_or_b64 exec, exec, s[8:9]
	s_and_b64 s[4:5], s[4:5], exec
                                        ; implicit-def: $vgpr3
	s_or_saveexec_b64 s[6:7], s[6:7]
	v_mov_b32_e32 v4, s10
	s_xor_b64 exec, exec, s[6:7]
	s_cbranch_execz .LBB12_1398
.LBB12_3448:
	v_cmp_ne_u16_e32 vcc, 0, v3
	s_andn2_b64 s[4:5], s[4:5], exec
	s_and_b64 s[8:9], vcc, exec
	v_mov_b32_e32 v4, 0
	s_or_b64 s[4:5], s[4:5], s[8:9]
	s_or_b64 exec, exec, s[6:7]
	s_and_saveexec_b64 s[6:7], s[4:5]
	s_cbranch_execnz .LBB12_1399
	s_branch .LBB12_1400
.LBB12_3449:
	s_movk_i32 s4, 0x80
	v_cmp_eq_u16_sdwa s[12:13], v9, s4 src0_sel:BYTE_3 src1_sel:DWORD
	s_mov_b64 s[4:5], -1
                                        ; implicit-def: $sgpr10
	s_and_saveexec_b64 s[8:9], s[12:13]
; %bb.3450:
	s_mov_b32 s10, 0x7f800001
	s_xor_b64 s[4:5], exec, -1
; %bb.3451:
	s_or_b64 exec, exec, s[8:9]
	s_and_b64 s[4:5], s[4:5], exec
	s_or_saveexec_b64 s[6:7], s[6:7]
	v_mov_b32_e32 v2, s10
	s_xor_b64 exec, exec, s[6:7]
	s_cbranch_execz .LBB12_1402
.LBB12_3452:
	v_mov_b32_e32 v2, 0
	v_cmp_ne_u16_sdwa s[8:9], v9, v2 src0_sel:BYTE_3 src1_sel:DWORD
	s_andn2_b64 s[4:5], s[4:5], exec
	s_and_b64 s[8:9], s[8:9], exec
	s_or_b64 s[4:5], s[4:5], s[8:9]
	s_or_b64 exec, exec, s[6:7]
	s_and_saveexec_b64 s[6:7], s[4:5]
	s_cbranch_execnz .LBB12_1403
	s_branch .LBB12_1404
.LBB12_3453:
	s_movk_i32 s4, 0x80
	v_cmp_eq_u16_sdwa s[12:13], v5, s4 src0_sel:BYTE_3 src1_sel:DWORD
	s_mov_b64 s[4:5], -1
                                        ; implicit-def: $sgpr10
	s_and_saveexec_b64 s[8:9], s[12:13]
; %bb.3454:
	s_mov_b32 s10, 0x7f800001
	s_xor_b64 s[4:5], exec, -1
; %bb.3455:
	s_or_b64 exec, exec, s[8:9]
	s_and_b64 s[4:5], s[4:5], exec
	s_or_saveexec_b64 s[6:7], s[6:7]
	v_mov_b32_e32 v3, s10
	s_xor_b64 exec, exec, s[6:7]
	s_cbranch_execz .LBB12_1406
.LBB12_3456:
	v_mov_b32_e32 v3, 0
	v_cmp_ne_u16_sdwa s[8:9], v5, v3 src0_sel:BYTE_3 src1_sel:DWORD
	s_andn2_b64 s[4:5], s[4:5], exec
	s_and_b64 s[8:9], s[8:9], exec
	s_or_b64 s[4:5], s[4:5], s[8:9]
	s_or_b64 exec, exec, s[6:7]
	s_and_saveexec_b64 s[6:7], s[4:5]
	s_cbranch_execnz .LBB12_1407
	s_branch .LBB12_1408
.LBB12_3457:
	s_movk_i32 s4, 0x80
	v_cmp_eq_u16_sdwa s[12:13], v6, s4 src0_sel:BYTE_0 src1_sel:DWORD
	s_mov_b64 s[4:5], -1
                                        ; implicit-def: $sgpr10
	s_and_saveexec_b64 s[8:9], s[12:13]
; %bb.3458:
	s_mov_b32 s10, 0x7f800001
	s_xor_b64 s[4:5], exec, -1
; %bb.3459:
	s_or_b64 exec, exec, s[8:9]
	s_and_b64 s[4:5], s[4:5], exec
	s_or_saveexec_b64 s[6:7], s[6:7]
	v_mov_b32_e32 v12, s10
	s_xor_b64 exec, exec, s[6:7]
	s_cbranch_execz .LBB12_1410
.LBB12_3460:
	v_mov_b32_e32 v12, 0
	v_cmp_ne_u16_sdwa s[8:9], v6, v12 src0_sel:BYTE_0 src1_sel:DWORD
	s_andn2_b64 s[4:5], s[4:5], exec
	s_and_b64 s[8:9], s[8:9], exec
	s_or_b64 s[4:5], s[4:5], s[8:9]
	s_or_b64 exec, exec, s[6:7]
	s_and_saveexec_b64 s[6:7], s[4:5]
	s_cbranch_execnz .LBB12_1411
	s_branch .LBB12_1412
.LBB12_3461:
	s_movk_i32 s4, 0x80
	v_cmp_eq_u16_sdwa s[12:13], v2, s4 src0_sel:BYTE_0 src1_sel:DWORD
	s_mov_b64 s[4:5], -1
                                        ; implicit-def: $sgpr10
	s_and_saveexec_b64 s[8:9], s[12:13]
; %bb.3462:
	s_mov_b32 s10, 0x7f800001
	s_xor_b64 s[4:5], exec, -1
; %bb.3463:
	s_or_b64 exec, exec, s[8:9]
	s_and_b64 s[4:5], s[4:5], exec
	s_or_saveexec_b64 s[6:7], s[6:7]
	v_mov_b32_e32 v13, s10
	s_xor_b64 exec, exec, s[6:7]
	s_cbranch_execz .LBB12_1414
.LBB12_3464:
	v_mov_b32_e32 v13, 0
	v_cmp_ne_u16_sdwa s[8:9], v2, v13 src0_sel:BYTE_0 src1_sel:DWORD
	s_andn2_b64 s[4:5], s[4:5], exec
	s_and_b64 s[8:9], s[8:9], exec
	s_or_b64 s[4:5], s[4:5], s[8:9]
	s_or_b64 exec, exec, s[6:7]
	s_and_saveexec_b64 s[6:7], s[4:5]
	s_cbranch_execnz .LBB12_1415
	s_branch .LBB12_1416
.LBB12_3465:
	s_movk_i32 s4, 0x80
	v_cmp_eq_u16_sdwa s[12:13], v13, s4 src0_sel:BYTE_0 src1_sel:DWORD
	s_mov_b64 s[4:5], -1
                                        ; implicit-def: $sgpr10
	s_and_saveexec_b64 s[8:9], s[12:13]
; %bb.3466:
	s_mov_b32 s10, 0x7f800001
	s_xor_b64 s[4:5], exec, -1
; %bb.3467:
	s_or_b64 exec, exec, s[8:9]
	s_and_b64 s[4:5], s[4:5], exec
	s_or_saveexec_b64 s[6:7], s[6:7]
	v_mov_b32_e32 v12, s10
	s_xor_b64 exec, exec, s[6:7]
	s_cbranch_execz .LBB12_1418
.LBB12_3468:
	v_mov_b32_e32 v12, 0
	v_cmp_ne_u16_sdwa s[8:9], v13, v12 src0_sel:BYTE_0 src1_sel:DWORD
	s_andn2_b64 s[4:5], s[4:5], exec
	s_and_b64 s[8:9], s[8:9], exec
	s_or_b64 s[4:5], s[4:5], s[8:9]
	s_or_b64 exec, exec, s[6:7]
	s_and_saveexec_b64 s[6:7], s[4:5]
	s_cbranch_execnz .LBB12_1419
	s_branch .LBB12_1420
.LBB12_3469:
	s_movk_i32 s4, 0x80
	v_cmp_eq_u16_sdwa s[12:13], v13, s4 src0_sel:BYTE_0 src1_sel:DWORD
	s_mov_b64 s[4:5], -1
                                        ; implicit-def: $sgpr10
	s_and_saveexec_b64 s[8:9], s[12:13]
; %bb.3470:
	s_mov_b32 s10, 0x7f800001
	s_xor_b64 s[4:5], exec, -1
; %bb.3471:
	s_or_b64 exec, exec, s[8:9]
	s_and_b64 s[4:5], s[4:5], exec
	s_or_saveexec_b64 s[6:7], s[6:7]
	v_mov_b32_e32 v14, s10
	s_xor_b64 exec, exec, s[6:7]
	s_cbranch_execz .LBB12_1422
.LBB12_3472:
	v_mov_b32_e32 v14, 0
	v_cmp_ne_u16_sdwa s[8:9], v13, v14 src0_sel:BYTE_0 src1_sel:DWORD
	s_andn2_b64 s[4:5], s[4:5], exec
	s_and_b64 s[8:9], s[8:9], exec
	s_or_b64 s[4:5], s[4:5], s[8:9]
	s_or_b64 exec, exec, s[6:7]
	s_and_saveexec_b64 s[6:7], s[4:5]
	s_cbranch_execnz .LBB12_1423
	s_branch .LBB12_1424
.LBB12_3473:
	s_movk_i32 s4, 0x80
	v_cmp_eq_u16_e32 vcc, s4, v13
	s_mov_b64 s[4:5], -1
                                        ; implicit-def: $sgpr10
	s_and_saveexec_b64 s[8:9], vcc
; %bb.3474:
	s_mov_b32 s10, 0x7f800001
	s_xor_b64 s[4:5], exec, -1
; %bb.3475:
	s_or_b64 exec, exec, s[8:9]
	s_and_b64 s[4:5], s[4:5], exec
                                        ; implicit-def: $vgpr13
	s_or_saveexec_b64 s[6:7], s[6:7]
	v_mov_b32_e32 v12, s10
	s_xor_b64 exec, exec, s[6:7]
	s_cbranch_execz .LBB12_1426
.LBB12_3476:
	v_cmp_ne_u16_e32 vcc, 0, v13
	s_andn2_b64 s[4:5], s[4:5], exec
	s_and_b64 s[8:9], vcc, exec
	v_mov_b32_e32 v12, 0
	s_or_b64 s[4:5], s[4:5], s[8:9]
	s_or_b64 exec, exec, s[6:7]
	s_and_saveexec_b64 s[6:7], s[4:5]
	s_cbranch_execnz .LBB12_1427
	s_branch .LBB12_1428
.LBB12_3477:
	s_movk_i32 s4, 0x80
	v_cmp_eq_u16_e32 vcc, s4, v13
	s_mov_b64 s[4:5], -1
                                        ; implicit-def: $sgpr10
	s_and_saveexec_b64 s[8:9], vcc
; %bb.3478:
	s_mov_b32 s10, 0x7f800001
	s_xor_b64 s[4:5], exec, -1
; %bb.3479:
	s_or_b64 exec, exec, s[8:9]
	s_and_b64 s[4:5], s[4:5], exec
                                        ; implicit-def: $vgpr13
	s_or_saveexec_b64 s[6:7], s[6:7]
	v_mov_b32_e32 v14, s10
	s_xor_b64 exec, exec, s[6:7]
	s_cbranch_execz .LBB12_1430
.LBB12_3480:
	v_cmp_ne_u16_e32 vcc, 0, v13
	s_andn2_b64 s[4:5], s[4:5], exec
	s_and_b64 s[8:9], vcc, exec
	v_mov_b32_e32 v14, 0
	s_or_b64 s[4:5], s[4:5], s[8:9]
	s_or_b64 exec, exec, s[6:7]
	s_and_saveexec_b64 s[6:7], s[4:5]
	s_cbranch_execnz .LBB12_1431
	s_branch .LBB12_1432
.LBB12_3481:
	s_movk_i32 s4, 0x80
	v_cmp_eq_u16_sdwa s[12:13], v6, s4 src0_sel:BYTE_3 src1_sel:DWORD
	s_mov_b64 s[4:5], -1
                                        ; implicit-def: $sgpr10
	s_and_saveexec_b64 s[8:9], s[12:13]
; %bb.3482:
	s_mov_b32 s10, 0x7f800001
	s_xor_b64 s[4:5], exec, -1
; %bb.3483:
	s_or_b64 exec, exec, s[8:9]
	s_and_b64 s[4:5], s[4:5], exec
	s_or_saveexec_b64 s[6:7], s[6:7]
	v_mov_b32_e32 v12, s10
	s_xor_b64 exec, exec, s[6:7]
	s_cbranch_execz .LBB12_1434
.LBB12_3484:
	v_mov_b32_e32 v12, 0
	v_cmp_ne_u16_sdwa s[8:9], v6, v12 src0_sel:BYTE_3 src1_sel:DWORD
	s_andn2_b64 s[4:5], s[4:5], exec
	s_and_b64 s[8:9], s[8:9], exec
	s_or_b64 s[4:5], s[4:5], s[8:9]
	s_or_b64 exec, exec, s[6:7]
	s_and_saveexec_b64 s[6:7], s[4:5]
	s_cbranch_execnz .LBB12_1435
	s_branch .LBB12_1436
.LBB12_3485:
	s_movk_i32 s4, 0x80
	v_cmp_eq_u16_sdwa s[12:13], v2, s4 src0_sel:BYTE_3 src1_sel:DWORD
	s_mov_b64 s[4:5], -1
                                        ; implicit-def: $sgpr10
	s_and_saveexec_b64 s[8:9], s[12:13]
; %bb.3486:
	s_mov_b32 s10, 0x7f800001
	s_xor_b64 s[4:5], exec, -1
; %bb.3487:
	s_or_b64 exec, exec, s[8:9]
	s_and_b64 s[4:5], s[4:5], exec
	s_or_saveexec_b64 s[6:7], s[6:7]
	v_mov_b32_e32 v6, s10
	s_xor_b64 exec, exec, s[6:7]
	s_cbranch_execz .LBB12_1438
.LBB12_3488:
	v_mov_b32_e32 v6, 0
	v_cmp_ne_u16_sdwa s[8:9], v2, v6 src0_sel:BYTE_3 src1_sel:DWORD
	s_andn2_b64 s[4:5], s[4:5], exec
	s_and_b64 s[8:9], s[8:9], exec
	s_or_b64 s[4:5], s[4:5], s[8:9]
	s_or_b64 exec, exec, s[6:7]
	s_and_saveexec_b64 s[6:7], s[4:5]
	s_cbranch_execnz .LBB12_1439
	s_branch .LBB12_1440
.LBB12_3489:
	s_movk_i32 s4, 0x80
	v_cmp_eq_u16_sdwa s[12:13], v7, s4 src0_sel:BYTE_0 src1_sel:DWORD
	s_mov_b64 s[4:5], -1
                                        ; implicit-def: $sgpr10
	s_and_saveexec_b64 s[8:9], s[12:13]
; %bb.3490:
	s_mov_b32 s10, 0x7f800001
	s_xor_b64 s[4:5], exec, -1
; %bb.3491:
	s_or_b64 exec, exec, s[8:9]
	s_and_b64 s[4:5], s[4:5], exec
	s_or_saveexec_b64 s[6:7], s[6:7]
	v_mov_b32_e32 v2, s10
	s_xor_b64 exec, exec, s[6:7]
	s_cbranch_execz .LBB12_1442
.LBB12_3492:
	v_mov_b32_e32 v2, 0
	v_cmp_ne_u16_sdwa s[8:9], v7, v2 src0_sel:BYTE_0 src1_sel:DWORD
	s_andn2_b64 s[4:5], s[4:5], exec
	s_and_b64 s[8:9], s[8:9], exec
	s_or_b64 s[4:5], s[4:5], s[8:9]
	s_or_b64 exec, exec, s[6:7]
	s_and_saveexec_b64 s[6:7], s[4:5]
	s_cbranch_execnz .LBB12_1443
	s_branch .LBB12_1444
.LBB12_3493:
	s_movk_i32 s4, 0x80
	v_cmp_eq_u16_sdwa s[12:13], v3, s4 src0_sel:BYTE_0 src1_sel:DWORD
	s_mov_b64 s[4:5], -1
                                        ; implicit-def: $sgpr10
	s_and_saveexec_b64 s[8:9], s[12:13]
; %bb.3494:
	s_mov_b32 s10, 0x7f800001
	s_xor_b64 s[4:5], exec, -1
; %bb.3495:
	s_or_b64 exec, exec, s[8:9]
	s_and_b64 s[4:5], s[4:5], exec
	s_or_saveexec_b64 s[6:7], s[6:7]
	v_mov_b32_e32 v6, s10
	s_xor_b64 exec, exec, s[6:7]
	s_cbranch_execz .LBB12_1446
.LBB12_3496:
	v_mov_b32_e32 v6, 0
	v_cmp_ne_u16_sdwa s[8:9], v3, v6 src0_sel:BYTE_0 src1_sel:DWORD
	s_andn2_b64 s[4:5], s[4:5], exec
	s_and_b64 s[8:9], s[8:9], exec
	s_or_b64 s[4:5], s[4:5], s[8:9]
	s_or_b64 exec, exec, s[6:7]
	s_and_saveexec_b64 s[6:7], s[4:5]
	s_cbranch_execnz .LBB12_1447
	s_branch .LBB12_1448
.LBB12_3497:
	s_movk_i32 s4, 0x80
	v_cmp_eq_u16_sdwa s[12:13], v6, s4 src0_sel:BYTE_0 src1_sel:DWORD
	s_mov_b64 s[4:5], -1
                                        ; implicit-def: $sgpr10
	s_and_saveexec_b64 s[8:9], s[12:13]
; %bb.3498:
	s_mov_b32 s10, 0x7f800001
	s_xor_b64 s[4:5], exec, -1
; %bb.3499:
	s_or_b64 exec, exec, s[8:9]
	s_and_b64 s[4:5], s[4:5], exec
	s_or_saveexec_b64 s[6:7], s[6:7]
	v_mov_b32_e32 v2, s10
	s_xor_b64 exec, exec, s[6:7]
	s_cbranch_execz .LBB12_1450
.LBB12_3500:
	v_mov_b32_e32 v2, 0
	v_cmp_ne_u16_sdwa s[8:9], v6, v2 src0_sel:BYTE_0 src1_sel:DWORD
	s_andn2_b64 s[4:5], s[4:5], exec
	s_and_b64 s[8:9], s[8:9], exec
	s_or_b64 s[4:5], s[4:5], s[8:9]
	s_or_b64 exec, exec, s[6:7]
	s_and_saveexec_b64 s[6:7], s[4:5]
	s_cbranch_execnz .LBB12_1451
	s_branch .LBB12_1452
.LBB12_3501:
	s_movk_i32 s4, 0x80
	v_cmp_eq_u16_sdwa s[12:13], v6, s4 src0_sel:BYTE_0 src1_sel:DWORD
	s_mov_b64 s[4:5], -1
                                        ; implicit-def: $sgpr10
	s_and_saveexec_b64 s[8:9], s[12:13]
; %bb.3502:
	s_mov_b32 s10, 0x7f800001
	s_xor_b64 s[4:5], exec, -1
; %bb.3503:
	s_or_b64 exec, exec, s[8:9]
	s_and_b64 s[4:5], s[4:5], exec
	s_or_saveexec_b64 s[6:7], s[6:7]
	v_mov_b32_e32 v12, s10
	s_xor_b64 exec, exec, s[6:7]
	s_cbranch_execz .LBB12_1454
.LBB12_3504:
	v_mov_b32_e32 v12, 0
	v_cmp_ne_u16_sdwa s[8:9], v6, v12 src0_sel:BYTE_0 src1_sel:DWORD
	s_andn2_b64 s[4:5], s[4:5], exec
	s_and_b64 s[8:9], s[8:9], exec
	s_or_b64 s[4:5], s[4:5], s[8:9]
	s_or_b64 exec, exec, s[6:7]
	s_and_saveexec_b64 s[6:7], s[4:5]
	s_cbranch_execnz .LBB12_1455
	s_branch .LBB12_1456
.LBB12_3505:
	s_movk_i32 s4, 0x80
	v_cmp_eq_u16_e32 vcc, s4, v6
	s_mov_b64 s[4:5], -1
                                        ; implicit-def: $sgpr10
	s_and_saveexec_b64 s[8:9], vcc
; %bb.3506:
	s_mov_b32 s10, 0x7f800001
	s_xor_b64 s[4:5], exec, -1
; %bb.3507:
	s_or_b64 exec, exec, s[8:9]
	s_and_b64 s[4:5], s[4:5], exec
                                        ; implicit-def: $vgpr6
	s_or_saveexec_b64 s[6:7], s[6:7]
	v_mov_b32_e32 v2, s10
	s_xor_b64 exec, exec, s[6:7]
	s_cbranch_execz .LBB12_1458
.LBB12_3508:
	v_cmp_ne_u16_e32 vcc, 0, v6
	s_andn2_b64 s[4:5], s[4:5], exec
	s_and_b64 s[8:9], vcc, exec
	v_mov_b32_e32 v2, 0
	s_or_b64 s[4:5], s[4:5], s[8:9]
	s_or_b64 exec, exec, s[6:7]
	s_and_saveexec_b64 s[6:7], s[4:5]
	s_cbranch_execnz .LBB12_1459
	s_branch .LBB12_1460
.LBB12_3509:
	s_movk_i32 s4, 0x80
	v_cmp_eq_u16_e32 vcc, s4, v6
	s_mov_b64 s[4:5], -1
                                        ; implicit-def: $sgpr10
	s_and_saveexec_b64 s[8:9], vcc
; %bb.3510:
	s_mov_b32 s10, 0x7f800001
	s_xor_b64 s[4:5], exec, -1
; %bb.3511:
	s_or_b64 exec, exec, s[8:9]
	s_and_b64 s[4:5], s[4:5], exec
                                        ; implicit-def: $vgpr6
	s_or_saveexec_b64 s[6:7], s[6:7]
	v_mov_b32_e32 v12, s10
	s_xor_b64 exec, exec, s[6:7]
	s_cbranch_execz .LBB12_1462
.LBB12_3512:
	v_cmp_ne_u16_e32 vcc, 0, v6
	s_andn2_b64 s[4:5], s[4:5], exec
	s_and_b64 s[8:9], vcc, exec
	v_mov_b32_e32 v12, 0
	s_or_b64 s[4:5], s[4:5], s[8:9]
	s_or_b64 exec, exec, s[6:7]
	s_and_saveexec_b64 s[6:7], s[4:5]
	s_cbranch_execnz .LBB12_1463
	s_branch .LBB12_1464
.LBB12_3513:
	s_movk_i32 s4, 0x80
	v_cmp_eq_u16_sdwa s[12:13], v7, s4 src0_sel:BYTE_3 src1_sel:DWORD
	s_mov_b64 s[4:5], -1
                                        ; implicit-def: $sgpr10
	s_and_saveexec_b64 s[8:9], s[12:13]
; %bb.3514:
	s_mov_b32 s10, 0x7f800001
	s_xor_b64 s[4:5], exec, -1
; %bb.3515:
	s_or_b64 exec, exec, s[8:9]
	s_and_b64 s[4:5], s[4:5], exec
	s_or_saveexec_b64 s[6:7], s[6:7]
	v_mov_b32_e32 v2, s10
	s_xor_b64 exec, exec, s[6:7]
	s_cbranch_execz .LBB12_1466
.LBB12_3516:
	v_mov_b32_e32 v2, 0
	v_cmp_ne_u16_sdwa s[8:9], v7, v2 src0_sel:BYTE_3 src1_sel:DWORD
	s_andn2_b64 s[4:5], s[4:5], exec
	s_and_b64 s[8:9], s[8:9], exec
	s_or_b64 s[4:5], s[4:5], s[8:9]
	s_or_b64 exec, exec, s[6:7]
	s_and_saveexec_b64 s[6:7], s[4:5]
	s_cbranch_execnz .LBB12_1467
	s_branch .LBB12_1468
.LBB12_3517:
	s_movk_i32 s4, 0x80
	v_cmp_eq_u16_sdwa s[12:13], v3, s4 src0_sel:BYTE_3 src1_sel:DWORD
	s_mov_b64 s[4:5], -1
                                        ; implicit-def: $sgpr10
	s_and_saveexec_b64 s[8:9], s[12:13]
; %bb.3518:
	s_mov_b32 s10, 0x7f800001
	s_xor_b64 s[4:5], exec, -1
; %bb.3519:
	s_or_b64 exec, exec, s[8:9]
	s_and_b64 s[4:5], s[4:5], exec
	s_or_saveexec_b64 s[6:7], s[6:7]
	v_mov_b32_e32 v6, s10
	s_xor_b64 exec, exec, s[6:7]
	s_cbranch_execz .LBB12_1470
.LBB12_3520:
	v_mov_b32_e32 v6, 0
	v_cmp_ne_u16_sdwa s[8:9], v3, v6 src0_sel:BYTE_3 src1_sel:DWORD
	s_andn2_b64 s[4:5], s[4:5], exec
	s_and_b64 s[8:9], s[8:9], exec
	s_or_b64 s[4:5], s[4:5], s[8:9]
	s_or_b64 exec, exec, s[6:7]
	s_and_saveexec_b64 s[6:7], s[4:5]
	s_cbranch_execnz .LBB12_1471
	s_branch .LBB12_1472
.LBB12_3521:
	s_movk_i32 s4, 0x80
	v_cmp_eq_u16_sdwa s[12:13], v8, s4 src0_sel:BYTE_0 src1_sel:DWORD
	s_mov_b64 s[4:5], -1
                                        ; implicit-def: $sgpr10
	s_and_saveexec_b64 s[8:9], s[12:13]
; %bb.3522:
	s_mov_b32 s10, 0x7f800001
	s_xor_b64 s[4:5], exec, -1
; %bb.3523:
	s_or_b64 exec, exec, s[8:9]
	s_and_b64 s[4:5], s[4:5], exec
	s_or_saveexec_b64 s[6:7], s[6:7]
	v_mov_b32_e32 v2, s10
	s_xor_b64 exec, exec, s[6:7]
	s_cbranch_execz .LBB12_1474
.LBB12_3524:
	v_mov_b32_e32 v2, 0
	v_cmp_ne_u16_sdwa s[8:9], v8, v2 src0_sel:BYTE_0 src1_sel:DWORD
	s_andn2_b64 s[4:5], s[4:5], exec
	s_and_b64 s[8:9], s[8:9], exec
	s_or_b64 s[4:5], s[4:5], s[8:9]
	s_or_b64 exec, exec, s[6:7]
	s_and_saveexec_b64 s[6:7], s[4:5]
	s_cbranch_execnz .LBB12_1475
	s_branch .LBB12_1476
.LBB12_3525:
	s_movk_i32 s4, 0x80
	v_cmp_eq_u16_sdwa s[12:13], v4, s4 src0_sel:BYTE_0 src1_sel:DWORD
	s_mov_b64 s[4:5], -1
                                        ; implicit-def: $sgpr10
	s_and_saveexec_b64 s[8:9], s[12:13]
; %bb.3526:
	s_mov_b32 s10, 0x7f800001
	s_xor_b64 s[4:5], exec, -1
; %bb.3527:
	s_or_b64 exec, exec, s[8:9]
	s_and_b64 s[4:5], s[4:5], exec
	s_or_saveexec_b64 s[6:7], s[6:7]
	v_mov_b32_e32 v3, s10
	s_xor_b64 exec, exec, s[6:7]
	s_cbranch_execz .LBB12_1478
.LBB12_3528:
	v_mov_b32_e32 v3, 0
	v_cmp_ne_u16_sdwa s[8:9], v4, v3 src0_sel:BYTE_0 src1_sel:DWORD
	s_andn2_b64 s[4:5], s[4:5], exec
	s_and_b64 s[8:9], s[8:9], exec
	s_or_b64 s[4:5], s[4:5], s[8:9]
	s_or_b64 exec, exec, s[6:7]
	s_and_saveexec_b64 s[6:7], s[4:5]
	s_cbranch_execnz .LBB12_1479
	s_branch .LBB12_1480
.LBB12_3529:
	s_movk_i32 s4, 0x80
	v_cmp_eq_u16_sdwa s[12:13], v3, s4 src0_sel:BYTE_0 src1_sel:DWORD
	s_mov_b64 s[4:5], -1
                                        ; implicit-def: $sgpr10
	s_and_saveexec_b64 s[8:9], s[12:13]
; %bb.3530:
	s_mov_b32 s10, 0x7f800001
	s_xor_b64 s[4:5], exec, -1
; %bb.3531:
	s_or_b64 exec, exec, s[8:9]
	s_and_b64 s[4:5], s[4:5], exec
	s_or_saveexec_b64 s[6:7], s[6:7]
	v_mov_b32_e32 v2, s10
	s_xor_b64 exec, exec, s[6:7]
	s_cbranch_execz .LBB12_1482
.LBB12_3532:
	v_mov_b32_e32 v2, 0
	v_cmp_ne_u16_sdwa s[8:9], v3, v2 src0_sel:BYTE_0 src1_sel:DWORD
	s_andn2_b64 s[4:5], s[4:5], exec
	s_and_b64 s[8:9], s[8:9], exec
	s_or_b64 s[4:5], s[4:5], s[8:9]
	s_or_b64 exec, exec, s[6:7]
	s_and_saveexec_b64 s[6:7], s[4:5]
	s_cbranch_execnz .LBB12_1483
	s_branch .LBB12_1484
.LBB12_3533:
	s_movk_i32 s4, 0x80
	v_cmp_eq_u16_sdwa s[12:13], v3, s4 src0_sel:BYTE_0 src1_sel:DWORD
	s_mov_b64 s[4:5], -1
                                        ; implicit-def: $sgpr10
	s_and_saveexec_b64 s[8:9], s[12:13]
; %bb.3534:
	s_mov_b32 s10, 0x7f800001
	s_xor_b64 s[4:5], exec, -1
; %bb.3535:
	s_or_b64 exec, exec, s[8:9]
	s_and_b64 s[4:5], s[4:5], exec
	s_or_saveexec_b64 s[6:7], s[6:7]
	v_mov_b32_e32 v6, s10
	s_xor_b64 exec, exec, s[6:7]
	s_cbranch_execz .LBB12_1486
.LBB12_3536:
	v_mov_b32_e32 v6, 0
	v_cmp_ne_u16_sdwa s[8:9], v3, v6 src0_sel:BYTE_0 src1_sel:DWORD
	s_andn2_b64 s[4:5], s[4:5], exec
	s_and_b64 s[8:9], s[8:9], exec
	s_or_b64 s[4:5], s[4:5], s[8:9]
	s_or_b64 exec, exec, s[6:7]
	s_and_saveexec_b64 s[6:7], s[4:5]
	s_cbranch_execnz .LBB12_1487
	s_branch .LBB12_1488
.LBB12_3537:
	s_movk_i32 s4, 0x80
	v_cmp_eq_u16_e32 vcc, s4, v3
	s_mov_b64 s[4:5], -1
                                        ; implicit-def: $sgpr10
	s_and_saveexec_b64 s[8:9], vcc
; %bb.3538:
	s_mov_b32 s10, 0x7f800001
	s_xor_b64 s[4:5], exec, -1
; %bb.3539:
	s_or_b64 exec, exec, s[8:9]
	s_and_b64 s[4:5], s[4:5], exec
                                        ; implicit-def: $vgpr3
	s_or_saveexec_b64 s[6:7], s[6:7]
	v_mov_b32_e32 v2, s10
	s_xor_b64 exec, exec, s[6:7]
	s_cbranch_execz .LBB12_1490
.LBB12_3540:
	v_cmp_ne_u16_e32 vcc, 0, v3
	s_andn2_b64 s[4:5], s[4:5], exec
	s_and_b64 s[8:9], vcc, exec
	v_mov_b32_e32 v2, 0
	s_or_b64 s[4:5], s[4:5], s[8:9]
	s_or_b64 exec, exec, s[6:7]
	s_and_saveexec_b64 s[6:7], s[4:5]
	s_cbranch_execnz .LBB12_1491
	s_branch .LBB12_1492
.LBB12_3541:
	s_movk_i32 s4, 0x80
	v_cmp_eq_u16_e32 vcc, s4, v3
	s_mov_b64 s[4:5], -1
                                        ; implicit-def: $sgpr10
	s_and_saveexec_b64 s[8:9], vcc
; %bb.3542:
	s_mov_b32 s10, 0x7f800001
	s_xor_b64 s[4:5], exec, -1
; %bb.3543:
	s_or_b64 exec, exec, s[8:9]
	s_and_b64 s[4:5], s[4:5], exec
                                        ; implicit-def: $vgpr3
	s_or_saveexec_b64 s[6:7], s[6:7]
	v_mov_b32_e32 v6, s10
	s_xor_b64 exec, exec, s[6:7]
	s_cbranch_execz .LBB12_1494
.LBB12_3544:
	v_cmp_ne_u16_e32 vcc, 0, v3
	s_andn2_b64 s[4:5], s[4:5], exec
	s_and_b64 s[8:9], vcc, exec
	v_mov_b32_e32 v6, 0
	s_or_b64 s[4:5], s[4:5], s[8:9]
	s_or_b64 exec, exec, s[6:7]
	s_and_saveexec_b64 s[6:7], s[4:5]
	s_cbranch_execnz .LBB12_1495
	s_branch .LBB12_1496
.LBB12_3545:
	s_movk_i32 s4, 0x80
	v_cmp_eq_u16_sdwa s[12:13], v8, s4 src0_sel:BYTE_3 src1_sel:DWORD
	s_mov_b64 s[4:5], -1
                                        ; implicit-def: $sgpr10
	s_and_saveexec_b64 s[8:9], s[12:13]
; %bb.3546:
	s_mov_b32 s10, 0x7f800001
	s_xor_b64 s[4:5], exec, -1
; %bb.3547:
	s_or_b64 exec, exec, s[8:9]
	s_and_b64 s[4:5], s[4:5], exec
	s_or_saveexec_b64 s[6:7], s[6:7]
	v_mov_b32_e32 v2, s10
	s_xor_b64 exec, exec, s[6:7]
	s_cbranch_execz .LBB12_1498
.LBB12_3548:
	v_mov_b32_e32 v2, 0
	v_cmp_ne_u16_sdwa s[8:9], v8, v2 src0_sel:BYTE_3 src1_sel:DWORD
	s_andn2_b64 s[4:5], s[4:5], exec
	s_and_b64 s[8:9], s[8:9], exec
	s_or_b64 s[4:5], s[4:5], s[8:9]
	s_or_b64 exec, exec, s[6:7]
	s_and_saveexec_b64 s[6:7], s[4:5]
	s_cbranch_execnz .LBB12_1499
	s_branch .LBB12_1500
.LBB12_3549:
	s_movk_i32 s4, 0x80
	v_cmp_eq_u16_sdwa s[12:13], v4, s4 src0_sel:BYTE_3 src1_sel:DWORD
	s_mov_b64 s[4:5], -1
                                        ; implicit-def: $sgpr10
	s_and_saveexec_b64 s[8:9], s[12:13]
; %bb.3550:
	s_mov_b32 s10, 0x7f800001
	s_xor_b64 s[4:5], exec, -1
; %bb.3551:
	s_or_b64 exec, exec, s[8:9]
	s_and_b64 s[4:5], s[4:5], exec
	s_or_saveexec_b64 s[6:7], s[6:7]
	v_mov_b32_e32 v3, s10
	s_xor_b64 exec, exec, s[6:7]
	s_cbranch_execz .LBB12_1502
.LBB12_3552:
	v_mov_b32_e32 v3, 0
	v_cmp_ne_u16_sdwa s[8:9], v4, v3 src0_sel:BYTE_3 src1_sel:DWORD
	s_andn2_b64 s[4:5], s[4:5], exec
	s_and_b64 s[8:9], s[8:9], exec
	s_or_b64 s[4:5], s[4:5], s[8:9]
	s_or_b64 exec, exec, s[6:7]
	s_and_saveexec_b64 s[6:7], s[4:5]
	s_cbranch_execnz .LBB12_1503
	s_branch .LBB12_1504
.LBB12_3553:
	s_movk_i32 s4, 0x80
	v_cmp_eq_u16_sdwa s[12:13], v9, s4 src0_sel:BYTE_0 src1_sel:DWORD
	s_mov_b64 s[4:5], -1
                                        ; implicit-def: $sgpr10
	s_and_saveexec_b64 s[8:9], s[12:13]
; %bb.3554:
	s_mov_b32 s10, 0x7f800001
	s_xor_b64 s[4:5], exec, -1
; %bb.3555:
	s_or_b64 exec, exec, s[8:9]
	s_and_b64 s[4:5], s[4:5], exec
	s_or_saveexec_b64 s[6:7], s[6:7]
	v_mov_b32_e32 v2, s10
	s_xor_b64 exec, exec, s[6:7]
	s_cbranch_execz .LBB12_1506
.LBB12_3556:
	v_mov_b32_e32 v2, 0
	v_cmp_ne_u16_sdwa s[8:9], v9, v2 src0_sel:BYTE_0 src1_sel:DWORD
	s_andn2_b64 s[4:5], s[4:5], exec
	s_and_b64 s[8:9], s[8:9], exec
	s_or_b64 s[4:5], s[4:5], s[8:9]
	s_or_b64 exec, exec, s[6:7]
	s_and_saveexec_b64 s[6:7], s[4:5]
	s_cbranch_execnz .LBB12_1507
	s_branch .LBB12_1508
.LBB12_3557:
	s_movk_i32 s4, 0x80
	v_cmp_eq_u16_sdwa s[12:13], v5, s4 src0_sel:BYTE_0 src1_sel:DWORD
	s_mov_b64 s[4:5], -1
                                        ; implicit-def: $sgpr10
	s_and_saveexec_b64 s[8:9], s[12:13]
; %bb.3558:
	s_mov_b32 s10, 0x7f800001
	s_xor_b64 s[4:5], exec, -1
; %bb.3559:
	s_or_b64 exec, exec, s[8:9]
	s_and_b64 s[4:5], s[4:5], exec
	s_or_saveexec_b64 s[6:7], s[6:7]
	v_mov_b32_e32 v3, s10
	s_xor_b64 exec, exec, s[6:7]
	s_cbranch_execz .LBB12_1510
.LBB12_3560:
	v_mov_b32_e32 v3, 0
	v_cmp_ne_u16_sdwa s[8:9], v5, v3 src0_sel:BYTE_0 src1_sel:DWORD
	s_andn2_b64 s[4:5], s[4:5], exec
	s_and_b64 s[8:9], s[8:9], exec
	s_or_b64 s[4:5], s[4:5], s[8:9]
	s_or_b64 exec, exec, s[6:7]
	s_and_saveexec_b64 s[6:7], s[4:5]
	s_cbranch_execnz .LBB12_1511
	s_branch .LBB12_1512
.LBB12_3561:
	s_movk_i32 s4, 0x80
	v_cmp_eq_u16_sdwa s[12:13], v3, s4 src0_sel:BYTE_0 src1_sel:DWORD
	s_mov_b64 s[4:5], -1
                                        ; implicit-def: $sgpr10
	s_and_saveexec_b64 s[8:9], s[12:13]
; %bb.3562:
	s_mov_b32 s10, 0x7f800001
	s_xor_b64 s[4:5], exec, -1
; %bb.3563:
	s_or_b64 exec, exec, s[8:9]
	s_and_b64 s[4:5], s[4:5], exec
	s_or_saveexec_b64 s[6:7], s[6:7]
	v_mov_b32_e32 v2, s10
	s_xor_b64 exec, exec, s[6:7]
	s_cbranch_execz .LBB12_1514
.LBB12_3564:
	v_mov_b32_e32 v2, 0
	v_cmp_ne_u16_sdwa s[8:9], v3, v2 src0_sel:BYTE_0 src1_sel:DWORD
	s_andn2_b64 s[4:5], s[4:5], exec
	s_and_b64 s[8:9], s[8:9], exec
	s_or_b64 s[4:5], s[4:5], s[8:9]
	s_or_b64 exec, exec, s[6:7]
	s_and_saveexec_b64 s[6:7], s[4:5]
	s_cbranch_execnz .LBB12_1515
	s_branch .LBB12_1516
.LBB12_3565:
	s_movk_i32 s4, 0x80
	v_cmp_eq_u16_sdwa s[12:13], v3, s4 src0_sel:BYTE_0 src1_sel:DWORD
	s_mov_b64 s[4:5], -1
                                        ; implicit-def: $sgpr10
	s_and_saveexec_b64 s[8:9], s[12:13]
; %bb.3566:
	s_mov_b32 s10, 0x7f800001
	s_xor_b64 s[4:5], exec, -1
; %bb.3567:
	s_or_b64 exec, exec, s[8:9]
	s_and_b64 s[4:5], s[4:5], exec
	s_or_saveexec_b64 s[6:7], s[6:7]
	v_mov_b32_e32 v4, s10
	s_xor_b64 exec, exec, s[6:7]
	s_cbranch_execz .LBB12_1518
.LBB12_3568:
	v_mov_b32_e32 v4, 0
	v_cmp_ne_u16_sdwa s[8:9], v3, v4 src0_sel:BYTE_0 src1_sel:DWORD
	s_andn2_b64 s[4:5], s[4:5], exec
	s_and_b64 s[8:9], s[8:9], exec
	s_or_b64 s[4:5], s[4:5], s[8:9]
	s_or_b64 exec, exec, s[6:7]
	s_and_saveexec_b64 s[6:7], s[4:5]
	s_cbranch_execnz .LBB12_1519
	s_branch .LBB12_1520
.LBB12_3569:
	s_movk_i32 s4, 0x80
	v_cmp_eq_u16_e32 vcc, s4, v3
	s_mov_b64 s[4:5], -1
                                        ; implicit-def: $sgpr10
	s_and_saveexec_b64 s[8:9], vcc
; %bb.3570:
	s_mov_b32 s10, 0x7f800001
	s_xor_b64 s[4:5], exec, -1
; %bb.3571:
	s_or_b64 exec, exec, s[8:9]
	s_and_b64 s[4:5], s[4:5], exec
                                        ; implicit-def: $vgpr3
	s_or_saveexec_b64 s[6:7], s[6:7]
	v_mov_b32_e32 v2, s10
	s_xor_b64 exec, exec, s[6:7]
	s_cbranch_execz .LBB12_1522
.LBB12_3572:
	v_cmp_ne_u16_e32 vcc, 0, v3
	s_andn2_b64 s[4:5], s[4:5], exec
	s_and_b64 s[8:9], vcc, exec
	v_mov_b32_e32 v2, 0
	s_or_b64 s[4:5], s[4:5], s[8:9]
	s_or_b64 exec, exec, s[6:7]
	s_and_saveexec_b64 s[6:7], s[4:5]
	s_cbranch_execnz .LBB12_1523
	s_branch .LBB12_1524
.LBB12_3573:
	s_movk_i32 s4, 0x80
	v_cmp_eq_u16_e32 vcc, s4, v3
	s_mov_b64 s[4:5], -1
                                        ; implicit-def: $sgpr10
	s_and_saveexec_b64 s[8:9], vcc
; %bb.3574:
	s_mov_b32 s10, 0x7f800001
	s_xor_b64 s[4:5], exec, -1
; %bb.3575:
	s_or_b64 exec, exec, s[8:9]
	s_and_b64 s[4:5], s[4:5], exec
                                        ; implicit-def: $vgpr3
	s_or_saveexec_b64 s[6:7], s[6:7]
	v_mov_b32_e32 v4, s10
	s_xor_b64 exec, exec, s[6:7]
	s_cbranch_execz .LBB12_1526
.LBB12_3576:
	v_cmp_ne_u16_e32 vcc, 0, v3
	s_andn2_b64 s[4:5], s[4:5], exec
	s_and_b64 s[8:9], vcc, exec
	v_mov_b32_e32 v4, 0
	s_or_b64 s[4:5], s[4:5], s[8:9]
	s_or_b64 exec, exec, s[6:7]
	s_and_saveexec_b64 s[6:7], s[4:5]
	s_cbranch_execnz .LBB12_1527
	s_branch .LBB12_1528
.LBB12_3577:
	s_movk_i32 s4, 0x80
	v_cmp_eq_u16_sdwa s[12:13], v9, s4 src0_sel:BYTE_3 src1_sel:DWORD
	s_mov_b64 s[4:5], -1
                                        ; implicit-def: $sgpr10
	s_and_saveexec_b64 s[8:9], s[12:13]
; %bb.3578:
	s_mov_b32 s10, 0x7f800001
	s_xor_b64 s[4:5], exec, -1
; %bb.3579:
	s_or_b64 exec, exec, s[8:9]
	s_and_b64 s[4:5], s[4:5], exec
	s_or_saveexec_b64 s[6:7], s[6:7]
	v_mov_b32_e32 v2, s10
	s_xor_b64 exec, exec, s[6:7]
	s_cbranch_execz .LBB12_1530
.LBB12_3580:
	v_mov_b32_e32 v2, 0
	v_cmp_ne_u16_sdwa s[8:9], v9, v2 src0_sel:BYTE_3 src1_sel:DWORD
	s_andn2_b64 s[4:5], s[4:5], exec
	s_and_b64 s[8:9], s[8:9], exec
	s_or_b64 s[4:5], s[4:5], s[8:9]
	s_or_b64 exec, exec, s[6:7]
	s_and_saveexec_b64 s[6:7], s[4:5]
	s_cbranch_execnz .LBB12_1531
	s_branch .LBB12_1532
.LBB12_3581:
	s_movk_i32 s4, 0x80
	v_cmp_eq_u16_sdwa s[12:13], v5, s4 src0_sel:BYTE_3 src1_sel:DWORD
	s_mov_b64 s[4:5], -1
                                        ; implicit-def: $sgpr10
	s_and_saveexec_b64 s[8:9], s[12:13]
; %bb.3582:
	s_mov_b32 s10, 0x7f800001
	s_xor_b64 s[4:5], exec, -1
; %bb.3583:
	s_or_b64 exec, exec, s[8:9]
	s_and_b64 s[4:5], s[4:5], exec
	s_or_saveexec_b64 s[6:7], s[6:7]
	v_mov_b32_e32 v3, s10
	s_xor_b64 exec, exec, s[6:7]
	s_cbranch_execz .LBB12_1534
.LBB12_3584:
	v_mov_b32_e32 v3, 0
	v_cmp_ne_u16_sdwa s[8:9], v5, v3 src0_sel:BYTE_3 src1_sel:DWORD
	s_andn2_b64 s[4:5], s[4:5], exec
	s_and_b64 s[8:9], s[8:9], exec
	s_or_b64 s[4:5], s[4:5], s[8:9]
	s_or_b64 exec, exec, s[6:7]
	s_and_saveexec_b64 s[6:7], s[4:5]
	s_cbranch_execnz .LBB12_1535
	s_branch .LBB12_1536
.LBB12_3585:
	s_movk_i32 s4, 0x80
	v_cmp_eq_u16_sdwa s[12:13], v6, s4 src0_sel:BYTE_0 src1_sel:DWORD
	s_mov_b64 s[4:5], -1
                                        ; implicit-def: $sgpr10
	s_and_saveexec_b64 s[8:9], s[12:13]
; %bb.3586:
	s_mov_b32 s10, 0x7f800001
	s_xor_b64 s[4:5], exec, -1
; %bb.3587:
	s_or_b64 exec, exec, s[8:9]
	s_and_b64 s[4:5], s[4:5], exec
	s_or_saveexec_b64 s[6:7], s[6:7]
	v_mov_b32_e32 v12, s10
	s_xor_b64 exec, exec, s[6:7]
	s_cbranch_execz .LBB12_1538
.LBB12_3588:
	v_mov_b32_e32 v12, 0
	v_cmp_ne_u16_sdwa s[8:9], v6, v12 src0_sel:BYTE_0 src1_sel:DWORD
	s_andn2_b64 s[4:5], s[4:5], exec
	s_and_b64 s[8:9], s[8:9], exec
	s_or_b64 s[4:5], s[4:5], s[8:9]
	s_or_b64 exec, exec, s[6:7]
	s_and_saveexec_b64 s[6:7], s[4:5]
	s_cbranch_execnz .LBB12_1539
	s_branch .LBB12_1540
.LBB12_3589:
	s_movk_i32 s4, 0x80
	v_cmp_eq_u16_sdwa s[12:13], v2, s4 src0_sel:BYTE_0 src1_sel:DWORD
	s_mov_b64 s[4:5], -1
                                        ; implicit-def: $sgpr10
	s_and_saveexec_b64 s[8:9], s[12:13]
; %bb.3590:
	s_mov_b32 s10, 0x7f800001
	s_xor_b64 s[4:5], exec, -1
; %bb.3591:
	s_or_b64 exec, exec, s[8:9]
	s_and_b64 s[4:5], s[4:5], exec
	s_or_saveexec_b64 s[6:7], s[6:7]
	v_mov_b32_e32 v13, s10
	s_xor_b64 exec, exec, s[6:7]
	s_cbranch_execz .LBB12_1542
.LBB12_3592:
	v_mov_b32_e32 v13, 0
	v_cmp_ne_u16_sdwa s[8:9], v2, v13 src0_sel:BYTE_0 src1_sel:DWORD
	s_andn2_b64 s[4:5], s[4:5], exec
	s_and_b64 s[8:9], s[8:9], exec
	s_or_b64 s[4:5], s[4:5], s[8:9]
	s_or_b64 exec, exec, s[6:7]
	s_and_saveexec_b64 s[6:7], s[4:5]
	s_cbranch_execnz .LBB12_1543
	s_branch .LBB12_1544
.LBB12_3593:
	s_movk_i32 s4, 0x80
	v_cmp_eq_u16_sdwa s[12:13], v13, s4 src0_sel:BYTE_0 src1_sel:DWORD
	s_mov_b64 s[4:5], -1
                                        ; implicit-def: $sgpr10
	s_and_saveexec_b64 s[8:9], s[12:13]
; %bb.3594:
	s_mov_b32 s10, 0x7f800001
	s_xor_b64 s[4:5], exec, -1
; %bb.3595:
	s_or_b64 exec, exec, s[8:9]
	s_and_b64 s[4:5], s[4:5], exec
	s_or_saveexec_b64 s[6:7], s[6:7]
	v_mov_b32_e32 v12, s10
	s_xor_b64 exec, exec, s[6:7]
	s_cbranch_execz .LBB12_1546
.LBB12_3596:
	v_mov_b32_e32 v12, 0
	v_cmp_ne_u16_sdwa s[8:9], v13, v12 src0_sel:BYTE_0 src1_sel:DWORD
	s_andn2_b64 s[4:5], s[4:5], exec
	s_and_b64 s[8:9], s[8:9], exec
	s_or_b64 s[4:5], s[4:5], s[8:9]
	s_or_b64 exec, exec, s[6:7]
	s_and_saveexec_b64 s[6:7], s[4:5]
	s_cbranch_execnz .LBB12_1547
	s_branch .LBB12_1548
.LBB12_3597:
	s_movk_i32 s4, 0x80
	v_cmp_eq_u16_sdwa s[12:13], v13, s4 src0_sel:BYTE_0 src1_sel:DWORD
	s_mov_b64 s[4:5], -1
                                        ; implicit-def: $sgpr10
	s_and_saveexec_b64 s[8:9], s[12:13]
; %bb.3598:
	s_mov_b32 s10, 0x7f800001
	s_xor_b64 s[4:5], exec, -1
; %bb.3599:
	s_or_b64 exec, exec, s[8:9]
	s_and_b64 s[4:5], s[4:5], exec
	s_or_saveexec_b64 s[6:7], s[6:7]
	v_mov_b32_e32 v14, s10
	s_xor_b64 exec, exec, s[6:7]
	s_cbranch_execz .LBB12_1550
.LBB12_3600:
	v_mov_b32_e32 v14, 0
	v_cmp_ne_u16_sdwa s[8:9], v13, v14 src0_sel:BYTE_0 src1_sel:DWORD
	s_andn2_b64 s[4:5], s[4:5], exec
	s_and_b64 s[8:9], s[8:9], exec
	s_or_b64 s[4:5], s[4:5], s[8:9]
	s_or_b64 exec, exec, s[6:7]
	s_and_saveexec_b64 s[6:7], s[4:5]
	s_cbranch_execnz .LBB12_1551
	s_branch .LBB12_1552
.LBB12_3601:
	s_movk_i32 s4, 0x80
	v_cmp_eq_u16_e32 vcc, s4, v13
	s_mov_b64 s[4:5], -1
                                        ; implicit-def: $sgpr10
	s_and_saveexec_b64 s[8:9], vcc
; %bb.3602:
	s_mov_b32 s10, 0x7f800001
	s_xor_b64 s[4:5], exec, -1
; %bb.3603:
	s_or_b64 exec, exec, s[8:9]
	s_and_b64 s[4:5], s[4:5], exec
                                        ; implicit-def: $vgpr13
	s_or_saveexec_b64 s[6:7], s[6:7]
	v_mov_b32_e32 v12, s10
	s_xor_b64 exec, exec, s[6:7]
	s_cbranch_execz .LBB12_1554
.LBB12_3604:
	v_cmp_ne_u16_e32 vcc, 0, v13
	s_andn2_b64 s[4:5], s[4:5], exec
	s_and_b64 s[8:9], vcc, exec
	v_mov_b32_e32 v12, 0
	s_or_b64 s[4:5], s[4:5], s[8:9]
	s_or_b64 exec, exec, s[6:7]
	s_and_saveexec_b64 s[6:7], s[4:5]
	s_cbranch_execnz .LBB12_1555
	s_branch .LBB12_1556
.LBB12_3605:
	s_movk_i32 s4, 0x80
	v_cmp_eq_u16_e32 vcc, s4, v13
	s_mov_b64 s[4:5], -1
                                        ; implicit-def: $sgpr10
	s_and_saveexec_b64 s[8:9], vcc
; %bb.3606:
	s_mov_b32 s10, 0x7f800001
	s_xor_b64 s[4:5], exec, -1
; %bb.3607:
	s_or_b64 exec, exec, s[8:9]
	s_and_b64 s[4:5], s[4:5], exec
                                        ; implicit-def: $vgpr13
	s_or_saveexec_b64 s[6:7], s[6:7]
	v_mov_b32_e32 v14, s10
	s_xor_b64 exec, exec, s[6:7]
	s_cbranch_execz .LBB12_1558
.LBB12_3608:
	v_cmp_ne_u16_e32 vcc, 0, v13
	s_andn2_b64 s[4:5], s[4:5], exec
	s_and_b64 s[8:9], vcc, exec
	v_mov_b32_e32 v14, 0
	s_or_b64 s[4:5], s[4:5], s[8:9]
	s_or_b64 exec, exec, s[6:7]
	s_and_saveexec_b64 s[6:7], s[4:5]
	s_cbranch_execnz .LBB12_1559
	s_branch .LBB12_1560
.LBB12_3609:
	s_movk_i32 s4, 0x80
	v_cmp_eq_u16_sdwa s[12:13], v6, s4 src0_sel:BYTE_3 src1_sel:DWORD
	s_mov_b64 s[4:5], -1
                                        ; implicit-def: $sgpr10
	s_and_saveexec_b64 s[8:9], s[12:13]
; %bb.3610:
	s_mov_b32 s10, 0x7f800001
	s_xor_b64 s[4:5], exec, -1
; %bb.3611:
	s_or_b64 exec, exec, s[8:9]
	s_and_b64 s[4:5], s[4:5], exec
	s_or_saveexec_b64 s[6:7], s[6:7]
	v_mov_b32_e32 v12, s10
	s_xor_b64 exec, exec, s[6:7]
	s_cbranch_execz .LBB12_1562
.LBB12_3612:
	v_mov_b32_e32 v12, 0
	v_cmp_ne_u16_sdwa s[8:9], v6, v12 src0_sel:BYTE_3 src1_sel:DWORD
	s_andn2_b64 s[4:5], s[4:5], exec
	s_and_b64 s[8:9], s[8:9], exec
	s_or_b64 s[4:5], s[4:5], s[8:9]
	s_or_b64 exec, exec, s[6:7]
	s_and_saveexec_b64 s[6:7], s[4:5]
	s_cbranch_execnz .LBB12_1563
	s_branch .LBB12_1564
.LBB12_3613:
	s_movk_i32 s4, 0x80
	v_cmp_eq_u16_sdwa s[12:13], v2, s4 src0_sel:BYTE_3 src1_sel:DWORD
	s_mov_b64 s[4:5], -1
                                        ; implicit-def: $sgpr10
	s_and_saveexec_b64 s[8:9], s[12:13]
; %bb.3614:
	s_mov_b32 s10, 0x7f800001
	s_xor_b64 s[4:5], exec, -1
; %bb.3615:
	s_or_b64 exec, exec, s[8:9]
	s_and_b64 s[4:5], s[4:5], exec
	s_or_saveexec_b64 s[6:7], s[6:7]
	v_mov_b32_e32 v6, s10
	s_xor_b64 exec, exec, s[6:7]
	s_cbranch_execz .LBB12_1566
.LBB12_3616:
	v_mov_b32_e32 v6, 0
	v_cmp_ne_u16_sdwa s[8:9], v2, v6 src0_sel:BYTE_3 src1_sel:DWORD
	s_andn2_b64 s[4:5], s[4:5], exec
	s_and_b64 s[8:9], s[8:9], exec
	s_or_b64 s[4:5], s[4:5], s[8:9]
	s_or_b64 exec, exec, s[6:7]
	s_and_saveexec_b64 s[6:7], s[4:5]
	s_cbranch_execnz .LBB12_1567
	s_branch .LBB12_1568
.LBB12_3617:
	s_movk_i32 s4, 0x80
	v_cmp_eq_u16_sdwa s[12:13], v7, s4 src0_sel:BYTE_0 src1_sel:DWORD
	s_mov_b64 s[4:5], -1
                                        ; implicit-def: $sgpr10
	s_and_saveexec_b64 s[8:9], s[12:13]
; %bb.3618:
	s_mov_b32 s10, 0x7f800001
	s_xor_b64 s[4:5], exec, -1
; %bb.3619:
	s_or_b64 exec, exec, s[8:9]
	s_and_b64 s[4:5], s[4:5], exec
	s_or_saveexec_b64 s[6:7], s[6:7]
	v_mov_b32_e32 v2, s10
	s_xor_b64 exec, exec, s[6:7]
	s_cbranch_execz .LBB12_1570
.LBB12_3620:
	v_mov_b32_e32 v2, 0
	v_cmp_ne_u16_sdwa s[8:9], v7, v2 src0_sel:BYTE_0 src1_sel:DWORD
	s_andn2_b64 s[4:5], s[4:5], exec
	s_and_b64 s[8:9], s[8:9], exec
	s_or_b64 s[4:5], s[4:5], s[8:9]
	s_or_b64 exec, exec, s[6:7]
	s_and_saveexec_b64 s[6:7], s[4:5]
	s_cbranch_execnz .LBB12_1571
	s_branch .LBB12_1572
.LBB12_3621:
	s_movk_i32 s4, 0x80
	v_cmp_eq_u16_sdwa s[12:13], v3, s4 src0_sel:BYTE_0 src1_sel:DWORD
	s_mov_b64 s[4:5], -1
                                        ; implicit-def: $sgpr10
	s_and_saveexec_b64 s[8:9], s[12:13]
; %bb.3622:
	s_mov_b32 s10, 0x7f800001
	s_xor_b64 s[4:5], exec, -1
; %bb.3623:
	s_or_b64 exec, exec, s[8:9]
	s_and_b64 s[4:5], s[4:5], exec
	s_or_saveexec_b64 s[6:7], s[6:7]
	v_mov_b32_e32 v6, s10
	s_xor_b64 exec, exec, s[6:7]
	s_cbranch_execz .LBB12_1574
.LBB12_3624:
	v_mov_b32_e32 v6, 0
	v_cmp_ne_u16_sdwa s[8:9], v3, v6 src0_sel:BYTE_0 src1_sel:DWORD
	s_andn2_b64 s[4:5], s[4:5], exec
	s_and_b64 s[8:9], s[8:9], exec
	s_or_b64 s[4:5], s[4:5], s[8:9]
	s_or_b64 exec, exec, s[6:7]
	s_and_saveexec_b64 s[6:7], s[4:5]
	s_cbranch_execnz .LBB12_1575
	s_branch .LBB12_1576
.LBB12_3625:
	s_movk_i32 s4, 0x80
	v_cmp_eq_u16_sdwa s[12:13], v6, s4 src0_sel:BYTE_0 src1_sel:DWORD
	s_mov_b64 s[4:5], -1
                                        ; implicit-def: $sgpr10
	s_and_saveexec_b64 s[8:9], s[12:13]
; %bb.3626:
	s_mov_b32 s10, 0x7f800001
	s_xor_b64 s[4:5], exec, -1
; %bb.3627:
	s_or_b64 exec, exec, s[8:9]
	s_and_b64 s[4:5], s[4:5], exec
	s_or_saveexec_b64 s[6:7], s[6:7]
	v_mov_b32_e32 v2, s10
	s_xor_b64 exec, exec, s[6:7]
	s_cbranch_execz .LBB12_1578
.LBB12_3628:
	v_mov_b32_e32 v2, 0
	v_cmp_ne_u16_sdwa s[8:9], v6, v2 src0_sel:BYTE_0 src1_sel:DWORD
	s_andn2_b64 s[4:5], s[4:5], exec
	s_and_b64 s[8:9], s[8:9], exec
	s_or_b64 s[4:5], s[4:5], s[8:9]
	s_or_b64 exec, exec, s[6:7]
	s_and_saveexec_b64 s[6:7], s[4:5]
	s_cbranch_execnz .LBB12_1579
	s_branch .LBB12_1580
.LBB12_3629:
	s_movk_i32 s4, 0x80
	v_cmp_eq_u16_sdwa s[12:13], v6, s4 src0_sel:BYTE_0 src1_sel:DWORD
	s_mov_b64 s[4:5], -1
                                        ; implicit-def: $sgpr10
	s_and_saveexec_b64 s[8:9], s[12:13]
; %bb.3630:
	s_mov_b32 s10, 0x7f800001
	s_xor_b64 s[4:5], exec, -1
; %bb.3631:
	s_or_b64 exec, exec, s[8:9]
	s_and_b64 s[4:5], s[4:5], exec
	s_or_saveexec_b64 s[6:7], s[6:7]
	v_mov_b32_e32 v12, s10
	s_xor_b64 exec, exec, s[6:7]
	s_cbranch_execz .LBB12_1582
.LBB12_3632:
	v_mov_b32_e32 v12, 0
	v_cmp_ne_u16_sdwa s[8:9], v6, v12 src0_sel:BYTE_0 src1_sel:DWORD
	s_andn2_b64 s[4:5], s[4:5], exec
	s_and_b64 s[8:9], s[8:9], exec
	s_or_b64 s[4:5], s[4:5], s[8:9]
	s_or_b64 exec, exec, s[6:7]
	s_and_saveexec_b64 s[6:7], s[4:5]
	s_cbranch_execnz .LBB12_1583
	s_branch .LBB12_1584
.LBB12_3633:
	s_movk_i32 s4, 0x80
	v_cmp_eq_u16_e32 vcc, s4, v6
	s_mov_b64 s[4:5], -1
                                        ; implicit-def: $sgpr10
	s_and_saveexec_b64 s[8:9], vcc
; %bb.3634:
	s_mov_b32 s10, 0x7f800001
	s_xor_b64 s[4:5], exec, -1
; %bb.3635:
	s_or_b64 exec, exec, s[8:9]
	s_and_b64 s[4:5], s[4:5], exec
                                        ; implicit-def: $vgpr6
	s_or_saveexec_b64 s[6:7], s[6:7]
	v_mov_b32_e32 v2, s10
	s_xor_b64 exec, exec, s[6:7]
	s_cbranch_execz .LBB12_1586
.LBB12_3636:
	v_cmp_ne_u16_e32 vcc, 0, v6
	s_andn2_b64 s[4:5], s[4:5], exec
	s_and_b64 s[8:9], vcc, exec
	v_mov_b32_e32 v2, 0
	s_or_b64 s[4:5], s[4:5], s[8:9]
	s_or_b64 exec, exec, s[6:7]
	s_and_saveexec_b64 s[6:7], s[4:5]
	s_cbranch_execnz .LBB12_1587
	s_branch .LBB12_1588
.LBB12_3637:
	s_movk_i32 s4, 0x80
	v_cmp_eq_u16_e32 vcc, s4, v6
	s_mov_b64 s[4:5], -1
                                        ; implicit-def: $sgpr10
	s_and_saveexec_b64 s[8:9], vcc
; %bb.3638:
	s_mov_b32 s10, 0x7f800001
	s_xor_b64 s[4:5], exec, -1
; %bb.3639:
	s_or_b64 exec, exec, s[8:9]
	s_and_b64 s[4:5], s[4:5], exec
                                        ; implicit-def: $vgpr6
	s_or_saveexec_b64 s[6:7], s[6:7]
	v_mov_b32_e32 v12, s10
	s_xor_b64 exec, exec, s[6:7]
	s_cbranch_execz .LBB12_1590
.LBB12_3640:
	v_cmp_ne_u16_e32 vcc, 0, v6
	s_andn2_b64 s[4:5], s[4:5], exec
	s_and_b64 s[8:9], vcc, exec
	v_mov_b32_e32 v12, 0
	s_or_b64 s[4:5], s[4:5], s[8:9]
	s_or_b64 exec, exec, s[6:7]
	s_and_saveexec_b64 s[6:7], s[4:5]
	s_cbranch_execnz .LBB12_1591
	s_branch .LBB12_1592
.LBB12_3641:
	s_movk_i32 s4, 0x80
	v_cmp_eq_u16_sdwa s[12:13], v7, s4 src0_sel:BYTE_3 src1_sel:DWORD
	s_mov_b64 s[4:5], -1
                                        ; implicit-def: $sgpr10
	s_and_saveexec_b64 s[8:9], s[12:13]
; %bb.3642:
	s_mov_b32 s10, 0x7f800001
	s_xor_b64 s[4:5], exec, -1
; %bb.3643:
	s_or_b64 exec, exec, s[8:9]
	s_and_b64 s[4:5], s[4:5], exec
	s_or_saveexec_b64 s[6:7], s[6:7]
	v_mov_b32_e32 v2, s10
	s_xor_b64 exec, exec, s[6:7]
	s_cbranch_execz .LBB12_1594
.LBB12_3644:
	v_mov_b32_e32 v2, 0
	v_cmp_ne_u16_sdwa s[8:9], v7, v2 src0_sel:BYTE_3 src1_sel:DWORD
	s_andn2_b64 s[4:5], s[4:5], exec
	s_and_b64 s[8:9], s[8:9], exec
	s_or_b64 s[4:5], s[4:5], s[8:9]
	s_or_b64 exec, exec, s[6:7]
	s_and_saveexec_b64 s[6:7], s[4:5]
	s_cbranch_execnz .LBB12_1595
	s_branch .LBB12_1596
.LBB12_3645:
	s_movk_i32 s4, 0x80
	v_cmp_eq_u16_sdwa s[12:13], v3, s4 src0_sel:BYTE_3 src1_sel:DWORD
	s_mov_b64 s[4:5], -1
                                        ; implicit-def: $sgpr10
	s_and_saveexec_b64 s[8:9], s[12:13]
; %bb.3646:
	s_mov_b32 s10, 0x7f800001
	s_xor_b64 s[4:5], exec, -1
; %bb.3647:
	s_or_b64 exec, exec, s[8:9]
	s_and_b64 s[4:5], s[4:5], exec
	s_or_saveexec_b64 s[6:7], s[6:7]
	v_mov_b32_e32 v6, s10
	s_xor_b64 exec, exec, s[6:7]
	s_cbranch_execz .LBB12_1598
.LBB12_3648:
	v_mov_b32_e32 v6, 0
	v_cmp_ne_u16_sdwa s[8:9], v3, v6 src0_sel:BYTE_3 src1_sel:DWORD
	s_andn2_b64 s[4:5], s[4:5], exec
	s_and_b64 s[8:9], s[8:9], exec
	s_or_b64 s[4:5], s[4:5], s[8:9]
	s_or_b64 exec, exec, s[6:7]
	s_and_saveexec_b64 s[6:7], s[4:5]
	s_cbranch_execnz .LBB12_1599
	s_branch .LBB12_1600
.LBB12_3649:
	s_movk_i32 s4, 0x80
	v_cmp_eq_u16_sdwa s[12:13], v8, s4 src0_sel:BYTE_0 src1_sel:DWORD
	s_mov_b64 s[4:5], -1
                                        ; implicit-def: $sgpr10
	s_and_saveexec_b64 s[8:9], s[12:13]
; %bb.3650:
	s_mov_b32 s10, 0x7f800001
	s_xor_b64 s[4:5], exec, -1
; %bb.3651:
	s_or_b64 exec, exec, s[8:9]
	s_and_b64 s[4:5], s[4:5], exec
	s_or_saveexec_b64 s[6:7], s[6:7]
	v_mov_b32_e32 v2, s10
	s_xor_b64 exec, exec, s[6:7]
	s_cbranch_execz .LBB12_1602
.LBB12_3652:
	v_mov_b32_e32 v2, 0
	v_cmp_ne_u16_sdwa s[8:9], v8, v2 src0_sel:BYTE_0 src1_sel:DWORD
	s_andn2_b64 s[4:5], s[4:5], exec
	s_and_b64 s[8:9], s[8:9], exec
	s_or_b64 s[4:5], s[4:5], s[8:9]
	s_or_b64 exec, exec, s[6:7]
	s_and_saveexec_b64 s[6:7], s[4:5]
	s_cbranch_execnz .LBB12_1603
	s_branch .LBB12_1604
.LBB12_3653:
	s_movk_i32 s4, 0x80
	v_cmp_eq_u16_sdwa s[12:13], v4, s4 src0_sel:BYTE_0 src1_sel:DWORD
	s_mov_b64 s[4:5], -1
                                        ; implicit-def: $sgpr10
	s_and_saveexec_b64 s[8:9], s[12:13]
; %bb.3654:
	s_mov_b32 s10, 0x7f800001
	s_xor_b64 s[4:5], exec, -1
; %bb.3655:
	s_or_b64 exec, exec, s[8:9]
	s_and_b64 s[4:5], s[4:5], exec
	s_or_saveexec_b64 s[6:7], s[6:7]
	v_mov_b32_e32 v3, s10
	s_xor_b64 exec, exec, s[6:7]
	s_cbranch_execz .LBB12_1606
.LBB12_3656:
	v_mov_b32_e32 v3, 0
	v_cmp_ne_u16_sdwa s[8:9], v4, v3 src0_sel:BYTE_0 src1_sel:DWORD
	s_andn2_b64 s[4:5], s[4:5], exec
	s_and_b64 s[8:9], s[8:9], exec
	s_or_b64 s[4:5], s[4:5], s[8:9]
	s_or_b64 exec, exec, s[6:7]
	s_and_saveexec_b64 s[6:7], s[4:5]
	s_cbranch_execnz .LBB12_1607
	s_branch .LBB12_1608
.LBB12_3657:
	s_movk_i32 s4, 0x80
	v_cmp_eq_u16_sdwa s[12:13], v3, s4 src0_sel:BYTE_0 src1_sel:DWORD
	s_mov_b64 s[4:5], -1
                                        ; implicit-def: $sgpr10
	s_and_saveexec_b64 s[8:9], s[12:13]
; %bb.3658:
	s_mov_b32 s10, 0x7f800001
	s_xor_b64 s[4:5], exec, -1
; %bb.3659:
	s_or_b64 exec, exec, s[8:9]
	s_and_b64 s[4:5], s[4:5], exec
	s_or_saveexec_b64 s[6:7], s[6:7]
	v_mov_b32_e32 v2, s10
	s_xor_b64 exec, exec, s[6:7]
	s_cbranch_execz .LBB12_1610
.LBB12_3660:
	v_mov_b32_e32 v2, 0
	v_cmp_ne_u16_sdwa s[8:9], v3, v2 src0_sel:BYTE_0 src1_sel:DWORD
	s_andn2_b64 s[4:5], s[4:5], exec
	s_and_b64 s[8:9], s[8:9], exec
	s_or_b64 s[4:5], s[4:5], s[8:9]
	s_or_b64 exec, exec, s[6:7]
	s_and_saveexec_b64 s[6:7], s[4:5]
	s_cbranch_execnz .LBB12_1611
	s_branch .LBB12_1612
.LBB12_3661:
	s_movk_i32 s4, 0x80
	v_cmp_eq_u16_sdwa s[12:13], v3, s4 src0_sel:BYTE_0 src1_sel:DWORD
	s_mov_b64 s[4:5], -1
                                        ; implicit-def: $sgpr10
	s_and_saveexec_b64 s[8:9], s[12:13]
; %bb.3662:
	s_mov_b32 s10, 0x7f800001
	s_xor_b64 s[4:5], exec, -1
; %bb.3663:
	s_or_b64 exec, exec, s[8:9]
	s_and_b64 s[4:5], s[4:5], exec
	s_or_saveexec_b64 s[6:7], s[6:7]
	v_mov_b32_e32 v6, s10
	s_xor_b64 exec, exec, s[6:7]
	s_cbranch_execz .LBB12_1614
.LBB12_3664:
	v_mov_b32_e32 v6, 0
	v_cmp_ne_u16_sdwa s[8:9], v3, v6 src0_sel:BYTE_0 src1_sel:DWORD
	s_andn2_b64 s[4:5], s[4:5], exec
	s_and_b64 s[8:9], s[8:9], exec
	s_or_b64 s[4:5], s[4:5], s[8:9]
	s_or_b64 exec, exec, s[6:7]
	s_and_saveexec_b64 s[6:7], s[4:5]
	s_cbranch_execnz .LBB12_1615
	s_branch .LBB12_1616
.LBB12_3665:
	s_movk_i32 s4, 0x80
	v_cmp_eq_u16_e32 vcc, s4, v3
	s_mov_b64 s[4:5], -1
                                        ; implicit-def: $sgpr10
	s_and_saveexec_b64 s[8:9], vcc
; %bb.3666:
	s_mov_b32 s10, 0x7f800001
	s_xor_b64 s[4:5], exec, -1
; %bb.3667:
	s_or_b64 exec, exec, s[8:9]
	s_and_b64 s[4:5], s[4:5], exec
                                        ; implicit-def: $vgpr3
	s_or_saveexec_b64 s[6:7], s[6:7]
	v_mov_b32_e32 v2, s10
	s_xor_b64 exec, exec, s[6:7]
	s_cbranch_execz .LBB12_1618
.LBB12_3668:
	v_cmp_ne_u16_e32 vcc, 0, v3
	s_andn2_b64 s[4:5], s[4:5], exec
	s_and_b64 s[8:9], vcc, exec
	v_mov_b32_e32 v2, 0
	s_or_b64 s[4:5], s[4:5], s[8:9]
	s_or_b64 exec, exec, s[6:7]
	s_and_saveexec_b64 s[6:7], s[4:5]
	s_cbranch_execnz .LBB12_1619
	s_branch .LBB12_1620
.LBB12_3669:
	s_movk_i32 s4, 0x80
	v_cmp_eq_u16_e32 vcc, s4, v3
	s_mov_b64 s[4:5], -1
                                        ; implicit-def: $sgpr10
	s_and_saveexec_b64 s[8:9], vcc
; %bb.3670:
	s_mov_b32 s10, 0x7f800001
	s_xor_b64 s[4:5], exec, -1
; %bb.3671:
	s_or_b64 exec, exec, s[8:9]
	s_and_b64 s[4:5], s[4:5], exec
                                        ; implicit-def: $vgpr3
	s_or_saveexec_b64 s[6:7], s[6:7]
	v_mov_b32_e32 v6, s10
	s_xor_b64 exec, exec, s[6:7]
	s_cbranch_execz .LBB12_1622
.LBB12_3672:
	v_cmp_ne_u16_e32 vcc, 0, v3
	s_andn2_b64 s[4:5], s[4:5], exec
	s_and_b64 s[8:9], vcc, exec
	v_mov_b32_e32 v6, 0
	s_or_b64 s[4:5], s[4:5], s[8:9]
	s_or_b64 exec, exec, s[6:7]
	s_and_saveexec_b64 s[6:7], s[4:5]
	s_cbranch_execnz .LBB12_1623
	s_branch .LBB12_1624
.LBB12_3673:
	s_movk_i32 s4, 0x80
	v_cmp_eq_u16_sdwa s[12:13], v8, s4 src0_sel:BYTE_3 src1_sel:DWORD
	s_mov_b64 s[4:5], -1
                                        ; implicit-def: $sgpr10
	s_and_saveexec_b64 s[8:9], s[12:13]
; %bb.3674:
	s_mov_b32 s10, 0x7f800001
	s_xor_b64 s[4:5], exec, -1
; %bb.3675:
	s_or_b64 exec, exec, s[8:9]
	s_and_b64 s[4:5], s[4:5], exec
	s_or_saveexec_b64 s[6:7], s[6:7]
	v_mov_b32_e32 v2, s10
	s_xor_b64 exec, exec, s[6:7]
	s_cbranch_execz .LBB12_1626
.LBB12_3676:
	v_mov_b32_e32 v2, 0
	v_cmp_ne_u16_sdwa s[8:9], v8, v2 src0_sel:BYTE_3 src1_sel:DWORD
	s_andn2_b64 s[4:5], s[4:5], exec
	s_and_b64 s[8:9], s[8:9], exec
	s_or_b64 s[4:5], s[4:5], s[8:9]
	s_or_b64 exec, exec, s[6:7]
	s_and_saveexec_b64 s[6:7], s[4:5]
	s_cbranch_execnz .LBB12_1627
	s_branch .LBB12_1628
.LBB12_3677:
	s_movk_i32 s4, 0x80
	v_cmp_eq_u16_sdwa s[12:13], v4, s4 src0_sel:BYTE_3 src1_sel:DWORD
	s_mov_b64 s[4:5], -1
                                        ; implicit-def: $sgpr10
	s_and_saveexec_b64 s[8:9], s[12:13]
; %bb.3678:
	s_mov_b32 s10, 0x7f800001
	s_xor_b64 s[4:5], exec, -1
; %bb.3679:
	s_or_b64 exec, exec, s[8:9]
	s_and_b64 s[4:5], s[4:5], exec
	s_or_saveexec_b64 s[6:7], s[6:7]
	v_mov_b32_e32 v3, s10
	s_xor_b64 exec, exec, s[6:7]
	s_cbranch_execz .LBB12_1630
.LBB12_3680:
	v_mov_b32_e32 v3, 0
	v_cmp_ne_u16_sdwa s[8:9], v4, v3 src0_sel:BYTE_3 src1_sel:DWORD
	s_andn2_b64 s[4:5], s[4:5], exec
	s_and_b64 s[8:9], s[8:9], exec
	s_or_b64 s[4:5], s[4:5], s[8:9]
	s_or_b64 exec, exec, s[6:7]
	s_and_saveexec_b64 s[6:7], s[4:5]
	s_cbranch_execnz .LBB12_1631
	s_branch .LBB12_1632
.LBB12_3681:
	s_movk_i32 s4, 0x80
	v_cmp_eq_u16_sdwa s[12:13], v9, s4 src0_sel:BYTE_0 src1_sel:DWORD
	s_mov_b64 s[4:5], -1
                                        ; implicit-def: $sgpr10
	s_and_saveexec_b64 s[8:9], s[12:13]
; %bb.3682:
	s_mov_b32 s10, 0x7f800001
	s_xor_b64 s[4:5], exec, -1
; %bb.3683:
	s_or_b64 exec, exec, s[8:9]
	s_and_b64 s[4:5], s[4:5], exec
	s_or_saveexec_b64 s[6:7], s[6:7]
	v_mov_b32_e32 v2, s10
	s_xor_b64 exec, exec, s[6:7]
	s_cbranch_execz .LBB12_1634
.LBB12_3684:
	v_mov_b32_e32 v2, 0
	v_cmp_ne_u16_sdwa s[8:9], v9, v2 src0_sel:BYTE_0 src1_sel:DWORD
	s_andn2_b64 s[4:5], s[4:5], exec
	s_and_b64 s[8:9], s[8:9], exec
	s_or_b64 s[4:5], s[4:5], s[8:9]
	s_or_b64 exec, exec, s[6:7]
	s_and_saveexec_b64 s[6:7], s[4:5]
	s_cbranch_execnz .LBB12_1635
	s_branch .LBB12_1636
.LBB12_3685:
	s_movk_i32 s4, 0x80
	v_cmp_eq_u16_sdwa s[12:13], v5, s4 src0_sel:BYTE_0 src1_sel:DWORD
	s_mov_b64 s[4:5], -1
                                        ; implicit-def: $sgpr10
	s_and_saveexec_b64 s[8:9], s[12:13]
; %bb.3686:
	s_mov_b32 s10, 0x7f800001
	s_xor_b64 s[4:5], exec, -1
; %bb.3687:
	s_or_b64 exec, exec, s[8:9]
	s_and_b64 s[4:5], s[4:5], exec
	s_or_saveexec_b64 s[6:7], s[6:7]
	v_mov_b32_e32 v3, s10
	s_xor_b64 exec, exec, s[6:7]
	s_cbranch_execz .LBB12_1638
.LBB12_3688:
	v_mov_b32_e32 v3, 0
	v_cmp_ne_u16_sdwa s[8:9], v5, v3 src0_sel:BYTE_0 src1_sel:DWORD
	s_andn2_b64 s[4:5], s[4:5], exec
	s_and_b64 s[8:9], s[8:9], exec
	s_or_b64 s[4:5], s[4:5], s[8:9]
	s_or_b64 exec, exec, s[6:7]
	s_and_saveexec_b64 s[6:7], s[4:5]
	s_cbranch_execnz .LBB12_1639
	s_branch .LBB12_1640
.LBB12_3689:
	s_movk_i32 s4, 0x80
	v_cmp_eq_u16_sdwa s[12:13], v3, s4 src0_sel:BYTE_0 src1_sel:DWORD
	s_mov_b64 s[4:5], -1
                                        ; implicit-def: $sgpr10
	s_and_saveexec_b64 s[8:9], s[12:13]
; %bb.3690:
	s_mov_b32 s10, 0x7f800001
	s_xor_b64 s[4:5], exec, -1
; %bb.3691:
	s_or_b64 exec, exec, s[8:9]
	s_and_b64 s[4:5], s[4:5], exec
	s_or_saveexec_b64 s[6:7], s[6:7]
	v_mov_b32_e32 v2, s10
	s_xor_b64 exec, exec, s[6:7]
	s_cbranch_execz .LBB12_1642
.LBB12_3692:
	v_mov_b32_e32 v2, 0
	v_cmp_ne_u16_sdwa s[8:9], v3, v2 src0_sel:BYTE_0 src1_sel:DWORD
	s_andn2_b64 s[4:5], s[4:5], exec
	s_and_b64 s[8:9], s[8:9], exec
	s_or_b64 s[4:5], s[4:5], s[8:9]
	s_or_b64 exec, exec, s[6:7]
	s_and_saveexec_b64 s[6:7], s[4:5]
	s_cbranch_execnz .LBB12_1643
	s_branch .LBB12_1644
.LBB12_3693:
	s_movk_i32 s4, 0x80
	v_cmp_eq_u16_sdwa s[12:13], v3, s4 src0_sel:BYTE_0 src1_sel:DWORD
	s_mov_b64 s[4:5], -1
                                        ; implicit-def: $sgpr10
	s_and_saveexec_b64 s[8:9], s[12:13]
; %bb.3694:
	s_mov_b32 s10, 0x7f800001
	s_xor_b64 s[4:5], exec, -1
; %bb.3695:
	s_or_b64 exec, exec, s[8:9]
	s_and_b64 s[4:5], s[4:5], exec
	s_or_saveexec_b64 s[6:7], s[6:7]
	v_mov_b32_e32 v4, s10
	s_xor_b64 exec, exec, s[6:7]
	s_cbranch_execz .LBB12_1646
.LBB12_3696:
	v_mov_b32_e32 v4, 0
	v_cmp_ne_u16_sdwa s[8:9], v3, v4 src0_sel:BYTE_0 src1_sel:DWORD
	s_andn2_b64 s[4:5], s[4:5], exec
	s_and_b64 s[8:9], s[8:9], exec
	s_or_b64 s[4:5], s[4:5], s[8:9]
	s_or_b64 exec, exec, s[6:7]
	s_and_saveexec_b64 s[6:7], s[4:5]
	s_cbranch_execnz .LBB12_1647
	s_branch .LBB12_1648
.LBB12_3697:
	s_movk_i32 s4, 0x80
	v_cmp_eq_u16_e32 vcc, s4, v3
	s_mov_b64 s[4:5], -1
                                        ; implicit-def: $sgpr10
	s_and_saveexec_b64 s[8:9], vcc
; %bb.3698:
	s_mov_b32 s10, 0x7f800001
	s_xor_b64 s[4:5], exec, -1
; %bb.3699:
	s_or_b64 exec, exec, s[8:9]
	s_and_b64 s[4:5], s[4:5], exec
                                        ; implicit-def: $vgpr3
	s_or_saveexec_b64 s[6:7], s[6:7]
	v_mov_b32_e32 v2, s10
	s_xor_b64 exec, exec, s[6:7]
	s_cbranch_execz .LBB12_1650
.LBB12_3700:
	v_cmp_ne_u16_e32 vcc, 0, v3
	s_andn2_b64 s[4:5], s[4:5], exec
	s_and_b64 s[8:9], vcc, exec
	v_mov_b32_e32 v2, 0
	s_or_b64 s[4:5], s[4:5], s[8:9]
	s_or_b64 exec, exec, s[6:7]
	s_and_saveexec_b64 s[6:7], s[4:5]
	s_cbranch_execnz .LBB12_1651
	s_branch .LBB12_1652
.LBB12_3701:
	s_movk_i32 s4, 0x80
	v_cmp_eq_u16_e32 vcc, s4, v3
	s_mov_b64 s[4:5], -1
                                        ; implicit-def: $sgpr10
	s_and_saveexec_b64 s[8:9], vcc
; %bb.3702:
	s_mov_b32 s10, 0x7f800001
	s_xor_b64 s[4:5], exec, -1
; %bb.3703:
	s_or_b64 exec, exec, s[8:9]
	s_and_b64 s[4:5], s[4:5], exec
                                        ; implicit-def: $vgpr3
	s_or_saveexec_b64 s[6:7], s[6:7]
	v_mov_b32_e32 v4, s10
	s_xor_b64 exec, exec, s[6:7]
	s_cbranch_execz .LBB12_1654
.LBB12_3704:
	v_cmp_ne_u16_e32 vcc, 0, v3
	s_andn2_b64 s[4:5], s[4:5], exec
	s_and_b64 s[8:9], vcc, exec
	v_mov_b32_e32 v4, 0
	s_or_b64 s[4:5], s[4:5], s[8:9]
	s_or_b64 exec, exec, s[6:7]
	s_and_saveexec_b64 s[6:7], s[4:5]
	s_cbranch_execnz .LBB12_1655
	s_branch .LBB12_1656
.LBB12_3705:
	s_movk_i32 s4, 0x80
	v_cmp_eq_u16_sdwa s[12:13], v9, s4 src0_sel:BYTE_3 src1_sel:DWORD
	s_mov_b64 s[4:5], -1
                                        ; implicit-def: $sgpr10
	s_and_saveexec_b64 s[8:9], s[12:13]
; %bb.3706:
	s_mov_b32 s10, 0x7f800001
	s_xor_b64 s[4:5], exec, -1
; %bb.3707:
	s_or_b64 exec, exec, s[8:9]
	s_and_b64 s[4:5], s[4:5], exec
	s_or_saveexec_b64 s[6:7], s[6:7]
	v_mov_b32_e32 v2, s10
	s_xor_b64 exec, exec, s[6:7]
	s_cbranch_execz .LBB12_1658
.LBB12_3708:
	v_mov_b32_e32 v2, 0
	v_cmp_ne_u16_sdwa s[8:9], v9, v2 src0_sel:BYTE_3 src1_sel:DWORD
	s_andn2_b64 s[4:5], s[4:5], exec
	s_and_b64 s[8:9], s[8:9], exec
	s_or_b64 s[4:5], s[4:5], s[8:9]
	s_or_b64 exec, exec, s[6:7]
	s_and_saveexec_b64 s[6:7], s[4:5]
	s_cbranch_execnz .LBB12_1659
	s_branch .LBB12_1660
.LBB12_3709:
	s_movk_i32 s4, 0x80
	v_cmp_eq_u16_sdwa s[12:13], v5, s4 src0_sel:BYTE_3 src1_sel:DWORD
	s_mov_b64 s[4:5], -1
                                        ; implicit-def: $sgpr10
	s_and_saveexec_b64 s[8:9], s[12:13]
; %bb.3710:
	s_mov_b32 s10, 0x7f800001
	s_xor_b64 s[4:5], exec, -1
; %bb.3711:
	s_or_b64 exec, exec, s[8:9]
	s_and_b64 s[4:5], s[4:5], exec
	s_or_saveexec_b64 s[6:7], s[6:7]
	v_mov_b32_e32 v3, s10
	s_xor_b64 exec, exec, s[6:7]
	s_cbranch_execz .LBB12_1662
.LBB12_3712:
	v_mov_b32_e32 v3, 0
	v_cmp_ne_u16_sdwa s[8:9], v5, v3 src0_sel:BYTE_3 src1_sel:DWORD
	s_andn2_b64 s[4:5], s[4:5], exec
	s_and_b64 s[8:9], s[8:9], exec
	s_or_b64 s[4:5], s[4:5], s[8:9]
	s_or_b64 exec, exec, s[6:7]
	s_and_saveexec_b64 s[6:7], s[4:5]
	s_cbranch_execnz .LBB12_1663
	s_branch .LBB12_1664
.LBB12_3713:
	s_movk_i32 s4, 0x80
	v_cmp_eq_u16_sdwa s[12:13], v6, s4 src0_sel:BYTE_0 src1_sel:DWORD
	s_mov_b64 s[4:5], -1
                                        ; implicit-def: $sgpr10
	s_and_saveexec_b64 s[8:9], s[12:13]
; %bb.3714:
	s_mov_b32 s10, 0x7f800001
	s_xor_b64 s[4:5], exec, -1
; %bb.3715:
	s_or_b64 exec, exec, s[8:9]
	s_and_b64 s[4:5], s[4:5], exec
	s_or_saveexec_b64 s[6:7], s[6:7]
	v_mov_b32_e32 v12, s10
	s_xor_b64 exec, exec, s[6:7]
	s_cbranch_execz .LBB12_1666
.LBB12_3716:
	v_mov_b32_e32 v12, 0
	v_cmp_ne_u16_sdwa s[8:9], v6, v12 src0_sel:BYTE_0 src1_sel:DWORD
	s_andn2_b64 s[4:5], s[4:5], exec
	s_and_b64 s[8:9], s[8:9], exec
	s_or_b64 s[4:5], s[4:5], s[8:9]
	s_or_b64 exec, exec, s[6:7]
	s_and_saveexec_b64 s[6:7], s[4:5]
	s_cbranch_execnz .LBB12_1667
	s_branch .LBB12_1668
.LBB12_3717:
	s_movk_i32 s4, 0x80
	v_cmp_eq_u16_sdwa s[12:13], v2, s4 src0_sel:BYTE_0 src1_sel:DWORD
	s_mov_b64 s[4:5], -1
                                        ; implicit-def: $sgpr10
	s_and_saveexec_b64 s[8:9], s[12:13]
; %bb.3718:
	s_mov_b32 s10, 0x7f800001
	s_xor_b64 s[4:5], exec, -1
; %bb.3719:
	s_or_b64 exec, exec, s[8:9]
	s_and_b64 s[4:5], s[4:5], exec
	s_or_saveexec_b64 s[6:7], s[6:7]
	v_mov_b32_e32 v13, s10
	s_xor_b64 exec, exec, s[6:7]
	s_cbranch_execz .LBB12_1670
.LBB12_3720:
	v_mov_b32_e32 v13, 0
	v_cmp_ne_u16_sdwa s[8:9], v2, v13 src0_sel:BYTE_0 src1_sel:DWORD
	s_andn2_b64 s[4:5], s[4:5], exec
	s_and_b64 s[8:9], s[8:9], exec
	s_or_b64 s[4:5], s[4:5], s[8:9]
	s_or_b64 exec, exec, s[6:7]
	s_and_saveexec_b64 s[6:7], s[4:5]
	s_cbranch_execnz .LBB12_1671
	s_branch .LBB12_1672
.LBB12_3721:
	s_movk_i32 s4, 0x80
	v_cmp_eq_u16_sdwa s[12:13], v13, s4 src0_sel:BYTE_0 src1_sel:DWORD
	s_mov_b64 s[4:5], -1
                                        ; implicit-def: $sgpr10
	s_and_saveexec_b64 s[8:9], s[12:13]
; %bb.3722:
	s_mov_b32 s10, 0x7f800001
	s_xor_b64 s[4:5], exec, -1
; %bb.3723:
	s_or_b64 exec, exec, s[8:9]
	s_and_b64 s[4:5], s[4:5], exec
	s_or_saveexec_b64 s[6:7], s[6:7]
	v_mov_b32_e32 v12, s10
	s_xor_b64 exec, exec, s[6:7]
	s_cbranch_execz .LBB12_1674
.LBB12_3724:
	v_mov_b32_e32 v12, 0
	v_cmp_ne_u16_sdwa s[8:9], v13, v12 src0_sel:BYTE_0 src1_sel:DWORD
	s_andn2_b64 s[4:5], s[4:5], exec
	s_and_b64 s[8:9], s[8:9], exec
	s_or_b64 s[4:5], s[4:5], s[8:9]
	s_or_b64 exec, exec, s[6:7]
	s_and_saveexec_b64 s[6:7], s[4:5]
	s_cbranch_execnz .LBB12_1675
	s_branch .LBB12_1676
.LBB12_3725:
	s_movk_i32 s4, 0x80
	v_cmp_eq_u16_sdwa s[12:13], v13, s4 src0_sel:BYTE_0 src1_sel:DWORD
	s_mov_b64 s[4:5], -1
                                        ; implicit-def: $sgpr10
	s_and_saveexec_b64 s[8:9], s[12:13]
; %bb.3726:
	s_mov_b32 s10, 0x7f800001
	s_xor_b64 s[4:5], exec, -1
; %bb.3727:
	s_or_b64 exec, exec, s[8:9]
	s_and_b64 s[4:5], s[4:5], exec
	s_or_saveexec_b64 s[6:7], s[6:7]
	v_mov_b32_e32 v14, s10
	s_xor_b64 exec, exec, s[6:7]
	s_cbranch_execz .LBB12_1678
.LBB12_3728:
	v_mov_b32_e32 v14, 0
	v_cmp_ne_u16_sdwa s[8:9], v13, v14 src0_sel:BYTE_0 src1_sel:DWORD
	s_andn2_b64 s[4:5], s[4:5], exec
	s_and_b64 s[8:9], s[8:9], exec
	s_or_b64 s[4:5], s[4:5], s[8:9]
	s_or_b64 exec, exec, s[6:7]
	s_and_saveexec_b64 s[6:7], s[4:5]
	s_cbranch_execnz .LBB12_1679
	s_branch .LBB12_1680
.LBB12_3729:
	s_movk_i32 s4, 0x80
	v_cmp_eq_u16_e32 vcc, s4, v13
	s_mov_b64 s[4:5], -1
                                        ; implicit-def: $sgpr10
	s_and_saveexec_b64 s[8:9], vcc
; %bb.3730:
	s_mov_b32 s10, 0x7f800001
	s_xor_b64 s[4:5], exec, -1
; %bb.3731:
	s_or_b64 exec, exec, s[8:9]
	s_and_b64 s[4:5], s[4:5], exec
                                        ; implicit-def: $vgpr13
	s_or_saveexec_b64 s[6:7], s[6:7]
	v_mov_b32_e32 v12, s10
	s_xor_b64 exec, exec, s[6:7]
	s_cbranch_execz .LBB12_1682
.LBB12_3732:
	v_cmp_ne_u16_e32 vcc, 0, v13
	s_andn2_b64 s[4:5], s[4:5], exec
	s_and_b64 s[8:9], vcc, exec
	v_mov_b32_e32 v12, 0
	s_or_b64 s[4:5], s[4:5], s[8:9]
	s_or_b64 exec, exec, s[6:7]
	s_and_saveexec_b64 s[6:7], s[4:5]
	s_cbranch_execnz .LBB12_1683
	s_branch .LBB12_1684
.LBB12_3733:
	s_movk_i32 s4, 0x80
	v_cmp_eq_u16_e32 vcc, s4, v13
	s_mov_b64 s[4:5], -1
                                        ; implicit-def: $sgpr10
	s_and_saveexec_b64 s[8:9], vcc
; %bb.3734:
	s_mov_b32 s10, 0x7f800001
	s_xor_b64 s[4:5], exec, -1
; %bb.3735:
	s_or_b64 exec, exec, s[8:9]
	s_and_b64 s[4:5], s[4:5], exec
                                        ; implicit-def: $vgpr13
	s_or_saveexec_b64 s[6:7], s[6:7]
	v_mov_b32_e32 v14, s10
	s_xor_b64 exec, exec, s[6:7]
	s_cbranch_execz .LBB12_1686
.LBB12_3736:
	v_cmp_ne_u16_e32 vcc, 0, v13
	s_andn2_b64 s[4:5], s[4:5], exec
	s_and_b64 s[8:9], vcc, exec
	v_mov_b32_e32 v14, 0
	s_or_b64 s[4:5], s[4:5], s[8:9]
	s_or_b64 exec, exec, s[6:7]
	s_and_saveexec_b64 s[6:7], s[4:5]
	s_cbranch_execnz .LBB12_1687
	s_branch .LBB12_1688
.LBB12_3737:
	s_movk_i32 s4, 0x80
	v_cmp_eq_u16_sdwa s[12:13], v6, s4 src0_sel:BYTE_3 src1_sel:DWORD
	s_mov_b64 s[4:5], -1
                                        ; implicit-def: $sgpr10
	s_and_saveexec_b64 s[8:9], s[12:13]
; %bb.3738:
	s_mov_b32 s10, 0x7f800001
	s_xor_b64 s[4:5], exec, -1
; %bb.3739:
	s_or_b64 exec, exec, s[8:9]
	s_and_b64 s[4:5], s[4:5], exec
	s_or_saveexec_b64 s[6:7], s[6:7]
	v_mov_b32_e32 v12, s10
	s_xor_b64 exec, exec, s[6:7]
	s_cbranch_execz .LBB12_1690
.LBB12_3740:
	v_mov_b32_e32 v12, 0
	v_cmp_ne_u16_sdwa s[8:9], v6, v12 src0_sel:BYTE_3 src1_sel:DWORD
	s_andn2_b64 s[4:5], s[4:5], exec
	s_and_b64 s[8:9], s[8:9], exec
	s_or_b64 s[4:5], s[4:5], s[8:9]
	s_or_b64 exec, exec, s[6:7]
	s_and_saveexec_b64 s[6:7], s[4:5]
	s_cbranch_execnz .LBB12_1691
	s_branch .LBB12_1692
.LBB12_3741:
	s_movk_i32 s4, 0x80
	v_cmp_eq_u16_sdwa s[12:13], v2, s4 src0_sel:BYTE_3 src1_sel:DWORD
	s_mov_b64 s[4:5], -1
                                        ; implicit-def: $sgpr10
	s_and_saveexec_b64 s[8:9], s[12:13]
; %bb.3742:
	s_mov_b32 s10, 0x7f800001
	s_xor_b64 s[4:5], exec, -1
; %bb.3743:
	s_or_b64 exec, exec, s[8:9]
	s_and_b64 s[4:5], s[4:5], exec
	s_or_saveexec_b64 s[6:7], s[6:7]
	v_mov_b32_e32 v6, s10
	s_xor_b64 exec, exec, s[6:7]
	s_cbranch_execz .LBB12_1694
.LBB12_3744:
	v_mov_b32_e32 v6, 0
	v_cmp_ne_u16_sdwa s[8:9], v2, v6 src0_sel:BYTE_3 src1_sel:DWORD
	s_andn2_b64 s[4:5], s[4:5], exec
	s_and_b64 s[8:9], s[8:9], exec
	s_or_b64 s[4:5], s[4:5], s[8:9]
	s_or_b64 exec, exec, s[6:7]
	s_and_saveexec_b64 s[6:7], s[4:5]
	s_cbranch_execnz .LBB12_1695
	s_branch .LBB12_1696
.LBB12_3745:
	s_movk_i32 s4, 0x80
	v_cmp_eq_u16_sdwa s[12:13], v7, s4 src0_sel:BYTE_0 src1_sel:DWORD
	s_mov_b64 s[4:5], -1
                                        ; implicit-def: $sgpr10
	s_and_saveexec_b64 s[8:9], s[12:13]
; %bb.3746:
	s_mov_b32 s10, 0x7f800001
	s_xor_b64 s[4:5], exec, -1
; %bb.3747:
	s_or_b64 exec, exec, s[8:9]
	s_and_b64 s[4:5], s[4:5], exec
	s_or_saveexec_b64 s[6:7], s[6:7]
	v_mov_b32_e32 v2, s10
	s_xor_b64 exec, exec, s[6:7]
	s_cbranch_execz .LBB12_1698
.LBB12_3748:
	v_mov_b32_e32 v2, 0
	v_cmp_ne_u16_sdwa s[8:9], v7, v2 src0_sel:BYTE_0 src1_sel:DWORD
	s_andn2_b64 s[4:5], s[4:5], exec
	s_and_b64 s[8:9], s[8:9], exec
	s_or_b64 s[4:5], s[4:5], s[8:9]
	s_or_b64 exec, exec, s[6:7]
	s_and_saveexec_b64 s[6:7], s[4:5]
	s_cbranch_execnz .LBB12_1699
	s_branch .LBB12_1700
.LBB12_3749:
	s_movk_i32 s4, 0x80
	v_cmp_eq_u16_sdwa s[12:13], v3, s4 src0_sel:BYTE_0 src1_sel:DWORD
	s_mov_b64 s[4:5], -1
                                        ; implicit-def: $sgpr10
	s_and_saveexec_b64 s[8:9], s[12:13]
; %bb.3750:
	s_mov_b32 s10, 0x7f800001
	s_xor_b64 s[4:5], exec, -1
; %bb.3751:
	s_or_b64 exec, exec, s[8:9]
	s_and_b64 s[4:5], s[4:5], exec
	s_or_saveexec_b64 s[6:7], s[6:7]
	v_mov_b32_e32 v6, s10
	s_xor_b64 exec, exec, s[6:7]
	s_cbranch_execz .LBB12_1702
.LBB12_3752:
	v_mov_b32_e32 v6, 0
	v_cmp_ne_u16_sdwa s[8:9], v3, v6 src0_sel:BYTE_0 src1_sel:DWORD
	s_andn2_b64 s[4:5], s[4:5], exec
	s_and_b64 s[8:9], s[8:9], exec
	s_or_b64 s[4:5], s[4:5], s[8:9]
	s_or_b64 exec, exec, s[6:7]
	s_and_saveexec_b64 s[6:7], s[4:5]
	s_cbranch_execnz .LBB12_1703
	s_branch .LBB12_1704
.LBB12_3753:
	s_movk_i32 s4, 0x80
	v_cmp_eq_u16_sdwa s[12:13], v6, s4 src0_sel:BYTE_0 src1_sel:DWORD
	s_mov_b64 s[4:5], -1
                                        ; implicit-def: $sgpr10
	s_and_saveexec_b64 s[8:9], s[12:13]
; %bb.3754:
	s_mov_b32 s10, 0x7f800001
	s_xor_b64 s[4:5], exec, -1
; %bb.3755:
	s_or_b64 exec, exec, s[8:9]
	s_and_b64 s[4:5], s[4:5], exec
	s_or_saveexec_b64 s[6:7], s[6:7]
	v_mov_b32_e32 v2, s10
	s_xor_b64 exec, exec, s[6:7]
	s_cbranch_execz .LBB12_1706
.LBB12_3756:
	v_mov_b32_e32 v2, 0
	v_cmp_ne_u16_sdwa s[8:9], v6, v2 src0_sel:BYTE_0 src1_sel:DWORD
	s_andn2_b64 s[4:5], s[4:5], exec
	s_and_b64 s[8:9], s[8:9], exec
	s_or_b64 s[4:5], s[4:5], s[8:9]
	s_or_b64 exec, exec, s[6:7]
	s_and_saveexec_b64 s[6:7], s[4:5]
	s_cbranch_execnz .LBB12_1707
	s_branch .LBB12_1708
.LBB12_3757:
	s_movk_i32 s4, 0x80
	v_cmp_eq_u16_sdwa s[12:13], v6, s4 src0_sel:BYTE_0 src1_sel:DWORD
	s_mov_b64 s[4:5], -1
                                        ; implicit-def: $sgpr10
	s_and_saveexec_b64 s[8:9], s[12:13]
; %bb.3758:
	s_mov_b32 s10, 0x7f800001
	s_xor_b64 s[4:5], exec, -1
; %bb.3759:
	s_or_b64 exec, exec, s[8:9]
	s_and_b64 s[4:5], s[4:5], exec
	s_or_saveexec_b64 s[6:7], s[6:7]
	v_mov_b32_e32 v12, s10
	s_xor_b64 exec, exec, s[6:7]
	s_cbranch_execz .LBB12_1710
.LBB12_3760:
	v_mov_b32_e32 v12, 0
	v_cmp_ne_u16_sdwa s[8:9], v6, v12 src0_sel:BYTE_0 src1_sel:DWORD
	s_andn2_b64 s[4:5], s[4:5], exec
	s_and_b64 s[8:9], s[8:9], exec
	s_or_b64 s[4:5], s[4:5], s[8:9]
	s_or_b64 exec, exec, s[6:7]
	s_and_saveexec_b64 s[6:7], s[4:5]
	s_cbranch_execnz .LBB12_1711
	s_branch .LBB12_1712
.LBB12_3761:
	s_movk_i32 s4, 0x80
	v_cmp_eq_u16_e32 vcc, s4, v6
	s_mov_b64 s[4:5], -1
                                        ; implicit-def: $sgpr10
	s_and_saveexec_b64 s[8:9], vcc
; %bb.3762:
	s_mov_b32 s10, 0x7f800001
	s_xor_b64 s[4:5], exec, -1
; %bb.3763:
	s_or_b64 exec, exec, s[8:9]
	s_and_b64 s[4:5], s[4:5], exec
                                        ; implicit-def: $vgpr6
	s_or_saveexec_b64 s[6:7], s[6:7]
	v_mov_b32_e32 v2, s10
	s_xor_b64 exec, exec, s[6:7]
	s_cbranch_execz .LBB12_1714
.LBB12_3764:
	v_cmp_ne_u16_e32 vcc, 0, v6
	s_andn2_b64 s[4:5], s[4:5], exec
	s_and_b64 s[8:9], vcc, exec
	v_mov_b32_e32 v2, 0
	s_or_b64 s[4:5], s[4:5], s[8:9]
	s_or_b64 exec, exec, s[6:7]
	s_and_saveexec_b64 s[6:7], s[4:5]
	s_cbranch_execnz .LBB12_1715
	s_branch .LBB12_1716
.LBB12_3765:
	s_movk_i32 s4, 0x80
	v_cmp_eq_u16_e32 vcc, s4, v6
	s_mov_b64 s[4:5], -1
                                        ; implicit-def: $sgpr10
	s_and_saveexec_b64 s[8:9], vcc
; %bb.3766:
	s_mov_b32 s10, 0x7f800001
	s_xor_b64 s[4:5], exec, -1
; %bb.3767:
	s_or_b64 exec, exec, s[8:9]
	s_and_b64 s[4:5], s[4:5], exec
                                        ; implicit-def: $vgpr6
	s_or_saveexec_b64 s[6:7], s[6:7]
	v_mov_b32_e32 v12, s10
	s_xor_b64 exec, exec, s[6:7]
	s_cbranch_execz .LBB12_1718
.LBB12_3768:
	v_cmp_ne_u16_e32 vcc, 0, v6
	s_andn2_b64 s[4:5], s[4:5], exec
	s_and_b64 s[8:9], vcc, exec
	v_mov_b32_e32 v12, 0
	s_or_b64 s[4:5], s[4:5], s[8:9]
	s_or_b64 exec, exec, s[6:7]
	s_and_saveexec_b64 s[6:7], s[4:5]
	s_cbranch_execnz .LBB12_1719
	s_branch .LBB12_1720
.LBB12_3769:
	s_movk_i32 s4, 0x80
	v_cmp_eq_u16_sdwa s[12:13], v7, s4 src0_sel:BYTE_3 src1_sel:DWORD
	s_mov_b64 s[4:5], -1
                                        ; implicit-def: $sgpr10
	s_and_saveexec_b64 s[8:9], s[12:13]
; %bb.3770:
	s_mov_b32 s10, 0x7f800001
	s_xor_b64 s[4:5], exec, -1
; %bb.3771:
	s_or_b64 exec, exec, s[8:9]
	s_and_b64 s[4:5], s[4:5], exec
	s_or_saveexec_b64 s[6:7], s[6:7]
	v_mov_b32_e32 v2, s10
	s_xor_b64 exec, exec, s[6:7]
	s_cbranch_execz .LBB12_1722
.LBB12_3772:
	v_mov_b32_e32 v2, 0
	v_cmp_ne_u16_sdwa s[8:9], v7, v2 src0_sel:BYTE_3 src1_sel:DWORD
	s_andn2_b64 s[4:5], s[4:5], exec
	s_and_b64 s[8:9], s[8:9], exec
	s_or_b64 s[4:5], s[4:5], s[8:9]
	s_or_b64 exec, exec, s[6:7]
	s_and_saveexec_b64 s[6:7], s[4:5]
	s_cbranch_execnz .LBB12_1723
	s_branch .LBB12_1724
.LBB12_3773:
	s_movk_i32 s4, 0x80
	v_cmp_eq_u16_sdwa s[12:13], v3, s4 src0_sel:BYTE_3 src1_sel:DWORD
	s_mov_b64 s[4:5], -1
                                        ; implicit-def: $sgpr10
	s_and_saveexec_b64 s[8:9], s[12:13]
; %bb.3774:
	s_mov_b32 s10, 0x7f800001
	s_xor_b64 s[4:5], exec, -1
; %bb.3775:
	s_or_b64 exec, exec, s[8:9]
	s_and_b64 s[4:5], s[4:5], exec
	s_or_saveexec_b64 s[6:7], s[6:7]
	v_mov_b32_e32 v6, s10
	s_xor_b64 exec, exec, s[6:7]
	s_cbranch_execz .LBB12_1726
.LBB12_3776:
	v_mov_b32_e32 v6, 0
	v_cmp_ne_u16_sdwa s[8:9], v3, v6 src0_sel:BYTE_3 src1_sel:DWORD
	s_andn2_b64 s[4:5], s[4:5], exec
	s_and_b64 s[8:9], s[8:9], exec
	s_or_b64 s[4:5], s[4:5], s[8:9]
	s_or_b64 exec, exec, s[6:7]
	s_and_saveexec_b64 s[6:7], s[4:5]
	s_cbranch_execnz .LBB12_1727
	s_branch .LBB12_1728
.LBB12_3777:
	s_movk_i32 s4, 0x80
	v_cmp_eq_u16_sdwa s[12:13], v8, s4 src0_sel:BYTE_0 src1_sel:DWORD
	s_mov_b64 s[4:5], -1
                                        ; implicit-def: $sgpr10
	s_and_saveexec_b64 s[8:9], s[12:13]
; %bb.3778:
	s_mov_b32 s10, 0x7f800001
	s_xor_b64 s[4:5], exec, -1
; %bb.3779:
	s_or_b64 exec, exec, s[8:9]
	s_and_b64 s[4:5], s[4:5], exec
	s_or_saveexec_b64 s[6:7], s[6:7]
	v_mov_b32_e32 v2, s10
	s_xor_b64 exec, exec, s[6:7]
	s_cbranch_execz .LBB12_1730
.LBB12_3780:
	v_mov_b32_e32 v2, 0
	v_cmp_ne_u16_sdwa s[8:9], v8, v2 src0_sel:BYTE_0 src1_sel:DWORD
	s_andn2_b64 s[4:5], s[4:5], exec
	s_and_b64 s[8:9], s[8:9], exec
	s_or_b64 s[4:5], s[4:5], s[8:9]
	s_or_b64 exec, exec, s[6:7]
	s_and_saveexec_b64 s[6:7], s[4:5]
	s_cbranch_execnz .LBB12_1731
	s_branch .LBB12_1732
.LBB12_3781:
	s_movk_i32 s4, 0x80
	v_cmp_eq_u16_sdwa s[12:13], v4, s4 src0_sel:BYTE_0 src1_sel:DWORD
	s_mov_b64 s[4:5], -1
                                        ; implicit-def: $sgpr10
	s_and_saveexec_b64 s[8:9], s[12:13]
; %bb.3782:
	s_mov_b32 s10, 0x7f800001
	s_xor_b64 s[4:5], exec, -1
; %bb.3783:
	s_or_b64 exec, exec, s[8:9]
	s_and_b64 s[4:5], s[4:5], exec
	s_or_saveexec_b64 s[6:7], s[6:7]
	v_mov_b32_e32 v3, s10
	s_xor_b64 exec, exec, s[6:7]
	s_cbranch_execz .LBB12_1734
.LBB12_3784:
	v_mov_b32_e32 v3, 0
	v_cmp_ne_u16_sdwa s[8:9], v4, v3 src0_sel:BYTE_0 src1_sel:DWORD
	s_andn2_b64 s[4:5], s[4:5], exec
	s_and_b64 s[8:9], s[8:9], exec
	s_or_b64 s[4:5], s[4:5], s[8:9]
	s_or_b64 exec, exec, s[6:7]
	s_and_saveexec_b64 s[6:7], s[4:5]
	s_cbranch_execnz .LBB12_1735
	s_branch .LBB12_1736
.LBB12_3785:
	s_movk_i32 s4, 0x80
	v_cmp_eq_u16_sdwa s[12:13], v3, s4 src0_sel:BYTE_0 src1_sel:DWORD
	s_mov_b64 s[4:5], -1
                                        ; implicit-def: $sgpr10
	s_and_saveexec_b64 s[8:9], s[12:13]
; %bb.3786:
	s_mov_b32 s10, 0x7f800001
	s_xor_b64 s[4:5], exec, -1
; %bb.3787:
	s_or_b64 exec, exec, s[8:9]
	s_and_b64 s[4:5], s[4:5], exec
	s_or_saveexec_b64 s[6:7], s[6:7]
	v_mov_b32_e32 v2, s10
	s_xor_b64 exec, exec, s[6:7]
	s_cbranch_execz .LBB12_1738
.LBB12_3788:
	v_mov_b32_e32 v2, 0
	v_cmp_ne_u16_sdwa s[8:9], v3, v2 src0_sel:BYTE_0 src1_sel:DWORD
	s_andn2_b64 s[4:5], s[4:5], exec
	s_and_b64 s[8:9], s[8:9], exec
	s_or_b64 s[4:5], s[4:5], s[8:9]
	s_or_b64 exec, exec, s[6:7]
	s_and_saveexec_b64 s[6:7], s[4:5]
	s_cbranch_execnz .LBB12_1739
	s_branch .LBB12_1740
.LBB12_3789:
	s_movk_i32 s4, 0x80
	v_cmp_eq_u16_sdwa s[12:13], v3, s4 src0_sel:BYTE_0 src1_sel:DWORD
	s_mov_b64 s[4:5], -1
                                        ; implicit-def: $sgpr10
	s_and_saveexec_b64 s[8:9], s[12:13]
; %bb.3790:
	s_mov_b32 s10, 0x7f800001
	s_xor_b64 s[4:5], exec, -1
; %bb.3791:
	s_or_b64 exec, exec, s[8:9]
	s_and_b64 s[4:5], s[4:5], exec
	s_or_saveexec_b64 s[6:7], s[6:7]
	v_mov_b32_e32 v6, s10
	s_xor_b64 exec, exec, s[6:7]
	s_cbranch_execz .LBB12_1742
.LBB12_3792:
	v_mov_b32_e32 v6, 0
	v_cmp_ne_u16_sdwa s[8:9], v3, v6 src0_sel:BYTE_0 src1_sel:DWORD
	s_andn2_b64 s[4:5], s[4:5], exec
	s_and_b64 s[8:9], s[8:9], exec
	s_or_b64 s[4:5], s[4:5], s[8:9]
	s_or_b64 exec, exec, s[6:7]
	s_and_saveexec_b64 s[6:7], s[4:5]
	s_cbranch_execnz .LBB12_1743
	s_branch .LBB12_1744
.LBB12_3793:
	s_movk_i32 s4, 0x80
	v_cmp_eq_u16_e32 vcc, s4, v3
	s_mov_b64 s[4:5], -1
                                        ; implicit-def: $sgpr10
	s_and_saveexec_b64 s[8:9], vcc
; %bb.3794:
	s_mov_b32 s10, 0x7f800001
	s_xor_b64 s[4:5], exec, -1
; %bb.3795:
	s_or_b64 exec, exec, s[8:9]
	s_and_b64 s[4:5], s[4:5], exec
                                        ; implicit-def: $vgpr3
	s_or_saveexec_b64 s[6:7], s[6:7]
	v_mov_b32_e32 v2, s10
	s_xor_b64 exec, exec, s[6:7]
	s_cbranch_execz .LBB12_1746
.LBB12_3796:
	v_cmp_ne_u16_e32 vcc, 0, v3
	s_andn2_b64 s[4:5], s[4:5], exec
	s_and_b64 s[8:9], vcc, exec
	v_mov_b32_e32 v2, 0
	s_or_b64 s[4:5], s[4:5], s[8:9]
	s_or_b64 exec, exec, s[6:7]
	s_and_saveexec_b64 s[6:7], s[4:5]
	s_cbranch_execnz .LBB12_1747
	s_branch .LBB12_1748
.LBB12_3797:
	s_movk_i32 s4, 0x80
	v_cmp_eq_u16_e32 vcc, s4, v3
	s_mov_b64 s[4:5], -1
                                        ; implicit-def: $sgpr10
	s_and_saveexec_b64 s[8:9], vcc
; %bb.3798:
	s_mov_b32 s10, 0x7f800001
	s_xor_b64 s[4:5], exec, -1
; %bb.3799:
	s_or_b64 exec, exec, s[8:9]
	s_and_b64 s[4:5], s[4:5], exec
                                        ; implicit-def: $vgpr3
	s_or_saveexec_b64 s[6:7], s[6:7]
	v_mov_b32_e32 v6, s10
	s_xor_b64 exec, exec, s[6:7]
	s_cbranch_execz .LBB12_1750
.LBB12_3800:
	v_cmp_ne_u16_e32 vcc, 0, v3
	s_andn2_b64 s[4:5], s[4:5], exec
	s_and_b64 s[8:9], vcc, exec
	v_mov_b32_e32 v6, 0
	s_or_b64 s[4:5], s[4:5], s[8:9]
	s_or_b64 exec, exec, s[6:7]
	s_and_saveexec_b64 s[6:7], s[4:5]
	s_cbranch_execnz .LBB12_1751
	s_branch .LBB12_1752
.LBB12_3801:
	s_movk_i32 s4, 0x80
	v_cmp_eq_u16_sdwa s[12:13], v8, s4 src0_sel:BYTE_3 src1_sel:DWORD
	s_mov_b64 s[4:5], -1
                                        ; implicit-def: $sgpr10
	s_and_saveexec_b64 s[8:9], s[12:13]
; %bb.3802:
	s_mov_b32 s10, 0x7f800001
	s_xor_b64 s[4:5], exec, -1
; %bb.3803:
	s_or_b64 exec, exec, s[8:9]
	s_and_b64 s[4:5], s[4:5], exec
	s_or_saveexec_b64 s[6:7], s[6:7]
	v_mov_b32_e32 v2, s10
	s_xor_b64 exec, exec, s[6:7]
	s_cbranch_execz .LBB12_1754
.LBB12_3804:
	v_mov_b32_e32 v2, 0
	v_cmp_ne_u16_sdwa s[8:9], v8, v2 src0_sel:BYTE_3 src1_sel:DWORD
	s_andn2_b64 s[4:5], s[4:5], exec
	s_and_b64 s[8:9], s[8:9], exec
	s_or_b64 s[4:5], s[4:5], s[8:9]
	s_or_b64 exec, exec, s[6:7]
	s_and_saveexec_b64 s[6:7], s[4:5]
	s_cbranch_execnz .LBB12_1755
	s_branch .LBB12_1756
.LBB12_3805:
	s_movk_i32 s4, 0x80
	v_cmp_eq_u16_sdwa s[12:13], v4, s4 src0_sel:BYTE_3 src1_sel:DWORD
	s_mov_b64 s[4:5], -1
                                        ; implicit-def: $sgpr10
	s_and_saveexec_b64 s[8:9], s[12:13]
; %bb.3806:
	s_mov_b32 s10, 0x7f800001
	s_xor_b64 s[4:5], exec, -1
; %bb.3807:
	s_or_b64 exec, exec, s[8:9]
	s_and_b64 s[4:5], s[4:5], exec
	s_or_saveexec_b64 s[6:7], s[6:7]
	v_mov_b32_e32 v3, s10
	s_xor_b64 exec, exec, s[6:7]
	s_cbranch_execz .LBB12_1758
.LBB12_3808:
	v_mov_b32_e32 v3, 0
	v_cmp_ne_u16_sdwa s[8:9], v4, v3 src0_sel:BYTE_3 src1_sel:DWORD
	s_andn2_b64 s[4:5], s[4:5], exec
	s_and_b64 s[8:9], s[8:9], exec
	s_or_b64 s[4:5], s[4:5], s[8:9]
	s_or_b64 exec, exec, s[6:7]
	s_and_saveexec_b64 s[6:7], s[4:5]
	s_cbranch_execnz .LBB12_1759
	s_branch .LBB12_1760
.LBB12_3809:
	s_movk_i32 s4, 0x80
	v_cmp_eq_u16_sdwa s[12:13], v9, s4 src0_sel:BYTE_0 src1_sel:DWORD
	s_mov_b64 s[4:5], -1
                                        ; implicit-def: $sgpr10
	s_and_saveexec_b64 s[8:9], s[12:13]
; %bb.3810:
	s_mov_b32 s10, 0x7f800001
	s_xor_b64 s[4:5], exec, -1
; %bb.3811:
	s_or_b64 exec, exec, s[8:9]
	s_and_b64 s[4:5], s[4:5], exec
	s_or_saveexec_b64 s[6:7], s[6:7]
	v_mov_b32_e32 v2, s10
	s_xor_b64 exec, exec, s[6:7]
	s_cbranch_execz .LBB12_1762
.LBB12_3812:
	v_mov_b32_e32 v2, 0
	v_cmp_ne_u16_sdwa s[8:9], v9, v2 src0_sel:BYTE_0 src1_sel:DWORD
	s_andn2_b64 s[4:5], s[4:5], exec
	s_and_b64 s[8:9], s[8:9], exec
	s_or_b64 s[4:5], s[4:5], s[8:9]
	s_or_b64 exec, exec, s[6:7]
	s_and_saveexec_b64 s[6:7], s[4:5]
	s_cbranch_execnz .LBB12_1763
	s_branch .LBB12_1764
.LBB12_3813:
	s_movk_i32 s4, 0x80
	v_cmp_eq_u16_sdwa s[12:13], v5, s4 src0_sel:BYTE_0 src1_sel:DWORD
	s_mov_b64 s[4:5], -1
                                        ; implicit-def: $sgpr10
	s_and_saveexec_b64 s[8:9], s[12:13]
; %bb.3814:
	s_mov_b32 s10, 0x7f800001
	s_xor_b64 s[4:5], exec, -1
; %bb.3815:
	s_or_b64 exec, exec, s[8:9]
	s_and_b64 s[4:5], s[4:5], exec
	s_or_saveexec_b64 s[6:7], s[6:7]
	v_mov_b32_e32 v3, s10
	s_xor_b64 exec, exec, s[6:7]
	s_cbranch_execz .LBB12_1766
.LBB12_3816:
	v_mov_b32_e32 v3, 0
	v_cmp_ne_u16_sdwa s[8:9], v5, v3 src0_sel:BYTE_0 src1_sel:DWORD
	s_andn2_b64 s[4:5], s[4:5], exec
	s_and_b64 s[8:9], s[8:9], exec
	s_or_b64 s[4:5], s[4:5], s[8:9]
	s_or_b64 exec, exec, s[6:7]
	s_and_saveexec_b64 s[6:7], s[4:5]
	s_cbranch_execnz .LBB12_1767
	s_branch .LBB12_1768
.LBB12_3817:
	s_movk_i32 s4, 0x80
	v_cmp_eq_u16_sdwa s[12:13], v3, s4 src0_sel:BYTE_0 src1_sel:DWORD
	s_mov_b64 s[4:5], -1
                                        ; implicit-def: $sgpr10
	s_and_saveexec_b64 s[8:9], s[12:13]
; %bb.3818:
	s_mov_b32 s10, 0x7f800001
	s_xor_b64 s[4:5], exec, -1
; %bb.3819:
	s_or_b64 exec, exec, s[8:9]
	s_and_b64 s[4:5], s[4:5], exec
	s_or_saveexec_b64 s[6:7], s[6:7]
	v_mov_b32_e32 v2, s10
	s_xor_b64 exec, exec, s[6:7]
	s_cbranch_execz .LBB12_1770
.LBB12_3820:
	v_mov_b32_e32 v2, 0
	v_cmp_ne_u16_sdwa s[8:9], v3, v2 src0_sel:BYTE_0 src1_sel:DWORD
	s_andn2_b64 s[4:5], s[4:5], exec
	s_and_b64 s[8:9], s[8:9], exec
	s_or_b64 s[4:5], s[4:5], s[8:9]
	s_or_b64 exec, exec, s[6:7]
	s_and_saveexec_b64 s[6:7], s[4:5]
	s_cbranch_execnz .LBB12_1771
	s_branch .LBB12_1772
.LBB12_3821:
	s_movk_i32 s4, 0x80
	v_cmp_eq_u16_sdwa s[12:13], v3, s4 src0_sel:BYTE_0 src1_sel:DWORD
	s_mov_b64 s[4:5], -1
                                        ; implicit-def: $sgpr10
	s_and_saveexec_b64 s[8:9], s[12:13]
; %bb.3822:
	s_mov_b32 s10, 0x7f800001
	s_xor_b64 s[4:5], exec, -1
; %bb.3823:
	s_or_b64 exec, exec, s[8:9]
	s_and_b64 s[4:5], s[4:5], exec
	s_or_saveexec_b64 s[6:7], s[6:7]
	v_mov_b32_e32 v4, s10
	s_xor_b64 exec, exec, s[6:7]
	s_cbranch_execz .LBB12_1774
.LBB12_3824:
	v_mov_b32_e32 v4, 0
	v_cmp_ne_u16_sdwa s[8:9], v3, v4 src0_sel:BYTE_0 src1_sel:DWORD
	s_andn2_b64 s[4:5], s[4:5], exec
	s_and_b64 s[8:9], s[8:9], exec
	s_or_b64 s[4:5], s[4:5], s[8:9]
	s_or_b64 exec, exec, s[6:7]
	s_and_saveexec_b64 s[6:7], s[4:5]
	s_cbranch_execnz .LBB12_1775
	s_branch .LBB12_1776
.LBB12_3825:
	s_movk_i32 s4, 0x80
	v_cmp_eq_u16_e32 vcc, s4, v3
	s_mov_b64 s[4:5], -1
                                        ; implicit-def: $sgpr10
	s_and_saveexec_b64 s[8:9], vcc
; %bb.3826:
	s_mov_b32 s10, 0x7f800001
	s_xor_b64 s[4:5], exec, -1
; %bb.3827:
	s_or_b64 exec, exec, s[8:9]
	s_and_b64 s[4:5], s[4:5], exec
                                        ; implicit-def: $vgpr3
	s_or_saveexec_b64 s[6:7], s[6:7]
	v_mov_b32_e32 v2, s10
	s_xor_b64 exec, exec, s[6:7]
	s_cbranch_execz .LBB12_1778
.LBB12_3828:
	v_cmp_ne_u16_e32 vcc, 0, v3
	s_andn2_b64 s[4:5], s[4:5], exec
	s_and_b64 s[8:9], vcc, exec
	v_mov_b32_e32 v2, 0
	s_or_b64 s[4:5], s[4:5], s[8:9]
	s_or_b64 exec, exec, s[6:7]
	s_and_saveexec_b64 s[6:7], s[4:5]
	s_cbranch_execnz .LBB12_1779
	s_branch .LBB12_1780
.LBB12_3829:
	s_movk_i32 s4, 0x80
	v_cmp_eq_u16_e32 vcc, s4, v3
	s_mov_b64 s[4:5], -1
                                        ; implicit-def: $sgpr10
	s_and_saveexec_b64 s[8:9], vcc
; %bb.3830:
	s_mov_b32 s10, 0x7f800001
	s_xor_b64 s[4:5], exec, -1
; %bb.3831:
	s_or_b64 exec, exec, s[8:9]
	s_and_b64 s[4:5], s[4:5], exec
                                        ; implicit-def: $vgpr3
	s_or_saveexec_b64 s[6:7], s[6:7]
	v_mov_b32_e32 v4, s10
	s_xor_b64 exec, exec, s[6:7]
	s_cbranch_execz .LBB12_1782
.LBB12_3832:
	v_cmp_ne_u16_e32 vcc, 0, v3
	s_andn2_b64 s[4:5], s[4:5], exec
	s_and_b64 s[8:9], vcc, exec
	v_mov_b32_e32 v4, 0
	s_or_b64 s[4:5], s[4:5], s[8:9]
	s_or_b64 exec, exec, s[6:7]
	s_and_saveexec_b64 s[6:7], s[4:5]
	s_cbranch_execnz .LBB12_1783
	s_branch .LBB12_1784
.LBB12_3833:
	s_movk_i32 s4, 0x80
	v_cmp_eq_u16_sdwa s[12:13], v9, s4 src0_sel:BYTE_3 src1_sel:DWORD
	s_mov_b64 s[4:5], -1
                                        ; implicit-def: $sgpr10
	s_and_saveexec_b64 s[8:9], s[12:13]
; %bb.3834:
	s_mov_b32 s10, 0x7f800001
	s_xor_b64 s[4:5], exec, -1
; %bb.3835:
	s_or_b64 exec, exec, s[8:9]
	s_and_b64 s[4:5], s[4:5], exec
	s_or_saveexec_b64 s[6:7], s[6:7]
	v_mov_b32_e32 v2, s10
	s_xor_b64 exec, exec, s[6:7]
	s_cbranch_execz .LBB12_1786
.LBB12_3836:
	v_mov_b32_e32 v2, 0
	v_cmp_ne_u16_sdwa s[8:9], v9, v2 src0_sel:BYTE_3 src1_sel:DWORD
	s_andn2_b64 s[4:5], s[4:5], exec
	s_and_b64 s[8:9], s[8:9], exec
	s_or_b64 s[4:5], s[4:5], s[8:9]
	s_or_b64 exec, exec, s[6:7]
	s_and_saveexec_b64 s[6:7], s[4:5]
	s_cbranch_execnz .LBB12_1787
	s_branch .LBB12_1788
.LBB12_3837:
	s_movk_i32 s4, 0x80
	v_cmp_eq_u16_sdwa s[12:13], v5, s4 src0_sel:BYTE_3 src1_sel:DWORD
	s_mov_b64 s[4:5], -1
                                        ; implicit-def: $sgpr10
	s_and_saveexec_b64 s[8:9], s[12:13]
; %bb.3838:
	s_mov_b32 s10, 0x7f800001
	s_xor_b64 s[4:5], exec, -1
; %bb.3839:
	s_or_b64 exec, exec, s[8:9]
	s_and_b64 s[4:5], s[4:5], exec
	s_or_saveexec_b64 s[6:7], s[6:7]
	v_mov_b32_e32 v3, s10
	s_xor_b64 exec, exec, s[6:7]
	s_cbranch_execz .LBB12_1790
.LBB12_3840:
	v_mov_b32_e32 v3, 0
	v_cmp_ne_u16_sdwa s[8:9], v5, v3 src0_sel:BYTE_3 src1_sel:DWORD
	s_andn2_b64 s[4:5], s[4:5], exec
	s_and_b64 s[8:9], s[8:9], exec
	s_or_b64 s[4:5], s[4:5], s[8:9]
	s_or_b64 exec, exec, s[6:7]
	s_and_saveexec_b64 s[6:7], s[4:5]
	s_cbranch_execnz .LBB12_1791
	s_branch .LBB12_1792
.LBB12_3841:
	s_movk_i32 s4, 0x80
	v_cmp_eq_u16_sdwa s[12:13], v6, s4 src0_sel:BYTE_0 src1_sel:DWORD
	s_mov_b64 s[4:5], -1
                                        ; implicit-def: $sgpr10
	s_and_saveexec_b64 s[8:9], s[12:13]
; %bb.3842:
	s_mov_b32 s10, 0x7f800001
	s_xor_b64 s[4:5], exec, -1
; %bb.3843:
	s_or_b64 exec, exec, s[8:9]
	s_and_b64 s[4:5], s[4:5], exec
	s_or_saveexec_b64 s[6:7], s[6:7]
	v_mov_b32_e32 v12, s10
	s_xor_b64 exec, exec, s[6:7]
	s_cbranch_execz .LBB12_1794
.LBB12_3844:
	v_mov_b32_e32 v12, 0
	v_cmp_ne_u16_sdwa s[8:9], v6, v12 src0_sel:BYTE_0 src1_sel:DWORD
	s_andn2_b64 s[4:5], s[4:5], exec
	s_and_b64 s[8:9], s[8:9], exec
	s_or_b64 s[4:5], s[4:5], s[8:9]
	s_or_b64 exec, exec, s[6:7]
	s_and_saveexec_b64 s[6:7], s[4:5]
	s_cbranch_execnz .LBB12_1795
	s_branch .LBB12_1796
.LBB12_3845:
	s_movk_i32 s4, 0x80
	v_cmp_eq_u16_sdwa s[12:13], v2, s4 src0_sel:BYTE_0 src1_sel:DWORD
	s_mov_b64 s[4:5], -1
                                        ; implicit-def: $sgpr10
	s_and_saveexec_b64 s[8:9], s[12:13]
; %bb.3846:
	s_mov_b32 s10, 0x7f800001
	s_xor_b64 s[4:5], exec, -1
; %bb.3847:
	s_or_b64 exec, exec, s[8:9]
	s_and_b64 s[4:5], s[4:5], exec
	s_or_saveexec_b64 s[6:7], s[6:7]
	v_mov_b32_e32 v13, s10
	s_xor_b64 exec, exec, s[6:7]
	s_cbranch_execz .LBB12_1798
.LBB12_3848:
	v_mov_b32_e32 v13, 0
	v_cmp_ne_u16_sdwa s[8:9], v2, v13 src0_sel:BYTE_0 src1_sel:DWORD
	s_andn2_b64 s[4:5], s[4:5], exec
	s_and_b64 s[8:9], s[8:9], exec
	s_or_b64 s[4:5], s[4:5], s[8:9]
	s_or_b64 exec, exec, s[6:7]
	s_and_saveexec_b64 s[6:7], s[4:5]
	s_cbranch_execnz .LBB12_1799
	s_branch .LBB12_1800
.LBB12_3849:
	s_movk_i32 s4, 0x80
	v_cmp_eq_u16_sdwa s[12:13], v13, s4 src0_sel:BYTE_0 src1_sel:DWORD
	s_mov_b64 s[4:5], -1
                                        ; implicit-def: $sgpr10
	s_and_saveexec_b64 s[8:9], s[12:13]
; %bb.3850:
	s_mov_b32 s10, 0x7f800001
	s_xor_b64 s[4:5], exec, -1
; %bb.3851:
	s_or_b64 exec, exec, s[8:9]
	s_and_b64 s[4:5], s[4:5], exec
	s_or_saveexec_b64 s[6:7], s[6:7]
	v_mov_b32_e32 v12, s10
	s_xor_b64 exec, exec, s[6:7]
	s_cbranch_execz .LBB12_1802
.LBB12_3852:
	v_mov_b32_e32 v12, 0
	v_cmp_ne_u16_sdwa s[8:9], v13, v12 src0_sel:BYTE_0 src1_sel:DWORD
	s_andn2_b64 s[4:5], s[4:5], exec
	s_and_b64 s[8:9], s[8:9], exec
	s_or_b64 s[4:5], s[4:5], s[8:9]
	s_or_b64 exec, exec, s[6:7]
	s_and_saveexec_b64 s[6:7], s[4:5]
	s_cbranch_execnz .LBB12_1803
	s_branch .LBB12_1804
.LBB12_3853:
	s_movk_i32 s4, 0x80
	v_cmp_eq_u16_sdwa s[12:13], v13, s4 src0_sel:BYTE_0 src1_sel:DWORD
	s_mov_b64 s[4:5], -1
                                        ; implicit-def: $sgpr10
	s_and_saveexec_b64 s[8:9], s[12:13]
; %bb.3854:
	s_mov_b32 s10, 0x7f800001
	s_xor_b64 s[4:5], exec, -1
; %bb.3855:
	s_or_b64 exec, exec, s[8:9]
	s_and_b64 s[4:5], s[4:5], exec
	s_or_saveexec_b64 s[6:7], s[6:7]
	v_mov_b32_e32 v14, s10
	s_xor_b64 exec, exec, s[6:7]
	s_cbranch_execz .LBB12_1806
.LBB12_3856:
	v_mov_b32_e32 v14, 0
	v_cmp_ne_u16_sdwa s[8:9], v13, v14 src0_sel:BYTE_0 src1_sel:DWORD
	s_andn2_b64 s[4:5], s[4:5], exec
	s_and_b64 s[8:9], s[8:9], exec
	s_or_b64 s[4:5], s[4:5], s[8:9]
	s_or_b64 exec, exec, s[6:7]
	s_and_saveexec_b64 s[6:7], s[4:5]
	s_cbranch_execnz .LBB12_1807
	s_branch .LBB12_1808
.LBB12_3857:
	s_movk_i32 s4, 0x80
	v_cmp_eq_u16_e32 vcc, s4, v13
	s_mov_b64 s[4:5], -1
                                        ; implicit-def: $sgpr10
	s_and_saveexec_b64 s[8:9], vcc
; %bb.3858:
	s_mov_b32 s10, 0x7f800001
	s_xor_b64 s[4:5], exec, -1
; %bb.3859:
	s_or_b64 exec, exec, s[8:9]
	s_and_b64 s[4:5], s[4:5], exec
                                        ; implicit-def: $vgpr13
	s_or_saveexec_b64 s[6:7], s[6:7]
	v_mov_b32_e32 v12, s10
	s_xor_b64 exec, exec, s[6:7]
	s_cbranch_execz .LBB12_1810
.LBB12_3860:
	v_cmp_ne_u16_e32 vcc, 0, v13
	s_andn2_b64 s[4:5], s[4:5], exec
	s_and_b64 s[8:9], vcc, exec
	v_mov_b32_e32 v12, 0
	s_or_b64 s[4:5], s[4:5], s[8:9]
	s_or_b64 exec, exec, s[6:7]
	s_and_saveexec_b64 s[6:7], s[4:5]
	s_cbranch_execnz .LBB12_1811
	s_branch .LBB12_1812
.LBB12_3861:
	s_movk_i32 s4, 0x80
	v_cmp_eq_u16_e32 vcc, s4, v13
	s_mov_b64 s[4:5], -1
                                        ; implicit-def: $sgpr10
	s_and_saveexec_b64 s[8:9], vcc
; %bb.3862:
	s_mov_b32 s10, 0x7f800001
	s_xor_b64 s[4:5], exec, -1
; %bb.3863:
	s_or_b64 exec, exec, s[8:9]
	s_and_b64 s[4:5], s[4:5], exec
                                        ; implicit-def: $vgpr13
	s_or_saveexec_b64 s[6:7], s[6:7]
	v_mov_b32_e32 v14, s10
	s_xor_b64 exec, exec, s[6:7]
	s_cbranch_execz .LBB12_1814
.LBB12_3864:
	v_cmp_ne_u16_e32 vcc, 0, v13
	s_andn2_b64 s[4:5], s[4:5], exec
	s_and_b64 s[8:9], vcc, exec
	v_mov_b32_e32 v14, 0
	s_or_b64 s[4:5], s[4:5], s[8:9]
	s_or_b64 exec, exec, s[6:7]
	s_and_saveexec_b64 s[6:7], s[4:5]
	s_cbranch_execnz .LBB12_1815
	s_branch .LBB12_1816
.LBB12_3865:
	s_movk_i32 s4, 0x80
	v_cmp_eq_u16_sdwa s[12:13], v6, s4 src0_sel:BYTE_3 src1_sel:DWORD
	s_mov_b64 s[4:5], -1
                                        ; implicit-def: $sgpr10
	s_and_saveexec_b64 s[8:9], s[12:13]
; %bb.3866:
	s_mov_b32 s10, 0x7f800001
	s_xor_b64 s[4:5], exec, -1
; %bb.3867:
	s_or_b64 exec, exec, s[8:9]
	s_and_b64 s[4:5], s[4:5], exec
	s_or_saveexec_b64 s[6:7], s[6:7]
	v_mov_b32_e32 v12, s10
	s_xor_b64 exec, exec, s[6:7]
	s_cbranch_execz .LBB12_1818
.LBB12_3868:
	v_mov_b32_e32 v12, 0
	v_cmp_ne_u16_sdwa s[8:9], v6, v12 src0_sel:BYTE_3 src1_sel:DWORD
	s_andn2_b64 s[4:5], s[4:5], exec
	s_and_b64 s[8:9], s[8:9], exec
	s_or_b64 s[4:5], s[4:5], s[8:9]
	s_or_b64 exec, exec, s[6:7]
	s_and_saveexec_b64 s[6:7], s[4:5]
	s_cbranch_execnz .LBB12_1819
	s_branch .LBB12_1820
.LBB12_3869:
	s_movk_i32 s4, 0x80
	v_cmp_eq_u16_sdwa s[12:13], v2, s4 src0_sel:BYTE_3 src1_sel:DWORD
	s_mov_b64 s[4:5], -1
                                        ; implicit-def: $sgpr10
	s_and_saveexec_b64 s[8:9], s[12:13]
; %bb.3870:
	s_mov_b32 s10, 0x7f800001
	s_xor_b64 s[4:5], exec, -1
; %bb.3871:
	s_or_b64 exec, exec, s[8:9]
	s_and_b64 s[4:5], s[4:5], exec
	s_or_saveexec_b64 s[6:7], s[6:7]
	v_mov_b32_e32 v6, s10
	s_xor_b64 exec, exec, s[6:7]
	s_cbranch_execz .LBB12_1822
.LBB12_3872:
	v_mov_b32_e32 v6, 0
	v_cmp_ne_u16_sdwa s[8:9], v2, v6 src0_sel:BYTE_3 src1_sel:DWORD
	s_andn2_b64 s[4:5], s[4:5], exec
	s_and_b64 s[8:9], s[8:9], exec
	s_or_b64 s[4:5], s[4:5], s[8:9]
	s_or_b64 exec, exec, s[6:7]
	s_and_saveexec_b64 s[6:7], s[4:5]
	s_cbranch_execnz .LBB12_1823
	s_branch .LBB12_1824
.LBB12_3873:
	s_movk_i32 s4, 0x80
	v_cmp_eq_u16_sdwa s[12:13], v7, s4 src0_sel:BYTE_0 src1_sel:DWORD
	s_mov_b64 s[4:5], -1
                                        ; implicit-def: $sgpr10
	s_and_saveexec_b64 s[8:9], s[12:13]
; %bb.3874:
	s_mov_b32 s10, 0x7f800001
	s_xor_b64 s[4:5], exec, -1
; %bb.3875:
	s_or_b64 exec, exec, s[8:9]
	s_and_b64 s[4:5], s[4:5], exec
	s_or_saveexec_b64 s[6:7], s[6:7]
	v_mov_b32_e32 v2, s10
	s_xor_b64 exec, exec, s[6:7]
	s_cbranch_execz .LBB12_1826
.LBB12_3876:
	v_mov_b32_e32 v2, 0
	v_cmp_ne_u16_sdwa s[8:9], v7, v2 src0_sel:BYTE_0 src1_sel:DWORD
	s_andn2_b64 s[4:5], s[4:5], exec
	s_and_b64 s[8:9], s[8:9], exec
	s_or_b64 s[4:5], s[4:5], s[8:9]
	s_or_b64 exec, exec, s[6:7]
	s_and_saveexec_b64 s[6:7], s[4:5]
	s_cbranch_execnz .LBB12_1827
	s_branch .LBB12_1828
.LBB12_3877:
	s_movk_i32 s4, 0x80
	v_cmp_eq_u16_sdwa s[12:13], v3, s4 src0_sel:BYTE_0 src1_sel:DWORD
	s_mov_b64 s[4:5], -1
                                        ; implicit-def: $sgpr10
	s_and_saveexec_b64 s[8:9], s[12:13]
; %bb.3878:
	s_mov_b32 s10, 0x7f800001
	s_xor_b64 s[4:5], exec, -1
; %bb.3879:
	s_or_b64 exec, exec, s[8:9]
	s_and_b64 s[4:5], s[4:5], exec
	s_or_saveexec_b64 s[6:7], s[6:7]
	v_mov_b32_e32 v6, s10
	s_xor_b64 exec, exec, s[6:7]
	s_cbranch_execz .LBB12_1830
.LBB12_3880:
	v_mov_b32_e32 v6, 0
	v_cmp_ne_u16_sdwa s[8:9], v3, v6 src0_sel:BYTE_0 src1_sel:DWORD
	s_andn2_b64 s[4:5], s[4:5], exec
	s_and_b64 s[8:9], s[8:9], exec
	s_or_b64 s[4:5], s[4:5], s[8:9]
	s_or_b64 exec, exec, s[6:7]
	s_and_saveexec_b64 s[6:7], s[4:5]
	s_cbranch_execnz .LBB12_1831
	s_branch .LBB12_1832
.LBB12_3881:
	s_movk_i32 s4, 0x80
	v_cmp_eq_u16_sdwa s[12:13], v6, s4 src0_sel:BYTE_0 src1_sel:DWORD
	s_mov_b64 s[4:5], -1
                                        ; implicit-def: $sgpr10
	s_and_saveexec_b64 s[8:9], s[12:13]
; %bb.3882:
	s_mov_b32 s10, 0x7f800001
	s_xor_b64 s[4:5], exec, -1
; %bb.3883:
	s_or_b64 exec, exec, s[8:9]
	s_and_b64 s[4:5], s[4:5], exec
	s_or_saveexec_b64 s[6:7], s[6:7]
	v_mov_b32_e32 v2, s10
	s_xor_b64 exec, exec, s[6:7]
	s_cbranch_execz .LBB12_1834
.LBB12_3884:
	v_mov_b32_e32 v2, 0
	v_cmp_ne_u16_sdwa s[8:9], v6, v2 src0_sel:BYTE_0 src1_sel:DWORD
	s_andn2_b64 s[4:5], s[4:5], exec
	s_and_b64 s[8:9], s[8:9], exec
	s_or_b64 s[4:5], s[4:5], s[8:9]
	s_or_b64 exec, exec, s[6:7]
	s_and_saveexec_b64 s[6:7], s[4:5]
	s_cbranch_execnz .LBB12_1835
	s_branch .LBB12_1836
.LBB12_3885:
	s_movk_i32 s4, 0x80
	v_cmp_eq_u16_sdwa s[12:13], v6, s4 src0_sel:BYTE_0 src1_sel:DWORD
	s_mov_b64 s[4:5], -1
                                        ; implicit-def: $sgpr10
	s_and_saveexec_b64 s[8:9], s[12:13]
; %bb.3886:
	s_mov_b32 s10, 0x7f800001
	s_xor_b64 s[4:5], exec, -1
; %bb.3887:
	s_or_b64 exec, exec, s[8:9]
	s_and_b64 s[4:5], s[4:5], exec
	s_or_saveexec_b64 s[6:7], s[6:7]
	v_mov_b32_e32 v12, s10
	s_xor_b64 exec, exec, s[6:7]
	s_cbranch_execz .LBB12_1838
.LBB12_3888:
	v_mov_b32_e32 v12, 0
	v_cmp_ne_u16_sdwa s[8:9], v6, v12 src0_sel:BYTE_0 src1_sel:DWORD
	s_andn2_b64 s[4:5], s[4:5], exec
	s_and_b64 s[8:9], s[8:9], exec
	s_or_b64 s[4:5], s[4:5], s[8:9]
	s_or_b64 exec, exec, s[6:7]
	s_and_saveexec_b64 s[6:7], s[4:5]
	s_cbranch_execnz .LBB12_1839
	s_branch .LBB12_1840
.LBB12_3889:
	s_movk_i32 s4, 0x80
	v_cmp_eq_u16_e32 vcc, s4, v6
	s_mov_b64 s[4:5], -1
                                        ; implicit-def: $sgpr10
	s_and_saveexec_b64 s[8:9], vcc
; %bb.3890:
	s_mov_b32 s10, 0x7f800001
	s_xor_b64 s[4:5], exec, -1
; %bb.3891:
	s_or_b64 exec, exec, s[8:9]
	s_and_b64 s[4:5], s[4:5], exec
                                        ; implicit-def: $vgpr6
	s_or_saveexec_b64 s[6:7], s[6:7]
	v_mov_b32_e32 v2, s10
	s_xor_b64 exec, exec, s[6:7]
	s_cbranch_execz .LBB12_1842
.LBB12_3892:
	v_cmp_ne_u16_e32 vcc, 0, v6
	s_andn2_b64 s[4:5], s[4:5], exec
	s_and_b64 s[8:9], vcc, exec
	v_mov_b32_e32 v2, 0
	s_or_b64 s[4:5], s[4:5], s[8:9]
	s_or_b64 exec, exec, s[6:7]
	s_and_saveexec_b64 s[6:7], s[4:5]
	s_cbranch_execnz .LBB12_1843
	s_branch .LBB12_1844
.LBB12_3893:
	s_movk_i32 s4, 0x80
	v_cmp_eq_u16_e32 vcc, s4, v6
	s_mov_b64 s[4:5], -1
                                        ; implicit-def: $sgpr10
	s_and_saveexec_b64 s[8:9], vcc
; %bb.3894:
	s_mov_b32 s10, 0x7f800001
	s_xor_b64 s[4:5], exec, -1
; %bb.3895:
	s_or_b64 exec, exec, s[8:9]
	s_and_b64 s[4:5], s[4:5], exec
                                        ; implicit-def: $vgpr6
	s_or_saveexec_b64 s[6:7], s[6:7]
	v_mov_b32_e32 v12, s10
	s_xor_b64 exec, exec, s[6:7]
	s_cbranch_execz .LBB12_1846
.LBB12_3896:
	v_cmp_ne_u16_e32 vcc, 0, v6
	s_andn2_b64 s[4:5], s[4:5], exec
	s_and_b64 s[8:9], vcc, exec
	v_mov_b32_e32 v12, 0
	s_or_b64 s[4:5], s[4:5], s[8:9]
	s_or_b64 exec, exec, s[6:7]
	s_and_saveexec_b64 s[6:7], s[4:5]
	s_cbranch_execnz .LBB12_1847
	s_branch .LBB12_1848
.LBB12_3897:
	s_movk_i32 s4, 0x80
	v_cmp_eq_u16_sdwa s[12:13], v7, s4 src0_sel:BYTE_3 src1_sel:DWORD
	s_mov_b64 s[4:5], -1
                                        ; implicit-def: $sgpr10
	s_and_saveexec_b64 s[8:9], s[12:13]
; %bb.3898:
	s_mov_b32 s10, 0x7f800001
	s_xor_b64 s[4:5], exec, -1
; %bb.3899:
	s_or_b64 exec, exec, s[8:9]
	s_and_b64 s[4:5], s[4:5], exec
	s_or_saveexec_b64 s[6:7], s[6:7]
	v_mov_b32_e32 v2, s10
	s_xor_b64 exec, exec, s[6:7]
	s_cbranch_execz .LBB12_1850
.LBB12_3900:
	v_mov_b32_e32 v2, 0
	v_cmp_ne_u16_sdwa s[8:9], v7, v2 src0_sel:BYTE_3 src1_sel:DWORD
	s_andn2_b64 s[4:5], s[4:5], exec
	s_and_b64 s[8:9], s[8:9], exec
	s_or_b64 s[4:5], s[4:5], s[8:9]
	s_or_b64 exec, exec, s[6:7]
	s_and_saveexec_b64 s[6:7], s[4:5]
	s_cbranch_execnz .LBB12_1851
	s_branch .LBB12_1852
.LBB12_3901:
	s_movk_i32 s4, 0x80
	v_cmp_eq_u16_sdwa s[12:13], v3, s4 src0_sel:BYTE_3 src1_sel:DWORD
	s_mov_b64 s[4:5], -1
                                        ; implicit-def: $sgpr10
	s_and_saveexec_b64 s[8:9], s[12:13]
; %bb.3902:
	s_mov_b32 s10, 0x7f800001
	s_xor_b64 s[4:5], exec, -1
; %bb.3903:
	s_or_b64 exec, exec, s[8:9]
	s_and_b64 s[4:5], s[4:5], exec
	s_or_saveexec_b64 s[6:7], s[6:7]
	v_mov_b32_e32 v6, s10
	s_xor_b64 exec, exec, s[6:7]
	s_cbranch_execz .LBB12_1854
.LBB12_3904:
	v_mov_b32_e32 v6, 0
	v_cmp_ne_u16_sdwa s[8:9], v3, v6 src0_sel:BYTE_3 src1_sel:DWORD
	s_andn2_b64 s[4:5], s[4:5], exec
	s_and_b64 s[8:9], s[8:9], exec
	s_or_b64 s[4:5], s[4:5], s[8:9]
	s_or_b64 exec, exec, s[6:7]
	s_and_saveexec_b64 s[6:7], s[4:5]
	s_cbranch_execnz .LBB12_1855
	s_branch .LBB12_1856
.LBB12_3905:
	s_movk_i32 s4, 0x80
	v_cmp_eq_u16_sdwa s[12:13], v8, s4 src0_sel:BYTE_0 src1_sel:DWORD
	s_mov_b64 s[4:5], -1
                                        ; implicit-def: $sgpr10
	s_and_saveexec_b64 s[8:9], s[12:13]
; %bb.3906:
	s_mov_b32 s10, 0x7f800001
	s_xor_b64 s[4:5], exec, -1
; %bb.3907:
	s_or_b64 exec, exec, s[8:9]
	s_and_b64 s[4:5], s[4:5], exec
	s_or_saveexec_b64 s[6:7], s[6:7]
	v_mov_b32_e32 v2, s10
	s_xor_b64 exec, exec, s[6:7]
	s_cbranch_execz .LBB12_1858
.LBB12_3908:
	v_mov_b32_e32 v2, 0
	v_cmp_ne_u16_sdwa s[8:9], v8, v2 src0_sel:BYTE_0 src1_sel:DWORD
	s_andn2_b64 s[4:5], s[4:5], exec
	s_and_b64 s[8:9], s[8:9], exec
	s_or_b64 s[4:5], s[4:5], s[8:9]
	s_or_b64 exec, exec, s[6:7]
	s_and_saveexec_b64 s[6:7], s[4:5]
	s_cbranch_execnz .LBB12_1859
	s_branch .LBB12_1860
.LBB12_3909:
	s_movk_i32 s4, 0x80
	v_cmp_eq_u16_sdwa s[12:13], v4, s4 src0_sel:BYTE_0 src1_sel:DWORD
	s_mov_b64 s[4:5], -1
                                        ; implicit-def: $sgpr10
	s_and_saveexec_b64 s[8:9], s[12:13]
; %bb.3910:
	s_mov_b32 s10, 0x7f800001
	s_xor_b64 s[4:5], exec, -1
; %bb.3911:
	s_or_b64 exec, exec, s[8:9]
	s_and_b64 s[4:5], s[4:5], exec
	s_or_saveexec_b64 s[6:7], s[6:7]
	v_mov_b32_e32 v3, s10
	s_xor_b64 exec, exec, s[6:7]
	s_cbranch_execz .LBB12_1862
.LBB12_3912:
	v_mov_b32_e32 v3, 0
	v_cmp_ne_u16_sdwa s[8:9], v4, v3 src0_sel:BYTE_0 src1_sel:DWORD
	s_andn2_b64 s[4:5], s[4:5], exec
	s_and_b64 s[8:9], s[8:9], exec
	s_or_b64 s[4:5], s[4:5], s[8:9]
	s_or_b64 exec, exec, s[6:7]
	s_and_saveexec_b64 s[6:7], s[4:5]
	s_cbranch_execnz .LBB12_1863
	s_branch .LBB12_1864
.LBB12_3913:
	s_movk_i32 s4, 0x80
	v_cmp_eq_u16_sdwa s[12:13], v3, s4 src0_sel:BYTE_0 src1_sel:DWORD
	s_mov_b64 s[4:5], -1
                                        ; implicit-def: $sgpr10
	s_and_saveexec_b64 s[8:9], s[12:13]
; %bb.3914:
	s_mov_b32 s10, 0x7f800001
	s_xor_b64 s[4:5], exec, -1
; %bb.3915:
	s_or_b64 exec, exec, s[8:9]
	s_and_b64 s[4:5], s[4:5], exec
	s_or_saveexec_b64 s[6:7], s[6:7]
	v_mov_b32_e32 v2, s10
	s_xor_b64 exec, exec, s[6:7]
	s_cbranch_execz .LBB12_1866
.LBB12_3916:
	v_mov_b32_e32 v2, 0
	v_cmp_ne_u16_sdwa s[8:9], v3, v2 src0_sel:BYTE_0 src1_sel:DWORD
	s_andn2_b64 s[4:5], s[4:5], exec
	s_and_b64 s[8:9], s[8:9], exec
	s_or_b64 s[4:5], s[4:5], s[8:9]
	s_or_b64 exec, exec, s[6:7]
	s_and_saveexec_b64 s[6:7], s[4:5]
	s_cbranch_execnz .LBB12_1867
	s_branch .LBB12_1868
.LBB12_3917:
	s_movk_i32 s4, 0x80
	v_cmp_eq_u16_sdwa s[12:13], v3, s4 src0_sel:BYTE_0 src1_sel:DWORD
	s_mov_b64 s[4:5], -1
                                        ; implicit-def: $sgpr10
	s_and_saveexec_b64 s[8:9], s[12:13]
; %bb.3918:
	s_mov_b32 s10, 0x7f800001
	s_xor_b64 s[4:5], exec, -1
; %bb.3919:
	s_or_b64 exec, exec, s[8:9]
	s_and_b64 s[4:5], s[4:5], exec
	s_or_saveexec_b64 s[6:7], s[6:7]
	v_mov_b32_e32 v6, s10
	s_xor_b64 exec, exec, s[6:7]
	s_cbranch_execz .LBB12_1870
.LBB12_3920:
	v_mov_b32_e32 v6, 0
	v_cmp_ne_u16_sdwa s[8:9], v3, v6 src0_sel:BYTE_0 src1_sel:DWORD
	s_andn2_b64 s[4:5], s[4:5], exec
	s_and_b64 s[8:9], s[8:9], exec
	s_or_b64 s[4:5], s[4:5], s[8:9]
	s_or_b64 exec, exec, s[6:7]
	s_and_saveexec_b64 s[6:7], s[4:5]
	s_cbranch_execnz .LBB12_1871
	s_branch .LBB12_1872
.LBB12_3921:
	s_movk_i32 s4, 0x80
	v_cmp_eq_u16_e32 vcc, s4, v3
	s_mov_b64 s[4:5], -1
                                        ; implicit-def: $sgpr10
	s_and_saveexec_b64 s[8:9], vcc
; %bb.3922:
	s_mov_b32 s10, 0x7f800001
	s_xor_b64 s[4:5], exec, -1
; %bb.3923:
	s_or_b64 exec, exec, s[8:9]
	s_and_b64 s[4:5], s[4:5], exec
                                        ; implicit-def: $vgpr3
	s_or_saveexec_b64 s[6:7], s[6:7]
	v_mov_b32_e32 v2, s10
	s_xor_b64 exec, exec, s[6:7]
	s_cbranch_execz .LBB12_1874
.LBB12_3924:
	v_cmp_ne_u16_e32 vcc, 0, v3
	s_andn2_b64 s[4:5], s[4:5], exec
	s_and_b64 s[8:9], vcc, exec
	v_mov_b32_e32 v2, 0
	s_or_b64 s[4:5], s[4:5], s[8:9]
	s_or_b64 exec, exec, s[6:7]
	s_and_saveexec_b64 s[6:7], s[4:5]
	s_cbranch_execnz .LBB12_1875
	s_branch .LBB12_1876
.LBB12_3925:
	s_movk_i32 s4, 0x80
	v_cmp_eq_u16_e32 vcc, s4, v3
	s_mov_b64 s[4:5], -1
                                        ; implicit-def: $sgpr10
	s_and_saveexec_b64 s[8:9], vcc
; %bb.3926:
	s_mov_b32 s10, 0x7f800001
	s_xor_b64 s[4:5], exec, -1
; %bb.3927:
	s_or_b64 exec, exec, s[8:9]
	s_and_b64 s[4:5], s[4:5], exec
                                        ; implicit-def: $vgpr3
	s_or_saveexec_b64 s[6:7], s[6:7]
	v_mov_b32_e32 v6, s10
	s_xor_b64 exec, exec, s[6:7]
	s_cbranch_execz .LBB12_1878
.LBB12_3928:
	v_cmp_ne_u16_e32 vcc, 0, v3
	s_andn2_b64 s[4:5], s[4:5], exec
	s_and_b64 s[8:9], vcc, exec
	v_mov_b32_e32 v6, 0
	s_or_b64 s[4:5], s[4:5], s[8:9]
	s_or_b64 exec, exec, s[6:7]
	s_and_saveexec_b64 s[6:7], s[4:5]
	s_cbranch_execnz .LBB12_1879
	s_branch .LBB12_1880
.LBB12_3929:
	s_movk_i32 s4, 0x80
	v_cmp_eq_u16_sdwa s[12:13], v8, s4 src0_sel:BYTE_3 src1_sel:DWORD
	s_mov_b64 s[4:5], -1
                                        ; implicit-def: $sgpr10
	s_and_saveexec_b64 s[8:9], s[12:13]
; %bb.3930:
	s_mov_b32 s10, 0x7f800001
	s_xor_b64 s[4:5], exec, -1
; %bb.3931:
	s_or_b64 exec, exec, s[8:9]
	s_and_b64 s[4:5], s[4:5], exec
	s_or_saveexec_b64 s[6:7], s[6:7]
	v_mov_b32_e32 v2, s10
	s_xor_b64 exec, exec, s[6:7]
	s_cbranch_execz .LBB12_1882
.LBB12_3932:
	v_mov_b32_e32 v2, 0
	v_cmp_ne_u16_sdwa s[8:9], v8, v2 src0_sel:BYTE_3 src1_sel:DWORD
	s_andn2_b64 s[4:5], s[4:5], exec
	s_and_b64 s[8:9], s[8:9], exec
	s_or_b64 s[4:5], s[4:5], s[8:9]
	s_or_b64 exec, exec, s[6:7]
	s_and_saveexec_b64 s[6:7], s[4:5]
	s_cbranch_execnz .LBB12_1883
	s_branch .LBB12_1884
.LBB12_3933:
	s_movk_i32 s4, 0x80
	v_cmp_eq_u16_sdwa s[12:13], v4, s4 src0_sel:BYTE_3 src1_sel:DWORD
	s_mov_b64 s[4:5], -1
                                        ; implicit-def: $sgpr10
	s_and_saveexec_b64 s[8:9], s[12:13]
; %bb.3934:
	s_mov_b32 s10, 0x7f800001
	s_xor_b64 s[4:5], exec, -1
; %bb.3935:
	s_or_b64 exec, exec, s[8:9]
	s_and_b64 s[4:5], s[4:5], exec
	s_or_saveexec_b64 s[6:7], s[6:7]
	v_mov_b32_e32 v3, s10
	s_xor_b64 exec, exec, s[6:7]
	s_cbranch_execz .LBB12_1886
.LBB12_3936:
	v_mov_b32_e32 v3, 0
	v_cmp_ne_u16_sdwa s[8:9], v4, v3 src0_sel:BYTE_3 src1_sel:DWORD
	s_andn2_b64 s[4:5], s[4:5], exec
	s_and_b64 s[8:9], s[8:9], exec
	s_or_b64 s[4:5], s[4:5], s[8:9]
	s_or_b64 exec, exec, s[6:7]
	s_and_saveexec_b64 s[6:7], s[4:5]
	s_cbranch_execnz .LBB12_1887
	s_branch .LBB12_1888
.LBB12_3937:
	s_movk_i32 s4, 0x80
	v_cmp_eq_u16_sdwa s[12:13], v9, s4 src0_sel:BYTE_0 src1_sel:DWORD
	s_mov_b64 s[4:5], -1
                                        ; implicit-def: $sgpr10
	s_and_saveexec_b64 s[8:9], s[12:13]
; %bb.3938:
	s_mov_b32 s10, 0x7f800001
	s_xor_b64 s[4:5], exec, -1
; %bb.3939:
	s_or_b64 exec, exec, s[8:9]
	s_and_b64 s[4:5], s[4:5], exec
	s_or_saveexec_b64 s[6:7], s[6:7]
	v_mov_b32_e32 v2, s10
	s_xor_b64 exec, exec, s[6:7]
	s_cbranch_execz .LBB12_1890
.LBB12_3940:
	v_mov_b32_e32 v2, 0
	v_cmp_ne_u16_sdwa s[8:9], v9, v2 src0_sel:BYTE_0 src1_sel:DWORD
	s_andn2_b64 s[4:5], s[4:5], exec
	s_and_b64 s[8:9], s[8:9], exec
	s_or_b64 s[4:5], s[4:5], s[8:9]
	s_or_b64 exec, exec, s[6:7]
	s_and_saveexec_b64 s[6:7], s[4:5]
	s_cbranch_execnz .LBB12_1891
	s_branch .LBB12_1892
.LBB12_3941:
	s_movk_i32 s4, 0x80
	v_cmp_eq_u16_sdwa s[12:13], v5, s4 src0_sel:BYTE_0 src1_sel:DWORD
	s_mov_b64 s[4:5], -1
                                        ; implicit-def: $sgpr10
	s_and_saveexec_b64 s[8:9], s[12:13]
; %bb.3942:
	s_mov_b32 s10, 0x7f800001
	s_xor_b64 s[4:5], exec, -1
; %bb.3943:
	s_or_b64 exec, exec, s[8:9]
	s_and_b64 s[4:5], s[4:5], exec
	s_or_saveexec_b64 s[6:7], s[6:7]
	v_mov_b32_e32 v3, s10
	s_xor_b64 exec, exec, s[6:7]
	s_cbranch_execz .LBB12_1894
.LBB12_3944:
	v_mov_b32_e32 v3, 0
	v_cmp_ne_u16_sdwa s[8:9], v5, v3 src0_sel:BYTE_0 src1_sel:DWORD
	s_andn2_b64 s[4:5], s[4:5], exec
	s_and_b64 s[8:9], s[8:9], exec
	s_or_b64 s[4:5], s[4:5], s[8:9]
	s_or_b64 exec, exec, s[6:7]
	s_and_saveexec_b64 s[6:7], s[4:5]
	s_cbranch_execnz .LBB12_1895
	s_branch .LBB12_1896
.LBB12_3945:
	s_movk_i32 s4, 0x80
	v_cmp_eq_u16_sdwa s[12:13], v3, s4 src0_sel:BYTE_0 src1_sel:DWORD
	s_mov_b64 s[4:5], -1
                                        ; implicit-def: $sgpr10
	s_and_saveexec_b64 s[8:9], s[12:13]
; %bb.3946:
	s_mov_b32 s10, 0x7f800001
	s_xor_b64 s[4:5], exec, -1
; %bb.3947:
	s_or_b64 exec, exec, s[8:9]
	s_and_b64 s[4:5], s[4:5], exec
	s_or_saveexec_b64 s[6:7], s[6:7]
	v_mov_b32_e32 v2, s10
	s_xor_b64 exec, exec, s[6:7]
	s_cbranch_execz .LBB12_1898
.LBB12_3948:
	v_mov_b32_e32 v2, 0
	v_cmp_ne_u16_sdwa s[8:9], v3, v2 src0_sel:BYTE_0 src1_sel:DWORD
	s_andn2_b64 s[4:5], s[4:5], exec
	s_and_b64 s[8:9], s[8:9], exec
	s_or_b64 s[4:5], s[4:5], s[8:9]
	s_or_b64 exec, exec, s[6:7]
	s_and_saveexec_b64 s[6:7], s[4:5]
	s_cbranch_execnz .LBB12_1899
	s_branch .LBB12_1900
.LBB12_3949:
	s_movk_i32 s4, 0x80
	v_cmp_eq_u16_sdwa s[12:13], v3, s4 src0_sel:BYTE_0 src1_sel:DWORD
	s_mov_b64 s[4:5], -1
                                        ; implicit-def: $sgpr10
	s_and_saveexec_b64 s[8:9], s[12:13]
; %bb.3950:
	s_mov_b32 s10, 0x7f800001
	s_xor_b64 s[4:5], exec, -1
; %bb.3951:
	s_or_b64 exec, exec, s[8:9]
	s_and_b64 s[4:5], s[4:5], exec
	s_or_saveexec_b64 s[6:7], s[6:7]
	v_mov_b32_e32 v4, s10
	s_xor_b64 exec, exec, s[6:7]
	s_cbranch_execz .LBB12_1902
.LBB12_3952:
	v_mov_b32_e32 v4, 0
	v_cmp_ne_u16_sdwa s[8:9], v3, v4 src0_sel:BYTE_0 src1_sel:DWORD
	s_andn2_b64 s[4:5], s[4:5], exec
	s_and_b64 s[8:9], s[8:9], exec
	s_or_b64 s[4:5], s[4:5], s[8:9]
	s_or_b64 exec, exec, s[6:7]
	s_and_saveexec_b64 s[6:7], s[4:5]
	s_cbranch_execnz .LBB12_1903
	s_branch .LBB12_1904
.LBB12_3953:
	s_movk_i32 s4, 0x80
	v_cmp_eq_u16_e32 vcc, s4, v3
	s_mov_b64 s[4:5], -1
                                        ; implicit-def: $sgpr10
	s_and_saveexec_b64 s[8:9], vcc
; %bb.3954:
	s_mov_b32 s10, 0x7f800001
	s_xor_b64 s[4:5], exec, -1
; %bb.3955:
	s_or_b64 exec, exec, s[8:9]
	s_and_b64 s[4:5], s[4:5], exec
                                        ; implicit-def: $vgpr3
	s_or_saveexec_b64 s[6:7], s[6:7]
	v_mov_b32_e32 v2, s10
	s_xor_b64 exec, exec, s[6:7]
	s_cbranch_execz .LBB12_1906
.LBB12_3956:
	v_cmp_ne_u16_e32 vcc, 0, v3
	s_andn2_b64 s[4:5], s[4:5], exec
	s_and_b64 s[8:9], vcc, exec
	v_mov_b32_e32 v2, 0
	s_or_b64 s[4:5], s[4:5], s[8:9]
	s_or_b64 exec, exec, s[6:7]
	s_and_saveexec_b64 s[6:7], s[4:5]
	s_cbranch_execnz .LBB12_1907
	s_branch .LBB12_1908
.LBB12_3957:
	s_movk_i32 s4, 0x80
	v_cmp_eq_u16_e32 vcc, s4, v3
	s_mov_b64 s[4:5], -1
                                        ; implicit-def: $sgpr10
	s_and_saveexec_b64 s[8:9], vcc
; %bb.3958:
	s_mov_b32 s10, 0x7f800001
	s_xor_b64 s[4:5], exec, -1
; %bb.3959:
	s_or_b64 exec, exec, s[8:9]
	s_and_b64 s[4:5], s[4:5], exec
                                        ; implicit-def: $vgpr3
	s_or_saveexec_b64 s[6:7], s[6:7]
	v_mov_b32_e32 v4, s10
	s_xor_b64 exec, exec, s[6:7]
	s_cbranch_execz .LBB12_1910
.LBB12_3960:
	v_cmp_ne_u16_e32 vcc, 0, v3
	s_andn2_b64 s[4:5], s[4:5], exec
	s_and_b64 s[8:9], vcc, exec
	v_mov_b32_e32 v4, 0
	s_or_b64 s[4:5], s[4:5], s[8:9]
	s_or_b64 exec, exec, s[6:7]
	s_and_saveexec_b64 s[6:7], s[4:5]
	s_cbranch_execnz .LBB12_1911
	s_branch .LBB12_1912
.LBB12_3961:
	s_movk_i32 s4, 0x80
	v_cmp_eq_u16_sdwa s[12:13], v9, s4 src0_sel:BYTE_3 src1_sel:DWORD
	s_mov_b64 s[4:5], -1
                                        ; implicit-def: $sgpr10
	s_and_saveexec_b64 s[8:9], s[12:13]
; %bb.3962:
	s_mov_b32 s10, 0x7f800001
	s_xor_b64 s[4:5], exec, -1
; %bb.3963:
	s_or_b64 exec, exec, s[8:9]
	s_and_b64 s[4:5], s[4:5], exec
	s_or_saveexec_b64 s[6:7], s[6:7]
	v_mov_b32_e32 v2, s10
	s_xor_b64 exec, exec, s[6:7]
	s_cbranch_execz .LBB12_1914
.LBB12_3964:
	v_mov_b32_e32 v2, 0
	v_cmp_ne_u16_sdwa s[8:9], v9, v2 src0_sel:BYTE_3 src1_sel:DWORD
	s_andn2_b64 s[4:5], s[4:5], exec
	s_and_b64 s[8:9], s[8:9], exec
	s_or_b64 s[4:5], s[4:5], s[8:9]
	s_or_b64 exec, exec, s[6:7]
	s_and_saveexec_b64 s[6:7], s[4:5]
	s_cbranch_execnz .LBB12_1915
	s_branch .LBB12_1916
.LBB12_3965:
	s_movk_i32 s4, 0x80
	v_cmp_eq_u16_sdwa s[12:13], v5, s4 src0_sel:BYTE_3 src1_sel:DWORD
	s_mov_b64 s[4:5], -1
                                        ; implicit-def: $sgpr10
	s_and_saveexec_b64 s[8:9], s[12:13]
; %bb.3966:
	s_mov_b32 s10, 0x7f800001
	s_xor_b64 s[4:5], exec, -1
; %bb.3967:
	s_or_b64 exec, exec, s[8:9]
	s_and_b64 s[4:5], s[4:5], exec
	s_or_saveexec_b64 s[6:7], s[6:7]
	v_mov_b32_e32 v3, s10
	s_xor_b64 exec, exec, s[6:7]
	s_cbranch_execz .LBB12_1918
.LBB12_3968:
	v_mov_b32_e32 v3, 0
	v_cmp_ne_u16_sdwa s[8:9], v5, v3 src0_sel:BYTE_3 src1_sel:DWORD
	s_andn2_b64 s[4:5], s[4:5], exec
	s_and_b64 s[8:9], s[8:9], exec
	s_or_b64 s[4:5], s[4:5], s[8:9]
	s_or_b64 exec, exec, s[6:7]
	s_and_saveexec_b64 s[6:7], s[4:5]
	s_cbranch_execnz .LBB12_1919
	s_branch .LBB12_1920
.LBB12_3969:
	s_movk_i32 s4, 0x80
	v_cmp_eq_u16_sdwa s[12:13], v4, s4 src0_sel:BYTE_0 src1_sel:DWORD
	s_mov_b64 s[4:5], -1
                                        ; implicit-def: $sgpr10
	s_and_saveexec_b64 s[8:9], s[12:13]
; %bb.3970:
	s_mov_b32 s10, 0x7f800001
	s_xor_b64 s[4:5], exec, -1
; %bb.3971:
	s_or_b64 exec, exec, s[8:9]
	s_and_b64 s[4:5], s[4:5], exec
	s_or_saveexec_b64 s[6:7], s[6:7]
	v_mov_b32_e32 v10, s10
	s_xor_b64 exec, exec, s[6:7]
	s_cbranch_execz .LBB12_1922
.LBB12_3972:
	v_mov_b32_e32 v10, 0
	v_cmp_ne_u16_sdwa s[8:9], v4, v10 src0_sel:BYTE_0 src1_sel:DWORD
	s_andn2_b64 s[4:5], s[4:5], exec
	s_and_b64 s[8:9], s[8:9], exec
	s_or_b64 s[4:5], s[4:5], s[8:9]
	s_or_b64 exec, exec, s[6:7]
	s_and_saveexec_b64 s[6:7], s[4:5]
	s_cbranch_execnz .LBB12_1923
	s_branch .LBB12_1924
.LBB12_3973:
	s_movk_i32 s4, 0x80
	v_cmp_eq_u16_sdwa s[12:13], v0, s4 src0_sel:BYTE_0 src1_sel:DWORD
	s_mov_b64 s[4:5], -1
                                        ; implicit-def: $sgpr10
	s_and_saveexec_b64 s[8:9], s[12:13]
; %bb.3974:
	s_mov_b32 s10, 0x7f800001
	s_xor_b64 s[4:5], exec, -1
; %bb.3975:
	s_or_b64 exec, exec, s[8:9]
	s_and_b64 s[4:5], s[4:5], exec
	s_or_saveexec_b64 s[6:7], s[6:7]
	v_mov_b32_e32 v11, s10
	s_xor_b64 exec, exec, s[6:7]
	s_cbranch_execz .LBB12_1926
.LBB12_3976:
	v_mov_b32_e32 v11, 0
	v_cmp_ne_u16_sdwa s[8:9], v0, v11 src0_sel:BYTE_0 src1_sel:DWORD
	s_andn2_b64 s[4:5], s[4:5], exec
	s_and_b64 s[8:9], s[8:9], exec
	s_or_b64 s[4:5], s[4:5], s[8:9]
	s_or_b64 exec, exec, s[6:7]
	s_and_saveexec_b64 s[6:7], s[4:5]
	s_cbranch_execnz .LBB12_1927
	s_branch .LBB12_1928
.LBB12_3977:
	s_movk_i32 s4, 0x80
	v_cmp_eq_u16_sdwa s[12:13], v11, s4 src0_sel:BYTE_0 src1_sel:DWORD
	s_mov_b64 s[4:5], -1
                                        ; implicit-def: $sgpr10
	s_and_saveexec_b64 s[8:9], s[12:13]
; %bb.3978:
	s_mov_b32 s10, 0x7f800001
	s_xor_b64 s[4:5], exec, -1
; %bb.3979:
	s_or_b64 exec, exec, s[8:9]
	s_and_b64 s[4:5], s[4:5], exec
	s_or_saveexec_b64 s[6:7], s[6:7]
	v_mov_b32_e32 v10, s10
	s_xor_b64 exec, exec, s[6:7]
	s_cbranch_execz .LBB12_1930
.LBB12_3980:
	v_mov_b32_e32 v10, 0
	v_cmp_ne_u16_sdwa s[8:9], v11, v10 src0_sel:BYTE_0 src1_sel:DWORD
	s_andn2_b64 s[4:5], s[4:5], exec
	s_and_b64 s[8:9], s[8:9], exec
	s_or_b64 s[4:5], s[4:5], s[8:9]
	s_or_b64 exec, exec, s[6:7]
	s_and_saveexec_b64 s[6:7], s[4:5]
	s_cbranch_execnz .LBB12_1931
	s_branch .LBB12_1932
.LBB12_3981:
	s_movk_i32 s4, 0x80
	v_cmp_eq_u16_sdwa s[12:13], v11, s4 src0_sel:BYTE_0 src1_sel:DWORD
	s_mov_b64 s[4:5], -1
                                        ; implicit-def: $sgpr10
	s_and_saveexec_b64 s[8:9], s[12:13]
; %bb.3982:
	s_mov_b32 s10, 0x7f800001
	s_xor_b64 s[4:5], exec, -1
; %bb.3983:
	s_or_b64 exec, exec, s[8:9]
	s_and_b64 s[4:5], s[4:5], exec
	s_or_saveexec_b64 s[6:7], s[6:7]
	v_mov_b32_e32 v12, s10
	s_xor_b64 exec, exec, s[6:7]
	s_cbranch_execz .LBB12_1934
.LBB12_3984:
	v_mov_b32_e32 v12, 0
	v_cmp_ne_u16_sdwa s[8:9], v11, v12 src0_sel:BYTE_0 src1_sel:DWORD
	s_andn2_b64 s[4:5], s[4:5], exec
	s_and_b64 s[8:9], s[8:9], exec
	s_or_b64 s[4:5], s[4:5], s[8:9]
	s_or_b64 exec, exec, s[6:7]
	s_and_saveexec_b64 s[6:7], s[4:5]
	s_cbranch_execnz .LBB12_1935
	s_branch .LBB12_1936
.LBB12_3985:
	s_movk_i32 s4, 0x80
	v_cmp_eq_u16_e32 vcc, s4, v11
	s_mov_b64 s[4:5], -1
                                        ; implicit-def: $sgpr10
	s_and_saveexec_b64 s[8:9], vcc
; %bb.3986:
	s_mov_b32 s10, 0x7f800001
	s_xor_b64 s[4:5], exec, -1
; %bb.3987:
	s_or_b64 exec, exec, s[8:9]
	s_and_b64 s[4:5], s[4:5], exec
                                        ; implicit-def: $vgpr11
	s_or_saveexec_b64 s[6:7], s[6:7]
	v_mov_b32_e32 v10, s10
	s_xor_b64 exec, exec, s[6:7]
	s_cbranch_execz .LBB12_1938
.LBB12_3988:
	v_cmp_ne_u16_e32 vcc, 0, v11
	s_andn2_b64 s[4:5], s[4:5], exec
	s_and_b64 s[8:9], vcc, exec
	v_mov_b32_e32 v10, 0
	s_or_b64 s[4:5], s[4:5], s[8:9]
	s_or_b64 exec, exec, s[6:7]
	s_and_saveexec_b64 s[6:7], s[4:5]
	s_cbranch_execnz .LBB12_1939
	s_branch .LBB12_1940
.LBB12_3989:
	s_movk_i32 s4, 0x80
	v_cmp_eq_u16_e32 vcc, s4, v11
	s_mov_b64 s[4:5], -1
                                        ; implicit-def: $sgpr10
	s_and_saveexec_b64 s[8:9], vcc
; %bb.3990:
	s_mov_b32 s10, 0x7f800001
	s_xor_b64 s[4:5], exec, -1
; %bb.3991:
	s_or_b64 exec, exec, s[8:9]
	s_and_b64 s[4:5], s[4:5], exec
                                        ; implicit-def: $vgpr11
	s_or_saveexec_b64 s[6:7], s[6:7]
	v_mov_b32_e32 v12, s10
	s_xor_b64 exec, exec, s[6:7]
	s_cbranch_execz .LBB12_1942
.LBB12_3992:
	v_cmp_ne_u16_e32 vcc, 0, v11
	s_andn2_b64 s[4:5], s[4:5], exec
	s_and_b64 s[8:9], vcc, exec
	v_mov_b32_e32 v12, 0
	s_or_b64 s[4:5], s[4:5], s[8:9]
	s_or_b64 exec, exec, s[6:7]
	s_and_saveexec_b64 s[6:7], s[4:5]
	s_cbranch_execnz .LBB12_1943
	s_branch .LBB12_1944
.LBB12_3993:
	s_movk_i32 s4, 0x80
	v_cmp_eq_u16_sdwa s[12:13], v4, s4 src0_sel:BYTE_3 src1_sel:DWORD
	s_mov_b64 s[4:5], -1
                                        ; implicit-def: $sgpr10
	s_and_saveexec_b64 s[8:9], s[12:13]
; %bb.3994:
	s_mov_b32 s10, 0x7f800001
	s_xor_b64 s[4:5], exec, -1
; %bb.3995:
	s_or_b64 exec, exec, s[8:9]
	s_and_b64 s[4:5], s[4:5], exec
	s_or_saveexec_b64 s[6:7], s[6:7]
	v_mov_b32_e32 v10, s10
	s_xor_b64 exec, exec, s[6:7]
	s_cbranch_execz .LBB12_1946
.LBB12_3996:
	v_mov_b32_e32 v10, 0
	v_cmp_ne_u16_sdwa s[8:9], v4, v10 src0_sel:BYTE_3 src1_sel:DWORD
	s_andn2_b64 s[4:5], s[4:5], exec
	s_and_b64 s[8:9], s[8:9], exec
	s_or_b64 s[4:5], s[4:5], s[8:9]
	s_or_b64 exec, exec, s[6:7]
	s_and_saveexec_b64 s[6:7], s[4:5]
	s_cbranch_execnz .LBB12_1947
	s_branch .LBB12_1948
.LBB12_3997:
	s_movk_i32 s4, 0x80
	v_cmp_eq_u16_sdwa s[12:13], v0, s4 src0_sel:BYTE_3 src1_sel:DWORD
	s_mov_b64 s[4:5], -1
                                        ; implicit-def: $sgpr10
	s_and_saveexec_b64 s[8:9], s[12:13]
; %bb.3998:
	s_mov_b32 s10, 0x7f800001
	s_xor_b64 s[4:5], exec, -1
; %bb.3999:
	s_or_b64 exec, exec, s[8:9]
	s_and_b64 s[4:5], s[4:5], exec
	s_or_saveexec_b64 s[6:7], s[6:7]
	v_mov_b32_e32 v4, s10
	s_xor_b64 exec, exec, s[6:7]
	s_cbranch_execz .LBB12_1950
.LBB12_4000:
	v_mov_b32_e32 v4, 0
	v_cmp_ne_u16_sdwa s[8:9], v0, v4 src0_sel:BYTE_3 src1_sel:DWORD
	s_andn2_b64 s[4:5], s[4:5], exec
	s_and_b64 s[8:9], s[8:9], exec
	s_or_b64 s[4:5], s[4:5], s[8:9]
	s_or_b64 exec, exec, s[6:7]
	s_and_saveexec_b64 s[6:7], s[4:5]
	s_cbranch_execnz .LBB12_1951
	s_branch .LBB12_1952
.LBB12_4001:
	s_movk_i32 s4, 0x80
	v_cmp_eq_u16_sdwa s[12:13], v5, s4 src0_sel:BYTE_0 src1_sel:DWORD
	s_mov_b64 s[4:5], -1
                                        ; implicit-def: $sgpr10
	s_and_saveexec_b64 s[8:9], s[12:13]
; %bb.4002:
	s_mov_b32 s10, 0x7f800001
	s_xor_b64 s[4:5], exec, -1
; %bb.4003:
	s_or_b64 exec, exec, s[8:9]
	s_and_b64 s[4:5], s[4:5], exec
	s_or_saveexec_b64 s[6:7], s[6:7]
	v_mov_b32_e32 v0, s10
	s_xor_b64 exec, exec, s[6:7]
	s_cbranch_execz .LBB12_1954
.LBB12_4004:
	v_mov_b32_e32 v0, 0
	v_cmp_ne_u16_sdwa s[8:9], v5, v0 src0_sel:BYTE_0 src1_sel:DWORD
	s_andn2_b64 s[4:5], s[4:5], exec
	s_and_b64 s[8:9], s[8:9], exec
	s_or_b64 s[4:5], s[4:5], s[8:9]
	s_or_b64 exec, exec, s[6:7]
	s_and_saveexec_b64 s[6:7], s[4:5]
	s_cbranch_execnz .LBB12_1955
	s_branch .LBB12_1956
.LBB12_4005:
	s_movk_i32 s4, 0x80
	v_cmp_eq_u16_sdwa s[12:13], v1, s4 src0_sel:BYTE_0 src1_sel:DWORD
	s_mov_b64 s[4:5], -1
                                        ; implicit-def: $sgpr10
	s_and_saveexec_b64 s[8:9], s[12:13]
; %bb.4006:
	s_mov_b32 s10, 0x7f800001
	s_xor_b64 s[4:5], exec, -1
; %bb.4007:
	s_or_b64 exec, exec, s[8:9]
	s_and_b64 s[4:5], s[4:5], exec
	s_or_saveexec_b64 s[6:7], s[6:7]
	v_mov_b32_e32 v4, s10
	s_xor_b64 exec, exec, s[6:7]
	s_cbranch_execz .LBB12_1958
.LBB12_4008:
	v_mov_b32_e32 v4, 0
	v_cmp_ne_u16_sdwa s[8:9], v1, v4 src0_sel:BYTE_0 src1_sel:DWORD
	s_andn2_b64 s[4:5], s[4:5], exec
	s_and_b64 s[8:9], s[8:9], exec
	s_or_b64 s[4:5], s[4:5], s[8:9]
	s_or_b64 exec, exec, s[6:7]
	s_and_saveexec_b64 s[6:7], s[4:5]
	s_cbranch_execnz .LBB12_1959
	s_branch .LBB12_1960
.LBB12_4009:
	s_movk_i32 s4, 0x80
	v_cmp_eq_u16_sdwa s[12:13], v4, s4 src0_sel:BYTE_0 src1_sel:DWORD
	s_mov_b64 s[4:5], -1
                                        ; implicit-def: $sgpr10
	s_and_saveexec_b64 s[8:9], s[12:13]
; %bb.4010:
	s_mov_b32 s10, 0x7f800001
	s_xor_b64 s[4:5], exec, -1
; %bb.4011:
	s_or_b64 exec, exec, s[8:9]
	s_and_b64 s[4:5], s[4:5], exec
	s_or_saveexec_b64 s[6:7], s[6:7]
	v_mov_b32_e32 v0, s10
	s_xor_b64 exec, exec, s[6:7]
	s_cbranch_execz .LBB12_1962
.LBB12_4012:
	v_mov_b32_e32 v0, 0
	v_cmp_ne_u16_sdwa s[8:9], v4, v0 src0_sel:BYTE_0 src1_sel:DWORD
	s_andn2_b64 s[4:5], s[4:5], exec
	s_and_b64 s[8:9], s[8:9], exec
	s_or_b64 s[4:5], s[4:5], s[8:9]
	s_or_b64 exec, exec, s[6:7]
	s_and_saveexec_b64 s[6:7], s[4:5]
	s_cbranch_execnz .LBB12_1963
	s_branch .LBB12_1964
.LBB12_4013:
	s_movk_i32 s4, 0x80
	v_cmp_eq_u16_sdwa s[12:13], v4, s4 src0_sel:BYTE_0 src1_sel:DWORD
	s_mov_b64 s[4:5], -1
                                        ; implicit-def: $sgpr10
	s_and_saveexec_b64 s[8:9], s[12:13]
; %bb.4014:
	s_mov_b32 s10, 0x7f800001
	s_xor_b64 s[4:5], exec, -1
; %bb.4015:
	s_or_b64 exec, exec, s[8:9]
	s_and_b64 s[4:5], s[4:5], exec
	s_or_saveexec_b64 s[6:7], s[6:7]
	v_mov_b32_e32 v10, s10
	s_xor_b64 exec, exec, s[6:7]
	s_cbranch_execz .LBB12_1966
.LBB12_4016:
	v_mov_b32_e32 v10, 0
	v_cmp_ne_u16_sdwa s[8:9], v4, v10 src0_sel:BYTE_0 src1_sel:DWORD
	s_andn2_b64 s[4:5], s[4:5], exec
	s_and_b64 s[8:9], s[8:9], exec
	s_or_b64 s[4:5], s[4:5], s[8:9]
	s_or_b64 exec, exec, s[6:7]
	s_and_saveexec_b64 s[6:7], s[4:5]
	s_cbranch_execnz .LBB12_1967
	s_branch .LBB12_1968
.LBB12_4017:
	s_movk_i32 s4, 0x80
	v_cmp_eq_u16_e32 vcc, s4, v4
	s_mov_b64 s[4:5], -1
                                        ; implicit-def: $sgpr10
	s_and_saveexec_b64 s[8:9], vcc
; %bb.4018:
	s_mov_b32 s10, 0x7f800001
	s_xor_b64 s[4:5], exec, -1
; %bb.4019:
	s_or_b64 exec, exec, s[8:9]
	s_and_b64 s[4:5], s[4:5], exec
                                        ; implicit-def: $vgpr4
	s_or_saveexec_b64 s[6:7], s[6:7]
	v_mov_b32_e32 v0, s10
	s_xor_b64 exec, exec, s[6:7]
	s_cbranch_execz .LBB12_1970
.LBB12_4020:
	v_cmp_ne_u16_e32 vcc, 0, v4
	s_andn2_b64 s[4:5], s[4:5], exec
	s_and_b64 s[8:9], vcc, exec
	v_mov_b32_e32 v0, 0
	s_or_b64 s[4:5], s[4:5], s[8:9]
	s_or_b64 exec, exec, s[6:7]
	s_and_saveexec_b64 s[6:7], s[4:5]
	s_cbranch_execnz .LBB12_1971
	s_branch .LBB12_1972
.LBB12_4021:
	s_movk_i32 s4, 0x80
	v_cmp_eq_u16_e32 vcc, s4, v4
	s_mov_b64 s[4:5], -1
                                        ; implicit-def: $sgpr10
	s_and_saveexec_b64 s[8:9], vcc
; %bb.4022:
	s_mov_b32 s10, 0x7f800001
	s_xor_b64 s[4:5], exec, -1
; %bb.4023:
	s_or_b64 exec, exec, s[8:9]
	s_and_b64 s[4:5], s[4:5], exec
                                        ; implicit-def: $vgpr4
	s_or_saveexec_b64 s[6:7], s[6:7]
	v_mov_b32_e32 v10, s10
	s_xor_b64 exec, exec, s[6:7]
	s_cbranch_execz .LBB12_1974
.LBB12_4024:
	v_cmp_ne_u16_e32 vcc, 0, v4
	s_andn2_b64 s[4:5], s[4:5], exec
	s_and_b64 s[8:9], vcc, exec
	v_mov_b32_e32 v10, 0
	s_or_b64 s[4:5], s[4:5], s[8:9]
	s_or_b64 exec, exec, s[6:7]
	s_and_saveexec_b64 s[6:7], s[4:5]
	s_cbranch_execnz .LBB12_1975
	s_branch .LBB12_1976
.LBB12_4025:
	s_movk_i32 s4, 0x80
	v_cmp_eq_u16_sdwa s[12:13], v5, s4 src0_sel:BYTE_3 src1_sel:DWORD
	s_mov_b64 s[4:5], -1
                                        ; implicit-def: $sgpr10
	s_and_saveexec_b64 s[8:9], s[12:13]
; %bb.4026:
	s_mov_b32 s10, 0x7f800001
	s_xor_b64 s[4:5], exec, -1
; %bb.4027:
	s_or_b64 exec, exec, s[8:9]
	s_and_b64 s[4:5], s[4:5], exec
	s_or_saveexec_b64 s[6:7], s[6:7]
	v_mov_b32_e32 v0, s10
	s_xor_b64 exec, exec, s[6:7]
	s_cbranch_execz .LBB12_1978
.LBB12_4028:
	v_mov_b32_e32 v0, 0
	v_cmp_ne_u16_sdwa s[8:9], v5, v0 src0_sel:BYTE_3 src1_sel:DWORD
	s_andn2_b64 s[4:5], s[4:5], exec
	s_and_b64 s[8:9], s[8:9], exec
	s_or_b64 s[4:5], s[4:5], s[8:9]
	s_or_b64 exec, exec, s[6:7]
	s_and_saveexec_b64 s[6:7], s[4:5]
	s_cbranch_execnz .LBB12_1979
	s_branch .LBB12_1980
.LBB12_4029:
	s_movk_i32 s4, 0x80
	v_cmp_eq_u16_sdwa s[12:13], v1, s4 src0_sel:BYTE_3 src1_sel:DWORD
	s_mov_b64 s[4:5], -1
                                        ; implicit-def: $sgpr10
	s_and_saveexec_b64 s[8:9], s[12:13]
; %bb.4030:
	s_mov_b32 s10, 0x7f800001
	s_xor_b64 s[4:5], exec, -1
; %bb.4031:
	s_or_b64 exec, exec, s[8:9]
	s_and_b64 s[4:5], s[4:5], exec
	s_or_saveexec_b64 s[6:7], s[6:7]
	v_mov_b32_e32 v4, s10
	s_xor_b64 exec, exec, s[6:7]
	s_cbranch_execz .LBB12_1982
.LBB12_4032:
	v_mov_b32_e32 v4, 0
	v_cmp_ne_u16_sdwa s[8:9], v1, v4 src0_sel:BYTE_3 src1_sel:DWORD
	s_andn2_b64 s[4:5], s[4:5], exec
	s_and_b64 s[8:9], s[8:9], exec
	s_or_b64 s[4:5], s[4:5], s[8:9]
	s_or_b64 exec, exec, s[6:7]
	s_and_saveexec_b64 s[6:7], s[4:5]
	s_cbranch_execnz .LBB12_1983
	s_branch .LBB12_1984
.LBB12_4033:
	s_movk_i32 s4, 0x80
	v_cmp_eq_u16_sdwa s[12:13], v6, s4 src0_sel:BYTE_0 src1_sel:DWORD
	s_mov_b64 s[4:5], -1
                                        ; implicit-def: $sgpr10
	s_and_saveexec_b64 s[8:9], s[12:13]
; %bb.4034:
	s_mov_b32 s10, 0x7f800001
	s_xor_b64 s[4:5], exec, -1
; %bb.4035:
	s_or_b64 exec, exec, s[8:9]
	s_and_b64 s[4:5], s[4:5], exec
	s_or_saveexec_b64 s[6:7], s[6:7]
	v_mov_b32_e32 v0, s10
	s_xor_b64 exec, exec, s[6:7]
	s_cbranch_execz .LBB12_1986
.LBB12_4036:
	v_mov_b32_e32 v0, 0
	v_cmp_ne_u16_sdwa s[8:9], v6, v0 src0_sel:BYTE_0 src1_sel:DWORD
	s_andn2_b64 s[4:5], s[4:5], exec
	s_and_b64 s[8:9], s[8:9], exec
	s_or_b64 s[4:5], s[4:5], s[8:9]
	s_or_b64 exec, exec, s[6:7]
	s_and_saveexec_b64 s[6:7], s[4:5]
	s_cbranch_execnz .LBB12_1987
	s_branch .LBB12_1988
.LBB12_4037:
	s_movk_i32 s4, 0x80
	v_cmp_eq_u16_sdwa s[12:13], v2, s4 src0_sel:BYTE_0 src1_sel:DWORD
	s_mov_b64 s[4:5], -1
                                        ; implicit-def: $sgpr10
	s_and_saveexec_b64 s[8:9], s[12:13]
; %bb.4038:
	s_mov_b32 s10, 0x7f800001
	s_xor_b64 s[4:5], exec, -1
; %bb.4039:
	s_or_b64 exec, exec, s[8:9]
	s_and_b64 s[4:5], s[4:5], exec
	s_or_saveexec_b64 s[6:7], s[6:7]
	v_mov_b32_e32 v1, s10
	s_xor_b64 exec, exec, s[6:7]
	s_cbranch_execz .LBB12_1990
.LBB12_4040:
	v_mov_b32_e32 v1, 0
	v_cmp_ne_u16_sdwa s[8:9], v2, v1 src0_sel:BYTE_0 src1_sel:DWORD
	s_andn2_b64 s[4:5], s[4:5], exec
	s_and_b64 s[8:9], s[8:9], exec
	s_or_b64 s[4:5], s[4:5], s[8:9]
	s_or_b64 exec, exec, s[6:7]
	s_and_saveexec_b64 s[6:7], s[4:5]
	s_cbranch_execnz .LBB12_1991
	s_branch .LBB12_1992
.LBB12_4041:
	s_movk_i32 s4, 0x80
	v_cmp_eq_u16_sdwa s[12:13], v1, s4 src0_sel:BYTE_0 src1_sel:DWORD
	s_mov_b64 s[4:5], -1
                                        ; implicit-def: $sgpr10
	s_and_saveexec_b64 s[8:9], s[12:13]
; %bb.4042:
	s_mov_b32 s10, 0x7f800001
	s_xor_b64 s[4:5], exec, -1
; %bb.4043:
	s_or_b64 exec, exec, s[8:9]
	s_and_b64 s[4:5], s[4:5], exec
	s_or_saveexec_b64 s[6:7], s[6:7]
	v_mov_b32_e32 v0, s10
	s_xor_b64 exec, exec, s[6:7]
	s_cbranch_execz .LBB12_1994
.LBB12_4044:
	v_mov_b32_e32 v0, 0
	v_cmp_ne_u16_sdwa s[8:9], v1, v0 src0_sel:BYTE_0 src1_sel:DWORD
	s_andn2_b64 s[4:5], s[4:5], exec
	s_and_b64 s[8:9], s[8:9], exec
	s_or_b64 s[4:5], s[4:5], s[8:9]
	s_or_b64 exec, exec, s[6:7]
	s_and_saveexec_b64 s[6:7], s[4:5]
	s_cbranch_execnz .LBB12_1995
	s_branch .LBB12_1996
.LBB12_4045:
	s_movk_i32 s4, 0x80
	v_cmp_eq_u16_sdwa s[12:13], v1, s4 src0_sel:BYTE_0 src1_sel:DWORD
	s_mov_b64 s[4:5], -1
                                        ; implicit-def: $sgpr10
	s_and_saveexec_b64 s[8:9], s[12:13]
; %bb.4046:
	s_mov_b32 s10, 0x7f800001
	s_xor_b64 s[4:5], exec, -1
; %bb.4047:
	s_or_b64 exec, exec, s[8:9]
	s_and_b64 s[4:5], s[4:5], exec
	s_or_saveexec_b64 s[6:7], s[6:7]
	v_mov_b32_e32 v4, s10
	s_xor_b64 exec, exec, s[6:7]
	s_cbranch_execz .LBB12_1998
.LBB12_4048:
	v_mov_b32_e32 v4, 0
	v_cmp_ne_u16_sdwa s[8:9], v1, v4 src0_sel:BYTE_0 src1_sel:DWORD
	s_andn2_b64 s[4:5], s[4:5], exec
	s_and_b64 s[8:9], s[8:9], exec
	s_or_b64 s[4:5], s[4:5], s[8:9]
	s_or_b64 exec, exec, s[6:7]
	s_and_saveexec_b64 s[6:7], s[4:5]
	s_cbranch_execnz .LBB12_1999
	s_branch .LBB12_2000
.LBB12_4049:
	s_movk_i32 s4, 0x80
	v_cmp_eq_u16_e32 vcc, s4, v1
	s_mov_b64 s[4:5], -1
                                        ; implicit-def: $sgpr10
	s_and_saveexec_b64 s[8:9], vcc
; %bb.4050:
	s_mov_b32 s10, 0x7f800001
	s_xor_b64 s[4:5], exec, -1
; %bb.4051:
	s_or_b64 exec, exec, s[8:9]
	s_and_b64 s[4:5], s[4:5], exec
                                        ; implicit-def: $vgpr1
	s_or_saveexec_b64 s[6:7], s[6:7]
	v_mov_b32_e32 v0, s10
	s_xor_b64 exec, exec, s[6:7]
	s_cbranch_execz .LBB12_2002
.LBB12_4052:
	v_cmp_ne_u16_e32 vcc, 0, v1
	s_andn2_b64 s[4:5], s[4:5], exec
	s_and_b64 s[8:9], vcc, exec
	v_mov_b32_e32 v0, 0
	s_or_b64 s[4:5], s[4:5], s[8:9]
	s_or_b64 exec, exec, s[6:7]
	s_and_saveexec_b64 s[6:7], s[4:5]
	s_cbranch_execnz .LBB12_2003
	s_branch .LBB12_2004
.LBB12_4053:
	s_movk_i32 s4, 0x80
	v_cmp_eq_u16_e32 vcc, s4, v1
	s_mov_b64 s[4:5], -1
                                        ; implicit-def: $sgpr10
	s_and_saveexec_b64 s[8:9], vcc
; %bb.4054:
	s_mov_b32 s10, 0x7f800001
	s_xor_b64 s[4:5], exec, -1
; %bb.4055:
	s_or_b64 exec, exec, s[8:9]
	s_and_b64 s[4:5], s[4:5], exec
                                        ; implicit-def: $vgpr1
	s_or_saveexec_b64 s[6:7], s[6:7]
	v_mov_b32_e32 v4, s10
	s_xor_b64 exec, exec, s[6:7]
	s_cbranch_execz .LBB12_2006
.LBB12_4056:
	v_cmp_ne_u16_e32 vcc, 0, v1
	s_andn2_b64 s[4:5], s[4:5], exec
	s_and_b64 s[8:9], vcc, exec
	v_mov_b32_e32 v4, 0
	s_or_b64 s[4:5], s[4:5], s[8:9]
	s_or_b64 exec, exec, s[6:7]
	s_and_saveexec_b64 s[6:7], s[4:5]
	s_cbranch_execnz .LBB12_2007
	s_branch .LBB12_2008
.LBB12_4057:
	s_movk_i32 s4, 0x80
	v_cmp_eq_u16_sdwa s[12:13], v6, s4 src0_sel:BYTE_3 src1_sel:DWORD
	s_mov_b64 s[4:5], -1
                                        ; implicit-def: $sgpr10
	s_and_saveexec_b64 s[8:9], s[12:13]
; %bb.4058:
	s_mov_b32 s10, 0x7f800001
	s_xor_b64 s[4:5], exec, -1
; %bb.4059:
	s_or_b64 exec, exec, s[8:9]
	s_and_b64 s[4:5], s[4:5], exec
	s_or_saveexec_b64 s[6:7], s[6:7]
	v_mov_b32_e32 v0, s10
	s_xor_b64 exec, exec, s[6:7]
	s_cbranch_execz .LBB12_2010
.LBB12_4060:
	v_mov_b32_e32 v0, 0
	v_cmp_ne_u16_sdwa s[8:9], v6, v0 src0_sel:BYTE_3 src1_sel:DWORD
	s_andn2_b64 s[4:5], s[4:5], exec
	s_and_b64 s[8:9], s[8:9], exec
	s_or_b64 s[4:5], s[4:5], s[8:9]
	s_or_b64 exec, exec, s[6:7]
	s_and_saveexec_b64 s[6:7], s[4:5]
	s_cbranch_execnz .LBB12_2011
	s_branch .LBB12_2012
.LBB12_4061:
	s_movk_i32 s4, 0x80
	v_cmp_eq_u16_sdwa s[12:13], v2, s4 src0_sel:BYTE_3 src1_sel:DWORD
	s_mov_b64 s[4:5], -1
                                        ; implicit-def: $sgpr10
	s_and_saveexec_b64 s[8:9], s[12:13]
; %bb.4062:
	s_mov_b32 s10, 0x7f800001
	s_xor_b64 s[4:5], exec, -1
; %bb.4063:
	s_or_b64 exec, exec, s[8:9]
	s_and_b64 s[4:5], s[4:5], exec
	s_or_saveexec_b64 s[6:7], s[6:7]
	v_mov_b32_e32 v1, s10
	s_xor_b64 exec, exec, s[6:7]
	s_cbranch_execz .LBB12_2014
.LBB12_4064:
	v_mov_b32_e32 v1, 0
	v_cmp_ne_u16_sdwa s[8:9], v2, v1 src0_sel:BYTE_3 src1_sel:DWORD
	s_andn2_b64 s[4:5], s[4:5], exec
	s_and_b64 s[8:9], s[8:9], exec
	s_or_b64 s[4:5], s[4:5], s[8:9]
	s_or_b64 exec, exec, s[6:7]
	s_and_saveexec_b64 s[6:7], s[4:5]
	s_cbranch_execnz .LBB12_2015
	s_branch .LBB12_2016
.LBB12_4065:
	s_movk_i32 s4, 0x80
	v_cmp_eq_u16_sdwa s[12:13], v7, s4 src0_sel:BYTE_0 src1_sel:DWORD
	s_mov_b64 s[4:5], -1
                                        ; implicit-def: $sgpr10
	s_and_saveexec_b64 s[8:9], s[12:13]
; %bb.4066:
	s_mov_b32 s10, 0x7f800001
	s_xor_b64 s[4:5], exec, -1
; %bb.4067:
	s_or_b64 exec, exec, s[8:9]
	s_and_b64 s[4:5], s[4:5], exec
	s_or_saveexec_b64 s[6:7], s[6:7]
	v_mov_b32_e32 v0, s10
	s_xor_b64 exec, exec, s[6:7]
	s_cbranch_execz .LBB12_2018
.LBB12_4068:
	v_mov_b32_e32 v0, 0
	v_cmp_ne_u16_sdwa s[8:9], v7, v0 src0_sel:BYTE_0 src1_sel:DWORD
	s_andn2_b64 s[4:5], s[4:5], exec
	s_and_b64 s[8:9], s[8:9], exec
	s_or_b64 s[4:5], s[4:5], s[8:9]
	s_or_b64 exec, exec, s[6:7]
	s_and_saveexec_b64 s[6:7], s[4:5]
	s_cbranch_execnz .LBB12_2019
	s_branch .LBB12_2020
.LBB12_4069:
	s_movk_i32 s4, 0x80
	v_cmp_eq_u16_sdwa s[12:13], v3, s4 src0_sel:BYTE_0 src1_sel:DWORD
	s_mov_b64 s[4:5], -1
                                        ; implicit-def: $sgpr10
	s_and_saveexec_b64 s[8:9], s[12:13]
; %bb.4070:
	s_mov_b32 s10, 0x7f800001
	s_xor_b64 s[4:5], exec, -1
; %bb.4071:
	s_or_b64 exec, exec, s[8:9]
	s_and_b64 s[4:5], s[4:5], exec
	s_or_saveexec_b64 s[6:7], s[6:7]
	v_mov_b32_e32 v1, s10
	s_xor_b64 exec, exec, s[6:7]
	s_cbranch_execz .LBB12_2022
.LBB12_4072:
	v_mov_b32_e32 v1, 0
	v_cmp_ne_u16_sdwa s[8:9], v3, v1 src0_sel:BYTE_0 src1_sel:DWORD
	s_andn2_b64 s[4:5], s[4:5], exec
	s_and_b64 s[8:9], s[8:9], exec
	s_or_b64 s[4:5], s[4:5], s[8:9]
	s_or_b64 exec, exec, s[6:7]
	s_and_saveexec_b64 s[6:7], s[4:5]
	s_cbranch_execnz .LBB12_2023
	s_branch .LBB12_2024
.LBB12_4073:
	s_movk_i32 s4, 0x80
	v_cmp_eq_u16_sdwa s[12:13], v1, s4 src0_sel:BYTE_0 src1_sel:DWORD
	s_mov_b64 s[4:5], -1
                                        ; implicit-def: $sgpr10
	s_and_saveexec_b64 s[8:9], s[12:13]
; %bb.4074:
	s_mov_b32 s10, 0x7f800001
	s_xor_b64 s[4:5], exec, -1
; %bb.4075:
	s_or_b64 exec, exec, s[8:9]
	s_and_b64 s[4:5], s[4:5], exec
	s_or_saveexec_b64 s[6:7], s[6:7]
	v_mov_b32_e32 v0, s10
	s_xor_b64 exec, exec, s[6:7]
	s_cbranch_execz .LBB12_2026
.LBB12_4076:
	v_mov_b32_e32 v0, 0
	v_cmp_ne_u16_sdwa s[8:9], v1, v0 src0_sel:BYTE_0 src1_sel:DWORD
	s_andn2_b64 s[4:5], s[4:5], exec
	s_and_b64 s[8:9], s[8:9], exec
	s_or_b64 s[4:5], s[4:5], s[8:9]
	s_or_b64 exec, exec, s[6:7]
	s_and_saveexec_b64 s[6:7], s[4:5]
	s_cbranch_execnz .LBB12_2027
	s_branch .LBB12_2028
.LBB12_4077:
	s_movk_i32 s4, 0x80
	v_cmp_eq_u16_sdwa s[12:13], v1, s4 src0_sel:BYTE_0 src1_sel:DWORD
	s_mov_b64 s[4:5], -1
                                        ; implicit-def: $sgpr10
	s_and_saveexec_b64 s[8:9], s[12:13]
; %bb.4078:
	s_mov_b32 s10, 0x7f800001
	s_xor_b64 s[4:5], exec, -1
; %bb.4079:
	s_or_b64 exec, exec, s[8:9]
	s_and_b64 s[4:5], s[4:5], exec
	s_or_saveexec_b64 s[6:7], s[6:7]
	v_mov_b32_e32 v2, s10
	s_xor_b64 exec, exec, s[6:7]
	s_cbranch_execz .LBB12_2030
.LBB12_4080:
	v_mov_b32_e32 v2, 0
	v_cmp_ne_u16_sdwa s[8:9], v1, v2 src0_sel:BYTE_0 src1_sel:DWORD
	s_andn2_b64 s[4:5], s[4:5], exec
	s_and_b64 s[8:9], s[8:9], exec
	s_or_b64 s[4:5], s[4:5], s[8:9]
	s_or_b64 exec, exec, s[6:7]
	s_and_saveexec_b64 s[6:7], s[4:5]
	s_cbranch_execnz .LBB12_2031
	s_branch .LBB12_2032
.LBB12_4081:
	s_movk_i32 s4, 0x80
	v_cmp_eq_u16_e32 vcc, s4, v1
	s_mov_b64 s[4:5], -1
                                        ; implicit-def: $sgpr10
	s_and_saveexec_b64 s[8:9], vcc
; %bb.4082:
	s_mov_b32 s10, 0x7f800001
	s_xor_b64 s[4:5], exec, -1
; %bb.4083:
	s_or_b64 exec, exec, s[8:9]
	s_and_b64 s[4:5], s[4:5], exec
                                        ; implicit-def: $vgpr1
	s_or_saveexec_b64 s[6:7], s[6:7]
	v_mov_b32_e32 v0, s10
	s_xor_b64 exec, exec, s[6:7]
	s_cbranch_execz .LBB12_2034
.LBB12_4084:
	v_cmp_ne_u16_e32 vcc, 0, v1
	s_andn2_b64 s[4:5], s[4:5], exec
	s_and_b64 s[8:9], vcc, exec
	v_mov_b32_e32 v0, 0
	s_or_b64 s[4:5], s[4:5], s[8:9]
	s_or_b64 exec, exec, s[6:7]
	s_and_saveexec_b64 s[6:7], s[4:5]
	s_cbranch_execnz .LBB12_2035
	s_branch .LBB12_2036
.LBB12_4085:
	s_movk_i32 s4, 0x80
	v_cmp_eq_u16_e32 vcc, s4, v1
	s_mov_b64 s[4:5], -1
                                        ; implicit-def: $sgpr10
	s_and_saveexec_b64 s[8:9], vcc
; %bb.4086:
	s_mov_b32 s10, 0x7f800001
	s_xor_b64 s[4:5], exec, -1
; %bb.4087:
	s_or_b64 exec, exec, s[8:9]
	s_and_b64 s[4:5], s[4:5], exec
                                        ; implicit-def: $vgpr1
	s_or_saveexec_b64 s[6:7], s[6:7]
	v_mov_b32_e32 v2, s10
	s_xor_b64 exec, exec, s[6:7]
	s_cbranch_execz .LBB12_2038
.LBB12_4088:
	v_cmp_ne_u16_e32 vcc, 0, v1
	s_andn2_b64 s[4:5], s[4:5], exec
	s_and_b64 s[8:9], vcc, exec
	v_mov_b32_e32 v2, 0
	s_or_b64 s[4:5], s[4:5], s[8:9]
	s_or_b64 exec, exec, s[6:7]
	s_and_saveexec_b64 s[6:7], s[4:5]
	s_cbranch_execnz .LBB12_2039
	s_branch .LBB12_2040
.LBB12_4089:
	s_movk_i32 s4, 0x80
	v_cmp_eq_u16_sdwa s[12:13], v7, s4 src0_sel:BYTE_3 src1_sel:DWORD
	s_mov_b64 s[4:5], -1
                                        ; implicit-def: $sgpr10
	s_and_saveexec_b64 s[8:9], s[12:13]
; %bb.4090:
	s_mov_b32 s10, 0x7f800001
	s_xor_b64 s[4:5], exec, -1
; %bb.4091:
	s_or_b64 exec, exec, s[8:9]
	s_and_b64 s[4:5], s[4:5], exec
	s_or_saveexec_b64 s[6:7], s[6:7]
	v_mov_b32_e32 v0, s10
	s_xor_b64 exec, exec, s[6:7]
	s_cbranch_execz .LBB12_2042
.LBB12_4092:
	v_mov_b32_e32 v0, 0
	v_cmp_ne_u16_sdwa s[8:9], v7, v0 src0_sel:BYTE_3 src1_sel:DWORD
	s_andn2_b64 s[4:5], s[4:5], exec
	s_and_b64 s[8:9], s[8:9], exec
	s_or_b64 s[4:5], s[4:5], s[8:9]
	s_or_b64 exec, exec, s[6:7]
	s_and_saveexec_b64 s[6:7], s[4:5]
	s_cbranch_execnz .LBB12_2043
	s_branch .LBB12_2044
.LBB12_4093:
	s_movk_i32 s4, 0x80
	v_cmp_eq_u16_sdwa s[12:13], v3, s4 src0_sel:BYTE_3 src1_sel:DWORD
	s_mov_b64 s[4:5], -1
                                        ; implicit-def: $sgpr10
	s_and_saveexec_b64 s[8:9], s[12:13]
; %bb.4094:
	s_mov_b32 s10, 0x7f800001
	s_xor_b64 s[4:5], exec, -1
; %bb.4095:
	s_or_b64 exec, exec, s[8:9]
	s_and_b64 s[4:5], s[4:5], exec
	s_or_saveexec_b64 s[6:7], s[6:7]
	v_mov_b32_e32 v1, s10
	s_xor_b64 exec, exec, s[6:7]
	s_cbranch_execz .LBB12_2046
.LBB12_4096:
	v_mov_b32_e32 v1, 0
	v_cmp_ne_u16_sdwa s[8:9], v3, v1 src0_sel:BYTE_3 src1_sel:DWORD
	s_andn2_b64 s[4:5], s[4:5], exec
	s_and_b64 s[8:9], s[8:9], exec
	s_or_b64 s[4:5], s[4:5], s[8:9]
	s_or_b64 exec, exec, s[6:7]
	s_and_saveexec_b64 s[6:7], s[4:5]
	s_cbranch_execnz .LBB12_2047
	s_branch .LBB12_2048
.Lfunc_end12:
	.size	_ZNK2ck6detail7applierIiJLi0ELi1ELi2ELi3ELi4ELi5ELi6ELi7ELi8ELi9ELi10ELi11ELi12ELi13ELi14ELi15EEEclIZNKS_11static_fordINS_8SequenceIJLi4ELi4EEEENS5_IJLi0ELi1EEEEEclIZZZZZNKS_31BlockwiseGemmXdlops_pipeline_v2ILNS_26BlockGemmPipelineSchedulerE1ELi256ENS_9f8_fnuz_tENS_7pk_i4_tESC_fNS_16TensorDescriptorINS_5TupleIJNS_5EmbedINSF_IJNS_17integral_constantIiLi8EEENSH_IiLi128EEENSH_IiLi16EEEEEENSF_IJSK_SJ_NSH_IiLi1EEEEEELb0EEENS_3XorINSF_IJSJ_SI_EEELb1EEENS_11PassThroughISK_EENS_7UnMergeINSF_IJSI_SM_EEELb0EEENSS_ISJ_EEST_NSS_ISI_EENS_21Merge_v3_division_modINSF_IJSJ_SM_EEEEEST_EEENSF_IJNS5_IJLi0EEEENS5_IJLi2ELi1EEEENS5_IJLi3EEEENS5_IJLi5EEEENS5_IJLi4EEEENS5_IJLi6EEEENS5_IJLi7EEEENS5_IJLi9ELi8EEEENS5_IJLi10EEEEEEENSF_IJNS5_IJLi1ELi2ELi3EEEENS5_IJLi4ELi5EEEES18_NS5_IJLi7ELi8EEEENS5_IJLi9EEEES1B_NS5_IJLi11EEEENS5_IJLi12EEEENS5_IJLi13EEEEEEENS5_IJLi11ELi12ELi13EEEENSH_IlLl16384EEEEENSE_INSF_IJNSG_INSF_IJSK_NSH_IiLi64EEESK_EEENSF_IJSK_NSH_IiLi256EEESM_EEELb0EEENSP_INSF_IJS1O_SK_EEELb1EEEST_NSU_INSF_IJSI_NSH_IiLi2EEEEEELb0EEENSS_IS1O_EEST_SY_NSZ_INSF_IJS1O_S1V_EEEEEST_EEES1C_S1K_S1L_S1M_EENSE_INSF_IJSO_SR_ST_SW_SX_ST_SY_S11_ST_NSZ_INSF_IJSI_SK_EEEEENSU_INSF_IJNSH_IiLi4EEES1V_SK_EEELb0EEEEEENSF_IJS13_S14_S15_S16_S17_S18_S19_S1A_S1B_NS5_IJLi11ELi13EEEES1I_EEENSF_IJS1D_S1E_S18_S1F_S1G_S1B_S1H_S1I_S1J_NS5_IJLi14EEEENS5_IJLi15ELi16ELi17EEEEEEENS5_IJLi15ELi16ELi17ELi14EEEES1M_EENSE_INSF_IJS1S_S1U_ST_S1X_S1Y_ST_SY_S20_ST_S24_S27_EEES2A_S2D_S2E_S1M_EELi16ELi16ELi128ELi128ELi128ELi16ELi16ELi4ELi4ELi16ELb0EE3RunILb1ELNS_10TailNumberE10ENSE_INSF_IJNSG_INSF_IJiiEEENSF_IJiSM_EEELb0EEENSU_IS2L_Lb0EEENSS_IiEEEEENSF_IJS13_NS5_IJLi2EEEENS5_IJLi1EEEEEEENSF_IJNS5_IJLi1ELi2EEEENS5_IJLi3ELi4EEEES16_EEENS5_IJLi3ELi5ELi4EEEElEES1N_NS_35ThreadGroupTensorSliceTransfer_v4r1INS_15ThisThreadBlockILi256EEENS_16tensor_operation12element_wise11PassThroughES34_LNS_25InMemoryDataOperationEnumE0ENS5_IJLi8ELi128ELi16EEEENS5_IJLi8ELi32ELi1EEEENS5_IJLi1ELi0ELi2EEEESC_SC_RKS2Y_KS1N_S38_NS5_IJLi0ELi1ELi2EEEELi2ELi2ELi16ELi16ELi1ELi1ELb0ELb1ELi2EiEENS_13DynamicBufferILNS_16AddressSpaceEnumE1EKSC_lLb1ELNS_22AmdBufferCoherenceEnumE0EiEENS3E_ILS3F_2ESC_S1M_Lb1ELS3H_0EiEENSF_IJiiiEEENSE_INSF_IJNSU_INSF_IJiiiiEEELb0EEENS_23Merge_v2_magic_divisionIS2L_EENSS_INSF_IJiEEEEES2P_EEENSF_IJS13_NS5_IJLi1ELi3EEEES2R_S17_EEENSF_IJNS5_IJLi1ELi2ELi3ELi4EEEES16_S18_S19_EEENS5_IJLi5ELi6ELi7EEEElEES22_NS2Z_IS31_S34_S34_LS35_0ES36_NS5_IJLi4ELi64ELi1EEEES38_SD_SD_RKS3X_KS22_S38_S3C_Li2ELi2ELi16ELi16ELi1ELi1ELb0ELb1ELi2EiEENS3E_ILS3F_1EKSD_lLb1ELS3H_0EiEENS3E_ILS3F_2ESD_S1M_Lb1ELS3H_0EiEES3K_NS_25StaticBufferTupleOfVectorILS3F_4EfLi16ELi4ELb1ELb0EEEEEvRKT1_RKT2_RT3_RKT4_RT5_RKT6_RKT7_RKT8_RT9_RKT10_RT11_RKT12_RT13_iENKUlT_E1_clIS1V_EEDaS56_ENKUlS56_E_clISM_EEDaS56_ENKUlS56_E_clINSH_IiLi0EEEEEDaS56_ENKUlS56_E1_clIS5D_EEDaS56_EUlS56_E_EEvS56_EUlS56_E_EEvS56_, .Lfunc_end12-_ZNK2ck6detail7applierIiJLi0ELi1ELi2ELi3ELi4ELi5ELi6ELi7ELi8ELi9ELi10ELi11ELi12ELi13ELi14ELi15EEEclIZNKS_11static_fordINS_8SequenceIJLi4ELi4EEEENS5_IJLi0ELi1EEEEEclIZZZZZNKS_31BlockwiseGemmXdlops_pipeline_v2ILNS_26BlockGemmPipelineSchedulerE1ELi256ENS_9f8_fnuz_tENS_7pk_i4_tESC_fNS_16TensorDescriptorINS_5TupleIJNS_5EmbedINSF_IJNS_17integral_constantIiLi8EEENSH_IiLi128EEENSH_IiLi16EEEEEENSF_IJSK_SJ_NSH_IiLi1EEEEEELb0EEENS_3XorINSF_IJSJ_SI_EEELb1EEENS_11PassThroughISK_EENS_7UnMergeINSF_IJSI_SM_EEELb0EEENSS_ISJ_EEST_NSS_ISI_EENS_21Merge_v3_division_modINSF_IJSJ_SM_EEEEEST_EEENSF_IJNS5_IJLi0EEEENS5_IJLi2ELi1EEEENS5_IJLi3EEEENS5_IJLi5EEEENS5_IJLi4EEEENS5_IJLi6EEEENS5_IJLi7EEEENS5_IJLi9ELi8EEEENS5_IJLi10EEEEEEENSF_IJNS5_IJLi1ELi2ELi3EEEENS5_IJLi4ELi5EEEES18_NS5_IJLi7ELi8EEEENS5_IJLi9EEEES1B_NS5_IJLi11EEEENS5_IJLi12EEEENS5_IJLi13EEEEEEENS5_IJLi11ELi12ELi13EEEENSH_IlLl16384EEEEENSE_INSF_IJNSG_INSF_IJSK_NSH_IiLi64EEESK_EEENSF_IJSK_NSH_IiLi256EEESM_EEELb0EEENSP_INSF_IJS1O_SK_EEELb1EEEST_NSU_INSF_IJSI_NSH_IiLi2EEEEEELb0EEENSS_IS1O_EEST_SY_NSZ_INSF_IJS1O_S1V_EEEEEST_EEES1C_S1K_S1L_S1M_EENSE_INSF_IJSO_SR_ST_SW_SX_ST_SY_S11_ST_NSZ_INSF_IJSI_SK_EEEEENSU_INSF_IJNSH_IiLi4EEES1V_SK_EEELb0EEEEEENSF_IJS13_S14_S15_S16_S17_S18_S19_S1A_S1B_NS5_IJLi11ELi13EEEES1I_EEENSF_IJS1D_S1E_S18_S1F_S1G_S1B_S1H_S1I_S1J_NS5_IJLi14EEEENS5_IJLi15ELi16ELi17EEEEEEENS5_IJLi15ELi16ELi17ELi14EEEES1M_EENSE_INSF_IJS1S_S1U_ST_S1X_S1Y_ST_SY_S20_ST_S24_S27_EEES2A_S2D_S2E_S1M_EELi16ELi16ELi128ELi128ELi128ELi16ELi16ELi4ELi4ELi16ELb0EE3RunILb1ELNS_10TailNumberE10ENSE_INSF_IJNSG_INSF_IJiiEEENSF_IJiSM_EEELb0EEENSU_IS2L_Lb0EEENSS_IiEEEEENSF_IJS13_NS5_IJLi2EEEENS5_IJLi1EEEEEEENSF_IJNS5_IJLi1ELi2EEEENS5_IJLi3ELi4EEEES16_EEENS5_IJLi3ELi5ELi4EEEElEES1N_NS_35ThreadGroupTensorSliceTransfer_v4r1INS_15ThisThreadBlockILi256EEENS_16tensor_operation12element_wise11PassThroughES34_LNS_25InMemoryDataOperationEnumE0ENS5_IJLi8ELi128ELi16EEEENS5_IJLi8ELi32ELi1EEEENS5_IJLi1ELi0ELi2EEEESC_SC_RKS2Y_KS1N_S38_NS5_IJLi0ELi1ELi2EEEELi2ELi2ELi16ELi16ELi1ELi1ELb0ELb1ELi2EiEENS_13DynamicBufferILNS_16AddressSpaceEnumE1EKSC_lLb1ELNS_22AmdBufferCoherenceEnumE0EiEENS3E_ILS3F_2ESC_S1M_Lb1ELS3H_0EiEENSF_IJiiiEEENSE_INSF_IJNSU_INSF_IJiiiiEEELb0EEENS_23Merge_v2_magic_divisionIS2L_EENSS_INSF_IJiEEEEES2P_EEENSF_IJS13_NS5_IJLi1ELi3EEEES2R_S17_EEENSF_IJNS5_IJLi1ELi2ELi3ELi4EEEES16_S18_S19_EEENS5_IJLi5ELi6ELi7EEEElEES22_NS2Z_IS31_S34_S34_LS35_0ES36_NS5_IJLi4ELi64ELi1EEEES38_SD_SD_RKS3X_KS22_S38_S3C_Li2ELi2ELi16ELi16ELi1ELi1ELb0ELb1ELi2EiEENS3E_ILS3F_1EKSD_lLb1ELS3H_0EiEENS3E_ILS3F_2ESD_S1M_Lb1ELS3H_0EiEES3K_NS_25StaticBufferTupleOfVectorILS3F_4EfLi16ELi4ELb1ELb0EEEEEvRKT1_RKT2_RT3_RKT4_RT5_RKT6_RKT7_RKT8_RT9_RKT10_RT11_RKT12_RT13_iENKUlT_E1_clIS1V_EEDaS56_ENKUlS56_E_clISM_EEDaS56_ENKUlS56_E_clINSH_IiLi0EEEEEDaS56_ENKUlS56_E1_clIS5D_EEDaS56_EUlS56_E_EEvS56_EUlS56_E_EEvS56_
                                        ; -- End function
	.section	.AMDGPU.csdata,"",@progbits
; Function info:
; codeLenInByte = 134344
; NumSgprs: 36
; NumVgprs: 18
; NumAgprs: 4
; TotalNumVgprs: 24
; ScratchSize: 0
; MemoryBound: 1
	.text
	.p2align	2                               ; -- Begin function _ZNK2ck6detail7applierIiJLi0ELi1ELi2ELi3ELi4ELi5ELi6ELi7ELi8ELi9ELi10ELi11ELi12ELi13ELi14ELi15EEEclIZNKS_11static_fordINS_8SequenceIJLi4ELi4EEEENS5_IJLi0ELi1EEEEEclIZZZZZNKS_31BlockwiseGemmXdlops_pipeline_v2ILNS_26BlockGemmPipelineSchedulerE1ELi256ENS_9f8_fnuz_tENS_7pk_i4_tESC_fNS_16TensorDescriptorINS_5TupleIJNS_5EmbedINSF_IJNS_17integral_constantIiLi8EEENSH_IiLi128EEENSH_IiLi16EEEEEENSF_IJSK_SJ_NSH_IiLi1EEEEEELb0EEENS_3XorINSF_IJSJ_SI_EEELb1EEENS_11PassThroughISK_EENS_7UnMergeINSF_IJSI_SM_EEELb0EEENSS_ISJ_EEST_NSS_ISI_EENS_21Merge_v3_division_modINSF_IJSJ_SM_EEEEEST_EEENSF_IJNS5_IJLi0EEEENS5_IJLi2ELi1EEEENS5_IJLi3EEEENS5_IJLi5EEEENS5_IJLi4EEEENS5_IJLi6EEEENS5_IJLi7EEEENS5_IJLi9ELi8EEEENS5_IJLi10EEEEEEENSF_IJNS5_IJLi1ELi2ELi3EEEENS5_IJLi4ELi5EEEES18_NS5_IJLi7ELi8EEEENS5_IJLi9EEEES1B_NS5_IJLi11EEEENS5_IJLi12EEEENS5_IJLi13EEEEEEENS5_IJLi11ELi12ELi13EEEENSH_IlLl16384EEEEENSE_INSF_IJNSG_INSF_IJSK_NSH_IiLi64EEESK_EEENSF_IJSK_NSH_IiLi256EEESM_EEELb0EEENSP_INSF_IJS1O_SK_EEELb1EEEST_NSU_INSF_IJSI_NSH_IiLi2EEEEEELb0EEENSS_IS1O_EEST_SY_NSZ_INSF_IJS1O_S1V_EEEEEST_EEES1C_S1K_S1L_S1M_EENSE_INSF_IJSO_SR_ST_SW_SX_ST_SY_S11_ST_NSZ_INSF_IJSI_SK_EEEEENSU_INSF_IJNSH_IiLi4EEES1V_SK_EEELb0EEEEEENSF_IJS13_S14_S15_S16_S17_S18_S19_S1A_S1B_NS5_IJLi11ELi13EEEES1I_EEENSF_IJS1D_S1E_S18_S1F_S1G_S1B_S1H_S1I_S1J_NS5_IJLi14EEEENS5_IJLi15ELi16ELi17EEEEEEENS5_IJLi15ELi16ELi17ELi14EEEES1M_EENSE_INSF_IJS1S_S1U_ST_S1X_S1Y_ST_SY_S20_ST_S24_S27_EEES2A_S2D_S2E_S1M_EELi16ELi16ELi128ELi128ELi128ELi16ELi16ELi4ELi4ELi16ELb0EE3RunILb1ELNS_10TailNumberE10ENSE_INSF_IJNSG_INSF_IJiiEEENSF_IJiSM_EEELb0EEENSU_IS2L_Lb0EEENSS_IiEEEEENSF_IJS13_NS5_IJLi2EEEENS5_IJLi1EEEEEEENSF_IJNS5_IJLi1ELi2EEEENS5_IJLi3ELi4EEEES16_EEENS5_IJLi3ELi5ELi4EEEElEES1N_NS_35ThreadGroupTensorSliceTransfer_v4r1INS_15ThisThreadBlockILi256EEENS_16tensor_operation12element_wise11PassThroughES34_LNS_25InMemoryDataOperationEnumE0ENS5_IJLi8ELi128ELi16EEEENS5_IJLi8ELi32ELi1EEEENS5_IJLi1ELi0ELi2EEEESC_SC_RKS2Y_KS1N_S38_NS5_IJLi0ELi1ELi2EEEELi2ELi2ELi16ELi16ELi1ELi1ELb0ELb1ELi2EiEENS_13DynamicBufferILNS_16AddressSpaceEnumE1EKSC_lLb1ELNS_22AmdBufferCoherenceEnumE0EiEENS3E_ILS3F_2ESC_S1M_Lb1ELS3H_0EiEENSF_IJiiiEEENSE_INSF_IJNSU_INSF_IJiiiiEEELb0EEENS_23Merge_v2_magic_divisionIS2L_EENSS_INSF_IJiEEEEES2P_EEENSF_IJS13_NS5_IJLi1ELi3EEEES2R_S17_EEENSF_IJNS5_IJLi1ELi2ELi3ELi4EEEES16_S18_S19_EEENS5_IJLi5ELi6ELi7EEEElEES22_NS2Z_IS31_S34_S34_LS35_0ES36_NS5_IJLi4ELi64ELi1EEEES38_SD_SD_RKS3X_KS22_S38_S3C_Li2ELi2ELi16ELi16ELi1ELi1ELb0ELb1ELi2EiEENS3E_ILS3F_1EKSD_lLb1ELS3H_0EiEENS3E_ILS3F_2ESD_S1M_Lb1ELS3H_0EiEES3K_NS_25StaticBufferTupleOfVectorILS3F_4EfLi16ELi4ELb1ELb0EEEEEvRKT1_RKT2_RT3_RKT4_RT5_RKT6_RKT7_RKT8_RT9_RKT10_RT11_RKT12_RT13_iENKUlT_E1_clIS1V_EEDaS56_ENKUlS56_E_clISM_EEDaS56_ENKUlS56_E_clINSH_IiLi0EEEEEDaS56_ENKUlS56_E1_clISK_EEDaS56_EUlS56_E_EEvS56_EUlS56_E_EEvS56_
	.type	_ZNK2ck6detail7applierIiJLi0ELi1ELi2ELi3ELi4ELi5ELi6ELi7ELi8ELi9ELi10ELi11ELi12ELi13ELi14ELi15EEEclIZNKS_11static_fordINS_8SequenceIJLi4ELi4EEEENS5_IJLi0ELi1EEEEEclIZZZZZNKS_31BlockwiseGemmXdlops_pipeline_v2ILNS_26BlockGemmPipelineSchedulerE1ELi256ENS_9f8_fnuz_tENS_7pk_i4_tESC_fNS_16TensorDescriptorINS_5TupleIJNS_5EmbedINSF_IJNS_17integral_constantIiLi8EEENSH_IiLi128EEENSH_IiLi16EEEEEENSF_IJSK_SJ_NSH_IiLi1EEEEEELb0EEENS_3XorINSF_IJSJ_SI_EEELb1EEENS_11PassThroughISK_EENS_7UnMergeINSF_IJSI_SM_EEELb0EEENSS_ISJ_EEST_NSS_ISI_EENS_21Merge_v3_division_modINSF_IJSJ_SM_EEEEEST_EEENSF_IJNS5_IJLi0EEEENS5_IJLi2ELi1EEEENS5_IJLi3EEEENS5_IJLi5EEEENS5_IJLi4EEEENS5_IJLi6EEEENS5_IJLi7EEEENS5_IJLi9ELi8EEEENS5_IJLi10EEEEEEENSF_IJNS5_IJLi1ELi2ELi3EEEENS5_IJLi4ELi5EEEES18_NS5_IJLi7ELi8EEEENS5_IJLi9EEEES1B_NS5_IJLi11EEEENS5_IJLi12EEEENS5_IJLi13EEEEEEENS5_IJLi11ELi12ELi13EEEENSH_IlLl16384EEEEENSE_INSF_IJNSG_INSF_IJSK_NSH_IiLi64EEESK_EEENSF_IJSK_NSH_IiLi256EEESM_EEELb0EEENSP_INSF_IJS1O_SK_EEELb1EEEST_NSU_INSF_IJSI_NSH_IiLi2EEEEEELb0EEENSS_IS1O_EEST_SY_NSZ_INSF_IJS1O_S1V_EEEEEST_EEES1C_S1K_S1L_S1M_EENSE_INSF_IJSO_SR_ST_SW_SX_ST_SY_S11_ST_NSZ_INSF_IJSI_SK_EEEEENSU_INSF_IJNSH_IiLi4EEES1V_SK_EEELb0EEEEEENSF_IJS13_S14_S15_S16_S17_S18_S19_S1A_S1B_NS5_IJLi11ELi13EEEES1I_EEENSF_IJS1D_S1E_S18_S1F_S1G_S1B_S1H_S1I_S1J_NS5_IJLi14EEEENS5_IJLi15ELi16ELi17EEEEEEENS5_IJLi15ELi16ELi17ELi14EEEES1M_EENSE_INSF_IJS1S_S1U_ST_S1X_S1Y_ST_SY_S20_ST_S24_S27_EEES2A_S2D_S2E_S1M_EELi16ELi16ELi128ELi128ELi128ELi16ELi16ELi4ELi4ELi16ELb0EE3RunILb1ELNS_10TailNumberE10ENSE_INSF_IJNSG_INSF_IJiiEEENSF_IJiSM_EEELb0EEENSU_IS2L_Lb0EEENSS_IiEEEEENSF_IJS13_NS5_IJLi2EEEENS5_IJLi1EEEEEEENSF_IJNS5_IJLi1ELi2EEEENS5_IJLi3ELi4EEEES16_EEENS5_IJLi3ELi5ELi4EEEElEES1N_NS_35ThreadGroupTensorSliceTransfer_v4r1INS_15ThisThreadBlockILi256EEENS_16tensor_operation12element_wise11PassThroughES34_LNS_25InMemoryDataOperationEnumE0ENS5_IJLi8ELi128ELi16EEEENS5_IJLi8ELi32ELi1EEEENS5_IJLi1ELi0ELi2EEEESC_SC_RKS2Y_KS1N_S38_NS5_IJLi0ELi1ELi2EEEELi2ELi2ELi16ELi16ELi1ELi1ELb0ELb1ELi2EiEENS_13DynamicBufferILNS_16AddressSpaceEnumE1EKSC_lLb1ELNS_22AmdBufferCoherenceEnumE0EiEENS3E_ILS3F_2ESC_S1M_Lb1ELS3H_0EiEENSF_IJiiiEEENSE_INSF_IJNSU_INSF_IJiiiiEEELb0EEENS_23Merge_v2_magic_divisionIS2L_EENSS_INSF_IJiEEEEES2P_EEENSF_IJS13_NS5_IJLi1ELi3EEEES2R_S17_EEENSF_IJNS5_IJLi1ELi2ELi3ELi4EEEES16_S18_S19_EEENS5_IJLi5ELi6ELi7EEEElEES22_NS2Z_IS31_S34_S34_LS35_0ES36_NS5_IJLi4ELi64ELi1EEEES38_SD_SD_RKS3X_KS22_S38_S3C_Li2ELi2ELi16ELi16ELi1ELi1ELb0ELb1ELi2EiEENS3E_ILS3F_1EKSD_lLb1ELS3H_0EiEENS3E_ILS3F_2ESD_S1M_Lb1ELS3H_0EiEES3K_NS_25StaticBufferTupleOfVectorILS3F_4EfLi16ELi4ELb1ELb0EEEEEvRKT1_RKT2_RT3_RKT4_RT5_RKT6_RKT7_RKT8_RT9_RKT10_RT11_RKT12_RT13_iENKUlT_E1_clIS1V_EEDaS56_ENKUlS56_E_clISM_EEDaS56_ENKUlS56_E_clINSH_IiLi0EEEEEDaS56_ENKUlS56_E1_clISK_EEDaS56_EUlS56_E_EEvS56_EUlS56_E_EEvS56_,@function
_ZNK2ck6detail7applierIiJLi0ELi1ELi2ELi3ELi4ELi5ELi6ELi7ELi8ELi9ELi10ELi11ELi12ELi13ELi14ELi15EEEclIZNKS_11static_fordINS_8SequenceIJLi4ELi4EEEENS5_IJLi0ELi1EEEEEclIZZZZZNKS_31BlockwiseGemmXdlops_pipeline_v2ILNS_26BlockGemmPipelineSchedulerE1ELi256ENS_9f8_fnuz_tENS_7pk_i4_tESC_fNS_16TensorDescriptorINS_5TupleIJNS_5EmbedINSF_IJNS_17integral_constantIiLi8EEENSH_IiLi128EEENSH_IiLi16EEEEEENSF_IJSK_SJ_NSH_IiLi1EEEEEELb0EEENS_3XorINSF_IJSJ_SI_EEELb1EEENS_11PassThroughISK_EENS_7UnMergeINSF_IJSI_SM_EEELb0EEENSS_ISJ_EEST_NSS_ISI_EENS_21Merge_v3_division_modINSF_IJSJ_SM_EEEEEST_EEENSF_IJNS5_IJLi0EEEENS5_IJLi2ELi1EEEENS5_IJLi3EEEENS5_IJLi5EEEENS5_IJLi4EEEENS5_IJLi6EEEENS5_IJLi7EEEENS5_IJLi9ELi8EEEENS5_IJLi10EEEEEEENSF_IJNS5_IJLi1ELi2ELi3EEEENS5_IJLi4ELi5EEEES18_NS5_IJLi7ELi8EEEENS5_IJLi9EEEES1B_NS5_IJLi11EEEENS5_IJLi12EEEENS5_IJLi13EEEEEEENS5_IJLi11ELi12ELi13EEEENSH_IlLl16384EEEEENSE_INSF_IJNSG_INSF_IJSK_NSH_IiLi64EEESK_EEENSF_IJSK_NSH_IiLi256EEESM_EEELb0EEENSP_INSF_IJS1O_SK_EEELb1EEEST_NSU_INSF_IJSI_NSH_IiLi2EEEEEELb0EEENSS_IS1O_EEST_SY_NSZ_INSF_IJS1O_S1V_EEEEEST_EEES1C_S1K_S1L_S1M_EENSE_INSF_IJSO_SR_ST_SW_SX_ST_SY_S11_ST_NSZ_INSF_IJSI_SK_EEEEENSU_INSF_IJNSH_IiLi4EEES1V_SK_EEELb0EEEEEENSF_IJS13_S14_S15_S16_S17_S18_S19_S1A_S1B_NS5_IJLi11ELi13EEEES1I_EEENSF_IJS1D_S1E_S18_S1F_S1G_S1B_S1H_S1I_S1J_NS5_IJLi14EEEENS5_IJLi15ELi16ELi17EEEEEEENS5_IJLi15ELi16ELi17ELi14EEEES1M_EENSE_INSF_IJS1S_S1U_ST_S1X_S1Y_ST_SY_S20_ST_S24_S27_EEES2A_S2D_S2E_S1M_EELi16ELi16ELi128ELi128ELi128ELi16ELi16ELi4ELi4ELi16ELb0EE3RunILb1ELNS_10TailNumberE10ENSE_INSF_IJNSG_INSF_IJiiEEENSF_IJiSM_EEELb0EEENSU_IS2L_Lb0EEENSS_IiEEEEENSF_IJS13_NS5_IJLi2EEEENS5_IJLi1EEEEEEENSF_IJNS5_IJLi1ELi2EEEENS5_IJLi3ELi4EEEES16_EEENS5_IJLi3ELi5ELi4EEEElEES1N_NS_35ThreadGroupTensorSliceTransfer_v4r1INS_15ThisThreadBlockILi256EEENS_16tensor_operation12element_wise11PassThroughES34_LNS_25InMemoryDataOperationEnumE0ENS5_IJLi8ELi128ELi16EEEENS5_IJLi8ELi32ELi1EEEENS5_IJLi1ELi0ELi2EEEESC_SC_RKS2Y_KS1N_S38_NS5_IJLi0ELi1ELi2EEEELi2ELi2ELi16ELi16ELi1ELi1ELb0ELb1ELi2EiEENS_13DynamicBufferILNS_16AddressSpaceEnumE1EKSC_lLb1ELNS_22AmdBufferCoherenceEnumE0EiEENS3E_ILS3F_2ESC_S1M_Lb1ELS3H_0EiEENSF_IJiiiEEENSE_INSF_IJNSU_INSF_IJiiiiEEELb0EEENS_23Merge_v2_magic_divisionIS2L_EENSS_INSF_IJiEEEEES2P_EEENSF_IJS13_NS5_IJLi1ELi3EEEES2R_S17_EEENSF_IJNS5_IJLi1ELi2ELi3ELi4EEEES16_S18_S19_EEENS5_IJLi5ELi6ELi7EEEElEES22_NS2Z_IS31_S34_S34_LS35_0ES36_NS5_IJLi4ELi64ELi1EEEES38_SD_SD_RKS3X_KS22_S38_S3C_Li2ELi2ELi16ELi16ELi1ELi1ELb0ELb1ELi2EiEENS3E_ILS3F_1EKSD_lLb1ELS3H_0EiEENS3E_ILS3F_2ESD_S1M_Lb1ELS3H_0EiEES3K_NS_25StaticBufferTupleOfVectorILS3F_4EfLi16ELi4ELb1ELb0EEEEEvRKT1_RKT2_RT3_RKT4_RT5_RKT6_RKT7_RKT8_RT9_RKT10_RT11_RKT12_RT13_iENKUlT_E1_clIS1V_EEDaS56_ENKUlS56_E_clISM_EEDaS56_ENKUlS56_E_clINSH_IiLi0EEEEEDaS56_ENKUlS56_E1_clISK_EEDaS56_EUlS56_E_EEvS56_EUlS56_E_EEvS56_: ; @_ZNK2ck6detail7applierIiJLi0ELi1ELi2ELi3ELi4ELi5ELi6ELi7ELi8ELi9ELi10ELi11ELi12ELi13ELi14ELi15EEEclIZNKS_11static_fordINS_8SequenceIJLi4ELi4EEEENS5_IJLi0ELi1EEEEEclIZZZZZNKS_31BlockwiseGemmXdlops_pipeline_v2ILNS_26BlockGemmPipelineSchedulerE1ELi256ENS_9f8_fnuz_tENS_7pk_i4_tESC_fNS_16TensorDescriptorINS_5TupleIJNS_5EmbedINSF_IJNS_17integral_constantIiLi8EEENSH_IiLi128EEENSH_IiLi16EEEEEENSF_IJSK_SJ_NSH_IiLi1EEEEEELb0EEENS_3XorINSF_IJSJ_SI_EEELb1EEENS_11PassThroughISK_EENS_7UnMergeINSF_IJSI_SM_EEELb0EEENSS_ISJ_EEST_NSS_ISI_EENS_21Merge_v3_division_modINSF_IJSJ_SM_EEEEEST_EEENSF_IJNS5_IJLi0EEEENS5_IJLi2ELi1EEEENS5_IJLi3EEEENS5_IJLi5EEEENS5_IJLi4EEEENS5_IJLi6EEEENS5_IJLi7EEEENS5_IJLi9ELi8EEEENS5_IJLi10EEEEEEENSF_IJNS5_IJLi1ELi2ELi3EEEENS5_IJLi4ELi5EEEES18_NS5_IJLi7ELi8EEEENS5_IJLi9EEEES1B_NS5_IJLi11EEEENS5_IJLi12EEEENS5_IJLi13EEEEEEENS5_IJLi11ELi12ELi13EEEENSH_IlLl16384EEEEENSE_INSF_IJNSG_INSF_IJSK_NSH_IiLi64EEESK_EEENSF_IJSK_NSH_IiLi256EEESM_EEELb0EEENSP_INSF_IJS1O_SK_EEELb1EEEST_NSU_INSF_IJSI_NSH_IiLi2EEEEEELb0EEENSS_IS1O_EEST_SY_NSZ_INSF_IJS1O_S1V_EEEEEST_EEES1C_S1K_S1L_S1M_EENSE_INSF_IJSO_SR_ST_SW_SX_ST_SY_S11_ST_NSZ_INSF_IJSI_SK_EEEEENSU_INSF_IJNSH_IiLi4EEES1V_SK_EEELb0EEEEEENSF_IJS13_S14_S15_S16_S17_S18_S19_S1A_S1B_NS5_IJLi11ELi13EEEES1I_EEENSF_IJS1D_S1E_S18_S1F_S1G_S1B_S1H_S1I_S1J_NS5_IJLi14EEEENS5_IJLi15ELi16ELi17EEEEEEENS5_IJLi15ELi16ELi17ELi14EEEES1M_EENSE_INSF_IJS1S_S1U_ST_S1X_S1Y_ST_SY_S20_ST_S24_S27_EEES2A_S2D_S2E_S1M_EELi16ELi16ELi128ELi128ELi128ELi16ELi16ELi4ELi4ELi16ELb0EE3RunILb1ELNS_10TailNumberE10ENSE_INSF_IJNSG_INSF_IJiiEEENSF_IJiSM_EEELb0EEENSU_IS2L_Lb0EEENSS_IiEEEEENSF_IJS13_NS5_IJLi2EEEENS5_IJLi1EEEEEEENSF_IJNS5_IJLi1ELi2EEEENS5_IJLi3ELi4EEEES16_EEENS5_IJLi3ELi5ELi4EEEElEES1N_NS_35ThreadGroupTensorSliceTransfer_v4r1INS_15ThisThreadBlockILi256EEENS_16tensor_operation12element_wise11PassThroughES34_LNS_25InMemoryDataOperationEnumE0ENS5_IJLi8ELi128ELi16EEEENS5_IJLi8ELi32ELi1EEEENS5_IJLi1ELi0ELi2EEEESC_SC_RKS2Y_KS1N_S38_NS5_IJLi0ELi1ELi2EEEELi2ELi2ELi16ELi16ELi1ELi1ELb0ELb1ELi2EiEENS_13DynamicBufferILNS_16AddressSpaceEnumE1EKSC_lLb1ELNS_22AmdBufferCoherenceEnumE0EiEENS3E_ILS3F_2ESC_S1M_Lb1ELS3H_0EiEENSF_IJiiiEEENSE_INSF_IJNSU_INSF_IJiiiiEEELb0EEENS_23Merge_v2_magic_divisionIS2L_EENSS_INSF_IJiEEEEES2P_EEENSF_IJS13_NS5_IJLi1ELi3EEEES2R_S17_EEENSF_IJNS5_IJLi1ELi2ELi3ELi4EEEES16_S18_S19_EEENS5_IJLi5ELi6ELi7EEEElEES22_NS2Z_IS31_S34_S34_LS35_0ES36_NS5_IJLi4ELi64ELi1EEEES38_SD_SD_RKS3X_KS22_S38_S3C_Li2ELi2ELi16ELi16ELi1ELi1ELb0ELb1ELi2EiEENS3E_ILS3F_1EKSD_lLb1ELS3H_0EiEENS3E_ILS3F_2ESD_S1M_Lb1ELS3H_0EiEES3K_NS_25StaticBufferTupleOfVectorILS3F_4EfLi16ELi4ELb1ELb0EEEEEvRKT1_RKT2_RT3_RKT4_RT5_RKT6_RKT7_RKT8_RT9_RKT10_RT11_RKT12_RT13_iENKUlT_E1_clIS1V_EEDaS56_ENKUlS56_E_clISM_EEDaS56_ENKUlS56_E_clINSH_IiLi0EEEEEDaS56_ENKUlS56_E1_clISK_EEDaS56_EUlS56_E_EEvS56_EUlS56_E_EEvS56_
; %bb.0:
	s_waitcnt vmcnt(0) expcnt(0) lgkmcnt(0)
	flat_load_dwordx4 v[12:15], v[0:1] offset:8
	flat_load_dwordx2 v[10:11], v[0:1] offset:32
	s_movk_i32 s4, 0x7f
                                        ; implicit-def: $sgpr10
	s_waitcnt vmcnt(0) lgkmcnt(0)
	flat_load_dwordx4 v[6:9], v[12:13] offset:16
	flat_load_dwordx4 v[2:5], v[14:15] offset:16
	s_waitcnt vmcnt(0) lgkmcnt(0)
	v_cmp_gt_i16_sdwa s[6:7], v6, s4 src0_sel:BYTE_0 src1_sel:DWORD
	s_mov_b64 s[4:5], 0
	s_and_saveexec_b64 s[8:9], s[6:7]
	s_xor_b64 s[6:7], exec, s[8:9]
	s_cbranch_execnz .LBB13_2049
; %bb.1:
	s_or_saveexec_b64 s[6:7], s[6:7]
	v_mov_b32_e32 v12, s10
	s_xor_b64 exec, exec, s[6:7]
	s_cbranch_execnz .LBB13_2052
.LBB13_2:
	s_or_b64 exec, exec, s[6:7]
	s_and_saveexec_b64 s[6:7], s[4:5]
	s_cbranch_execz .LBB13_4
.LBB13_3:
	v_and_b32_e32 v12, 7, v6
	v_ffbh_u32_e32 v14, v12
	v_min_u32_e32 v14, 32, v14
	v_lshrrev_b16_e32 v13, 3, v6
	v_subrev_u32_e32 v15, 28, v14
	v_and_b32_e32 v13, 15, v13
	v_lshlrev_b32_e32 v15, v15, v6
	v_sub_u32_e32 v14, 29, v14
	v_and_b32_e32 v15, 7, v15
	v_cmp_eq_u16_e32 vcc, 0, v13
	v_cndmask_b32_e32 v12, v12, v15, vcc
	v_cndmask_b32_e32 v13, v13, v14, vcc
	v_lshlrev_b32_e32 v14, 24, v6
	v_mov_b32_e32 v15, 0x3b800000
	v_lshlrev_b32_e32 v12, 20, v12
	v_and_b32_e32 v14, 0x80000000, v14
	v_lshl_add_u32 v13, v13, 23, v15
	v_or3_b32 v12, v14, v13, v12
.LBB13_4:
	s_or_b64 exec, exec, s[6:7]
	s_movk_i32 s4, 0x7f
	v_cmp_gt_i16_sdwa s[6:7], v2, s4 src0_sel:BYTE_0 src1_sel:DWORD
	s_mov_b64 s[4:5], 0
                                        ; implicit-def: $sgpr10
	s_and_saveexec_b64 s[8:9], s[6:7]
	s_xor_b64 s[6:7], exec, s[8:9]
	s_cbranch_execnz .LBB13_2053
; %bb.5:
	s_or_saveexec_b64 s[6:7], s[6:7]
	v_mov_b32_e32 v13, s10
	s_xor_b64 exec, exec, s[6:7]
	s_cbranch_execnz .LBB13_2056
.LBB13_6:
	s_or_b64 exec, exec, s[6:7]
	s_and_saveexec_b64 s[6:7], s[4:5]
	s_cbranch_execz .LBB13_8
.LBB13_7:
	v_and_b32_e32 v13, 7, v2
	v_ffbh_u32_e32 v15, v13
	v_min_u32_e32 v15, 32, v15
	v_lshrrev_b16_e32 v14, 3, v2
	v_subrev_u32_e32 v16, 28, v15
	v_and_b32_e32 v14, 15, v14
	v_lshlrev_b32_e32 v16, v16, v2
	v_sub_u32_e32 v15, 29, v15
	v_and_b32_e32 v16, 7, v16
	v_cmp_eq_u16_e32 vcc, 0, v14
	v_cndmask_b32_e32 v13, v13, v16, vcc
	v_cndmask_b32_e32 v14, v14, v15, vcc
	v_lshlrev_b32_e32 v15, 24, v2
	v_mov_b32_e32 v16, 0x3b800000
	v_lshlrev_b32_e32 v13, 20, v13
	v_and_b32_e32 v15, 0x80000000, v15
	v_lshl_add_u32 v14, v14, 23, v16
	v_or3_b32 v13, v15, v14, v13
.LBB13_8:
	s_or_b64 exec, exec, s[6:7]
	flat_load_dwordx4 a[0:3], v[10:11]
	s_movk_i32 s4, 0x7f
                                        ; implicit-def: $sgpr10
	s_waitcnt vmcnt(0) lgkmcnt(0)
	v_mfma_f32_16x16x4f32 a[0:3], v12, v13, a[0:3]
	v_lshrrev_b32_e32 v13, 8, v6
	v_cmp_gt_i16_sdwa s[6:7], v13, s4 src0_sel:BYTE_0 src1_sel:DWORD
	s_mov_b64 s[4:5], 0
	s_and_saveexec_b64 s[8:9], s[6:7]
	s_xor_b64 s[6:7], exec, s[8:9]
	s_cbranch_execnz .LBB13_2057
; %bb.9:
	s_or_saveexec_b64 s[6:7], s[6:7]
	v_mov_b32_e32 v12, s10
	s_xor_b64 exec, exec, s[6:7]
	s_cbranch_execnz .LBB13_2060
.LBB13_10:
	s_or_b64 exec, exec, s[6:7]
	s_and_saveexec_b64 s[6:7], s[4:5]
	s_cbranch_execz .LBB13_12
.LBB13_11:
	v_bfe_u32 v12, v6, 8, 3
	v_ffbh_u32_e32 v15, v12
	v_min_u32_e32 v15, 32, v15
	v_lshrrev_b16_e32 v14, 3, v13
	v_subrev_u32_e32 v16, 28, v15
	v_and_b32_e32 v14, 15, v14
	v_lshlrev_b32_e32 v13, v16, v13
	v_sub_u32_e32 v15, 29, v15
	v_and_b32_e32 v13, 7, v13
	v_cmp_eq_u16_e32 vcc, 0, v14
	v_cndmask_b32_e32 v12, v12, v13, vcc
	v_cndmask_b32_e32 v13, v14, v15, vcc
	v_lshlrev_b32_e32 v14, 16, v6
	v_mov_b32_e32 v15, 0x3b800000
	v_lshlrev_b32_e32 v12, 20, v12
	v_and_b32_e32 v14, 0x80000000, v14
	v_lshl_add_u32 v13, v13, 23, v15
	v_or3_b32 v12, v14, v13, v12
.LBB13_12:
	s_or_b64 exec, exec, s[6:7]
	v_lshrrev_b32_e32 v13, 8, v2
	s_movk_i32 s4, 0x7f
	v_cmp_gt_i16_sdwa s[6:7], v13, s4 src0_sel:BYTE_0 src1_sel:DWORD
	s_mov_b64 s[4:5], 0
                                        ; implicit-def: $sgpr10
	s_and_saveexec_b64 s[8:9], s[6:7]
	s_xor_b64 s[6:7], exec, s[8:9]
	s_cbranch_execnz .LBB13_2061
; %bb.13:
	s_or_saveexec_b64 s[6:7], s[6:7]
	v_mov_b32_e32 v14, s10
	s_xor_b64 exec, exec, s[6:7]
	s_cbranch_execnz .LBB13_2064
.LBB13_14:
	s_or_b64 exec, exec, s[6:7]
	s_and_saveexec_b64 s[6:7], s[4:5]
	s_cbranch_execz .LBB13_16
.LBB13_15:
	v_bfe_u32 v14, v2, 8, 3
	v_ffbh_u32_e32 v16, v14
	v_min_u32_e32 v16, 32, v16
	v_lshrrev_b16_e32 v15, 3, v13
	v_subrev_u32_e32 v17, 28, v16
	v_and_b32_e32 v15, 15, v15
	v_lshlrev_b32_e32 v13, v17, v13
	v_sub_u32_e32 v16, 29, v16
	v_and_b32_e32 v13, 7, v13
	v_cmp_eq_u16_e32 vcc, 0, v15
	v_cndmask_b32_e32 v13, v14, v13, vcc
	v_cndmask_b32_e32 v14, v15, v16, vcc
	v_lshlrev_b32_e32 v15, 16, v2
	v_mov_b32_e32 v16, 0x3b800000
	v_lshlrev_b32_e32 v13, 20, v13
	v_and_b32_e32 v15, 0x80000000, v15
	v_lshl_add_u32 v14, v14, 23, v16
	v_or3_b32 v14, v15, v14, v13
.LBB13_16:
	s_or_b64 exec, exec, s[6:7]
	s_nop 0
	v_mfma_f32_16x16x4f32 a[0:3], v12, v14, a[0:3]
	s_movk_i32 s4, 0xff
	v_and_b32_sdwa v13, v6, s4 dst_sel:DWORD dst_unused:UNUSED_PAD src0_sel:WORD_1 src1_sel:DWORD
	s_movk_i32 s4, 0x7f
	v_cmp_lt_i16_e32 vcc, s4, v13
	s_mov_b64 s[4:5], 0
                                        ; implicit-def: $sgpr10
	s_and_saveexec_b64 s[6:7], vcc
	s_xor_b64 s[6:7], exec, s[6:7]
	s_cbranch_execnz .LBB13_2065
; %bb.17:
	s_or_saveexec_b64 s[6:7], s[6:7]
	v_mov_b32_e32 v12, s10
	s_xor_b64 exec, exec, s[6:7]
	s_cbranch_execnz .LBB13_2068
.LBB13_18:
	s_or_b64 exec, exec, s[6:7]
	s_and_saveexec_b64 s[6:7], s[4:5]
	s_cbranch_execz .LBB13_20
.LBB13_19:
	v_bfe_u32 v12, v6, 16, 3
	v_ffbh_u32_e32 v15, v12
	v_min_u32_e32 v15, 32, v15
	v_lshrrev_b32_e32 v13, 19, v6
	v_subrev_u32_e32 v16, 28, v15
	v_and_b32_e32 v13, 15, v13
	v_lshlrev_b32_sdwa v16, v16, v6 dst_sel:DWORD dst_unused:UNUSED_PAD src0_sel:DWORD src1_sel:WORD_1
	v_bfe_u32 v14, v6, 19, 4
	v_sub_u32_e32 v15, 29, v15
	v_and_b32_e32 v16, 7, v16
	v_cmp_eq_u16_e32 vcc, 0, v13
	v_cndmask_b32_e32 v12, v12, v16, vcc
	v_cndmask_b32_e32 v13, v14, v15, vcc
	v_lshlrev_b32_e32 v14, 8, v6
	v_mov_b32_e32 v15, 0x3b800000
	v_lshlrev_b32_e32 v12, 20, v12
	v_and_b32_e32 v14, 0x80000000, v14
	v_lshl_add_u32 v13, v13, 23, v15
	v_or3_b32 v12, v14, v13, v12
.LBB13_20:
	s_or_b64 exec, exec, s[6:7]
	s_movk_i32 s4, 0xff
	v_and_b32_sdwa v13, v2, s4 dst_sel:DWORD dst_unused:UNUSED_PAD src0_sel:WORD_1 src1_sel:DWORD
	s_movk_i32 s4, 0x7f
	v_cmp_lt_i16_e32 vcc, s4, v13
	s_mov_b64 s[4:5], 0
                                        ; implicit-def: $sgpr10
	s_and_saveexec_b64 s[6:7], vcc
	s_xor_b64 s[6:7], exec, s[6:7]
	s_cbranch_execnz .LBB13_2069
; %bb.21:
	s_or_saveexec_b64 s[6:7], s[6:7]
	v_mov_b32_e32 v14, s10
	s_xor_b64 exec, exec, s[6:7]
	s_cbranch_execnz .LBB13_2072
.LBB13_22:
	s_or_b64 exec, exec, s[6:7]
	s_and_saveexec_b64 s[6:7], s[4:5]
	s_cbranch_execz .LBB13_24
.LBB13_23:
	v_bfe_u32 v13, v2, 16, 3
	v_ffbh_u32_e32 v16, v13
	v_min_u32_e32 v16, 32, v16
	v_lshrrev_b32_e32 v14, 19, v2
	v_subrev_u32_e32 v17, 28, v16
	v_and_b32_e32 v14, 15, v14
	v_lshlrev_b32_sdwa v17, v17, v2 dst_sel:DWORD dst_unused:UNUSED_PAD src0_sel:DWORD src1_sel:WORD_1
	v_bfe_u32 v15, v2, 19, 4
	v_sub_u32_e32 v16, 29, v16
	v_and_b32_e32 v17, 7, v17
	v_cmp_eq_u16_e32 vcc, 0, v14
	v_cndmask_b32_e32 v13, v13, v17, vcc
	v_cndmask_b32_e32 v14, v15, v16, vcc
	v_lshlrev_b32_e32 v15, 8, v2
	v_mov_b32_e32 v16, 0x3b800000
	v_lshlrev_b32_e32 v13, 20, v13
	v_and_b32_e32 v15, 0x80000000, v15
	v_lshl_add_u32 v14, v14, 23, v16
	v_or3_b32 v14, v15, v14, v13
.LBB13_24:
	s_or_b64 exec, exec, s[6:7]
	s_nop 0
	v_mfma_f32_16x16x4f32 a[0:3], v12, v14, a[0:3]
	s_movk_i32 s4, 0x7f
	v_cmp_gt_i16_sdwa s[6:7], v6, s4 src0_sel:BYTE_3 src1_sel:DWORD
	s_mov_b64 s[4:5], 0
                                        ; implicit-def: $sgpr10
	s_and_saveexec_b64 s[8:9], s[6:7]
	s_xor_b64 s[6:7], exec, s[8:9]
	s_cbranch_execnz .LBB13_2073
; %bb.25:
	s_or_saveexec_b64 s[6:7], s[6:7]
	v_mov_b32_e32 v12, s10
	s_xor_b64 exec, exec, s[6:7]
	s_cbranch_execnz .LBB13_2076
.LBB13_26:
	s_or_b64 exec, exec, s[6:7]
	s_and_saveexec_b64 s[6:7], s[4:5]
	s_cbranch_execz .LBB13_28
.LBB13_27:
	v_bfe_u32 v12, v6, 24, 3
	v_ffbh_u32_e32 v16, v12
	v_min_u32_e32 v16, 32, v16
	v_lshrrev_b32_e32 v14, 27, v6
	v_subrev_u32_e32 v17, 28, v16
	v_and_b32_e32 v13, 0x80000000, v6
	v_and_b32_e32 v14, 15, v14
	v_bfe_u32 v15, v6, 27, 4
	v_lshlrev_b32_sdwa v6, v17, v6 dst_sel:DWORD dst_unused:UNUSED_PAD src0_sel:DWORD src1_sel:BYTE_3
	v_sub_u32_e32 v16, 29, v16
	v_and_b32_e32 v6, 7, v6
	v_cmp_eq_u16_e32 vcc, 0, v14
	v_cndmask_b32_e32 v6, v12, v6, vcc
	v_cndmask_b32_e32 v12, v15, v16, vcc
	v_mov_b32_e32 v14, 0x3b800000
	v_lshlrev_b32_e32 v6, 20, v6
	v_lshl_add_u32 v12, v12, 23, v14
	v_or3_b32 v12, v13, v12, v6
.LBB13_28:
	s_or_b64 exec, exec, s[6:7]
	s_movk_i32 s4, 0x7f
	v_cmp_gt_i16_sdwa s[6:7], v2, s4 src0_sel:BYTE_3 src1_sel:DWORD
	s_mov_b64 s[4:5], 0
                                        ; implicit-def: $sgpr10
	s_and_saveexec_b64 s[8:9], s[6:7]
	s_xor_b64 s[6:7], exec, s[8:9]
	s_cbranch_execnz .LBB13_2077
; %bb.29:
	s_or_saveexec_b64 s[6:7], s[6:7]
	v_mov_b32_e32 v6, s10
	s_xor_b64 exec, exec, s[6:7]
	s_cbranch_execnz .LBB13_2080
.LBB13_30:
	s_or_b64 exec, exec, s[6:7]
	s_and_saveexec_b64 s[6:7], s[4:5]
	s_cbranch_execz .LBB13_32
.LBB13_31:
	v_bfe_u32 v6, v2, 24, 3
	v_ffbh_u32_e32 v16, v6
	v_min_u32_e32 v16, 32, v16
	v_lshrrev_b32_e32 v14, 27, v2
	v_subrev_u32_e32 v17, 28, v16
	v_and_b32_e32 v13, 0x80000000, v2
	v_and_b32_e32 v14, 15, v14
	v_bfe_u32 v15, v2, 27, 4
	v_lshlrev_b32_sdwa v2, v17, v2 dst_sel:DWORD dst_unused:UNUSED_PAD src0_sel:DWORD src1_sel:BYTE_3
	v_sub_u32_e32 v16, 29, v16
	v_and_b32_e32 v2, 7, v2
	v_cmp_eq_u16_e32 vcc, 0, v14
	v_cndmask_b32_e32 v2, v6, v2, vcc
	v_cndmask_b32_e32 v6, v15, v16, vcc
	v_mov_b32_e32 v14, 0x3b800000
	v_lshlrev_b32_e32 v2, 20, v2
	v_lshl_add_u32 v6, v6, 23, v14
	v_or3_b32 v6, v13, v6, v2
.LBB13_32:
	s_or_b64 exec, exec, s[6:7]
	s_nop 0
	v_mfma_f32_16x16x4f32 a[0:3], v12, v6, a[0:3]
	s_movk_i32 s4, 0x7f
	v_cmp_gt_i16_sdwa s[6:7], v7, s4 src0_sel:BYTE_0 src1_sel:DWORD
	s_mov_b64 s[4:5], 0
                                        ; implicit-def: $sgpr10
	s_and_saveexec_b64 s[8:9], s[6:7]
	s_xor_b64 s[6:7], exec, s[8:9]
	s_cbranch_execnz .LBB13_2081
; %bb.33:
	s_or_saveexec_b64 s[6:7], s[6:7]
	v_mov_b32_e32 v2, s10
	s_xor_b64 exec, exec, s[6:7]
	s_cbranch_execnz .LBB13_2084
.LBB13_34:
	s_or_b64 exec, exec, s[6:7]
	s_and_saveexec_b64 s[6:7], s[4:5]
	s_cbranch_execz .LBB13_36
.LBB13_35:
	v_and_b32_e32 v2, 7, v7
	v_ffbh_u32_e32 v12, v2
	v_min_u32_e32 v12, 32, v12
	v_lshrrev_b16_e32 v6, 3, v7
	v_subrev_u32_e32 v13, 28, v12
	v_and_b32_e32 v6, 15, v6
	v_lshlrev_b32_e32 v13, v13, v7
	v_sub_u32_e32 v12, 29, v12
	v_and_b32_e32 v13, 7, v13
	v_cmp_eq_u16_e32 vcc, 0, v6
	v_cndmask_b32_e32 v2, v2, v13, vcc
	v_cndmask_b32_e32 v6, v6, v12, vcc
	v_lshlrev_b32_e32 v12, 24, v7
	v_mov_b32_e32 v13, 0x3b800000
	v_lshlrev_b32_e32 v2, 20, v2
	v_and_b32_e32 v12, 0x80000000, v12
	v_lshl_add_u32 v6, v6, 23, v13
	v_or3_b32 v2, v12, v6, v2
.LBB13_36:
	s_or_b64 exec, exec, s[6:7]
	s_movk_i32 s4, 0x7f
	v_cmp_gt_i16_sdwa s[6:7], v3, s4 src0_sel:BYTE_0 src1_sel:DWORD
	s_mov_b64 s[4:5], 0
                                        ; implicit-def: $sgpr10
	s_and_saveexec_b64 s[8:9], s[6:7]
	s_xor_b64 s[6:7], exec, s[8:9]
	s_cbranch_execnz .LBB13_2085
; %bb.37:
	s_or_saveexec_b64 s[6:7], s[6:7]
	v_mov_b32_e32 v6, s10
	s_xor_b64 exec, exec, s[6:7]
	s_cbranch_execnz .LBB13_2088
.LBB13_38:
	s_or_b64 exec, exec, s[6:7]
	s_and_saveexec_b64 s[6:7], s[4:5]
	s_cbranch_execz .LBB13_40
.LBB13_39:
	v_and_b32_e32 v6, 7, v3
	v_ffbh_u32_e32 v13, v6
	v_min_u32_e32 v13, 32, v13
	v_lshrrev_b16_e32 v12, 3, v3
	v_subrev_u32_e32 v14, 28, v13
	v_and_b32_e32 v12, 15, v12
	v_lshlrev_b32_e32 v14, v14, v3
	v_sub_u32_e32 v13, 29, v13
	v_and_b32_e32 v14, 7, v14
	v_cmp_eq_u16_e32 vcc, 0, v12
	v_cndmask_b32_e32 v6, v6, v14, vcc
	v_cndmask_b32_e32 v12, v12, v13, vcc
	v_lshlrev_b32_e32 v13, 24, v3
	v_mov_b32_e32 v14, 0x3b800000
	v_lshlrev_b32_e32 v6, 20, v6
	v_and_b32_e32 v13, 0x80000000, v13
	v_lshl_add_u32 v12, v12, 23, v14
	v_or3_b32 v6, v13, v12, v6
.LBB13_40:
	s_or_b64 exec, exec, s[6:7]
	s_nop 0
	v_mfma_f32_16x16x4f32 a[0:3], v2, v6, a[0:3]
	v_lshrrev_b32_e32 v6, 8, v7
	s_movk_i32 s4, 0x7f
	v_cmp_gt_i16_sdwa s[6:7], v6, s4 src0_sel:BYTE_0 src1_sel:DWORD
	s_mov_b64 s[4:5], 0
                                        ; implicit-def: $sgpr10
	s_and_saveexec_b64 s[8:9], s[6:7]
	s_xor_b64 s[6:7], exec, s[8:9]
	s_cbranch_execnz .LBB13_2089
; %bb.41:
	s_or_saveexec_b64 s[6:7], s[6:7]
	v_mov_b32_e32 v2, s10
	s_xor_b64 exec, exec, s[6:7]
	s_cbranch_execnz .LBB13_2092
.LBB13_42:
	s_or_b64 exec, exec, s[6:7]
	s_and_saveexec_b64 s[6:7], s[4:5]
	s_cbranch_execz .LBB13_44
.LBB13_43:
	v_bfe_u32 v2, v7, 8, 3
	v_ffbh_u32_e32 v13, v2
	v_min_u32_e32 v13, 32, v13
	v_lshrrev_b16_e32 v12, 3, v6
	v_subrev_u32_e32 v14, 28, v13
	v_and_b32_e32 v12, 15, v12
	v_lshlrev_b32_e32 v6, v14, v6
	v_sub_u32_e32 v13, 29, v13
	v_and_b32_e32 v6, 7, v6
	v_cmp_eq_u16_e32 vcc, 0, v12
	v_cndmask_b32_e32 v2, v2, v6, vcc
	v_cndmask_b32_e32 v6, v12, v13, vcc
	v_lshlrev_b32_e32 v12, 16, v7
	v_mov_b32_e32 v13, 0x3b800000
	v_lshlrev_b32_e32 v2, 20, v2
	v_and_b32_e32 v12, 0x80000000, v12
	v_lshl_add_u32 v6, v6, 23, v13
	v_or3_b32 v2, v12, v6, v2
.LBB13_44:
	s_or_b64 exec, exec, s[6:7]
	v_lshrrev_b32_e32 v6, 8, v3
	s_movk_i32 s4, 0x7f
	v_cmp_gt_i16_sdwa s[6:7], v6, s4 src0_sel:BYTE_0 src1_sel:DWORD
	s_mov_b64 s[4:5], 0
                                        ; implicit-def: $sgpr10
	s_and_saveexec_b64 s[8:9], s[6:7]
	s_xor_b64 s[6:7], exec, s[8:9]
	s_cbranch_execnz .LBB13_2093
; %bb.45:
	s_or_saveexec_b64 s[6:7], s[6:7]
	v_mov_b32_e32 v12, s10
	s_xor_b64 exec, exec, s[6:7]
	s_cbranch_execnz .LBB13_2096
.LBB13_46:
	s_or_b64 exec, exec, s[6:7]
	s_and_saveexec_b64 s[6:7], s[4:5]
	s_cbranch_execz .LBB13_48
.LBB13_47:
	v_bfe_u32 v12, v3, 8, 3
	v_ffbh_u32_e32 v14, v12
	v_min_u32_e32 v14, 32, v14
	v_lshrrev_b16_e32 v13, 3, v6
	v_subrev_u32_e32 v15, 28, v14
	v_and_b32_e32 v13, 15, v13
	v_lshlrev_b32_e32 v6, v15, v6
	v_sub_u32_e32 v14, 29, v14
	v_and_b32_e32 v6, 7, v6
	v_cmp_eq_u16_e32 vcc, 0, v13
	v_cndmask_b32_e32 v6, v12, v6, vcc
	v_cndmask_b32_e32 v12, v13, v14, vcc
	v_lshlrev_b32_e32 v13, 16, v3
	v_mov_b32_e32 v14, 0x3b800000
	v_lshlrev_b32_e32 v6, 20, v6
	v_and_b32_e32 v13, 0x80000000, v13
	v_lshl_add_u32 v12, v12, 23, v14
	v_or3_b32 v12, v13, v12, v6
.LBB13_48:
	s_or_b64 exec, exec, s[6:7]
	s_nop 0
	v_mfma_f32_16x16x4f32 a[0:3], v2, v12, a[0:3]
	s_movk_i32 s4, 0xff
	v_and_b32_sdwa v6, v7, s4 dst_sel:DWORD dst_unused:UNUSED_PAD src0_sel:WORD_1 src1_sel:DWORD
	s_movk_i32 s4, 0x7f
	v_cmp_lt_i16_e32 vcc, s4, v6
	s_mov_b64 s[4:5], 0
                                        ; implicit-def: $sgpr10
	s_and_saveexec_b64 s[6:7], vcc
	s_xor_b64 s[6:7], exec, s[6:7]
	s_cbranch_execnz .LBB13_2097
; %bb.49:
	s_or_saveexec_b64 s[6:7], s[6:7]
	v_mov_b32_e32 v2, s10
	s_xor_b64 exec, exec, s[6:7]
	s_cbranch_execnz .LBB13_2100
.LBB13_50:
	s_or_b64 exec, exec, s[6:7]
	s_and_saveexec_b64 s[6:7], s[4:5]
	s_cbranch_execz .LBB13_52
.LBB13_51:
	v_bfe_u32 v2, v7, 16, 3
	v_ffbh_u32_e32 v13, v2
	v_min_u32_e32 v13, 32, v13
	v_lshrrev_b32_e32 v6, 19, v7
	v_subrev_u32_e32 v14, 28, v13
	v_and_b32_e32 v6, 15, v6
	v_lshlrev_b32_sdwa v14, v14, v7 dst_sel:DWORD dst_unused:UNUSED_PAD src0_sel:DWORD src1_sel:WORD_1
	v_bfe_u32 v12, v7, 19, 4
	v_sub_u32_e32 v13, 29, v13
	v_and_b32_e32 v14, 7, v14
	v_cmp_eq_u16_e32 vcc, 0, v6
	v_cndmask_b32_e32 v2, v2, v14, vcc
	v_cndmask_b32_e32 v6, v12, v13, vcc
	v_lshlrev_b32_e32 v12, 8, v7
	v_mov_b32_e32 v13, 0x3b800000
	v_lshlrev_b32_e32 v2, 20, v2
	v_and_b32_e32 v12, 0x80000000, v12
	v_lshl_add_u32 v6, v6, 23, v13
	v_or3_b32 v2, v12, v6, v2
.LBB13_52:
	s_or_b64 exec, exec, s[6:7]
	s_movk_i32 s4, 0xff
	v_and_b32_sdwa v6, v3, s4 dst_sel:DWORD dst_unused:UNUSED_PAD src0_sel:WORD_1 src1_sel:DWORD
	s_movk_i32 s4, 0x7f
	v_cmp_lt_i16_e32 vcc, s4, v6
	s_mov_b64 s[4:5], 0
                                        ; implicit-def: $sgpr10
	s_and_saveexec_b64 s[6:7], vcc
	s_xor_b64 s[6:7], exec, s[6:7]
	s_cbranch_execnz .LBB13_2101
; %bb.53:
	s_or_saveexec_b64 s[6:7], s[6:7]
	v_mov_b32_e32 v12, s10
	s_xor_b64 exec, exec, s[6:7]
	s_cbranch_execnz .LBB13_2104
.LBB13_54:
	s_or_b64 exec, exec, s[6:7]
	s_and_saveexec_b64 s[6:7], s[4:5]
	s_cbranch_execz .LBB13_56
.LBB13_55:
	v_bfe_u32 v6, v3, 16, 3
	v_ffbh_u32_e32 v14, v6
	v_min_u32_e32 v14, 32, v14
	v_lshrrev_b32_e32 v12, 19, v3
	v_subrev_u32_e32 v15, 28, v14
	v_and_b32_e32 v12, 15, v12
	v_lshlrev_b32_sdwa v15, v15, v3 dst_sel:DWORD dst_unused:UNUSED_PAD src0_sel:DWORD src1_sel:WORD_1
	v_bfe_u32 v13, v3, 19, 4
	v_sub_u32_e32 v14, 29, v14
	v_and_b32_e32 v15, 7, v15
	v_cmp_eq_u16_e32 vcc, 0, v12
	v_cndmask_b32_e32 v6, v6, v15, vcc
	v_cndmask_b32_e32 v12, v13, v14, vcc
	v_lshlrev_b32_e32 v13, 8, v3
	v_mov_b32_e32 v14, 0x3b800000
	v_lshlrev_b32_e32 v6, 20, v6
	v_and_b32_e32 v13, 0x80000000, v13
	v_lshl_add_u32 v12, v12, 23, v14
	v_or3_b32 v12, v13, v12, v6
.LBB13_56:
	s_or_b64 exec, exec, s[6:7]
	s_nop 0
	v_mfma_f32_16x16x4f32 a[0:3], v2, v12, a[0:3]
	s_movk_i32 s4, 0x7f
	v_cmp_gt_i16_sdwa s[6:7], v7, s4 src0_sel:BYTE_3 src1_sel:DWORD
	s_mov_b64 s[4:5], 0
                                        ; implicit-def: $sgpr10
	s_and_saveexec_b64 s[8:9], s[6:7]
	s_xor_b64 s[6:7], exec, s[8:9]
	s_cbranch_execnz .LBB13_2105
; %bb.57:
	s_or_saveexec_b64 s[6:7], s[6:7]
	v_mov_b32_e32 v2, s10
	s_xor_b64 exec, exec, s[6:7]
	s_cbranch_execnz .LBB13_2108
.LBB13_58:
	s_or_b64 exec, exec, s[6:7]
	s_and_saveexec_b64 s[6:7], s[4:5]
	s_cbranch_execz .LBB13_60
.LBB13_59:
	v_bfe_u32 v2, v7, 24, 3
	v_ffbh_u32_e32 v14, v2
	v_min_u32_e32 v14, 32, v14
	v_lshrrev_b32_e32 v12, 27, v7
	v_subrev_u32_e32 v15, 28, v14
	v_and_b32_e32 v6, 0x80000000, v7
	v_and_b32_e32 v12, 15, v12
	v_bfe_u32 v13, v7, 27, 4
	v_lshlrev_b32_sdwa v7, v15, v7 dst_sel:DWORD dst_unused:UNUSED_PAD src0_sel:DWORD src1_sel:BYTE_3
	v_sub_u32_e32 v14, 29, v14
	v_and_b32_e32 v7, 7, v7
	v_cmp_eq_u16_e32 vcc, 0, v12
	v_cndmask_b32_e32 v2, v2, v7, vcc
	v_cndmask_b32_e32 v7, v13, v14, vcc
	v_mov_b32_e32 v12, 0x3b800000
	v_lshlrev_b32_e32 v2, 20, v2
	v_lshl_add_u32 v7, v7, 23, v12
	v_or3_b32 v2, v6, v7, v2
.LBB13_60:
	s_or_b64 exec, exec, s[6:7]
	s_movk_i32 s4, 0x7f
	v_cmp_gt_i16_sdwa s[6:7], v3, s4 src0_sel:BYTE_3 src1_sel:DWORD
	s_mov_b64 s[4:5], 0
                                        ; implicit-def: $sgpr10
	s_and_saveexec_b64 s[8:9], s[6:7]
	s_xor_b64 s[6:7], exec, s[8:9]
	s_cbranch_execnz .LBB13_2109
; %bb.61:
	s_or_saveexec_b64 s[6:7], s[6:7]
	v_mov_b32_e32 v6, s10
	s_xor_b64 exec, exec, s[6:7]
	s_cbranch_execnz .LBB13_2112
.LBB13_62:
	s_or_b64 exec, exec, s[6:7]
	s_and_saveexec_b64 s[6:7], s[4:5]
	s_cbranch_execz .LBB13_64
.LBB13_63:
	v_bfe_u32 v6, v3, 24, 3
	v_ffbh_u32_e32 v14, v6
	v_min_u32_e32 v14, 32, v14
	v_lshrrev_b32_e32 v12, 27, v3
	v_subrev_u32_e32 v15, 28, v14
	v_and_b32_e32 v7, 0x80000000, v3
	v_and_b32_e32 v12, 15, v12
	v_bfe_u32 v13, v3, 27, 4
	v_lshlrev_b32_sdwa v3, v15, v3 dst_sel:DWORD dst_unused:UNUSED_PAD src0_sel:DWORD src1_sel:BYTE_3
	v_sub_u32_e32 v14, 29, v14
	v_and_b32_e32 v3, 7, v3
	v_cmp_eq_u16_e32 vcc, 0, v12
	v_cndmask_b32_e32 v3, v6, v3, vcc
	v_cndmask_b32_e32 v6, v13, v14, vcc
	v_mov_b32_e32 v12, 0x3b800000
	v_lshlrev_b32_e32 v3, 20, v3
	v_lshl_add_u32 v6, v6, 23, v12
	v_or3_b32 v6, v7, v6, v3
.LBB13_64:
	s_or_b64 exec, exec, s[6:7]
	s_nop 0
	v_mfma_f32_16x16x4f32 a[0:3], v2, v6, a[0:3]
	s_movk_i32 s4, 0x7f
	v_cmp_gt_i16_sdwa s[6:7], v8, s4 src0_sel:BYTE_0 src1_sel:DWORD
	s_mov_b64 s[4:5], 0
                                        ; implicit-def: $sgpr10
	s_and_saveexec_b64 s[8:9], s[6:7]
	s_xor_b64 s[6:7], exec, s[8:9]
	s_cbranch_execnz .LBB13_2113
; %bb.65:
	s_or_saveexec_b64 s[6:7], s[6:7]
	v_mov_b32_e32 v2, s10
	s_xor_b64 exec, exec, s[6:7]
	s_cbranch_execnz .LBB13_2116
.LBB13_66:
	s_or_b64 exec, exec, s[6:7]
	s_and_saveexec_b64 s[6:7], s[4:5]
	s_cbranch_execz .LBB13_68
.LBB13_67:
	v_and_b32_e32 v2, 7, v8
	v_ffbh_u32_e32 v6, v2
	v_min_u32_e32 v6, 32, v6
	v_lshrrev_b16_e32 v3, 3, v8
	v_subrev_u32_e32 v7, 28, v6
	v_and_b32_e32 v3, 15, v3
	v_lshlrev_b32_e32 v7, v7, v8
	v_sub_u32_e32 v6, 29, v6
	v_and_b32_e32 v7, 7, v7
	v_cmp_eq_u16_e32 vcc, 0, v3
	v_cndmask_b32_e32 v2, v2, v7, vcc
	v_cndmask_b32_e32 v3, v3, v6, vcc
	v_lshlrev_b32_e32 v6, 24, v8
	v_mov_b32_e32 v7, 0x3b800000
	v_lshlrev_b32_e32 v2, 20, v2
	v_and_b32_e32 v6, 0x80000000, v6
	v_lshl_add_u32 v3, v3, 23, v7
	v_or3_b32 v2, v6, v3, v2
.LBB13_68:
	s_or_b64 exec, exec, s[6:7]
	s_movk_i32 s4, 0x7f
	v_cmp_gt_i16_sdwa s[6:7], v4, s4 src0_sel:BYTE_0 src1_sel:DWORD
	s_mov_b64 s[4:5], 0
                                        ; implicit-def: $sgpr10
	s_and_saveexec_b64 s[8:9], s[6:7]
	s_xor_b64 s[6:7], exec, s[8:9]
	s_cbranch_execnz .LBB13_2117
; %bb.69:
	s_or_saveexec_b64 s[6:7], s[6:7]
	v_mov_b32_e32 v3, s10
	s_xor_b64 exec, exec, s[6:7]
	s_cbranch_execnz .LBB13_2120
.LBB13_70:
	s_or_b64 exec, exec, s[6:7]
	s_and_saveexec_b64 s[6:7], s[4:5]
	s_cbranch_execz .LBB13_72
.LBB13_71:
	v_and_b32_e32 v3, 7, v4
	v_ffbh_u32_e32 v7, v3
	v_min_u32_e32 v7, 32, v7
	v_lshrrev_b16_e32 v6, 3, v4
	v_subrev_u32_e32 v12, 28, v7
	v_and_b32_e32 v6, 15, v6
	v_lshlrev_b32_e32 v12, v12, v4
	v_sub_u32_e32 v7, 29, v7
	v_and_b32_e32 v12, 7, v12
	v_cmp_eq_u16_e32 vcc, 0, v6
	v_cndmask_b32_e32 v3, v3, v12, vcc
	v_cndmask_b32_e32 v6, v6, v7, vcc
	v_lshlrev_b32_e32 v7, 24, v4
	v_mov_b32_e32 v12, 0x3b800000
	v_lshlrev_b32_e32 v3, 20, v3
	v_and_b32_e32 v7, 0x80000000, v7
	v_lshl_add_u32 v6, v6, 23, v12
	v_or3_b32 v3, v7, v6, v3
.LBB13_72:
	s_or_b64 exec, exec, s[6:7]
	s_nop 0
	v_mfma_f32_16x16x4f32 a[0:3], v2, v3, a[0:3]
	v_lshrrev_b32_e32 v3, 8, v8
	s_movk_i32 s4, 0x7f
	v_cmp_gt_i16_sdwa s[6:7], v3, s4 src0_sel:BYTE_0 src1_sel:DWORD
	s_mov_b64 s[4:5], 0
                                        ; implicit-def: $sgpr10
	s_and_saveexec_b64 s[8:9], s[6:7]
	s_xor_b64 s[6:7], exec, s[8:9]
	s_cbranch_execnz .LBB13_2121
; %bb.73:
	s_or_saveexec_b64 s[6:7], s[6:7]
	v_mov_b32_e32 v2, s10
	s_xor_b64 exec, exec, s[6:7]
	s_cbranch_execnz .LBB13_2124
.LBB13_74:
	s_or_b64 exec, exec, s[6:7]
	s_and_saveexec_b64 s[6:7], s[4:5]
	s_cbranch_execz .LBB13_76
.LBB13_75:
	v_bfe_u32 v2, v8, 8, 3
	v_ffbh_u32_e32 v7, v2
	v_min_u32_e32 v7, 32, v7
	v_lshrrev_b16_e32 v6, 3, v3
	v_subrev_u32_e32 v12, 28, v7
	v_and_b32_e32 v6, 15, v6
	v_lshlrev_b32_e32 v3, v12, v3
	v_sub_u32_e32 v7, 29, v7
	v_and_b32_e32 v3, 7, v3
	v_cmp_eq_u16_e32 vcc, 0, v6
	v_cndmask_b32_e32 v2, v2, v3, vcc
	v_cndmask_b32_e32 v3, v6, v7, vcc
	v_lshlrev_b32_e32 v6, 16, v8
	v_mov_b32_e32 v7, 0x3b800000
	v_lshlrev_b32_e32 v2, 20, v2
	v_and_b32_e32 v6, 0x80000000, v6
	v_lshl_add_u32 v3, v3, 23, v7
	v_or3_b32 v2, v6, v3, v2
.LBB13_76:
	s_or_b64 exec, exec, s[6:7]
	v_lshrrev_b32_e32 v3, 8, v4
	s_movk_i32 s4, 0x7f
	v_cmp_gt_i16_sdwa s[6:7], v3, s4 src0_sel:BYTE_0 src1_sel:DWORD
	s_mov_b64 s[4:5], 0
                                        ; implicit-def: $sgpr10
	s_and_saveexec_b64 s[8:9], s[6:7]
	s_xor_b64 s[6:7], exec, s[8:9]
	s_cbranch_execnz .LBB13_2125
; %bb.77:
	s_or_saveexec_b64 s[6:7], s[6:7]
	v_mov_b32_e32 v6, s10
	s_xor_b64 exec, exec, s[6:7]
	s_cbranch_execnz .LBB13_2128
.LBB13_78:
	s_or_b64 exec, exec, s[6:7]
	s_and_saveexec_b64 s[6:7], s[4:5]
	s_cbranch_execz .LBB13_80
.LBB13_79:
	v_bfe_u32 v6, v4, 8, 3
	v_ffbh_u32_e32 v12, v6
	v_min_u32_e32 v12, 32, v12
	v_lshrrev_b16_e32 v7, 3, v3
	v_subrev_u32_e32 v13, 28, v12
	v_and_b32_e32 v7, 15, v7
	v_lshlrev_b32_e32 v3, v13, v3
	v_sub_u32_e32 v12, 29, v12
	v_and_b32_e32 v3, 7, v3
	v_cmp_eq_u16_e32 vcc, 0, v7
	v_cndmask_b32_e32 v3, v6, v3, vcc
	v_cndmask_b32_e32 v6, v7, v12, vcc
	v_lshlrev_b32_e32 v7, 16, v4
	v_mov_b32_e32 v12, 0x3b800000
	v_lshlrev_b32_e32 v3, 20, v3
	v_and_b32_e32 v7, 0x80000000, v7
	v_lshl_add_u32 v6, v6, 23, v12
	v_or3_b32 v6, v7, v6, v3
.LBB13_80:
	s_or_b64 exec, exec, s[6:7]
	s_nop 0
	v_mfma_f32_16x16x4f32 a[0:3], v2, v6, a[0:3]
	s_movk_i32 s4, 0xff
	v_and_b32_sdwa v3, v8, s4 dst_sel:DWORD dst_unused:UNUSED_PAD src0_sel:WORD_1 src1_sel:DWORD
	s_movk_i32 s4, 0x7f
	v_cmp_lt_i16_e32 vcc, s4, v3
	s_mov_b64 s[4:5], 0
                                        ; implicit-def: $sgpr10
	s_and_saveexec_b64 s[6:7], vcc
	s_xor_b64 s[6:7], exec, s[6:7]
	s_cbranch_execnz .LBB13_2129
; %bb.81:
	s_or_saveexec_b64 s[6:7], s[6:7]
	v_mov_b32_e32 v2, s10
	s_xor_b64 exec, exec, s[6:7]
	s_cbranch_execnz .LBB13_2132
.LBB13_82:
	s_or_b64 exec, exec, s[6:7]
	s_and_saveexec_b64 s[6:7], s[4:5]
	s_cbranch_execz .LBB13_84
.LBB13_83:
	v_bfe_u32 v2, v8, 16, 3
	v_ffbh_u32_e32 v7, v2
	v_min_u32_e32 v7, 32, v7
	v_lshrrev_b32_e32 v3, 19, v8
	v_subrev_u32_e32 v12, 28, v7
	v_and_b32_e32 v3, 15, v3
	v_lshlrev_b32_sdwa v12, v12, v8 dst_sel:DWORD dst_unused:UNUSED_PAD src0_sel:DWORD src1_sel:WORD_1
	v_bfe_u32 v6, v8, 19, 4
	v_sub_u32_e32 v7, 29, v7
	v_and_b32_e32 v12, 7, v12
	v_cmp_eq_u16_e32 vcc, 0, v3
	v_cndmask_b32_e32 v2, v2, v12, vcc
	v_cndmask_b32_e32 v3, v6, v7, vcc
	v_lshlrev_b32_e32 v6, 8, v8
	v_mov_b32_e32 v7, 0x3b800000
	v_lshlrev_b32_e32 v2, 20, v2
	v_and_b32_e32 v6, 0x80000000, v6
	v_lshl_add_u32 v3, v3, 23, v7
	v_or3_b32 v2, v6, v3, v2
.LBB13_84:
	s_or_b64 exec, exec, s[6:7]
	s_movk_i32 s4, 0xff
	v_and_b32_sdwa v3, v4, s4 dst_sel:DWORD dst_unused:UNUSED_PAD src0_sel:WORD_1 src1_sel:DWORD
	s_movk_i32 s4, 0x7f
	v_cmp_lt_i16_e32 vcc, s4, v3
	s_mov_b64 s[4:5], 0
                                        ; implicit-def: $sgpr10
	s_and_saveexec_b64 s[6:7], vcc
	s_xor_b64 s[6:7], exec, s[6:7]
	s_cbranch_execnz .LBB13_2133
; %bb.85:
	s_or_saveexec_b64 s[6:7], s[6:7]
	v_mov_b32_e32 v6, s10
	s_xor_b64 exec, exec, s[6:7]
	s_cbranch_execnz .LBB13_2136
.LBB13_86:
	s_or_b64 exec, exec, s[6:7]
	s_and_saveexec_b64 s[6:7], s[4:5]
	s_cbranch_execz .LBB13_88
.LBB13_87:
	v_bfe_u32 v3, v4, 16, 3
	v_ffbh_u32_e32 v12, v3
	v_min_u32_e32 v12, 32, v12
	v_lshrrev_b32_e32 v6, 19, v4
	v_subrev_u32_e32 v13, 28, v12
	v_and_b32_e32 v6, 15, v6
	v_lshlrev_b32_sdwa v13, v13, v4 dst_sel:DWORD dst_unused:UNUSED_PAD src0_sel:DWORD src1_sel:WORD_1
	v_bfe_u32 v7, v4, 19, 4
	v_sub_u32_e32 v12, 29, v12
	v_and_b32_e32 v13, 7, v13
	v_cmp_eq_u16_e32 vcc, 0, v6
	v_cndmask_b32_e32 v3, v3, v13, vcc
	v_cndmask_b32_e32 v6, v7, v12, vcc
	v_lshlrev_b32_e32 v7, 8, v4
	v_mov_b32_e32 v12, 0x3b800000
	v_lshlrev_b32_e32 v3, 20, v3
	v_and_b32_e32 v7, 0x80000000, v7
	v_lshl_add_u32 v6, v6, 23, v12
	v_or3_b32 v6, v7, v6, v3
.LBB13_88:
	s_or_b64 exec, exec, s[6:7]
	s_nop 0
	v_mfma_f32_16x16x4f32 a[0:3], v2, v6, a[0:3]
	s_movk_i32 s4, 0x7f
	v_cmp_gt_i16_sdwa s[6:7], v8, s4 src0_sel:BYTE_3 src1_sel:DWORD
	s_mov_b64 s[4:5], 0
                                        ; implicit-def: $sgpr10
	s_and_saveexec_b64 s[8:9], s[6:7]
	s_xor_b64 s[6:7], exec, s[8:9]
	s_cbranch_execnz .LBB13_2137
; %bb.89:
	s_or_saveexec_b64 s[6:7], s[6:7]
	v_mov_b32_e32 v2, s10
	s_xor_b64 exec, exec, s[6:7]
	s_cbranch_execnz .LBB13_2140
.LBB13_90:
	s_or_b64 exec, exec, s[6:7]
	s_and_saveexec_b64 s[6:7], s[4:5]
	s_cbranch_execz .LBB13_92
.LBB13_91:
	v_bfe_u32 v2, v8, 24, 3
	v_ffbh_u32_e32 v12, v2
	v_min_u32_e32 v12, 32, v12
	v_lshrrev_b32_e32 v6, 27, v8
	v_subrev_u32_e32 v13, 28, v12
	v_and_b32_e32 v3, 0x80000000, v8
	v_and_b32_e32 v6, 15, v6
	v_bfe_u32 v7, v8, 27, 4
	v_lshlrev_b32_sdwa v8, v13, v8 dst_sel:DWORD dst_unused:UNUSED_PAD src0_sel:DWORD src1_sel:BYTE_3
	v_sub_u32_e32 v12, 29, v12
	v_and_b32_e32 v8, 7, v8
	v_cmp_eq_u16_e32 vcc, 0, v6
	v_cndmask_b32_e32 v2, v2, v8, vcc
	v_cndmask_b32_e32 v6, v7, v12, vcc
	v_mov_b32_e32 v7, 0x3b800000
	v_lshlrev_b32_e32 v2, 20, v2
	v_lshl_add_u32 v6, v6, 23, v7
	v_or3_b32 v2, v3, v6, v2
.LBB13_92:
	s_or_b64 exec, exec, s[6:7]
	s_movk_i32 s4, 0x7f
	v_cmp_gt_i16_sdwa s[6:7], v4, s4 src0_sel:BYTE_3 src1_sel:DWORD
	s_mov_b64 s[4:5], 0
                                        ; implicit-def: $sgpr10
	s_and_saveexec_b64 s[8:9], s[6:7]
	s_xor_b64 s[6:7], exec, s[8:9]
	s_cbranch_execnz .LBB13_2141
; %bb.93:
	s_or_saveexec_b64 s[6:7], s[6:7]
	v_mov_b32_e32 v3, s10
	s_xor_b64 exec, exec, s[6:7]
	s_cbranch_execnz .LBB13_2144
.LBB13_94:
	s_or_b64 exec, exec, s[6:7]
	s_and_saveexec_b64 s[6:7], s[4:5]
	s_cbranch_execz .LBB13_96
.LBB13_95:
	v_bfe_u32 v3, v4, 24, 3
	v_ffbh_u32_e32 v12, v3
	v_min_u32_e32 v12, 32, v12
	v_lshrrev_b32_e32 v7, 27, v4
	v_subrev_u32_e32 v13, 28, v12
	v_and_b32_e32 v6, 0x80000000, v4
	v_and_b32_e32 v7, 15, v7
	v_bfe_u32 v8, v4, 27, 4
	v_lshlrev_b32_sdwa v4, v13, v4 dst_sel:DWORD dst_unused:UNUSED_PAD src0_sel:DWORD src1_sel:BYTE_3
	v_sub_u32_e32 v12, 29, v12
	v_and_b32_e32 v4, 7, v4
	v_cmp_eq_u16_e32 vcc, 0, v7
	v_cndmask_b32_e32 v3, v3, v4, vcc
	v_cndmask_b32_e32 v4, v8, v12, vcc
	v_mov_b32_e32 v7, 0x3b800000
	v_lshlrev_b32_e32 v3, 20, v3
	v_lshl_add_u32 v4, v4, 23, v7
	v_or3_b32 v3, v6, v4, v3
.LBB13_96:
	s_or_b64 exec, exec, s[6:7]
	s_nop 0
	v_mfma_f32_16x16x4f32 a[0:3], v2, v3, a[0:3]
	s_movk_i32 s4, 0x7f
	v_cmp_gt_i16_sdwa s[6:7], v9, s4 src0_sel:BYTE_0 src1_sel:DWORD
	s_mov_b64 s[4:5], 0
                                        ; implicit-def: $sgpr10
	s_and_saveexec_b64 s[8:9], s[6:7]
	s_xor_b64 s[6:7], exec, s[8:9]
	s_cbranch_execnz .LBB13_2145
; %bb.97:
	s_or_saveexec_b64 s[6:7], s[6:7]
	v_mov_b32_e32 v2, s10
	s_xor_b64 exec, exec, s[6:7]
	s_cbranch_execnz .LBB13_2148
.LBB13_98:
	s_or_b64 exec, exec, s[6:7]
	s_and_saveexec_b64 s[6:7], s[4:5]
	s_cbranch_execz .LBB13_100
.LBB13_99:
	v_mov_b32_e32 v2, 8
	v_and_b32_e32 v3, 7, v9
	v_lshrrev_b32_sdwa v2, v2, v9 dst_sel:BYTE_1 dst_unused:UNUSED_PAD src0_sel:DWORD src1_sel:DWORD
	v_ffbh_u32_e32 v4, v3
	v_or_b32_sdwa v2, v9, v2 dst_sel:DWORD dst_unused:UNUSED_PAD src0_sel:BYTE_0 src1_sel:DWORD
	v_min_u32_e32 v4, 32, v4
	v_lshrrev_b16_e32 v2, 3, v2
	v_subrev_u32_e32 v6, 28, v4
	v_and_b32_e32 v2, 15, v2
	v_lshlrev_b32_e32 v6, v6, v9
	v_sub_u32_e32 v4, 29, v4
	v_and_b32_e32 v6, 7, v6
	v_cmp_eq_u16_e32 vcc, 0, v2
	v_cndmask_b32_e32 v3, v3, v6, vcc
	v_cndmask_b32_e32 v2, v2, v4, vcc
	v_lshlrev_b32_e32 v4, 24, v9
	v_mov_b32_e32 v6, 0x3b800000
	v_lshlrev_b32_e32 v3, 20, v3
	v_and_b32_e32 v4, 0x80000000, v4
	v_lshl_add_u32 v2, v2, 23, v6
	v_or3_b32 v2, v4, v2, v3
.LBB13_100:
	s_or_b64 exec, exec, s[6:7]
	s_movk_i32 s4, 0x7f
	v_cmp_gt_i16_sdwa s[6:7], v5, s4 src0_sel:BYTE_0 src1_sel:DWORD
	s_mov_b64 s[4:5], 0
                                        ; implicit-def: $sgpr10
	s_and_saveexec_b64 s[8:9], s[6:7]
	s_xor_b64 s[6:7], exec, s[8:9]
	s_cbranch_execnz .LBB13_2149
; %bb.101:
	s_or_saveexec_b64 s[6:7], s[6:7]
	v_mov_b32_e32 v3, s10
	s_xor_b64 exec, exec, s[6:7]
	s_cbranch_execnz .LBB13_2152
.LBB13_102:
	s_or_b64 exec, exec, s[6:7]
	s_and_saveexec_b64 s[6:7], s[4:5]
	s_cbranch_execz .LBB13_104
.LBB13_103:
	v_mov_b32_e32 v3, 8
	v_and_b32_e32 v4, 7, v5
	v_lshrrev_b32_sdwa v3, v3, v5 dst_sel:BYTE_1 dst_unused:UNUSED_PAD src0_sel:DWORD src1_sel:DWORD
	v_ffbh_u32_e32 v6, v4
	v_or_b32_sdwa v3, v5, v3 dst_sel:DWORD dst_unused:UNUSED_PAD src0_sel:BYTE_0 src1_sel:DWORD
	v_min_u32_e32 v6, 32, v6
	v_lshrrev_b16_e32 v3, 3, v3
	v_subrev_u32_e32 v7, 28, v6
	v_and_b32_e32 v3, 15, v3
	v_lshlrev_b32_e32 v7, v7, v5
	v_sub_u32_e32 v6, 29, v6
	v_and_b32_e32 v7, 7, v7
	v_cmp_eq_u16_e32 vcc, 0, v3
	v_cndmask_b32_e32 v4, v4, v7, vcc
	v_cndmask_b32_e32 v3, v3, v6, vcc
	v_lshlrev_b32_e32 v6, 24, v5
	v_mov_b32_e32 v7, 0x3b800000
	v_lshlrev_b32_e32 v4, 20, v4
	v_and_b32_e32 v6, 0x80000000, v6
	v_lshl_add_u32 v3, v3, 23, v7
	v_or3_b32 v3, v6, v3, v4
.LBB13_104:
	s_or_b64 exec, exec, s[6:7]
	s_nop 0
	v_mfma_f32_16x16x4f32 a[0:3], v2, v3, a[0:3]
	v_lshrrev_b32_e32 v3, 8, v9
	s_movk_i32 s4, 0x7f
	v_cmp_gt_i16_sdwa s[6:7], v3, s4 src0_sel:BYTE_0 src1_sel:DWORD
	s_mov_b64 s[4:5], 0
                                        ; implicit-def: $sgpr10
	s_and_saveexec_b64 s[8:9], s[6:7]
	s_xor_b64 s[6:7], exec, s[8:9]
	s_cbranch_execnz .LBB13_2153
; %bb.105:
	s_or_saveexec_b64 s[6:7], s[6:7]
	v_mov_b32_e32 v2, s10
	s_xor_b64 exec, exec, s[6:7]
	s_cbranch_execnz .LBB13_2156
.LBB13_106:
	s_or_b64 exec, exec, s[6:7]
	s_and_saveexec_b64 s[6:7], s[4:5]
	s_cbranch_execz .LBB13_108
.LBB13_107:
	v_bfe_u32 v2, v9, 8, 3
	v_ffbh_u32_e32 v6, v2
	v_min_u32_e32 v6, 32, v6
	v_lshrrev_b16_e32 v4, 3, v3
	v_subrev_u32_e32 v7, 28, v6
	v_and_b32_e32 v4, 15, v4
	v_lshlrev_b32_e32 v3, v7, v3
	v_sub_u32_e32 v6, 29, v6
	v_and_b32_e32 v3, 7, v3
	v_cmp_eq_u16_e32 vcc, 0, v4
	v_cndmask_b32_e32 v2, v2, v3, vcc
	v_cndmask_b32_e32 v3, v4, v6, vcc
	v_lshlrev_b32_e32 v4, 16, v9
	v_mov_b32_e32 v6, 0x3b800000
	v_lshlrev_b32_e32 v2, 20, v2
	v_and_b32_e32 v4, 0x80000000, v4
	v_lshl_add_u32 v3, v3, 23, v6
	v_or3_b32 v2, v4, v3, v2
.LBB13_108:
	s_or_b64 exec, exec, s[6:7]
	v_lshrrev_b32_e32 v3, 8, v5
	s_movk_i32 s4, 0x7f
	v_cmp_gt_i16_sdwa s[6:7], v3, s4 src0_sel:BYTE_0 src1_sel:DWORD
	s_mov_b64 s[4:5], 0
                                        ; implicit-def: $sgpr10
	s_and_saveexec_b64 s[8:9], s[6:7]
	s_xor_b64 s[6:7], exec, s[8:9]
	s_cbranch_execnz .LBB13_2157
; %bb.109:
	s_or_saveexec_b64 s[6:7], s[6:7]
	v_mov_b32_e32 v4, s10
	s_xor_b64 exec, exec, s[6:7]
	s_cbranch_execnz .LBB13_2160
.LBB13_110:
	s_or_b64 exec, exec, s[6:7]
	s_and_saveexec_b64 s[6:7], s[4:5]
	s_cbranch_execz .LBB13_112
.LBB13_111:
	v_bfe_u32 v4, v5, 8, 3
	v_ffbh_u32_e32 v7, v4
	v_min_u32_e32 v7, 32, v7
	v_lshrrev_b16_e32 v6, 3, v3
	v_subrev_u32_e32 v8, 28, v7
	v_and_b32_e32 v6, 15, v6
	v_lshlrev_b32_e32 v3, v8, v3
	v_sub_u32_e32 v7, 29, v7
	v_and_b32_e32 v3, 7, v3
	v_cmp_eq_u16_e32 vcc, 0, v6
	v_cndmask_b32_e32 v3, v4, v3, vcc
	v_cndmask_b32_e32 v4, v6, v7, vcc
	v_lshlrev_b32_e32 v6, 16, v5
	v_mov_b32_e32 v7, 0x3b800000
	v_lshlrev_b32_e32 v3, 20, v3
	v_and_b32_e32 v6, 0x80000000, v6
	v_lshl_add_u32 v4, v4, 23, v7
	v_or3_b32 v4, v6, v4, v3
.LBB13_112:
	s_or_b64 exec, exec, s[6:7]
	s_nop 0
	v_mfma_f32_16x16x4f32 a[0:3], v2, v4, a[0:3]
	s_movk_i32 s4, 0xff
	v_and_b32_sdwa v3, v9, s4 dst_sel:DWORD dst_unused:UNUSED_PAD src0_sel:WORD_1 src1_sel:DWORD
	s_movk_i32 s4, 0x7f
	v_cmp_lt_i16_e32 vcc, s4, v3
	s_mov_b64 s[4:5], 0
                                        ; implicit-def: $sgpr10
	s_and_saveexec_b64 s[6:7], vcc
	s_xor_b64 s[6:7], exec, s[6:7]
	s_cbranch_execnz .LBB13_2161
; %bb.113:
	s_or_saveexec_b64 s[6:7], s[6:7]
	v_mov_b32_e32 v2, s10
	s_xor_b64 exec, exec, s[6:7]
	s_cbranch_execnz .LBB13_2164
.LBB13_114:
	s_or_b64 exec, exec, s[6:7]
	s_and_saveexec_b64 s[6:7], s[4:5]
	s_cbranch_execz .LBB13_116
.LBB13_115:
	v_bfe_u32 v2, v9, 16, 3
	v_ffbh_u32_e32 v6, v2
	v_min_u32_e32 v6, 32, v6
	v_lshrrev_b32_e32 v3, 19, v9
	v_subrev_u32_e32 v7, 28, v6
	v_and_b32_e32 v3, 15, v3
	v_lshlrev_b32_sdwa v7, v7, v9 dst_sel:DWORD dst_unused:UNUSED_PAD src0_sel:DWORD src1_sel:WORD_1
	v_bfe_u32 v4, v9, 19, 4
	v_sub_u32_e32 v6, 29, v6
	v_and_b32_e32 v7, 7, v7
	v_cmp_eq_u16_e32 vcc, 0, v3
	v_cndmask_b32_e32 v2, v2, v7, vcc
	v_cndmask_b32_e32 v3, v4, v6, vcc
	v_lshlrev_b32_e32 v4, 8, v9
	v_mov_b32_e32 v6, 0x3b800000
	v_lshlrev_b32_e32 v2, 20, v2
	v_and_b32_e32 v4, 0x80000000, v4
	v_lshl_add_u32 v3, v3, 23, v6
	v_or3_b32 v2, v4, v3, v2
.LBB13_116:
	s_or_b64 exec, exec, s[6:7]
	s_movk_i32 s4, 0xff
	v_and_b32_sdwa v3, v5, s4 dst_sel:DWORD dst_unused:UNUSED_PAD src0_sel:WORD_1 src1_sel:DWORD
	s_movk_i32 s4, 0x7f
	v_cmp_lt_i16_e32 vcc, s4, v3
	s_mov_b64 s[4:5], 0
                                        ; implicit-def: $sgpr10
	s_and_saveexec_b64 s[6:7], vcc
	s_xor_b64 s[6:7], exec, s[6:7]
	s_cbranch_execnz .LBB13_2165
; %bb.117:
	s_or_saveexec_b64 s[6:7], s[6:7]
	v_mov_b32_e32 v4, s10
	s_xor_b64 exec, exec, s[6:7]
	s_cbranch_execnz .LBB13_2168
.LBB13_118:
	s_or_b64 exec, exec, s[6:7]
	s_and_saveexec_b64 s[6:7], s[4:5]
	s_cbranch_execz .LBB13_120
.LBB13_119:
	v_bfe_u32 v3, v5, 16, 3
	v_ffbh_u32_e32 v7, v3
	v_min_u32_e32 v7, 32, v7
	v_lshrrev_b32_e32 v4, 19, v5
	v_subrev_u32_e32 v8, 28, v7
	v_and_b32_e32 v4, 15, v4
	v_lshlrev_b32_sdwa v8, v8, v5 dst_sel:DWORD dst_unused:UNUSED_PAD src0_sel:DWORD src1_sel:WORD_1
	v_bfe_u32 v6, v5, 19, 4
	v_sub_u32_e32 v7, 29, v7
	v_and_b32_e32 v8, 7, v8
	v_cmp_eq_u16_e32 vcc, 0, v4
	v_cndmask_b32_e32 v3, v3, v8, vcc
	v_cndmask_b32_e32 v4, v6, v7, vcc
	v_lshlrev_b32_e32 v6, 8, v5
	v_mov_b32_e32 v7, 0x3b800000
	v_lshlrev_b32_e32 v3, 20, v3
	v_and_b32_e32 v6, 0x80000000, v6
	v_lshl_add_u32 v4, v4, 23, v7
	v_or3_b32 v4, v6, v4, v3
.LBB13_120:
	s_or_b64 exec, exec, s[6:7]
	s_nop 0
	v_mfma_f32_16x16x4f32 a[0:3], v2, v4, a[0:3]
	s_movk_i32 s4, 0x7f
	v_cmp_gt_i16_sdwa s[6:7], v9, s4 src0_sel:BYTE_3 src1_sel:DWORD
	s_mov_b64 s[4:5], 0
                                        ; implicit-def: $sgpr10
	s_and_saveexec_b64 s[8:9], s[6:7]
	s_xor_b64 s[6:7], exec, s[8:9]
	s_cbranch_execnz .LBB13_2169
; %bb.121:
	s_or_saveexec_b64 s[6:7], s[6:7]
	v_mov_b32_e32 v2, s10
	s_xor_b64 exec, exec, s[6:7]
	s_cbranch_execnz .LBB13_2172
.LBB13_122:
	s_or_b64 exec, exec, s[6:7]
	s_and_saveexec_b64 s[6:7], s[4:5]
	s_cbranch_execz .LBB13_124
.LBB13_123:
	v_bfe_u32 v2, v9, 24, 3
	v_ffbh_u32_e32 v7, v2
	v_min_u32_e32 v7, 32, v7
	v_lshrrev_b32_e32 v4, 27, v9
	v_subrev_u32_e32 v8, 28, v7
	v_and_b32_e32 v4, 15, v4
	v_lshlrev_b32_sdwa v8, v8, v9 dst_sel:DWORD dst_unused:UNUSED_PAD src0_sel:DWORD src1_sel:BYTE_3
	v_bfe_u32 v6, v9, 27, 4
	v_sub_u32_e32 v7, 29, v7
	v_and_b32_e32 v8, 7, v8
	v_cmp_eq_u16_e32 vcc, 0, v4
	v_cndmask_b32_e32 v2, v2, v8, vcc
	v_cndmask_b32_e32 v4, v6, v7, vcc
	v_mov_b32_e32 v6, 0x3b800000
	v_and_b32_e32 v3, 0x80000000, v9
	v_lshlrev_b32_e32 v2, 20, v2
	v_lshl_add_u32 v4, v4, 23, v6
	v_or3_b32 v2, v3, v4, v2
.LBB13_124:
	s_or_b64 exec, exec, s[6:7]
	s_movk_i32 s4, 0x7f
	v_cmp_gt_i16_sdwa s[6:7], v5, s4 src0_sel:BYTE_3 src1_sel:DWORD
	s_mov_b64 s[4:5], 0
                                        ; implicit-def: $sgpr10
	s_and_saveexec_b64 s[8:9], s[6:7]
	s_xor_b64 s[6:7], exec, s[8:9]
	s_cbranch_execnz .LBB13_2173
; %bb.125:
	s_or_saveexec_b64 s[6:7], s[6:7]
	v_mov_b32_e32 v3, s10
	s_xor_b64 exec, exec, s[6:7]
	s_cbranch_execnz .LBB13_2176
.LBB13_126:
	s_or_b64 exec, exec, s[6:7]
	s_and_saveexec_b64 s[6:7], s[4:5]
	s_cbranch_execz .LBB13_128
.LBB13_127:
	v_bfe_u32 v3, v5, 24, 3
	v_ffbh_u32_e32 v8, v3
	v_min_u32_e32 v8, 32, v8
	v_lshrrev_b32_e32 v6, 27, v5
	v_subrev_u32_e32 v9, 28, v8
	v_and_b32_e32 v4, 0x80000000, v5
	v_and_b32_e32 v6, 15, v6
	v_bfe_u32 v7, v5, 27, 4
	v_lshlrev_b32_sdwa v5, v9, v5 dst_sel:DWORD dst_unused:UNUSED_PAD src0_sel:DWORD src1_sel:BYTE_3
	v_sub_u32_e32 v8, 29, v8
	v_and_b32_e32 v5, 7, v5
	v_cmp_eq_u16_e32 vcc, 0, v6
	v_cndmask_b32_e32 v3, v3, v5, vcc
	v_cndmask_b32_e32 v5, v7, v8, vcc
	v_mov_b32_e32 v6, 0x3b800000
	v_lshlrev_b32_e32 v3, 20, v3
	v_lshl_add_u32 v5, v5, 23, v6
	v_or3_b32 v3, v4, v5, v3
.LBB13_128:
	s_or_b64 exec, exec, s[6:7]
	s_nop 0
	v_mfma_f32_16x16x4f32 a[0:3], v2, v3, a[0:3]
	s_movk_i32 s4, 0x7f
                                        ; implicit-def: $sgpr10
	s_nop 7
	s_nop 1
	flat_store_dwordx4 v[10:11], a[0:3]
	flat_load_dwordx4 v[12:15], v[0:1] offset:8
	s_nop 0
	flat_load_dwordx2 v[10:11], v[0:1] offset:32
	s_waitcnt vmcnt(0) lgkmcnt(0)
	flat_load_dwordx4 v[6:9], v[12:13] offset:16
	flat_load_dwordx4 v[2:5], v[14:15] offset:48
	s_waitcnt vmcnt(0) lgkmcnt(0)
	v_cmp_gt_i16_sdwa s[6:7], v6, s4 src0_sel:BYTE_0 src1_sel:DWORD
	s_mov_b64 s[4:5], 0
	s_and_saveexec_b64 s[8:9], s[6:7]
	s_xor_b64 s[6:7], exec, s[8:9]
	s_cbranch_execnz .LBB13_2177
; %bb.129:
	s_or_saveexec_b64 s[6:7], s[6:7]
	v_mov_b32_e32 v12, s10
	s_xor_b64 exec, exec, s[6:7]
	s_cbranch_execnz .LBB13_2180
.LBB13_130:
	s_or_b64 exec, exec, s[6:7]
	s_and_saveexec_b64 s[6:7], s[4:5]
	s_cbranch_execz .LBB13_132
.LBB13_131:
	v_and_b32_e32 v12, 7, v6
	v_ffbh_u32_e32 v14, v12
	v_min_u32_e32 v14, 32, v14
	v_lshrrev_b16_e32 v13, 3, v6
	v_subrev_u32_e32 v15, 28, v14
	v_and_b32_e32 v13, 15, v13
	v_lshlrev_b32_e32 v15, v15, v6
	v_sub_u32_e32 v14, 29, v14
	v_and_b32_e32 v15, 7, v15
	v_cmp_eq_u16_e32 vcc, 0, v13
	v_cndmask_b32_e32 v12, v12, v15, vcc
	v_cndmask_b32_e32 v13, v13, v14, vcc
	v_lshlrev_b32_e32 v14, 24, v6
	v_mov_b32_e32 v15, 0x3b800000
	v_lshlrev_b32_e32 v12, 20, v12
	v_and_b32_e32 v14, 0x80000000, v14
	v_lshl_add_u32 v13, v13, 23, v15
	v_or3_b32 v12, v14, v13, v12
.LBB13_132:
	s_or_b64 exec, exec, s[6:7]
	s_movk_i32 s4, 0x7f
	v_cmp_gt_i16_sdwa s[6:7], v2, s4 src0_sel:BYTE_0 src1_sel:DWORD
	s_mov_b64 s[4:5], 0
                                        ; implicit-def: $sgpr10
	s_and_saveexec_b64 s[8:9], s[6:7]
	s_xor_b64 s[6:7], exec, s[8:9]
	s_cbranch_execnz .LBB13_2181
; %bb.133:
	s_or_saveexec_b64 s[6:7], s[6:7]
	v_mov_b32_e32 v13, s10
	s_xor_b64 exec, exec, s[6:7]
	s_cbranch_execnz .LBB13_2184
.LBB13_134:
	s_or_b64 exec, exec, s[6:7]
	s_and_saveexec_b64 s[6:7], s[4:5]
	s_cbranch_execz .LBB13_136
.LBB13_135:
	v_and_b32_e32 v13, 7, v2
	v_ffbh_u32_e32 v15, v13
	v_min_u32_e32 v15, 32, v15
	v_lshrrev_b16_e32 v14, 3, v2
	v_subrev_u32_e32 v16, 28, v15
	v_and_b32_e32 v14, 15, v14
	v_lshlrev_b32_e32 v16, v16, v2
	v_sub_u32_e32 v15, 29, v15
	v_and_b32_e32 v16, 7, v16
	v_cmp_eq_u16_e32 vcc, 0, v14
	v_cndmask_b32_e32 v13, v13, v16, vcc
	v_cndmask_b32_e32 v14, v14, v15, vcc
	v_lshlrev_b32_e32 v15, 24, v2
	v_mov_b32_e32 v16, 0x3b800000
	v_lshlrev_b32_e32 v13, 20, v13
	v_and_b32_e32 v15, 0x80000000, v15
	v_lshl_add_u32 v14, v14, 23, v16
	v_or3_b32 v13, v15, v14, v13
.LBB13_136:
	s_or_b64 exec, exec, s[6:7]
	flat_load_dwordx4 a[0:3], v[10:11] offset:16
	s_movk_i32 s4, 0x7f
                                        ; implicit-def: $sgpr10
	s_waitcnt vmcnt(0) lgkmcnt(0)
	v_mfma_f32_16x16x4f32 a[0:3], v12, v13, a[0:3]
	v_lshrrev_b32_e32 v13, 8, v6
	v_cmp_gt_i16_sdwa s[6:7], v13, s4 src0_sel:BYTE_0 src1_sel:DWORD
	s_mov_b64 s[4:5], 0
	s_and_saveexec_b64 s[8:9], s[6:7]
	s_xor_b64 s[6:7], exec, s[8:9]
	s_cbranch_execnz .LBB13_2185
; %bb.137:
	s_or_saveexec_b64 s[6:7], s[6:7]
	v_mov_b32_e32 v12, s10
	s_xor_b64 exec, exec, s[6:7]
	s_cbranch_execnz .LBB13_2188
.LBB13_138:
	s_or_b64 exec, exec, s[6:7]
	s_and_saveexec_b64 s[6:7], s[4:5]
	s_cbranch_execz .LBB13_140
.LBB13_139:
	v_bfe_u32 v12, v6, 8, 3
	v_ffbh_u32_e32 v15, v12
	v_min_u32_e32 v15, 32, v15
	v_lshrrev_b16_e32 v14, 3, v13
	v_subrev_u32_e32 v16, 28, v15
	v_and_b32_e32 v14, 15, v14
	v_lshlrev_b32_e32 v13, v16, v13
	v_sub_u32_e32 v15, 29, v15
	v_and_b32_e32 v13, 7, v13
	v_cmp_eq_u16_e32 vcc, 0, v14
	v_cndmask_b32_e32 v12, v12, v13, vcc
	v_cndmask_b32_e32 v13, v14, v15, vcc
	v_lshlrev_b32_e32 v14, 16, v6
	v_mov_b32_e32 v15, 0x3b800000
	v_lshlrev_b32_e32 v12, 20, v12
	v_and_b32_e32 v14, 0x80000000, v14
	v_lshl_add_u32 v13, v13, 23, v15
	v_or3_b32 v12, v14, v13, v12
.LBB13_140:
	s_or_b64 exec, exec, s[6:7]
	v_lshrrev_b32_e32 v13, 8, v2
	s_movk_i32 s4, 0x7f
	v_cmp_gt_i16_sdwa s[6:7], v13, s4 src0_sel:BYTE_0 src1_sel:DWORD
	s_mov_b64 s[4:5], 0
                                        ; implicit-def: $sgpr10
	s_and_saveexec_b64 s[8:9], s[6:7]
	s_xor_b64 s[6:7], exec, s[8:9]
	s_cbranch_execnz .LBB13_2189
; %bb.141:
	s_or_saveexec_b64 s[6:7], s[6:7]
	v_mov_b32_e32 v14, s10
	s_xor_b64 exec, exec, s[6:7]
	s_cbranch_execnz .LBB13_2192
.LBB13_142:
	s_or_b64 exec, exec, s[6:7]
	s_and_saveexec_b64 s[6:7], s[4:5]
	s_cbranch_execz .LBB13_144
.LBB13_143:
	v_bfe_u32 v14, v2, 8, 3
	v_ffbh_u32_e32 v16, v14
	v_min_u32_e32 v16, 32, v16
	v_lshrrev_b16_e32 v15, 3, v13
	v_subrev_u32_e32 v17, 28, v16
	v_and_b32_e32 v15, 15, v15
	v_lshlrev_b32_e32 v13, v17, v13
	v_sub_u32_e32 v16, 29, v16
	v_and_b32_e32 v13, 7, v13
	v_cmp_eq_u16_e32 vcc, 0, v15
	v_cndmask_b32_e32 v13, v14, v13, vcc
	v_cndmask_b32_e32 v14, v15, v16, vcc
	v_lshlrev_b32_e32 v15, 16, v2
	v_mov_b32_e32 v16, 0x3b800000
	v_lshlrev_b32_e32 v13, 20, v13
	v_and_b32_e32 v15, 0x80000000, v15
	v_lshl_add_u32 v14, v14, 23, v16
	v_or3_b32 v14, v15, v14, v13
.LBB13_144:
	s_or_b64 exec, exec, s[6:7]
	s_nop 0
	v_mfma_f32_16x16x4f32 a[0:3], v12, v14, a[0:3]
	s_movk_i32 s4, 0xff
	v_and_b32_sdwa v13, v6, s4 dst_sel:DWORD dst_unused:UNUSED_PAD src0_sel:WORD_1 src1_sel:DWORD
	s_movk_i32 s4, 0x7f
	v_cmp_lt_i16_e32 vcc, s4, v13
	s_mov_b64 s[4:5], 0
                                        ; implicit-def: $sgpr10
	s_and_saveexec_b64 s[6:7], vcc
	s_xor_b64 s[6:7], exec, s[6:7]
	s_cbranch_execnz .LBB13_2193
; %bb.145:
	s_or_saveexec_b64 s[6:7], s[6:7]
	v_mov_b32_e32 v12, s10
	s_xor_b64 exec, exec, s[6:7]
	s_cbranch_execnz .LBB13_2196
.LBB13_146:
	s_or_b64 exec, exec, s[6:7]
	s_and_saveexec_b64 s[6:7], s[4:5]
	s_cbranch_execz .LBB13_148
.LBB13_147:
	v_bfe_u32 v12, v6, 16, 3
	v_ffbh_u32_e32 v15, v12
	v_min_u32_e32 v15, 32, v15
	v_lshrrev_b32_e32 v13, 19, v6
	v_subrev_u32_e32 v16, 28, v15
	v_and_b32_e32 v13, 15, v13
	v_lshlrev_b32_sdwa v16, v16, v6 dst_sel:DWORD dst_unused:UNUSED_PAD src0_sel:DWORD src1_sel:WORD_1
	v_bfe_u32 v14, v6, 19, 4
	v_sub_u32_e32 v15, 29, v15
	v_and_b32_e32 v16, 7, v16
	v_cmp_eq_u16_e32 vcc, 0, v13
	v_cndmask_b32_e32 v12, v12, v16, vcc
	v_cndmask_b32_e32 v13, v14, v15, vcc
	v_lshlrev_b32_e32 v14, 8, v6
	v_mov_b32_e32 v15, 0x3b800000
	v_lshlrev_b32_e32 v12, 20, v12
	v_and_b32_e32 v14, 0x80000000, v14
	v_lshl_add_u32 v13, v13, 23, v15
	v_or3_b32 v12, v14, v13, v12
.LBB13_148:
	s_or_b64 exec, exec, s[6:7]
	s_movk_i32 s4, 0xff
	v_and_b32_sdwa v13, v2, s4 dst_sel:DWORD dst_unused:UNUSED_PAD src0_sel:WORD_1 src1_sel:DWORD
	s_movk_i32 s4, 0x7f
	v_cmp_lt_i16_e32 vcc, s4, v13
	s_mov_b64 s[4:5], 0
                                        ; implicit-def: $sgpr10
	s_and_saveexec_b64 s[6:7], vcc
	s_xor_b64 s[6:7], exec, s[6:7]
	s_cbranch_execnz .LBB13_2197
; %bb.149:
	s_or_saveexec_b64 s[6:7], s[6:7]
	v_mov_b32_e32 v14, s10
	s_xor_b64 exec, exec, s[6:7]
	s_cbranch_execnz .LBB13_2200
.LBB13_150:
	s_or_b64 exec, exec, s[6:7]
	s_and_saveexec_b64 s[6:7], s[4:5]
	s_cbranch_execz .LBB13_152
.LBB13_151:
	v_bfe_u32 v13, v2, 16, 3
	v_ffbh_u32_e32 v16, v13
	v_min_u32_e32 v16, 32, v16
	v_lshrrev_b32_e32 v14, 19, v2
	v_subrev_u32_e32 v17, 28, v16
	v_and_b32_e32 v14, 15, v14
	v_lshlrev_b32_sdwa v17, v17, v2 dst_sel:DWORD dst_unused:UNUSED_PAD src0_sel:DWORD src1_sel:WORD_1
	v_bfe_u32 v15, v2, 19, 4
	v_sub_u32_e32 v16, 29, v16
	v_and_b32_e32 v17, 7, v17
	v_cmp_eq_u16_e32 vcc, 0, v14
	v_cndmask_b32_e32 v13, v13, v17, vcc
	v_cndmask_b32_e32 v14, v15, v16, vcc
	v_lshlrev_b32_e32 v15, 8, v2
	v_mov_b32_e32 v16, 0x3b800000
	v_lshlrev_b32_e32 v13, 20, v13
	v_and_b32_e32 v15, 0x80000000, v15
	v_lshl_add_u32 v14, v14, 23, v16
	v_or3_b32 v14, v15, v14, v13
.LBB13_152:
	s_or_b64 exec, exec, s[6:7]
	s_nop 0
	v_mfma_f32_16x16x4f32 a[0:3], v12, v14, a[0:3]
	s_movk_i32 s4, 0x7f
	v_cmp_gt_i16_sdwa s[6:7], v6, s4 src0_sel:BYTE_3 src1_sel:DWORD
	s_mov_b64 s[4:5], 0
                                        ; implicit-def: $sgpr10
	s_and_saveexec_b64 s[8:9], s[6:7]
	s_xor_b64 s[6:7], exec, s[8:9]
	s_cbranch_execnz .LBB13_2201
; %bb.153:
	s_or_saveexec_b64 s[6:7], s[6:7]
	v_mov_b32_e32 v12, s10
	s_xor_b64 exec, exec, s[6:7]
	s_cbranch_execnz .LBB13_2204
.LBB13_154:
	s_or_b64 exec, exec, s[6:7]
	s_and_saveexec_b64 s[6:7], s[4:5]
	s_cbranch_execz .LBB13_156
.LBB13_155:
	v_bfe_u32 v12, v6, 24, 3
	v_ffbh_u32_e32 v16, v12
	v_min_u32_e32 v16, 32, v16
	v_lshrrev_b32_e32 v14, 27, v6
	v_subrev_u32_e32 v17, 28, v16
	v_and_b32_e32 v13, 0x80000000, v6
	v_and_b32_e32 v14, 15, v14
	v_bfe_u32 v15, v6, 27, 4
	v_lshlrev_b32_sdwa v6, v17, v6 dst_sel:DWORD dst_unused:UNUSED_PAD src0_sel:DWORD src1_sel:BYTE_3
	v_sub_u32_e32 v16, 29, v16
	v_and_b32_e32 v6, 7, v6
	v_cmp_eq_u16_e32 vcc, 0, v14
	v_cndmask_b32_e32 v6, v12, v6, vcc
	v_cndmask_b32_e32 v12, v15, v16, vcc
	v_mov_b32_e32 v14, 0x3b800000
	v_lshlrev_b32_e32 v6, 20, v6
	v_lshl_add_u32 v12, v12, 23, v14
	v_or3_b32 v12, v13, v12, v6
.LBB13_156:
	s_or_b64 exec, exec, s[6:7]
	s_movk_i32 s4, 0x7f
	v_cmp_gt_i16_sdwa s[6:7], v2, s4 src0_sel:BYTE_3 src1_sel:DWORD
	s_mov_b64 s[4:5], 0
                                        ; implicit-def: $sgpr10
	s_and_saveexec_b64 s[8:9], s[6:7]
	s_xor_b64 s[6:7], exec, s[8:9]
	s_cbranch_execnz .LBB13_2205
; %bb.157:
	s_or_saveexec_b64 s[6:7], s[6:7]
	v_mov_b32_e32 v6, s10
	s_xor_b64 exec, exec, s[6:7]
	s_cbranch_execnz .LBB13_2208
.LBB13_158:
	s_or_b64 exec, exec, s[6:7]
	s_and_saveexec_b64 s[6:7], s[4:5]
	s_cbranch_execz .LBB13_160
.LBB13_159:
	v_bfe_u32 v6, v2, 24, 3
	v_ffbh_u32_e32 v16, v6
	v_min_u32_e32 v16, 32, v16
	v_lshrrev_b32_e32 v14, 27, v2
	v_subrev_u32_e32 v17, 28, v16
	v_and_b32_e32 v13, 0x80000000, v2
	v_and_b32_e32 v14, 15, v14
	v_bfe_u32 v15, v2, 27, 4
	v_lshlrev_b32_sdwa v2, v17, v2 dst_sel:DWORD dst_unused:UNUSED_PAD src0_sel:DWORD src1_sel:BYTE_3
	v_sub_u32_e32 v16, 29, v16
	v_and_b32_e32 v2, 7, v2
	v_cmp_eq_u16_e32 vcc, 0, v14
	v_cndmask_b32_e32 v2, v6, v2, vcc
	v_cndmask_b32_e32 v6, v15, v16, vcc
	v_mov_b32_e32 v14, 0x3b800000
	v_lshlrev_b32_e32 v2, 20, v2
	v_lshl_add_u32 v6, v6, 23, v14
	v_or3_b32 v6, v13, v6, v2
.LBB13_160:
	s_or_b64 exec, exec, s[6:7]
	s_nop 0
	v_mfma_f32_16x16x4f32 a[0:3], v12, v6, a[0:3]
	s_movk_i32 s4, 0x7f
	v_cmp_gt_i16_sdwa s[6:7], v7, s4 src0_sel:BYTE_0 src1_sel:DWORD
	s_mov_b64 s[4:5], 0
                                        ; implicit-def: $sgpr10
	s_and_saveexec_b64 s[8:9], s[6:7]
	s_xor_b64 s[6:7], exec, s[8:9]
	s_cbranch_execnz .LBB13_2209
; %bb.161:
	s_or_saveexec_b64 s[6:7], s[6:7]
	v_mov_b32_e32 v2, s10
	s_xor_b64 exec, exec, s[6:7]
	s_cbranch_execnz .LBB13_2212
.LBB13_162:
	s_or_b64 exec, exec, s[6:7]
	s_and_saveexec_b64 s[6:7], s[4:5]
	s_cbranch_execz .LBB13_164
.LBB13_163:
	v_and_b32_e32 v2, 7, v7
	v_ffbh_u32_e32 v12, v2
	v_min_u32_e32 v12, 32, v12
	v_lshrrev_b16_e32 v6, 3, v7
	v_subrev_u32_e32 v13, 28, v12
	v_and_b32_e32 v6, 15, v6
	v_lshlrev_b32_e32 v13, v13, v7
	v_sub_u32_e32 v12, 29, v12
	v_and_b32_e32 v13, 7, v13
	v_cmp_eq_u16_e32 vcc, 0, v6
	v_cndmask_b32_e32 v2, v2, v13, vcc
	v_cndmask_b32_e32 v6, v6, v12, vcc
	v_lshlrev_b32_e32 v12, 24, v7
	v_mov_b32_e32 v13, 0x3b800000
	v_lshlrev_b32_e32 v2, 20, v2
	v_and_b32_e32 v12, 0x80000000, v12
	v_lshl_add_u32 v6, v6, 23, v13
	v_or3_b32 v2, v12, v6, v2
.LBB13_164:
	s_or_b64 exec, exec, s[6:7]
	s_movk_i32 s4, 0x7f
	v_cmp_gt_i16_sdwa s[6:7], v3, s4 src0_sel:BYTE_0 src1_sel:DWORD
	s_mov_b64 s[4:5], 0
                                        ; implicit-def: $sgpr10
	s_and_saveexec_b64 s[8:9], s[6:7]
	s_xor_b64 s[6:7], exec, s[8:9]
	s_cbranch_execnz .LBB13_2213
; %bb.165:
	s_or_saveexec_b64 s[6:7], s[6:7]
	v_mov_b32_e32 v6, s10
	s_xor_b64 exec, exec, s[6:7]
	s_cbranch_execnz .LBB13_2216
.LBB13_166:
	s_or_b64 exec, exec, s[6:7]
	s_and_saveexec_b64 s[6:7], s[4:5]
	s_cbranch_execz .LBB13_168
.LBB13_167:
	v_and_b32_e32 v6, 7, v3
	v_ffbh_u32_e32 v13, v6
	v_min_u32_e32 v13, 32, v13
	v_lshrrev_b16_e32 v12, 3, v3
	v_subrev_u32_e32 v14, 28, v13
	v_and_b32_e32 v12, 15, v12
	v_lshlrev_b32_e32 v14, v14, v3
	v_sub_u32_e32 v13, 29, v13
	v_and_b32_e32 v14, 7, v14
	v_cmp_eq_u16_e32 vcc, 0, v12
	v_cndmask_b32_e32 v6, v6, v14, vcc
	v_cndmask_b32_e32 v12, v12, v13, vcc
	v_lshlrev_b32_e32 v13, 24, v3
	v_mov_b32_e32 v14, 0x3b800000
	v_lshlrev_b32_e32 v6, 20, v6
	v_and_b32_e32 v13, 0x80000000, v13
	v_lshl_add_u32 v12, v12, 23, v14
	v_or3_b32 v6, v13, v12, v6
.LBB13_168:
	s_or_b64 exec, exec, s[6:7]
	s_nop 0
	v_mfma_f32_16x16x4f32 a[0:3], v2, v6, a[0:3]
	v_lshrrev_b32_e32 v6, 8, v7
	s_movk_i32 s4, 0x7f
	v_cmp_gt_i16_sdwa s[6:7], v6, s4 src0_sel:BYTE_0 src1_sel:DWORD
	s_mov_b64 s[4:5], 0
                                        ; implicit-def: $sgpr10
	s_and_saveexec_b64 s[8:9], s[6:7]
	s_xor_b64 s[6:7], exec, s[8:9]
	s_cbranch_execnz .LBB13_2217
; %bb.169:
	s_or_saveexec_b64 s[6:7], s[6:7]
	v_mov_b32_e32 v2, s10
	s_xor_b64 exec, exec, s[6:7]
	s_cbranch_execnz .LBB13_2220
.LBB13_170:
	s_or_b64 exec, exec, s[6:7]
	s_and_saveexec_b64 s[6:7], s[4:5]
	s_cbranch_execz .LBB13_172
.LBB13_171:
	v_bfe_u32 v2, v7, 8, 3
	v_ffbh_u32_e32 v13, v2
	v_min_u32_e32 v13, 32, v13
	v_lshrrev_b16_e32 v12, 3, v6
	v_subrev_u32_e32 v14, 28, v13
	v_and_b32_e32 v12, 15, v12
	v_lshlrev_b32_e32 v6, v14, v6
	v_sub_u32_e32 v13, 29, v13
	v_and_b32_e32 v6, 7, v6
	v_cmp_eq_u16_e32 vcc, 0, v12
	v_cndmask_b32_e32 v2, v2, v6, vcc
	v_cndmask_b32_e32 v6, v12, v13, vcc
	v_lshlrev_b32_e32 v12, 16, v7
	v_mov_b32_e32 v13, 0x3b800000
	v_lshlrev_b32_e32 v2, 20, v2
	v_and_b32_e32 v12, 0x80000000, v12
	v_lshl_add_u32 v6, v6, 23, v13
	v_or3_b32 v2, v12, v6, v2
.LBB13_172:
	s_or_b64 exec, exec, s[6:7]
	v_lshrrev_b32_e32 v6, 8, v3
	s_movk_i32 s4, 0x7f
	v_cmp_gt_i16_sdwa s[6:7], v6, s4 src0_sel:BYTE_0 src1_sel:DWORD
	s_mov_b64 s[4:5], 0
                                        ; implicit-def: $sgpr10
	s_and_saveexec_b64 s[8:9], s[6:7]
	s_xor_b64 s[6:7], exec, s[8:9]
	s_cbranch_execnz .LBB13_2221
; %bb.173:
	s_or_saveexec_b64 s[6:7], s[6:7]
	v_mov_b32_e32 v12, s10
	s_xor_b64 exec, exec, s[6:7]
	s_cbranch_execnz .LBB13_2224
.LBB13_174:
	s_or_b64 exec, exec, s[6:7]
	s_and_saveexec_b64 s[6:7], s[4:5]
	s_cbranch_execz .LBB13_176
.LBB13_175:
	v_bfe_u32 v12, v3, 8, 3
	v_ffbh_u32_e32 v14, v12
	v_min_u32_e32 v14, 32, v14
	v_lshrrev_b16_e32 v13, 3, v6
	v_subrev_u32_e32 v15, 28, v14
	v_and_b32_e32 v13, 15, v13
	v_lshlrev_b32_e32 v6, v15, v6
	v_sub_u32_e32 v14, 29, v14
	v_and_b32_e32 v6, 7, v6
	v_cmp_eq_u16_e32 vcc, 0, v13
	v_cndmask_b32_e32 v6, v12, v6, vcc
	v_cndmask_b32_e32 v12, v13, v14, vcc
	v_lshlrev_b32_e32 v13, 16, v3
	v_mov_b32_e32 v14, 0x3b800000
	v_lshlrev_b32_e32 v6, 20, v6
	v_and_b32_e32 v13, 0x80000000, v13
	v_lshl_add_u32 v12, v12, 23, v14
	v_or3_b32 v12, v13, v12, v6
.LBB13_176:
	s_or_b64 exec, exec, s[6:7]
	s_nop 0
	v_mfma_f32_16x16x4f32 a[0:3], v2, v12, a[0:3]
	s_movk_i32 s4, 0xff
	v_and_b32_sdwa v6, v7, s4 dst_sel:DWORD dst_unused:UNUSED_PAD src0_sel:WORD_1 src1_sel:DWORD
	s_movk_i32 s4, 0x7f
	v_cmp_lt_i16_e32 vcc, s4, v6
	s_mov_b64 s[4:5], 0
                                        ; implicit-def: $sgpr10
	s_and_saveexec_b64 s[6:7], vcc
	s_xor_b64 s[6:7], exec, s[6:7]
	s_cbranch_execnz .LBB13_2225
; %bb.177:
	s_or_saveexec_b64 s[6:7], s[6:7]
	v_mov_b32_e32 v2, s10
	s_xor_b64 exec, exec, s[6:7]
	s_cbranch_execnz .LBB13_2228
.LBB13_178:
	s_or_b64 exec, exec, s[6:7]
	s_and_saveexec_b64 s[6:7], s[4:5]
	s_cbranch_execz .LBB13_180
.LBB13_179:
	v_bfe_u32 v2, v7, 16, 3
	v_ffbh_u32_e32 v13, v2
	v_min_u32_e32 v13, 32, v13
	v_lshrrev_b32_e32 v6, 19, v7
	v_subrev_u32_e32 v14, 28, v13
	v_and_b32_e32 v6, 15, v6
	v_lshlrev_b32_sdwa v14, v14, v7 dst_sel:DWORD dst_unused:UNUSED_PAD src0_sel:DWORD src1_sel:WORD_1
	v_bfe_u32 v12, v7, 19, 4
	v_sub_u32_e32 v13, 29, v13
	v_and_b32_e32 v14, 7, v14
	v_cmp_eq_u16_e32 vcc, 0, v6
	v_cndmask_b32_e32 v2, v2, v14, vcc
	v_cndmask_b32_e32 v6, v12, v13, vcc
	v_lshlrev_b32_e32 v12, 8, v7
	v_mov_b32_e32 v13, 0x3b800000
	v_lshlrev_b32_e32 v2, 20, v2
	v_and_b32_e32 v12, 0x80000000, v12
	v_lshl_add_u32 v6, v6, 23, v13
	v_or3_b32 v2, v12, v6, v2
.LBB13_180:
	s_or_b64 exec, exec, s[6:7]
	s_movk_i32 s4, 0xff
	v_and_b32_sdwa v6, v3, s4 dst_sel:DWORD dst_unused:UNUSED_PAD src0_sel:WORD_1 src1_sel:DWORD
	s_movk_i32 s4, 0x7f
	v_cmp_lt_i16_e32 vcc, s4, v6
	s_mov_b64 s[4:5], 0
                                        ; implicit-def: $sgpr10
	s_and_saveexec_b64 s[6:7], vcc
	s_xor_b64 s[6:7], exec, s[6:7]
	s_cbranch_execnz .LBB13_2229
; %bb.181:
	s_or_saveexec_b64 s[6:7], s[6:7]
	v_mov_b32_e32 v12, s10
	s_xor_b64 exec, exec, s[6:7]
	s_cbranch_execnz .LBB13_2232
.LBB13_182:
	s_or_b64 exec, exec, s[6:7]
	s_and_saveexec_b64 s[6:7], s[4:5]
	s_cbranch_execz .LBB13_184
.LBB13_183:
	v_bfe_u32 v6, v3, 16, 3
	v_ffbh_u32_e32 v14, v6
	v_min_u32_e32 v14, 32, v14
	v_lshrrev_b32_e32 v12, 19, v3
	v_subrev_u32_e32 v15, 28, v14
	v_and_b32_e32 v12, 15, v12
	v_lshlrev_b32_sdwa v15, v15, v3 dst_sel:DWORD dst_unused:UNUSED_PAD src0_sel:DWORD src1_sel:WORD_1
	v_bfe_u32 v13, v3, 19, 4
	v_sub_u32_e32 v14, 29, v14
	v_and_b32_e32 v15, 7, v15
	v_cmp_eq_u16_e32 vcc, 0, v12
	v_cndmask_b32_e32 v6, v6, v15, vcc
	v_cndmask_b32_e32 v12, v13, v14, vcc
	v_lshlrev_b32_e32 v13, 8, v3
	v_mov_b32_e32 v14, 0x3b800000
	v_lshlrev_b32_e32 v6, 20, v6
	v_and_b32_e32 v13, 0x80000000, v13
	v_lshl_add_u32 v12, v12, 23, v14
	v_or3_b32 v12, v13, v12, v6
.LBB13_184:
	s_or_b64 exec, exec, s[6:7]
	s_nop 0
	v_mfma_f32_16x16x4f32 a[0:3], v2, v12, a[0:3]
	s_movk_i32 s4, 0x7f
	v_cmp_gt_i16_sdwa s[6:7], v7, s4 src0_sel:BYTE_3 src1_sel:DWORD
	s_mov_b64 s[4:5], 0
                                        ; implicit-def: $sgpr10
	s_and_saveexec_b64 s[8:9], s[6:7]
	s_xor_b64 s[6:7], exec, s[8:9]
	s_cbranch_execnz .LBB13_2233
; %bb.185:
	s_or_saveexec_b64 s[6:7], s[6:7]
	v_mov_b32_e32 v2, s10
	s_xor_b64 exec, exec, s[6:7]
	s_cbranch_execnz .LBB13_2236
.LBB13_186:
	s_or_b64 exec, exec, s[6:7]
	s_and_saveexec_b64 s[6:7], s[4:5]
	s_cbranch_execz .LBB13_188
.LBB13_187:
	v_bfe_u32 v2, v7, 24, 3
	v_ffbh_u32_e32 v14, v2
	v_min_u32_e32 v14, 32, v14
	v_lshrrev_b32_e32 v12, 27, v7
	v_subrev_u32_e32 v15, 28, v14
	v_and_b32_e32 v6, 0x80000000, v7
	v_and_b32_e32 v12, 15, v12
	v_bfe_u32 v13, v7, 27, 4
	v_lshlrev_b32_sdwa v7, v15, v7 dst_sel:DWORD dst_unused:UNUSED_PAD src0_sel:DWORD src1_sel:BYTE_3
	v_sub_u32_e32 v14, 29, v14
	v_and_b32_e32 v7, 7, v7
	v_cmp_eq_u16_e32 vcc, 0, v12
	v_cndmask_b32_e32 v2, v2, v7, vcc
	v_cndmask_b32_e32 v7, v13, v14, vcc
	v_mov_b32_e32 v12, 0x3b800000
	v_lshlrev_b32_e32 v2, 20, v2
	v_lshl_add_u32 v7, v7, 23, v12
	v_or3_b32 v2, v6, v7, v2
.LBB13_188:
	s_or_b64 exec, exec, s[6:7]
	s_movk_i32 s4, 0x7f
	v_cmp_gt_i16_sdwa s[6:7], v3, s4 src0_sel:BYTE_3 src1_sel:DWORD
	s_mov_b64 s[4:5], 0
                                        ; implicit-def: $sgpr10
	s_and_saveexec_b64 s[8:9], s[6:7]
	s_xor_b64 s[6:7], exec, s[8:9]
	s_cbranch_execnz .LBB13_2237
; %bb.189:
	s_or_saveexec_b64 s[6:7], s[6:7]
	v_mov_b32_e32 v6, s10
	s_xor_b64 exec, exec, s[6:7]
	s_cbranch_execnz .LBB13_2240
.LBB13_190:
	s_or_b64 exec, exec, s[6:7]
	s_and_saveexec_b64 s[6:7], s[4:5]
	s_cbranch_execz .LBB13_192
.LBB13_191:
	v_bfe_u32 v6, v3, 24, 3
	v_ffbh_u32_e32 v14, v6
	v_min_u32_e32 v14, 32, v14
	v_lshrrev_b32_e32 v12, 27, v3
	v_subrev_u32_e32 v15, 28, v14
	v_and_b32_e32 v7, 0x80000000, v3
	v_and_b32_e32 v12, 15, v12
	v_bfe_u32 v13, v3, 27, 4
	v_lshlrev_b32_sdwa v3, v15, v3 dst_sel:DWORD dst_unused:UNUSED_PAD src0_sel:DWORD src1_sel:BYTE_3
	v_sub_u32_e32 v14, 29, v14
	v_and_b32_e32 v3, 7, v3
	v_cmp_eq_u16_e32 vcc, 0, v12
	v_cndmask_b32_e32 v3, v6, v3, vcc
	v_cndmask_b32_e32 v6, v13, v14, vcc
	v_mov_b32_e32 v12, 0x3b800000
	v_lshlrev_b32_e32 v3, 20, v3
	v_lshl_add_u32 v6, v6, 23, v12
	v_or3_b32 v6, v7, v6, v3
.LBB13_192:
	s_or_b64 exec, exec, s[6:7]
	s_nop 0
	v_mfma_f32_16x16x4f32 a[0:3], v2, v6, a[0:3]
	s_movk_i32 s4, 0x7f
	v_cmp_gt_i16_sdwa s[6:7], v8, s4 src0_sel:BYTE_0 src1_sel:DWORD
	s_mov_b64 s[4:5], 0
                                        ; implicit-def: $sgpr10
	s_and_saveexec_b64 s[8:9], s[6:7]
	s_xor_b64 s[6:7], exec, s[8:9]
	s_cbranch_execnz .LBB13_2241
; %bb.193:
	s_or_saveexec_b64 s[6:7], s[6:7]
	v_mov_b32_e32 v2, s10
	s_xor_b64 exec, exec, s[6:7]
	s_cbranch_execnz .LBB13_2244
.LBB13_194:
	s_or_b64 exec, exec, s[6:7]
	s_and_saveexec_b64 s[6:7], s[4:5]
	s_cbranch_execz .LBB13_196
.LBB13_195:
	v_and_b32_e32 v2, 7, v8
	v_ffbh_u32_e32 v6, v2
	v_min_u32_e32 v6, 32, v6
	v_lshrrev_b16_e32 v3, 3, v8
	v_subrev_u32_e32 v7, 28, v6
	v_and_b32_e32 v3, 15, v3
	v_lshlrev_b32_e32 v7, v7, v8
	v_sub_u32_e32 v6, 29, v6
	v_and_b32_e32 v7, 7, v7
	v_cmp_eq_u16_e32 vcc, 0, v3
	v_cndmask_b32_e32 v2, v2, v7, vcc
	v_cndmask_b32_e32 v3, v3, v6, vcc
	v_lshlrev_b32_e32 v6, 24, v8
	v_mov_b32_e32 v7, 0x3b800000
	v_lshlrev_b32_e32 v2, 20, v2
	v_and_b32_e32 v6, 0x80000000, v6
	v_lshl_add_u32 v3, v3, 23, v7
	v_or3_b32 v2, v6, v3, v2
.LBB13_196:
	s_or_b64 exec, exec, s[6:7]
	s_movk_i32 s4, 0x7f
	v_cmp_gt_i16_sdwa s[6:7], v4, s4 src0_sel:BYTE_0 src1_sel:DWORD
	s_mov_b64 s[4:5], 0
                                        ; implicit-def: $sgpr10
	s_and_saveexec_b64 s[8:9], s[6:7]
	s_xor_b64 s[6:7], exec, s[8:9]
	s_cbranch_execnz .LBB13_2245
; %bb.197:
	s_or_saveexec_b64 s[6:7], s[6:7]
	v_mov_b32_e32 v3, s10
	s_xor_b64 exec, exec, s[6:7]
	s_cbranch_execnz .LBB13_2248
.LBB13_198:
	s_or_b64 exec, exec, s[6:7]
	s_and_saveexec_b64 s[6:7], s[4:5]
	s_cbranch_execz .LBB13_200
.LBB13_199:
	v_and_b32_e32 v3, 7, v4
	v_ffbh_u32_e32 v7, v3
	v_min_u32_e32 v7, 32, v7
	v_lshrrev_b16_e32 v6, 3, v4
	v_subrev_u32_e32 v12, 28, v7
	v_and_b32_e32 v6, 15, v6
	v_lshlrev_b32_e32 v12, v12, v4
	v_sub_u32_e32 v7, 29, v7
	v_and_b32_e32 v12, 7, v12
	v_cmp_eq_u16_e32 vcc, 0, v6
	v_cndmask_b32_e32 v3, v3, v12, vcc
	v_cndmask_b32_e32 v6, v6, v7, vcc
	v_lshlrev_b32_e32 v7, 24, v4
	v_mov_b32_e32 v12, 0x3b800000
	v_lshlrev_b32_e32 v3, 20, v3
	v_and_b32_e32 v7, 0x80000000, v7
	v_lshl_add_u32 v6, v6, 23, v12
	v_or3_b32 v3, v7, v6, v3
.LBB13_200:
	s_or_b64 exec, exec, s[6:7]
	s_nop 0
	v_mfma_f32_16x16x4f32 a[0:3], v2, v3, a[0:3]
	v_lshrrev_b32_e32 v3, 8, v8
	s_movk_i32 s4, 0x7f
	v_cmp_gt_i16_sdwa s[6:7], v3, s4 src0_sel:BYTE_0 src1_sel:DWORD
	s_mov_b64 s[4:5], 0
                                        ; implicit-def: $sgpr10
	s_and_saveexec_b64 s[8:9], s[6:7]
	s_xor_b64 s[6:7], exec, s[8:9]
	s_cbranch_execnz .LBB13_2249
; %bb.201:
	s_or_saveexec_b64 s[6:7], s[6:7]
	v_mov_b32_e32 v2, s10
	s_xor_b64 exec, exec, s[6:7]
	s_cbranch_execnz .LBB13_2252
.LBB13_202:
	s_or_b64 exec, exec, s[6:7]
	s_and_saveexec_b64 s[6:7], s[4:5]
	s_cbranch_execz .LBB13_204
.LBB13_203:
	v_bfe_u32 v2, v8, 8, 3
	v_ffbh_u32_e32 v7, v2
	v_min_u32_e32 v7, 32, v7
	v_lshrrev_b16_e32 v6, 3, v3
	v_subrev_u32_e32 v12, 28, v7
	v_and_b32_e32 v6, 15, v6
	v_lshlrev_b32_e32 v3, v12, v3
	v_sub_u32_e32 v7, 29, v7
	v_and_b32_e32 v3, 7, v3
	v_cmp_eq_u16_e32 vcc, 0, v6
	v_cndmask_b32_e32 v2, v2, v3, vcc
	v_cndmask_b32_e32 v3, v6, v7, vcc
	v_lshlrev_b32_e32 v6, 16, v8
	v_mov_b32_e32 v7, 0x3b800000
	v_lshlrev_b32_e32 v2, 20, v2
	v_and_b32_e32 v6, 0x80000000, v6
	v_lshl_add_u32 v3, v3, 23, v7
	v_or3_b32 v2, v6, v3, v2
.LBB13_204:
	s_or_b64 exec, exec, s[6:7]
	v_lshrrev_b32_e32 v3, 8, v4
	s_movk_i32 s4, 0x7f
	v_cmp_gt_i16_sdwa s[6:7], v3, s4 src0_sel:BYTE_0 src1_sel:DWORD
	s_mov_b64 s[4:5], 0
                                        ; implicit-def: $sgpr10
	s_and_saveexec_b64 s[8:9], s[6:7]
	s_xor_b64 s[6:7], exec, s[8:9]
	s_cbranch_execnz .LBB13_2253
; %bb.205:
	s_or_saveexec_b64 s[6:7], s[6:7]
	v_mov_b32_e32 v6, s10
	s_xor_b64 exec, exec, s[6:7]
	s_cbranch_execnz .LBB13_2256
.LBB13_206:
	s_or_b64 exec, exec, s[6:7]
	s_and_saveexec_b64 s[6:7], s[4:5]
	s_cbranch_execz .LBB13_208
.LBB13_207:
	v_bfe_u32 v6, v4, 8, 3
	v_ffbh_u32_e32 v12, v6
	v_min_u32_e32 v12, 32, v12
	v_lshrrev_b16_e32 v7, 3, v3
	v_subrev_u32_e32 v13, 28, v12
	v_and_b32_e32 v7, 15, v7
	v_lshlrev_b32_e32 v3, v13, v3
	v_sub_u32_e32 v12, 29, v12
	v_and_b32_e32 v3, 7, v3
	v_cmp_eq_u16_e32 vcc, 0, v7
	v_cndmask_b32_e32 v3, v6, v3, vcc
	v_cndmask_b32_e32 v6, v7, v12, vcc
	v_lshlrev_b32_e32 v7, 16, v4
	v_mov_b32_e32 v12, 0x3b800000
	v_lshlrev_b32_e32 v3, 20, v3
	v_and_b32_e32 v7, 0x80000000, v7
	v_lshl_add_u32 v6, v6, 23, v12
	v_or3_b32 v6, v7, v6, v3
.LBB13_208:
	s_or_b64 exec, exec, s[6:7]
	s_nop 0
	v_mfma_f32_16x16x4f32 a[0:3], v2, v6, a[0:3]
	s_movk_i32 s4, 0xff
	v_and_b32_sdwa v3, v8, s4 dst_sel:DWORD dst_unused:UNUSED_PAD src0_sel:WORD_1 src1_sel:DWORD
	s_movk_i32 s4, 0x7f
	v_cmp_lt_i16_e32 vcc, s4, v3
	s_mov_b64 s[4:5], 0
                                        ; implicit-def: $sgpr10
	s_and_saveexec_b64 s[6:7], vcc
	s_xor_b64 s[6:7], exec, s[6:7]
	s_cbranch_execnz .LBB13_2257
; %bb.209:
	s_or_saveexec_b64 s[6:7], s[6:7]
	v_mov_b32_e32 v2, s10
	s_xor_b64 exec, exec, s[6:7]
	s_cbranch_execnz .LBB13_2260
.LBB13_210:
	s_or_b64 exec, exec, s[6:7]
	s_and_saveexec_b64 s[6:7], s[4:5]
	s_cbranch_execz .LBB13_212
.LBB13_211:
	v_bfe_u32 v2, v8, 16, 3
	v_ffbh_u32_e32 v7, v2
	v_min_u32_e32 v7, 32, v7
	v_lshrrev_b32_e32 v3, 19, v8
	v_subrev_u32_e32 v12, 28, v7
	v_and_b32_e32 v3, 15, v3
	v_lshlrev_b32_sdwa v12, v12, v8 dst_sel:DWORD dst_unused:UNUSED_PAD src0_sel:DWORD src1_sel:WORD_1
	v_bfe_u32 v6, v8, 19, 4
	v_sub_u32_e32 v7, 29, v7
	v_and_b32_e32 v12, 7, v12
	v_cmp_eq_u16_e32 vcc, 0, v3
	v_cndmask_b32_e32 v2, v2, v12, vcc
	v_cndmask_b32_e32 v3, v6, v7, vcc
	v_lshlrev_b32_e32 v6, 8, v8
	v_mov_b32_e32 v7, 0x3b800000
	v_lshlrev_b32_e32 v2, 20, v2
	v_and_b32_e32 v6, 0x80000000, v6
	v_lshl_add_u32 v3, v3, 23, v7
	v_or3_b32 v2, v6, v3, v2
.LBB13_212:
	s_or_b64 exec, exec, s[6:7]
	s_movk_i32 s4, 0xff
	v_and_b32_sdwa v3, v4, s4 dst_sel:DWORD dst_unused:UNUSED_PAD src0_sel:WORD_1 src1_sel:DWORD
	s_movk_i32 s4, 0x7f
	v_cmp_lt_i16_e32 vcc, s4, v3
	s_mov_b64 s[4:5], 0
                                        ; implicit-def: $sgpr10
	s_and_saveexec_b64 s[6:7], vcc
	s_xor_b64 s[6:7], exec, s[6:7]
	s_cbranch_execnz .LBB13_2261
; %bb.213:
	s_or_saveexec_b64 s[6:7], s[6:7]
	v_mov_b32_e32 v6, s10
	s_xor_b64 exec, exec, s[6:7]
	s_cbranch_execnz .LBB13_2264
.LBB13_214:
	s_or_b64 exec, exec, s[6:7]
	s_and_saveexec_b64 s[6:7], s[4:5]
	s_cbranch_execz .LBB13_216
.LBB13_215:
	v_bfe_u32 v3, v4, 16, 3
	v_ffbh_u32_e32 v12, v3
	v_min_u32_e32 v12, 32, v12
	v_lshrrev_b32_e32 v6, 19, v4
	v_subrev_u32_e32 v13, 28, v12
	v_and_b32_e32 v6, 15, v6
	v_lshlrev_b32_sdwa v13, v13, v4 dst_sel:DWORD dst_unused:UNUSED_PAD src0_sel:DWORD src1_sel:WORD_1
	v_bfe_u32 v7, v4, 19, 4
	v_sub_u32_e32 v12, 29, v12
	v_and_b32_e32 v13, 7, v13
	v_cmp_eq_u16_e32 vcc, 0, v6
	v_cndmask_b32_e32 v3, v3, v13, vcc
	v_cndmask_b32_e32 v6, v7, v12, vcc
	v_lshlrev_b32_e32 v7, 8, v4
	v_mov_b32_e32 v12, 0x3b800000
	v_lshlrev_b32_e32 v3, 20, v3
	v_and_b32_e32 v7, 0x80000000, v7
	v_lshl_add_u32 v6, v6, 23, v12
	v_or3_b32 v6, v7, v6, v3
.LBB13_216:
	s_or_b64 exec, exec, s[6:7]
	s_nop 0
	v_mfma_f32_16x16x4f32 a[0:3], v2, v6, a[0:3]
	s_movk_i32 s4, 0x7f
	v_cmp_gt_i16_sdwa s[6:7], v8, s4 src0_sel:BYTE_3 src1_sel:DWORD
	s_mov_b64 s[4:5], 0
                                        ; implicit-def: $sgpr10
	s_and_saveexec_b64 s[8:9], s[6:7]
	s_xor_b64 s[6:7], exec, s[8:9]
	s_cbranch_execnz .LBB13_2265
; %bb.217:
	s_or_saveexec_b64 s[6:7], s[6:7]
	v_mov_b32_e32 v2, s10
	s_xor_b64 exec, exec, s[6:7]
	s_cbranch_execnz .LBB13_2268
.LBB13_218:
	s_or_b64 exec, exec, s[6:7]
	s_and_saveexec_b64 s[6:7], s[4:5]
	s_cbranch_execz .LBB13_220
.LBB13_219:
	v_bfe_u32 v2, v8, 24, 3
	v_ffbh_u32_e32 v12, v2
	v_min_u32_e32 v12, 32, v12
	v_lshrrev_b32_e32 v6, 27, v8
	v_subrev_u32_e32 v13, 28, v12
	v_and_b32_e32 v3, 0x80000000, v8
	v_and_b32_e32 v6, 15, v6
	v_bfe_u32 v7, v8, 27, 4
	v_lshlrev_b32_sdwa v8, v13, v8 dst_sel:DWORD dst_unused:UNUSED_PAD src0_sel:DWORD src1_sel:BYTE_3
	v_sub_u32_e32 v12, 29, v12
	v_and_b32_e32 v8, 7, v8
	v_cmp_eq_u16_e32 vcc, 0, v6
	v_cndmask_b32_e32 v2, v2, v8, vcc
	v_cndmask_b32_e32 v6, v7, v12, vcc
	v_mov_b32_e32 v7, 0x3b800000
	v_lshlrev_b32_e32 v2, 20, v2
	v_lshl_add_u32 v6, v6, 23, v7
	v_or3_b32 v2, v3, v6, v2
.LBB13_220:
	s_or_b64 exec, exec, s[6:7]
	s_movk_i32 s4, 0x7f
	v_cmp_gt_i16_sdwa s[6:7], v4, s4 src0_sel:BYTE_3 src1_sel:DWORD
	s_mov_b64 s[4:5], 0
                                        ; implicit-def: $sgpr10
	s_and_saveexec_b64 s[8:9], s[6:7]
	s_xor_b64 s[6:7], exec, s[8:9]
	s_cbranch_execnz .LBB13_2269
; %bb.221:
	s_or_saveexec_b64 s[6:7], s[6:7]
	v_mov_b32_e32 v3, s10
	s_xor_b64 exec, exec, s[6:7]
	s_cbranch_execnz .LBB13_2272
.LBB13_222:
	s_or_b64 exec, exec, s[6:7]
	s_and_saveexec_b64 s[6:7], s[4:5]
	s_cbranch_execz .LBB13_224
.LBB13_223:
	v_bfe_u32 v3, v4, 24, 3
	v_ffbh_u32_e32 v12, v3
	v_min_u32_e32 v12, 32, v12
	v_lshrrev_b32_e32 v7, 27, v4
	v_subrev_u32_e32 v13, 28, v12
	v_and_b32_e32 v6, 0x80000000, v4
	v_and_b32_e32 v7, 15, v7
	v_bfe_u32 v8, v4, 27, 4
	v_lshlrev_b32_sdwa v4, v13, v4 dst_sel:DWORD dst_unused:UNUSED_PAD src0_sel:DWORD src1_sel:BYTE_3
	v_sub_u32_e32 v12, 29, v12
	v_and_b32_e32 v4, 7, v4
	v_cmp_eq_u16_e32 vcc, 0, v7
	v_cndmask_b32_e32 v3, v3, v4, vcc
	v_cndmask_b32_e32 v4, v8, v12, vcc
	v_mov_b32_e32 v7, 0x3b800000
	v_lshlrev_b32_e32 v3, 20, v3
	v_lshl_add_u32 v4, v4, 23, v7
	v_or3_b32 v3, v6, v4, v3
.LBB13_224:
	s_or_b64 exec, exec, s[6:7]
	s_nop 0
	v_mfma_f32_16x16x4f32 a[0:3], v2, v3, a[0:3]
	s_movk_i32 s4, 0x7f
	v_cmp_gt_i16_sdwa s[6:7], v9, s4 src0_sel:BYTE_0 src1_sel:DWORD
	s_mov_b64 s[4:5], 0
                                        ; implicit-def: $sgpr10
	s_and_saveexec_b64 s[8:9], s[6:7]
	s_xor_b64 s[6:7], exec, s[8:9]
	s_cbranch_execnz .LBB13_2273
; %bb.225:
	s_or_saveexec_b64 s[6:7], s[6:7]
	v_mov_b32_e32 v2, s10
	s_xor_b64 exec, exec, s[6:7]
	s_cbranch_execnz .LBB13_2276
.LBB13_226:
	s_or_b64 exec, exec, s[6:7]
	s_and_saveexec_b64 s[6:7], s[4:5]
	s_cbranch_execz .LBB13_228
.LBB13_227:
	v_mov_b32_e32 v2, 8
	v_and_b32_e32 v3, 7, v9
	v_lshrrev_b32_sdwa v2, v2, v9 dst_sel:BYTE_1 dst_unused:UNUSED_PAD src0_sel:DWORD src1_sel:DWORD
	v_ffbh_u32_e32 v4, v3
	v_or_b32_sdwa v2, v9, v2 dst_sel:DWORD dst_unused:UNUSED_PAD src0_sel:BYTE_0 src1_sel:DWORD
	v_min_u32_e32 v4, 32, v4
	v_lshrrev_b16_e32 v2, 3, v2
	v_subrev_u32_e32 v6, 28, v4
	v_and_b32_e32 v2, 15, v2
	v_lshlrev_b32_e32 v6, v6, v9
	v_sub_u32_e32 v4, 29, v4
	v_and_b32_e32 v6, 7, v6
	v_cmp_eq_u16_e32 vcc, 0, v2
	v_cndmask_b32_e32 v3, v3, v6, vcc
	v_cndmask_b32_e32 v2, v2, v4, vcc
	v_lshlrev_b32_e32 v4, 24, v9
	v_mov_b32_e32 v6, 0x3b800000
	v_lshlrev_b32_e32 v3, 20, v3
	v_and_b32_e32 v4, 0x80000000, v4
	v_lshl_add_u32 v2, v2, 23, v6
	v_or3_b32 v2, v4, v2, v3
.LBB13_228:
	s_or_b64 exec, exec, s[6:7]
	s_movk_i32 s4, 0x7f
	v_cmp_gt_i16_sdwa s[6:7], v5, s4 src0_sel:BYTE_0 src1_sel:DWORD
	s_mov_b64 s[4:5], 0
                                        ; implicit-def: $sgpr10
	s_and_saveexec_b64 s[8:9], s[6:7]
	s_xor_b64 s[6:7], exec, s[8:9]
	s_cbranch_execnz .LBB13_2277
; %bb.229:
	s_or_saveexec_b64 s[6:7], s[6:7]
	v_mov_b32_e32 v3, s10
	s_xor_b64 exec, exec, s[6:7]
	s_cbranch_execnz .LBB13_2280
.LBB13_230:
	s_or_b64 exec, exec, s[6:7]
	s_and_saveexec_b64 s[6:7], s[4:5]
	s_cbranch_execz .LBB13_232
.LBB13_231:
	v_mov_b32_e32 v3, 8
	v_and_b32_e32 v4, 7, v5
	v_lshrrev_b32_sdwa v3, v3, v5 dst_sel:BYTE_1 dst_unused:UNUSED_PAD src0_sel:DWORD src1_sel:DWORD
	v_ffbh_u32_e32 v6, v4
	v_or_b32_sdwa v3, v5, v3 dst_sel:DWORD dst_unused:UNUSED_PAD src0_sel:BYTE_0 src1_sel:DWORD
	v_min_u32_e32 v6, 32, v6
	v_lshrrev_b16_e32 v3, 3, v3
	v_subrev_u32_e32 v7, 28, v6
	v_and_b32_e32 v3, 15, v3
	v_lshlrev_b32_e32 v7, v7, v5
	v_sub_u32_e32 v6, 29, v6
	v_and_b32_e32 v7, 7, v7
	v_cmp_eq_u16_e32 vcc, 0, v3
	v_cndmask_b32_e32 v4, v4, v7, vcc
	v_cndmask_b32_e32 v3, v3, v6, vcc
	v_lshlrev_b32_e32 v6, 24, v5
	v_mov_b32_e32 v7, 0x3b800000
	v_lshlrev_b32_e32 v4, 20, v4
	v_and_b32_e32 v6, 0x80000000, v6
	v_lshl_add_u32 v3, v3, 23, v7
	v_or3_b32 v3, v6, v3, v4
.LBB13_232:
	s_or_b64 exec, exec, s[6:7]
	s_nop 0
	v_mfma_f32_16x16x4f32 a[0:3], v2, v3, a[0:3]
	v_lshrrev_b32_e32 v3, 8, v9
	s_movk_i32 s4, 0x7f
	v_cmp_gt_i16_sdwa s[6:7], v3, s4 src0_sel:BYTE_0 src1_sel:DWORD
	s_mov_b64 s[4:5], 0
                                        ; implicit-def: $sgpr10
	s_and_saveexec_b64 s[8:9], s[6:7]
	s_xor_b64 s[6:7], exec, s[8:9]
	s_cbranch_execnz .LBB13_2281
; %bb.233:
	s_or_saveexec_b64 s[6:7], s[6:7]
	v_mov_b32_e32 v2, s10
	s_xor_b64 exec, exec, s[6:7]
	s_cbranch_execnz .LBB13_2284
.LBB13_234:
	s_or_b64 exec, exec, s[6:7]
	s_and_saveexec_b64 s[6:7], s[4:5]
	s_cbranch_execz .LBB13_236
.LBB13_235:
	v_bfe_u32 v2, v9, 8, 3
	v_ffbh_u32_e32 v6, v2
	v_min_u32_e32 v6, 32, v6
	v_lshrrev_b16_e32 v4, 3, v3
	v_subrev_u32_e32 v7, 28, v6
	v_and_b32_e32 v4, 15, v4
	v_lshlrev_b32_e32 v3, v7, v3
	v_sub_u32_e32 v6, 29, v6
	v_and_b32_e32 v3, 7, v3
	v_cmp_eq_u16_e32 vcc, 0, v4
	v_cndmask_b32_e32 v2, v2, v3, vcc
	v_cndmask_b32_e32 v3, v4, v6, vcc
	v_lshlrev_b32_e32 v4, 16, v9
	v_mov_b32_e32 v6, 0x3b800000
	v_lshlrev_b32_e32 v2, 20, v2
	v_and_b32_e32 v4, 0x80000000, v4
	v_lshl_add_u32 v3, v3, 23, v6
	v_or3_b32 v2, v4, v3, v2
.LBB13_236:
	s_or_b64 exec, exec, s[6:7]
	v_lshrrev_b32_e32 v3, 8, v5
	s_movk_i32 s4, 0x7f
	v_cmp_gt_i16_sdwa s[6:7], v3, s4 src0_sel:BYTE_0 src1_sel:DWORD
	s_mov_b64 s[4:5], 0
                                        ; implicit-def: $sgpr10
	s_and_saveexec_b64 s[8:9], s[6:7]
	s_xor_b64 s[6:7], exec, s[8:9]
	s_cbranch_execnz .LBB13_2285
; %bb.237:
	s_or_saveexec_b64 s[6:7], s[6:7]
	v_mov_b32_e32 v4, s10
	s_xor_b64 exec, exec, s[6:7]
	s_cbranch_execnz .LBB13_2288
.LBB13_238:
	s_or_b64 exec, exec, s[6:7]
	s_and_saveexec_b64 s[6:7], s[4:5]
	s_cbranch_execz .LBB13_240
.LBB13_239:
	v_bfe_u32 v4, v5, 8, 3
	v_ffbh_u32_e32 v7, v4
	v_min_u32_e32 v7, 32, v7
	v_lshrrev_b16_e32 v6, 3, v3
	v_subrev_u32_e32 v8, 28, v7
	v_and_b32_e32 v6, 15, v6
	v_lshlrev_b32_e32 v3, v8, v3
	v_sub_u32_e32 v7, 29, v7
	v_and_b32_e32 v3, 7, v3
	v_cmp_eq_u16_e32 vcc, 0, v6
	v_cndmask_b32_e32 v3, v4, v3, vcc
	v_cndmask_b32_e32 v4, v6, v7, vcc
	v_lshlrev_b32_e32 v6, 16, v5
	v_mov_b32_e32 v7, 0x3b800000
	v_lshlrev_b32_e32 v3, 20, v3
	v_and_b32_e32 v6, 0x80000000, v6
	v_lshl_add_u32 v4, v4, 23, v7
	v_or3_b32 v4, v6, v4, v3
.LBB13_240:
	s_or_b64 exec, exec, s[6:7]
	s_nop 0
	v_mfma_f32_16x16x4f32 a[0:3], v2, v4, a[0:3]
	s_movk_i32 s4, 0xff
	v_and_b32_sdwa v3, v9, s4 dst_sel:DWORD dst_unused:UNUSED_PAD src0_sel:WORD_1 src1_sel:DWORD
	s_movk_i32 s4, 0x7f
	v_cmp_lt_i16_e32 vcc, s4, v3
	s_mov_b64 s[4:5], 0
                                        ; implicit-def: $sgpr10
	s_and_saveexec_b64 s[6:7], vcc
	s_xor_b64 s[6:7], exec, s[6:7]
	s_cbranch_execnz .LBB13_2289
; %bb.241:
	s_or_saveexec_b64 s[6:7], s[6:7]
	v_mov_b32_e32 v2, s10
	s_xor_b64 exec, exec, s[6:7]
	s_cbranch_execnz .LBB13_2292
.LBB13_242:
	s_or_b64 exec, exec, s[6:7]
	s_and_saveexec_b64 s[6:7], s[4:5]
	s_cbranch_execz .LBB13_244
.LBB13_243:
	v_bfe_u32 v2, v9, 16, 3
	v_ffbh_u32_e32 v6, v2
	v_min_u32_e32 v6, 32, v6
	v_lshrrev_b32_e32 v3, 19, v9
	v_subrev_u32_e32 v7, 28, v6
	v_and_b32_e32 v3, 15, v3
	v_lshlrev_b32_sdwa v7, v7, v9 dst_sel:DWORD dst_unused:UNUSED_PAD src0_sel:DWORD src1_sel:WORD_1
	v_bfe_u32 v4, v9, 19, 4
	v_sub_u32_e32 v6, 29, v6
	v_and_b32_e32 v7, 7, v7
	v_cmp_eq_u16_e32 vcc, 0, v3
	v_cndmask_b32_e32 v2, v2, v7, vcc
	v_cndmask_b32_e32 v3, v4, v6, vcc
	v_lshlrev_b32_e32 v4, 8, v9
	v_mov_b32_e32 v6, 0x3b800000
	v_lshlrev_b32_e32 v2, 20, v2
	v_and_b32_e32 v4, 0x80000000, v4
	v_lshl_add_u32 v3, v3, 23, v6
	v_or3_b32 v2, v4, v3, v2
.LBB13_244:
	s_or_b64 exec, exec, s[6:7]
	s_movk_i32 s4, 0xff
	v_and_b32_sdwa v3, v5, s4 dst_sel:DWORD dst_unused:UNUSED_PAD src0_sel:WORD_1 src1_sel:DWORD
	s_movk_i32 s4, 0x7f
	v_cmp_lt_i16_e32 vcc, s4, v3
	s_mov_b64 s[4:5], 0
                                        ; implicit-def: $sgpr10
	s_and_saveexec_b64 s[6:7], vcc
	s_xor_b64 s[6:7], exec, s[6:7]
	s_cbranch_execnz .LBB13_2293
; %bb.245:
	s_or_saveexec_b64 s[6:7], s[6:7]
	v_mov_b32_e32 v4, s10
	s_xor_b64 exec, exec, s[6:7]
	s_cbranch_execnz .LBB13_2296
.LBB13_246:
	s_or_b64 exec, exec, s[6:7]
	s_and_saveexec_b64 s[6:7], s[4:5]
	s_cbranch_execz .LBB13_248
.LBB13_247:
	v_bfe_u32 v3, v5, 16, 3
	v_ffbh_u32_e32 v7, v3
	v_min_u32_e32 v7, 32, v7
	v_lshrrev_b32_e32 v4, 19, v5
	v_subrev_u32_e32 v8, 28, v7
	v_and_b32_e32 v4, 15, v4
	v_lshlrev_b32_sdwa v8, v8, v5 dst_sel:DWORD dst_unused:UNUSED_PAD src0_sel:DWORD src1_sel:WORD_1
	v_bfe_u32 v6, v5, 19, 4
	v_sub_u32_e32 v7, 29, v7
	v_and_b32_e32 v8, 7, v8
	v_cmp_eq_u16_e32 vcc, 0, v4
	v_cndmask_b32_e32 v3, v3, v8, vcc
	v_cndmask_b32_e32 v4, v6, v7, vcc
	v_lshlrev_b32_e32 v6, 8, v5
	v_mov_b32_e32 v7, 0x3b800000
	v_lshlrev_b32_e32 v3, 20, v3
	v_and_b32_e32 v6, 0x80000000, v6
	v_lshl_add_u32 v4, v4, 23, v7
	v_or3_b32 v4, v6, v4, v3
.LBB13_248:
	s_or_b64 exec, exec, s[6:7]
	s_nop 0
	v_mfma_f32_16x16x4f32 a[0:3], v2, v4, a[0:3]
	s_movk_i32 s4, 0x7f
	v_cmp_gt_i16_sdwa s[6:7], v9, s4 src0_sel:BYTE_3 src1_sel:DWORD
	s_mov_b64 s[4:5], 0
                                        ; implicit-def: $sgpr10
	s_and_saveexec_b64 s[8:9], s[6:7]
	s_xor_b64 s[6:7], exec, s[8:9]
	s_cbranch_execnz .LBB13_2297
; %bb.249:
	s_or_saveexec_b64 s[6:7], s[6:7]
	v_mov_b32_e32 v2, s10
	s_xor_b64 exec, exec, s[6:7]
	s_cbranch_execnz .LBB13_2300
.LBB13_250:
	s_or_b64 exec, exec, s[6:7]
	s_and_saveexec_b64 s[6:7], s[4:5]
	s_cbranch_execz .LBB13_252
.LBB13_251:
	v_bfe_u32 v2, v9, 24, 3
	v_ffbh_u32_e32 v7, v2
	v_min_u32_e32 v7, 32, v7
	v_lshrrev_b32_e32 v4, 27, v9
	v_subrev_u32_e32 v8, 28, v7
	v_and_b32_e32 v4, 15, v4
	v_lshlrev_b32_sdwa v8, v8, v9 dst_sel:DWORD dst_unused:UNUSED_PAD src0_sel:DWORD src1_sel:BYTE_3
	v_bfe_u32 v6, v9, 27, 4
	v_sub_u32_e32 v7, 29, v7
	v_and_b32_e32 v8, 7, v8
	v_cmp_eq_u16_e32 vcc, 0, v4
	v_cndmask_b32_e32 v2, v2, v8, vcc
	v_cndmask_b32_e32 v4, v6, v7, vcc
	v_mov_b32_e32 v6, 0x3b800000
	v_and_b32_e32 v3, 0x80000000, v9
	v_lshlrev_b32_e32 v2, 20, v2
	v_lshl_add_u32 v4, v4, 23, v6
	v_or3_b32 v2, v3, v4, v2
.LBB13_252:
	s_or_b64 exec, exec, s[6:7]
	s_movk_i32 s4, 0x7f
	v_cmp_gt_i16_sdwa s[6:7], v5, s4 src0_sel:BYTE_3 src1_sel:DWORD
	s_mov_b64 s[4:5], 0
                                        ; implicit-def: $sgpr10
	s_and_saveexec_b64 s[8:9], s[6:7]
	s_xor_b64 s[6:7], exec, s[8:9]
	s_cbranch_execnz .LBB13_2301
; %bb.253:
	s_or_saveexec_b64 s[6:7], s[6:7]
	v_mov_b32_e32 v3, s10
	s_xor_b64 exec, exec, s[6:7]
	s_cbranch_execnz .LBB13_2304
.LBB13_254:
	s_or_b64 exec, exec, s[6:7]
	s_and_saveexec_b64 s[6:7], s[4:5]
	s_cbranch_execz .LBB13_256
.LBB13_255:
	v_bfe_u32 v3, v5, 24, 3
	v_ffbh_u32_e32 v8, v3
	v_min_u32_e32 v8, 32, v8
	v_lshrrev_b32_e32 v6, 27, v5
	v_subrev_u32_e32 v9, 28, v8
	v_and_b32_e32 v4, 0x80000000, v5
	v_and_b32_e32 v6, 15, v6
	v_bfe_u32 v7, v5, 27, 4
	v_lshlrev_b32_sdwa v5, v9, v5 dst_sel:DWORD dst_unused:UNUSED_PAD src0_sel:DWORD src1_sel:BYTE_3
	v_sub_u32_e32 v8, 29, v8
	v_and_b32_e32 v5, 7, v5
	v_cmp_eq_u16_e32 vcc, 0, v6
	v_cndmask_b32_e32 v3, v3, v5, vcc
	v_cndmask_b32_e32 v5, v7, v8, vcc
	v_mov_b32_e32 v6, 0x3b800000
	v_lshlrev_b32_e32 v3, 20, v3
	v_lshl_add_u32 v5, v5, 23, v6
	v_or3_b32 v3, v4, v5, v3
.LBB13_256:
	s_or_b64 exec, exec, s[6:7]
	s_nop 0
	v_mfma_f32_16x16x4f32 a[0:3], v2, v3, a[0:3]
	s_movk_i32 s4, 0x7f
                                        ; implicit-def: $sgpr10
	s_nop 7
	s_nop 1
	flat_store_dwordx4 v[10:11], a[0:3] offset:16
	flat_load_dwordx4 v[12:15], v[0:1] offset:8
	s_nop 0
	flat_load_dwordx2 v[10:11], v[0:1] offset:32
	s_waitcnt vmcnt(0) lgkmcnt(0)
	flat_load_dwordx4 v[6:9], v[12:13] offset:16
	flat_load_dwordx4 v[2:5], v[14:15] offset:80
	s_waitcnt vmcnt(0) lgkmcnt(0)
	v_cmp_gt_i16_sdwa s[6:7], v6, s4 src0_sel:BYTE_0 src1_sel:DWORD
	s_mov_b64 s[4:5], 0
	s_and_saveexec_b64 s[8:9], s[6:7]
	s_xor_b64 s[6:7], exec, s[8:9]
	s_cbranch_execnz .LBB13_2305
; %bb.257:
	s_or_saveexec_b64 s[6:7], s[6:7]
	v_mov_b32_e32 v12, s10
	s_xor_b64 exec, exec, s[6:7]
	s_cbranch_execnz .LBB13_2308
.LBB13_258:
	s_or_b64 exec, exec, s[6:7]
	s_and_saveexec_b64 s[6:7], s[4:5]
	s_cbranch_execz .LBB13_260
.LBB13_259:
	v_and_b32_e32 v12, 7, v6
	v_ffbh_u32_e32 v14, v12
	v_min_u32_e32 v14, 32, v14
	v_lshrrev_b16_e32 v13, 3, v6
	v_subrev_u32_e32 v15, 28, v14
	v_and_b32_e32 v13, 15, v13
	v_lshlrev_b32_e32 v15, v15, v6
	v_sub_u32_e32 v14, 29, v14
	v_and_b32_e32 v15, 7, v15
	v_cmp_eq_u16_e32 vcc, 0, v13
	v_cndmask_b32_e32 v12, v12, v15, vcc
	v_cndmask_b32_e32 v13, v13, v14, vcc
	v_lshlrev_b32_e32 v14, 24, v6
	v_mov_b32_e32 v15, 0x3b800000
	v_lshlrev_b32_e32 v12, 20, v12
	v_and_b32_e32 v14, 0x80000000, v14
	v_lshl_add_u32 v13, v13, 23, v15
	v_or3_b32 v12, v14, v13, v12
.LBB13_260:
	s_or_b64 exec, exec, s[6:7]
	s_movk_i32 s4, 0x7f
	v_cmp_gt_i16_sdwa s[6:7], v2, s4 src0_sel:BYTE_0 src1_sel:DWORD
	s_mov_b64 s[4:5], 0
                                        ; implicit-def: $sgpr10
	s_and_saveexec_b64 s[8:9], s[6:7]
	s_xor_b64 s[6:7], exec, s[8:9]
	s_cbranch_execnz .LBB13_2309
; %bb.261:
	s_or_saveexec_b64 s[6:7], s[6:7]
	v_mov_b32_e32 v13, s10
	s_xor_b64 exec, exec, s[6:7]
	s_cbranch_execnz .LBB13_2312
.LBB13_262:
	s_or_b64 exec, exec, s[6:7]
	s_and_saveexec_b64 s[6:7], s[4:5]
	s_cbranch_execz .LBB13_264
.LBB13_263:
	v_and_b32_e32 v13, 7, v2
	v_ffbh_u32_e32 v15, v13
	v_min_u32_e32 v15, 32, v15
	v_lshrrev_b16_e32 v14, 3, v2
	v_subrev_u32_e32 v16, 28, v15
	v_and_b32_e32 v14, 15, v14
	v_lshlrev_b32_e32 v16, v16, v2
	v_sub_u32_e32 v15, 29, v15
	v_and_b32_e32 v16, 7, v16
	v_cmp_eq_u16_e32 vcc, 0, v14
	v_cndmask_b32_e32 v13, v13, v16, vcc
	v_cndmask_b32_e32 v14, v14, v15, vcc
	v_lshlrev_b32_e32 v15, 24, v2
	v_mov_b32_e32 v16, 0x3b800000
	v_lshlrev_b32_e32 v13, 20, v13
	v_and_b32_e32 v15, 0x80000000, v15
	v_lshl_add_u32 v14, v14, 23, v16
	v_or3_b32 v13, v15, v14, v13
.LBB13_264:
	s_or_b64 exec, exec, s[6:7]
	flat_load_dwordx4 a[0:3], v[10:11] offset:32
	s_movk_i32 s4, 0x7f
                                        ; implicit-def: $sgpr10
	s_waitcnt vmcnt(0) lgkmcnt(0)
	v_mfma_f32_16x16x4f32 a[0:3], v12, v13, a[0:3]
	v_lshrrev_b32_e32 v13, 8, v6
	v_cmp_gt_i16_sdwa s[6:7], v13, s4 src0_sel:BYTE_0 src1_sel:DWORD
	s_mov_b64 s[4:5], 0
	s_and_saveexec_b64 s[8:9], s[6:7]
	s_xor_b64 s[6:7], exec, s[8:9]
	s_cbranch_execnz .LBB13_2313
; %bb.265:
	s_or_saveexec_b64 s[6:7], s[6:7]
	v_mov_b32_e32 v12, s10
	s_xor_b64 exec, exec, s[6:7]
	s_cbranch_execnz .LBB13_2316
.LBB13_266:
	s_or_b64 exec, exec, s[6:7]
	s_and_saveexec_b64 s[6:7], s[4:5]
	s_cbranch_execz .LBB13_268
.LBB13_267:
	v_bfe_u32 v12, v6, 8, 3
	v_ffbh_u32_e32 v15, v12
	v_min_u32_e32 v15, 32, v15
	v_lshrrev_b16_e32 v14, 3, v13
	v_subrev_u32_e32 v16, 28, v15
	v_and_b32_e32 v14, 15, v14
	v_lshlrev_b32_e32 v13, v16, v13
	v_sub_u32_e32 v15, 29, v15
	v_and_b32_e32 v13, 7, v13
	v_cmp_eq_u16_e32 vcc, 0, v14
	v_cndmask_b32_e32 v12, v12, v13, vcc
	v_cndmask_b32_e32 v13, v14, v15, vcc
	v_lshlrev_b32_e32 v14, 16, v6
	v_mov_b32_e32 v15, 0x3b800000
	v_lshlrev_b32_e32 v12, 20, v12
	v_and_b32_e32 v14, 0x80000000, v14
	v_lshl_add_u32 v13, v13, 23, v15
	v_or3_b32 v12, v14, v13, v12
.LBB13_268:
	s_or_b64 exec, exec, s[6:7]
	v_lshrrev_b32_e32 v13, 8, v2
	s_movk_i32 s4, 0x7f
	v_cmp_gt_i16_sdwa s[6:7], v13, s4 src0_sel:BYTE_0 src1_sel:DWORD
	s_mov_b64 s[4:5], 0
                                        ; implicit-def: $sgpr10
	s_and_saveexec_b64 s[8:9], s[6:7]
	s_xor_b64 s[6:7], exec, s[8:9]
	s_cbranch_execnz .LBB13_2317
; %bb.269:
	s_or_saveexec_b64 s[6:7], s[6:7]
	v_mov_b32_e32 v14, s10
	s_xor_b64 exec, exec, s[6:7]
	s_cbranch_execnz .LBB13_2320
.LBB13_270:
	s_or_b64 exec, exec, s[6:7]
	s_and_saveexec_b64 s[6:7], s[4:5]
	s_cbranch_execz .LBB13_272
.LBB13_271:
	v_bfe_u32 v14, v2, 8, 3
	v_ffbh_u32_e32 v16, v14
	v_min_u32_e32 v16, 32, v16
	v_lshrrev_b16_e32 v15, 3, v13
	v_subrev_u32_e32 v17, 28, v16
	v_and_b32_e32 v15, 15, v15
	v_lshlrev_b32_e32 v13, v17, v13
	v_sub_u32_e32 v16, 29, v16
	v_and_b32_e32 v13, 7, v13
	v_cmp_eq_u16_e32 vcc, 0, v15
	v_cndmask_b32_e32 v13, v14, v13, vcc
	v_cndmask_b32_e32 v14, v15, v16, vcc
	v_lshlrev_b32_e32 v15, 16, v2
	v_mov_b32_e32 v16, 0x3b800000
	v_lshlrev_b32_e32 v13, 20, v13
	v_and_b32_e32 v15, 0x80000000, v15
	v_lshl_add_u32 v14, v14, 23, v16
	v_or3_b32 v14, v15, v14, v13
.LBB13_272:
	s_or_b64 exec, exec, s[6:7]
	s_nop 0
	v_mfma_f32_16x16x4f32 a[0:3], v12, v14, a[0:3]
	s_movk_i32 s4, 0xff
	v_and_b32_sdwa v13, v6, s4 dst_sel:DWORD dst_unused:UNUSED_PAD src0_sel:WORD_1 src1_sel:DWORD
	s_movk_i32 s4, 0x7f
	v_cmp_lt_i16_e32 vcc, s4, v13
	s_mov_b64 s[4:5], 0
                                        ; implicit-def: $sgpr10
	s_and_saveexec_b64 s[6:7], vcc
	s_xor_b64 s[6:7], exec, s[6:7]
	s_cbranch_execnz .LBB13_2321
; %bb.273:
	s_or_saveexec_b64 s[6:7], s[6:7]
	v_mov_b32_e32 v12, s10
	s_xor_b64 exec, exec, s[6:7]
	s_cbranch_execnz .LBB13_2324
.LBB13_274:
	s_or_b64 exec, exec, s[6:7]
	s_and_saveexec_b64 s[6:7], s[4:5]
	s_cbranch_execz .LBB13_276
.LBB13_275:
	v_bfe_u32 v12, v6, 16, 3
	v_ffbh_u32_e32 v15, v12
	v_min_u32_e32 v15, 32, v15
	v_lshrrev_b32_e32 v13, 19, v6
	v_subrev_u32_e32 v16, 28, v15
	v_and_b32_e32 v13, 15, v13
	v_lshlrev_b32_sdwa v16, v16, v6 dst_sel:DWORD dst_unused:UNUSED_PAD src0_sel:DWORD src1_sel:WORD_1
	v_bfe_u32 v14, v6, 19, 4
	v_sub_u32_e32 v15, 29, v15
	v_and_b32_e32 v16, 7, v16
	v_cmp_eq_u16_e32 vcc, 0, v13
	v_cndmask_b32_e32 v12, v12, v16, vcc
	v_cndmask_b32_e32 v13, v14, v15, vcc
	v_lshlrev_b32_e32 v14, 8, v6
	v_mov_b32_e32 v15, 0x3b800000
	v_lshlrev_b32_e32 v12, 20, v12
	v_and_b32_e32 v14, 0x80000000, v14
	v_lshl_add_u32 v13, v13, 23, v15
	v_or3_b32 v12, v14, v13, v12
.LBB13_276:
	s_or_b64 exec, exec, s[6:7]
	s_movk_i32 s4, 0xff
	v_and_b32_sdwa v13, v2, s4 dst_sel:DWORD dst_unused:UNUSED_PAD src0_sel:WORD_1 src1_sel:DWORD
	s_movk_i32 s4, 0x7f
	v_cmp_lt_i16_e32 vcc, s4, v13
	s_mov_b64 s[4:5], 0
                                        ; implicit-def: $sgpr10
	s_and_saveexec_b64 s[6:7], vcc
	s_xor_b64 s[6:7], exec, s[6:7]
	s_cbranch_execnz .LBB13_2325
; %bb.277:
	s_or_saveexec_b64 s[6:7], s[6:7]
	v_mov_b32_e32 v14, s10
	s_xor_b64 exec, exec, s[6:7]
	s_cbranch_execnz .LBB13_2328
.LBB13_278:
	s_or_b64 exec, exec, s[6:7]
	s_and_saveexec_b64 s[6:7], s[4:5]
	s_cbranch_execz .LBB13_280
.LBB13_279:
	v_bfe_u32 v13, v2, 16, 3
	v_ffbh_u32_e32 v16, v13
	v_min_u32_e32 v16, 32, v16
	v_lshrrev_b32_e32 v14, 19, v2
	v_subrev_u32_e32 v17, 28, v16
	v_and_b32_e32 v14, 15, v14
	v_lshlrev_b32_sdwa v17, v17, v2 dst_sel:DWORD dst_unused:UNUSED_PAD src0_sel:DWORD src1_sel:WORD_1
	v_bfe_u32 v15, v2, 19, 4
	v_sub_u32_e32 v16, 29, v16
	v_and_b32_e32 v17, 7, v17
	v_cmp_eq_u16_e32 vcc, 0, v14
	v_cndmask_b32_e32 v13, v13, v17, vcc
	v_cndmask_b32_e32 v14, v15, v16, vcc
	v_lshlrev_b32_e32 v15, 8, v2
	v_mov_b32_e32 v16, 0x3b800000
	v_lshlrev_b32_e32 v13, 20, v13
	v_and_b32_e32 v15, 0x80000000, v15
	v_lshl_add_u32 v14, v14, 23, v16
	v_or3_b32 v14, v15, v14, v13
.LBB13_280:
	s_or_b64 exec, exec, s[6:7]
	s_nop 0
	v_mfma_f32_16x16x4f32 a[0:3], v12, v14, a[0:3]
	s_movk_i32 s4, 0x7f
	v_cmp_gt_i16_sdwa s[6:7], v6, s4 src0_sel:BYTE_3 src1_sel:DWORD
	s_mov_b64 s[4:5], 0
                                        ; implicit-def: $sgpr10
	s_and_saveexec_b64 s[8:9], s[6:7]
	s_xor_b64 s[6:7], exec, s[8:9]
	s_cbranch_execnz .LBB13_2329
; %bb.281:
	s_or_saveexec_b64 s[6:7], s[6:7]
	v_mov_b32_e32 v12, s10
	s_xor_b64 exec, exec, s[6:7]
	s_cbranch_execnz .LBB13_2332
.LBB13_282:
	s_or_b64 exec, exec, s[6:7]
	s_and_saveexec_b64 s[6:7], s[4:5]
	s_cbranch_execz .LBB13_284
.LBB13_283:
	v_bfe_u32 v12, v6, 24, 3
	v_ffbh_u32_e32 v16, v12
	v_min_u32_e32 v16, 32, v16
	v_lshrrev_b32_e32 v14, 27, v6
	v_subrev_u32_e32 v17, 28, v16
	v_and_b32_e32 v13, 0x80000000, v6
	v_and_b32_e32 v14, 15, v14
	v_bfe_u32 v15, v6, 27, 4
	v_lshlrev_b32_sdwa v6, v17, v6 dst_sel:DWORD dst_unused:UNUSED_PAD src0_sel:DWORD src1_sel:BYTE_3
	v_sub_u32_e32 v16, 29, v16
	v_and_b32_e32 v6, 7, v6
	v_cmp_eq_u16_e32 vcc, 0, v14
	v_cndmask_b32_e32 v6, v12, v6, vcc
	v_cndmask_b32_e32 v12, v15, v16, vcc
	v_mov_b32_e32 v14, 0x3b800000
	v_lshlrev_b32_e32 v6, 20, v6
	v_lshl_add_u32 v12, v12, 23, v14
	v_or3_b32 v12, v13, v12, v6
.LBB13_284:
	s_or_b64 exec, exec, s[6:7]
	s_movk_i32 s4, 0x7f
	v_cmp_gt_i16_sdwa s[6:7], v2, s4 src0_sel:BYTE_3 src1_sel:DWORD
	s_mov_b64 s[4:5], 0
                                        ; implicit-def: $sgpr10
	s_and_saveexec_b64 s[8:9], s[6:7]
	s_xor_b64 s[6:7], exec, s[8:9]
	s_cbranch_execnz .LBB13_2333
; %bb.285:
	s_or_saveexec_b64 s[6:7], s[6:7]
	v_mov_b32_e32 v6, s10
	s_xor_b64 exec, exec, s[6:7]
	s_cbranch_execnz .LBB13_2336
.LBB13_286:
	s_or_b64 exec, exec, s[6:7]
	s_and_saveexec_b64 s[6:7], s[4:5]
	s_cbranch_execz .LBB13_288
.LBB13_287:
	v_bfe_u32 v6, v2, 24, 3
	v_ffbh_u32_e32 v16, v6
	v_min_u32_e32 v16, 32, v16
	v_lshrrev_b32_e32 v14, 27, v2
	v_subrev_u32_e32 v17, 28, v16
	v_and_b32_e32 v13, 0x80000000, v2
	v_and_b32_e32 v14, 15, v14
	v_bfe_u32 v15, v2, 27, 4
	v_lshlrev_b32_sdwa v2, v17, v2 dst_sel:DWORD dst_unused:UNUSED_PAD src0_sel:DWORD src1_sel:BYTE_3
	v_sub_u32_e32 v16, 29, v16
	v_and_b32_e32 v2, 7, v2
	v_cmp_eq_u16_e32 vcc, 0, v14
	v_cndmask_b32_e32 v2, v6, v2, vcc
	v_cndmask_b32_e32 v6, v15, v16, vcc
	v_mov_b32_e32 v14, 0x3b800000
	v_lshlrev_b32_e32 v2, 20, v2
	v_lshl_add_u32 v6, v6, 23, v14
	v_or3_b32 v6, v13, v6, v2
.LBB13_288:
	s_or_b64 exec, exec, s[6:7]
	s_nop 0
	v_mfma_f32_16x16x4f32 a[0:3], v12, v6, a[0:3]
	s_movk_i32 s4, 0x7f
	v_cmp_gt_i16_sdwa s[6:7], v7, s4 src0_sel:BYTE_0 src1_sel:DWORD
	s_mov_b64 s[4:5], 0
                                        ; implicit-def: $sgpr10
	s_and_saveexec_b64 s[8:9], s[6:7]
	s_xor_b64 s[6:7], exec, s[8:9]
	s_cbranch_execnz .LBB13_2337
; %bb.289:
	s_or_saveexec_b64 s[6:7], s[6:7]
	v_mov_b32_e32 v2, s10
	s_xor_b64 exec, exec, s[6:7]
	s_cbranch_execnz .LBB13_2340
.LBB13_290:
	s_or_b64 exec, exec, s[6:7]
	s_and_saveexec_b64 s[6:7], s[4:5]
	s_cbranch_execz .LBB13_292
.LBB13_291:
	v_and_b32_e32 v2, 7, v7
	v_ffbh_u32_e32 v12, v2
	v_min_u32_e32 v12, 32, v12
	v_lshrrev_b16_e32 v6, 3, v7
	v_subrev_u32_e32 v13, 28, v12
	v_and_b32_e32 v6, 15, v6
	v_lshlrev_b32_e32 v13, v13, v7
	v_sub_u32_e32 v12, 29, v12
	v_and_b32_e32 v13, 7, v13
	v_cmp_eq_u16_e32 vcc, 0, v6
	v_cndmask_b32_e32 v2, v2, v13, vcc
	v_cndmask_b32_e32 v6, v6, v12, vcc
	v_lshlrev_b32_e32 v12, 24, v7
	v_mov_b32_e32 v13, 0x3b800000
	v_lshlrev_b32_e32 v2, 20, v2
	v_and_b32_e32 v12, 0x80000000, v12
	v_lshl_add_u32 v6, v6, 23, v13
	v_or3_b32 v2, v12, v6, v2
.LBB13_292:
	s_or_b64 exec, exec, s[6:7]
	s_movk_i32 s4, 0x7f
	v_cmp_gt_i16_sdwa s[6:7], v3, s4 src0_sel:BYTE_0 src1_sel:DWORD
	s_mov_b64 s[4:5], 0
                                        ; implicit-def: $sgpr10
	s_and_saveexec_b64 s[8:9], s[6:7]
	s_xor_b64 s[6:7], exec, s[8:9]
	s_cbranch_execnz .LBB13_2341
; %bb.293:
	s_or_saveexec_b64 s[6:7], s[6:7]
	v_mov_b32_e32 v6, s10
	s_xor_b64 exec, exec, s[6:7]
	s_cbranch_execnz .LBB13_2344
.LBB13_294:
	s_or_b64 exec, exec, s[6:7]
	s_and_saveexec_b64 s[6:7], s[4:5]
	s_cbranch_execz .LBB13_296
.LBB13_295:
	v_and_b32_e32 v6, 7, v3
	v_ffbh_u32_e32 v13, v6
	v_min_u32_e32 v13, 32, v13
	v_lshrrev_b16_e32 v12, 3, v3
	v_subrev_u32_e32 v14, 28, v13
	v_and_b32_e32 v12, 15, v12
	v_lshlrev_b32_e32 v14, v14, v3
	v_sub_u32_e32 v13, 29, v13
	v_and_b32_e32 v14, 7, v14
	v_cmp_eq_u16_e32 vcc, 0, v12
	v_cndmask_b32_e32 v6, v6, v14, vcc
	v_cndmask_b32_e32 v12, v12, v13, vcc
	v_lshlrev_b32_e32 v13, 24, v3
	v_mov_b32_e32 v14, 0x3b800000
	v_lshlrev_b32_e32 v6, 20, v6
	v_and_b32_e32 v13, 0x80000000, v13
	v_lshl_add_u32 v12, v12, 23, v14
	v_or3_b32 v6, v13, v12, v6
.LBB13_296:
	s_or_b64 exec, exec, s[6:7]
	s_nop 0
	v_mfma_f32_16x16x4f32 a[0:3], v2, v6, a[0:3]
	v_lshrrev_b32_e32 v6, 8, v7
	s_movk_i32 s4, 0x7f
	v_cmp_gt_i16_sdwa s[6:7], v6, s4 src0_sel:BYTE_0 src1_sel:DWORD
	s_mov_b64 s[4:5], 0
                                        ; implicit-def: $sgpr10
	s_and_saveexec_b64 s[8:9], s[6:7]
	s_xor_b64 s[6:7], exec, s[8:9]
	s_cbranch_execnz .LBB13_2345
; %bb.297:
	s_or_saveexec_b64 s[6:7], s[6:7]
	v_mov_b32_e32 v2, s10
	s_xor_b64 exec, exec, s[6:7]
	s_cbranch_execnz .LBB13_2348
.LBB13_298:
	s_or_b64 exec, exec, s[6:7]
	s_and_saveexec_b64 s[6:7], s[4:5]
	s_cbranch_execz .LBB13_300
.LBB13_299:
	v_bfe_u32 v2, v7, 8, 3
	v_ffbh_u32_e32 v13, v2
	v_min_u32_e32 v13, 32, v13
	v_lshrrev_b16_e32 v12, 3, v6
	v_subrev_u32_e32 v14, 28, v13
	v_and_b32_e32 v12, 15, v12
	v_lshlrev_b32_e32 v6, v14, v6
	v_sub_u32_e32 v13, 29, v13
	v_and_b32_e32 v6, 7, v6
	v_cmp_eq_u16_e32 vcc, 0, v12
	v_cndmask_b32_e32 v2, v2, v6, vcc
	v_cndmask_b32_e32 v6, v12, v13, vcc
	v_lshlrev_b32_e32 v12, 16, v7
	v_mov_b32_e32 v13, 0x3b800000
	v_lshlrev_b32_e32 v2, 20, v2
	v_and_b32_e32 v12, 0x80000000, v12
	v_lshl_add_u32 v6, v6, 23, v13
	v_or3_b32 v2, v12, v6, v2
.LBB13_300:
	s_or_b64 exec, exec, s[6:7]
	v_lshrrev_b32_e32 v6, 8, v3
	s_movk_i32 s4, 0x7f
	v_cmp_gt_i16_sdwa s[6:7], v6, s4 src0_sel:BYTE_0 src1_sel:DWORD
	s_mov_b64 s[4:5], 0
                                        ; implicit-def: $sgpr10
	s_and_saveexec_b64 s[8:9], s[6:7]
	s_xor_b64 s[6:7], exec, s[8:9]
	s_cbranch_execnz .LBB13_2349
; %bb.301:
	s_or_saveexec_b64 s[6:7], s[6:7]
	v_mov_b32_e32 v12, s10
	s_xor_b64 exec, exec, s[6:7]
	s_cbranch_execnz .LBB13_2352
.LBB13_302:
	s_or_b64 exec, exec, s[6:7]
	s_and_saveexec_b64 s[6:7], s[4:5]
	s_cbranch_execz .LBB13_304
.LBB13_303:
	v_bfe_u32 v12, v3, 8, 3
	v_ffbh_u32_e32 v14, v12
	v_min_u32_e32 v14, 32, v14
	v_lshrrev_b16_e32 v13, 3, v6
	v_subrev_u32_e32 v15, 28, v14
	v_and_b32_e32 v13, 15, v13
	v_lshlrev_b32_e32 v6, v15, v6
	v_sub_u32_e32 v14, 29, v14
	v_and_b32_e32 v6, 7, v6
	v_cmp_eq_u16_e32 vcc, 0, v13
	v_cndmask_b32_e32 v6, v12, v6, vcc
	v_cndmask_b32_e32 v12, v13, v14, vcc
	v_lshlrev_b32_e32 v13, 16, v3
	v_mov_b32_e32 v14, 0x3b800000
	v_lshlrev_b32_e32 v6, 20, v6
	v_and_b32_e32 v13, 0x80000000, v13
	v_lshl_add_u32 v12, v12, 23, v14
	v_or3_b32 v12, v13, v12, v6
.LBB13_304:
	s_or_b64 exec, exec, s[6:7]
	s_nop 0
	v_mfma_f32_16x16x4f32 a[0:3], v2, v12, a[0:3]
	s_movk_i32 s4, 0xff
	v_and_b32_sdwa v6, v7, s4 dst_sel:DWORD dst_unused:UNUSED_PAD src0_sel:WORD_1 src1_sel:DWORD
	s_movk_i32 s4, 0x7f
	v_cmp_lt_i16_e32 vcc, s4, v6
	s_mov_b64 s[4:5], 0
                                        ; implicit-def: $sgpr10
	s_and_saveexec_b64 s[6:7], vcc
	s_xor_b64 s[6:7], exec, s[6:7]
	s_cbranch_execnz .LBB13_2353
; %bb.305:
	s_or_saveexec_b64 s[6:7], s[6:7]
	v_mov_b32_e32 v2, s10
	s_xor_b64 exec, exec, s[6:7]
	s_cbranch_execnz .LBB13_2356
.LBB13_306:
	s_or_b64 exec, exec, s[6:7]
	s_and_saveexec_b64 s[6:7], s[4:5]
	s_cbranch_execz .LBB13_308
.LBB13_307:
	v_bfe_u32 v2, v7, 16, 3
	v_ffbh_u32_e32 v13, v2
	v_min_u32_e32 v13, 32, v13
	v_lshrrev_b32_e32 v6, 19, v7
	v_subrev_u32_e32 v14, 28, v13
	v_and_b32_e32 v6, 15, v6
	v_lshlrev_b32_sdwa v14, v14, v7 dst_sel:DWORD dst_unused:UNUSED_PAD src0_sel:DWORD src1_sel:WORD_1
	v_bfe_u32 v12, v7, 19, 4
	v_sub_u32_e32 v13, 29, v13
	v_and_b32_e32 v14, 7, v14
	v_cmp_eq_u16_e32 vcc, 0, v6
	v_cndmask_b32_e32 v2, v2, v14, vcc
	v_cndmask_b32_e32 v6, v12, v13, vcc
	v_lshlrev_b32_e32 v12, 8, v7
	v_mov_b32_e32 v13, 0x3b800000
	v_lshlrev_b32_e32 v2, 20, v2
	v_and_b32_e32 v12, 0x80000000, v12
	v_lshl_add_u32 v6, v6, 23, v13
	v_or3_b32 v2, v12, v6, v2
.LBB13_308:
	s_or_b64 exec, exec, s[6:7]
	s_movk_i32 s4, 0xff
	v_and_b32_sdwa v6, v3, s4 dst_sel:DWORD dst_unused:UNUSED_PAD src0_sel:WORD_1 src1_sel:DWORD
	s_movk_i32 s4, 0x7f
	v_cmp_lt_i16_e32 vcc, s4, v6
	s_mov_b64 s[4:5], 0
                                        ; implicit-def: $sgpr10
	s_and_saveexec_b64 s[6:7], vcc
	s_xor_b64 s[6:7], exec, s[6:7]
	s_cbranch_execnz .LBB13_2357
; %bb.309:
	s_or_saveexec_b64 s[6:7], s[6:7]
	v_mov_b32_e32 v12, s10
	s_xor_b64 exec, exec, s[6:7]
	s_cbranch_execnz .LBB13_2360
.LBB13_310:
	s_or_b64 exec, exec, s[6:7]
	s_and_saveexec_b64 s[6:7], s[4:5]
	s_cbranch_execz .LBB13_312
.LBB13_311:
	v_bfe_u32 v6, v3, 16, 3
	v_ffbh_u32_e32 v14, v6
	v_min_u32_e32 v14, 32, v14
	v_lshrrev_b32_e32 v12, 19, v3
	v_subrev_u32_e32 v15, 28, v14
	v_and_b32_e32 v12, 15, v12
	v_lshlrev_b32_sdwa v15, v15, v3 dst_sel:DWORD dst_unused:UNUSED_PAD src0_sel:DWORD src1_sel:WORD_1
	v_bfe_u32 v13, v3, 19, 4
	v_sub_u32_e32 v14, 29, v14
	v_and_b32_e32 v15, 7, v15
	v_cmp_eq_u16_e32 vcc, 0, v12
	v_cndmask_b32_e32 v6, v6, v15, vcc
	v_cndmask_b32_e32 v12, v13, v14, vcc
	v_lshlrev_b32_e32 v13, 8, v3
	v_mov_b32_e32 v14, 0x3b800000
	v_lshlrev_b32_e32 v6, 20, v6
	v_and_b32_e32 v13, 0x80000000, v13
	v_lshl_add_u32 v12, v12, 23, v14
	v_or3_b32 v12, v13, v12, v6
.LBB13_312:
	s_or_b64 exec, exec, s[6:7]
	s_nop 0
	v_mfma_f32_16x16x4f32 a[0:3], v2, v12, a[0:3]
	s_movk_i32 s4, 0x7f
	v_cmp_gt_i16_sdwa s[6:7], v7, s4 src0_sel:BYTE_3 src1_sel:DWORD
	s_mov_b64 s[4:5], 0
                                        ; implicit-def: $sgpr10
	s_and_saveexec_b64 s[8:9], s[6:7]
	s_xor_b64 s[6:7], exec, s[8:9]
	s_cbranch_execnz .LBB13_2361
; %bb.313:
	s_or_saveexec_b64 s[6:7], s[6:7]
	v_mov_b32_e32 v2, s10
	s_xor_b64 exec, exec, s[6:7]
	s_cbranch_execnz .LBB13_2364
.LBB13_314:
	s_or_b64 exec, exec, s[6:7]
	s_and_saveexec_b64 s[6:7], s[4:5]
	s_cbranch_execz .LBB13_316
.LBB13_315:
	v_bfe_u32 v2, v7, 24, 3
	v_ffbh_u32_e32 v14, v2
	v_min_u32_e32 v14, 32, v14
	v_lshrrev_b32_e32 v12, 27, v7
	v_subrev_u32_e32 v15, 28, v14
	v_and_b32_e32 v6, 0x80000000, v7
	v_and_b32_e32 v12, 15, v12
	v_bfe_u32 v13, v7, 27, 4
	v_lshlrev_b32_sdwa v7, v15, v7 dst_sel:DWORD dst_unused:UNUSED_PAD src0_sel:DWORD src1_sel:BYTE_3
	v_sub_u32_e32 v14, 29, v14
	v_and_b32_e32 v7, 7, v7
	v_cmp_eq_u16_e32 vcc, 0, v12
	v_cndmask_b32_e32 v2, v2, v7, vcc
	v_cndmask_b32_e32 v7, v13, v14, vcc
	v_mov_b32_e32 v12, 0x3b800000
	v_lshlrev_b32_e32 v2, 20, v2
	v_lshl_add_u32 v7, v7, 23, v12
	v_or3_b32 v2, v6, v7, v2
.LBB13_316:
	s_or_b64 exec, exec, s[6:7]
	s_movk_i32 s4, 0x7f
	v_cmp_gt_i16_sdwa s[6:7], v3, s4 src0_sel:BYTE_3 src1_sel:DWORD
	s_mov_b64 s[4:5], 0
                                        ; implicit-def: $sgpr10
	s_and_saveexec_b64 s[8:9], s[6:7]
	s_xor_b64 s[6:7], exec, s[8:9]
	s_cbranch_execnz .LBB13_2365
; %bb.317:
	s_or_saveexec_b64 s[6:7], s[6:7]
	v_mov_b32_e32 v6, s10
	s_xor_b64 exec, exec, s[6:7]
	s_cbranch_execnz .LBB13_2368
.LBB13_318:
	s_or_b64 exec, exec, s[6:7]
	s_and_saveexec_b64 s[6:7], s[4:5]
	s_cbranch_execz .LBB13_320
.LBB13_319:
	v_bfe_u32 v6, v3, 24, 3
	v_ffbh_u32_e32 v14, v6
	v_min_u32_e32 v14, 32, v14
	v_lshrrev_b32_e32 v12, 27, v3
	v_subrev_u32_e32 v15, 28, v14
	v_and_b32_e32 v7, 0x80000000, v3
	v_and_b32_e32 v12, 15, v12
	v_bfe_u32 v13, v3, 27, 4
	v_lshlrev_b32_sdwa v3, v15, v3 dst_sel:DWORD dst_unused:UNUSED_PAD src0_sel:DWORD src1_sel:BYTE_3
	v_sub_u32_e32 v14, 29, v14
	v_and_b32_e32 v3, 7, v3
	v_cmp_eq_u16_e32 vcc, 0, v12
	v_cndmask_b32_e32 v3, v6, v3, vcc
	v_cndmask_b32_e32 v6, v13, v14, vcc
	v_mov_b32_e32 v12, 0x3b800000
	v_lshlrev_b32_e32 v3, 20, v3
	v_lshl_add_u32 v6, v6, 23, v12
	v_or3_b32 v6, v7, v6, v3
.LBB13_320:
	s_or_b64 exec, exec, s[6:7]
	s_nop 0
	v_mfma_f32_16x16x4f32 a[0:3], v2, v6, a[0:3]
	s_movk_i32 s4, 0x7f
	v_cmp_gt_i16_sdwa s[6:7], v8, s4 src0_sel:BYTE_0 src1_sel:DWORD
	s_mov_b64 s[4:5], 0
                                        ; implicit-def: $sgpr10
	s_and_saveexec_b64 s[8:9], s[6:7]
	s_xor_b64 s[6:7], exec, s[8:9]
	s_cbranch_execnz .LBB13_2369
; %bb.321:
	s_or_saveexec_b64 s[6:7], s[6:7]
	v_mov_b32_e32 v2, s10
	s_xor_b64 exec, exec, s[6:7]
	s_cbranch_execnz .LBB13_2372
.LBB13_322:
	s_or_b64 exec, exec, s[6:7]
	s_and_saveexec_b64 s[6:7], s[4:5]
	s_cbranch_execz .LBB13_324
.LBB13_323:
	v_and_b32_e32 v2, 7, v8
	v_ffbh_u32_e32 v6, v2
	v_min_u32_e32 v6, 32, v6
	v_lshrrev_b16_e32 v3, 3, v8
	v_subrev_u32_e32 v7, 28, v6
	v_and_b32_e32 v3, 15, v3
	v_lshlrev_b32_e32 v7, v7, v8
	v_sub_u32_e32 v6, 29, v6
	v_and_b32_e32 v7, 7, v7
	v_cmp_eq_u16_e32 vcc, 0, v3
	v_cndmask_b32_e32 v2, v2, v7, vcc
	v_cndmask_b32_e32 v3, v3, v6, vcc
	v_lshlrev_b32_e32 v6, 24, v8
	v_mov_b32_e32 v7, 0x3b800000
	v_lshlrev_b32_e32 v2, 20, v2
	v_and_b32_e32 v6, 0x80000000, v6
	v_lshl_add_u32 v3, v3, 23, v7
	v_or3_b32 v2, v6, v3, v2
.LBB13_324:
	s_or_b64 exec, exec, s[6:7]
	s_movk_i32 s4, 0x7f
	v_cmp_gt_i16_sdwa s[6:7], v4, s4 src0_sel:BYTE_0 src1_sel:DWORD
	s_mov_b64 s[4:5], 0
                                        ; implicit-def: $sgpr10
	s_and_saveexec_b64 s[8:9], s[6:7]
	s_xor_b64 s[6:7], exec, s[8:9]
	s_cbranch_execnz .LBB13_2373
; %bb.325:
	s_or_saveexec_b64 s[6:7], s[6:7]
	v_mov_b32_e32 v3, s10
	s_xor_b64 exec, exec, s[6:7]
	s_cbranch_execnz .LBB13_2376
.LBB13_326:
	s_or_b64 exec, exec, s[6:7]
	s_and_saveexec_b64 s[6:7], s[4:5]
	s_cbranch_execz .LBB13_328
.LBB13_327:
	v_and_b32_e32 v3, 7, v4
	v_ffbh_u32_e32 v7, v3
	v_min_u32_e32 v7, 32, v7
	v_lshrrev_b16_e32 v6, 3, v4
	v_subrev_u32_e32 v12, 28, v7
	v_and_b32_e32 v6, 15, v6
	v_lshlrev_b32_e32 v12, v12, v4
	v_sub_u32_e32 v7, 29, v7
	v_and_b32_e32 v12, 7, v12
	v_cmp_eq_u16_e32 vcc, 0, v6
	v_cndmask_b32_e32 v3, v3, v12, vcc
	v_cndmask_b32_e32 v6, v6, v7, vcc
	v_lshlrev_b32_e32 v7, 24, v4
	v_mov_b32_e32 v12, 0x3b800000
	v_lshlrev_b32_e32 v3, 20, v3
	v_and_b32_e32 v7, 0x80000000, v7
	v_lshl_add_u32 v6, v6, 23, v12
	v_or3_b32 v3, v7, v6, v3
.LBB13_328:
	s_or_b64 exec, exec, s[6:7]
	s_nop 0
	v_mfma_f32_16x16x4f32 a[0:3], v2, v3, a[0:3]
	v_lshrrev_b32_e32 v3, 8, v8
	s_movk_i32 s4, 0x7f
	v_cmp_gt_i16_sdwa s[6:7], v3, s4 src0_sel:BYTE_0 src1_sel:DWORD
	s_mov_b64 s[4:5], 0
                                        ; implicit-def: $sgpr10
	s_and_saveexec_b64 s[8:9], s[6:7]
	s_xor_b64 s[6:7], exec, s[8:9]
	s_cbranch_execnz .LBB13_2377
; %bb.329:
	s_or_saveexec_b64 s[6:7], s[6:7]
	v_mov_b32_e32 v2, s10
	s_xor_b64 exec, exec, s[6:7]
	s_cbranch_execnz .LBB13_2380
.LBB13_330:
	s_or_b64 exec, exec, s[6:7]
	s_and_saveexec_b64 s[6:7], s[4:5]
	s_cbranch_execz .LBB13_332
.LBB13_331:
	v_bfe_u32 v2, v8, 8, 3
	v_ffbh_u32_e32 v7, v2
	v_min_u32_e32 v7, 32, v7
	v_lshrrev_b16_e32 v6, 3, v3
	v_subrev_u32_e32 v12, 28, v7
	v_and_b32_e32 v6, 15, v6
	v_lshlrev_b32_e32 v3, v12, v3
	v_sub_u32_e32 v7, 29, v7
	v_and_b32_e32 v3, 7, v3
	v_cmp_eq_u16_e32 vcc, 0, v6
	v_cndmask_b32_e32 v2, v2, v3, vcc
	v_cndmask_b32_e32 v3, v6, v7, vcc
	v_lshlrev_b32_e32 v6, 16, v8
	v_mov_b32_e32 v7, 0x3b800000
	v_lshlrev_b32_e32 v2, 20, v2
	v_and_b32_e32 v6, 0x80000000, v6
	v_lshl_add_u32 v3, v3, 23, v7
	v_or3_b32 v2, v6, v3, v2
.LBB13_332:
	s_or_b64 exec, exec, s[6:7]
	v_lshrrev_b32_e32 v3, 8, v4
	s_movk_i32 s4, 0x7f
	v_cmp_gt_i16_sdwa s[6:7], v3, s4 src0_sel:BYTE_0 src1_sel:DWORD
	s_mov_b64 s[4:5], 0
                                        ; implicit-def: $sgpr10
	s_and_saveexec_b64 s[8:9], s[6:7]
	s_xor_b64 s[6:7], exec, s[8:9]
	s_cbranch_execnz .LBB13_2381
; %bb.333:
	s_or_saveexec_b64 s[6:7], s[6:7]
	v_mov_b32_e32 v6, s10
	s_xor_b64 exec, exec, s[6:7]
	s_cbranch_execnz .LBB13_2384
.LBB13_334:
	s_or_b64 exec, exec, s[6:7]
	s_and_saveexec_b64 s[6:7], s[4:5]
	s_cbranch_execz .LBB13_336
.LBB13_335:
	v_bfe_u32 v6, v4, 8, 3
	v_ffbh_u32_e32 v12, v6
	v_min_u32_e32 v12, 32, v12
	v_lshrrev_b16_e32 v7, 3, v3
	v_subrev_u32_e32 v13, 28, v12
	v_and_b32_e32 v7, 15, v7
	v_lshlrev_b32_e32 v3, v13, v3
	v_sub_u32_e32 v12, 29, v12
	v_and_b32_e32 v3, 7, v3
	v_cmp_eq_u16_e32 vcc, 0, v7
	v_cndmask_b32_e32 v3, v6, v3, vcc
	v_cndmask_b32_e32 v6, v7, v12, vcc
	v_lshlrev_b32_e32 v7, 16, v4
	v_mov_b32_e32 v12, 0x3b800000
	v_lshlrev_b32_e32 v3, 20, v3
	v_and_b32_e32 v7, 0x80000000, v7
	v_lshl_add_u32 v6, v6, 23, v12
	v_or3_b32 v6, v7, v6, v3
.LBB13_336:
	s_or_b64 exec, exec, s[6:7]
	s_nop 0
	v_mfma_f32_16x16x4f32 a[0:3], v2, v6, a[0:3]
	s_movk_i32 s4, 0xff
	v_and_b32_sdwa v3, v8, s4 dst_sel:DWORD dst_unused:UNUSED_PAD src0_sel:WORD_1 src1_sel:DWORD
	s_movk_i32 s4, 0x7f
	v_cmp_lt_i16_e32 vcc, s4, v3
	s_mov_b64 s[4:5], 0
                                        ; implicit-def: $sgpr10
	s_and_saveexec_b64 s[6:7], vcc
	s_xor_b64 s[6:7], exec, s[6:7]
	s_cbranch_execnz .LBB13_2385
; %bb.337:
	s_or_saveexec_b64 s[6:7], s[6:7]
	v_mov_b32_e32 v2, s10
	s_xor_b64 exec, exec, s[6:7]
	s_cbranch_execnz .LBB13_2388
.LBB13_338:
	s_or_b64 exec, exec, s[6:7]
	s_and_saveexec_b64 s[6:7], s[4:5]
	s_cbranch_execz .LBB13_340
.LBB13_339:
	v_bfe_u32 v2, v8, 16, 3
	v_ffbh_u32_e32 v7, v2
	v_min_u32_e32 v7, 32, v7
	v_lshrrev_b32_e32 v3, 19, v8
	v_subrev_u32_e32 v12, 28, v7
	v_and_b32_e32 v3, 15, v3
	v_lshlrev_b32_sdwa v12, v12, v8 dst_sel:DWORD dst_unused:UNUSED_PAD src0_sel:DWORD src1_sel:WORD_1
	v_bfe_u32 v6, v8, 19, 4
	v_sub_u32_e32 v7, 29, v7
	v_and_b32_e32 v12, 7, v12
	v_cmp_eq_u16_e32 vcc, 0, v3
	v_cndmask_b32_e32 v2, v2, v12, vcc
	v_cndmask_b32_e32 v3, v6, v7, vcc
	v_lshlrev_b32_e32 v6, 8, v8
	v_mov_b32_e32 v7, 0x3b800000
	v_lshlrev_b32_e32 v2, 20, v2
	v_and_b32_e32 v6, 0x80000000, v6
	v_lshl_add_u32 v3, v3, 23, v7
	v_or3_b32 v2, v6, v3, v2
.LBB13_340:
	s_or_b64 exec, exec, s[6:7]
	s_movk_i32 s4, 0xff
	v_and_b32_sdwa v3, v4, s4 dst_sel:DWORD dst_unused:UNUSED_PAD src0_sel:WORD_1 src1_sel:DWORD
	s_movk_i32 s4, 0x7f
	v_cmp_lt_i16_e32 vcc, s4, v3
	s_mov_b64 s[4:5], 0
                                        ; implicit-def: $sgpr10
	s_and_saveexec_b64 s[6:7], vcc
	s_xor_b64 s[6:7], exec, s[6:7]
	s_cbranch_execnz .LBB13_2389
; %bb.341:
	s_or_saveexec_b64 s[6:7], s[6:7]
	v_mov_b32_e32 v6, s10
	s_xor_b64 exec, exec, s[6:7]
	s_cbranch_execnz .LBB13_2392
.LBB13_342:
	s_or_b64 exec, exec, s[6:7]
	s_and_saveexec_b64 s[6:7], s[4:5]
	s_cbranch_execz .LBB13_344
.LBB13_343:
	v_bfe_u32 v3, v4, 16, 3
	v_ffbh_u32_e32 v12, v3
	v_min_u32_e32 v12, 32, v12
	v_lshrrev_b32_e32 v6, 19, v4
	v_subrev_u32_e32 v13, 28, v12
	v_and_b32_e32 v6, 15, v6
	v_lshlrev_b32_sdwa v13, v13, v4 dst_sel:DWORD dst_unused:UNUSED_PAD src0_sel:DWORD src1_sel:WORD_1
	v_bfe_u32 v7, v4, 19, 4
	v_sub_u32_e32 v12, 29, v12
	v_and_b32_e32 v13, 7, v13
	v_cmp_eq_u16_e32 vcc, 0, v6
	v_cndmask_b32_e32 v3, v3, v13, vcc
	v_cndmask_b32_e32 v6, v7, v12, vcc
	v_lshlrev_b32_e32 v7, 8, v4
	v_mov_b32_e32 v12, 0x3b800000
	v_lshlrev_b32_e32 v3, 20, v3
	v_and_b32_e32 v7, 0x80000000, v7
	v_lshl_add_u32 v6, v6, 23, v12
	v_or3_b32 v6, v7, v6, v3
.LBB13_344:
	s_or_b64 exec, exec, s[6:7]
	s_nop 0
	v_mfma_f32_16x16x4f32 a[0:3], v2, v6, a[0:3]
	s_movk_i32 s4, 0x7f
	v_cmp_gt_i16_sdwa s[6:7], v8, s4 src0_sel:BYTE_3 src1_sel:DWORD
	s_mov_b64 s[4:5], 0
                                        ; implicit-def: $sgpr10
	s_and_saveexec_b64 s[8:9], s[6:7]
	s_xor_b64 s[6:7], exec, s[8:9]
	s_cbranch_execnz .LBB13_2393
; %bb.345:
	s_or_saveexec_b64 s[6:7], s[6:7]
	v_mov_b32_e32 v2, s10
	s_xor_b64 exec, exec, s[6:7]
	s_cbranch_execnz .LBB13_2396
.LBB13_346:
	s_or_b64 exec, exec, s[6:7]
	s_and_saveexec_b64 s[6:7], s[4:5]
	s_cbranch_execz .LBB13_348
.LBB13_347:
	v_bfe_u32 v2, v8, 24, 3
	v_ffbh_u32_e32 v12, v2
	v_min_u32_e32 v12, 32, v12
	v_lshrrev_b32_e32 v6, 27, v8
	v_subrev_u32_e32 v13, 28, v12
	v_and_b32_e32 v3, 0x80000000, v8
	v_and_b32_e32 v6, 15, v6
	v_bfe_u32 v7, v8, 27, 4
	v_lshlrev_b32_sdwa v8, v13, v8 dst_sel:DWORD dst_unused:UNUSED_PAD src0_sel:DWORD src1_sel:BYTE_3
	v_sub_u32_e32 v12, 29, v12
	v_and_b32_e32 v8, 7, v8
	v_cmp_eq_u16_e32 vcc, 0, v6
	v_cndmask_b32_e32 v2, v2, v8, vcc
	v_cndmask_b32_e32 v6, v7, v12, vcc
	v_mov_b32_e32 v7, 0x3b800000
	v_lshlrev_b32_e32 v2, 20, v2
	v_lshl_add_u32 v6, v6, 23, v7
	v_or3_b32 v2, v3, v6, v2
.LBB13_348:
	s_or_b64 exec, exec, s[6:7]
	s_movk_i32 s4, 0x7f
	v_cmp_gt_i16_sdwa s[6:7], v4, s4 src0_sel:BYTE_3 src1_sel:DWORD
	s_mov_b64 s[4:5], 0
                                        ; implicit-def: $sgpr10
	s_and_saveexec_b64 s[8:9], s[6:7]
	s_xor_b64 s[6:7], exec, s[8:9]
	s_cbranch_execnz .LBB13_2397
; %bb.349:
	s_or_saveexec_b64 s[6:7], s[6:7]
	v_mov_b32_e32 v3, s10
	s_xor_b64 exec, exec, s[6:7]
	s_cbranch_execnz .LBB13_2400
.LBB13_350:
	s_or_b64 exec, exec, s[6:7]
	s_and_saveexec_b64 s[6:7], s[4:5]
	s_cbranch_execz .LBB13_352
.LBB13_351:
	v_bfe_u32 v3, v4, 24, 3
	v_ffbh_u32_e32 v12, v3
	v_min_u32_e32 v12, 32, v12
	v_lshrrev_b32_e32 v7, 27, v4
	v_subrev_u32_e32 v13, 28, v12
	v_and_b32_e32 v6, 0x80000000, v4
	v_and_b32_e32 v7, 15, v7
	v_bfe_u32 v8, v4, 27, 4
	v_lshlrev_b32_sdwa v4, v13, v4 dst_sel:DWORD dst_unused:UNUSED_PAD src0_sel:DWORD src1_sel:BYTE_3
	v_sub_u32_e32 v12, 29, v12
	v_and_b32_e32 v4, 7, v4
	v_cmp_eq_u16_e32 vcc, 0, v7
	v_cndmask_b32_e32 v3, v3, v4, vcc
	v_cndmask_b32_e32 v4, v8, v12, vcc
	v_mov_b32_e32 v7, 0x3b800000
	v_lshlrev_b32_e32 v3, 20, v3
	v_lshl_add_u32 v4, v4, 23, v7
	v_or3_b32 v3, v6, v4, v3
.LBB13_352:
	s_or_b64 exec, exec, s[6:7]
	s_nop 0
	v_mfma_f32_16x16x4f32 a[0:3], v2, v3, a[0:3]
	s_movk_i32 s4, 0x7f
	v_cmp_gt_i16_sdwa s[6:7], v9, s4 src0_sel:BYTE_0 src1_sel:DWORD
	s_mov_b64 s[4:5], 0
                                        ; implicit-def: $sgpr10
	s_and_saveexec_b64 s[8:9], s[6:7]
	s_xor_b64 s[6:7], exec, s[8:9]
	s_cbranch_execnz .LBB13_2401
; %bb.353:
	s_or_saveexec_b64 s[6:7], s[6:7]
	v_mov_b32_e32 v2, s10
	s_xor_b64 exec, exec, s[6:7]
	s_cbranch_execnz .LBB13_2404
.LBB13_354:
	s_or_b64 exec, exec, s[6:7]
	s_and_saveexec_b64 s[6:7], s[4:5]
	s_cbranch_execz .LBB13_356
.LBB13_355:
	v_mov_b32_e32 v2, 8
	v_and_b32_e32 v3, 7, v9
	v_lshrrev_b32_sdwa v2, v2, v9 dst_sel:BYTE_1 dst_unused:UNUSED_PAD src0_sel:DWORD src1_sel:DWORD
	v_ffbh_u32_e32 v4, v3
	v_or_b32_sdwa v2, v9, v2 dst_sel:DWORD dst_unused:UNUSED_PAD src0_sel:BYTE_0 src1_sel:DWORD
	v_min_u32_e32 v4, 32, v4
	v_lshrrev_b16_e32 v2, 3, v2
	v_subrev_u32_e32 v6, 28, v4
	v_and_b32_e32 v2, 15, v2
	v_lshlrev_b32_e32 v6, v6, v9
	v_sub_u32_e32 v4, 29, v4
	v_and_b32_e32 v6, 7, v6
	v_cmp_eq_u16_e32 vcc, 0, v2
	v_cndmask_b32_e32 v3, v3, v6, vcc
	v_cndmask_b32_e32 v2, v2, v4, vcc
	v_lshlrev_b32_e32 v4, 24, v9
	v_mov_b32_e32 v6, 0x3b800000
	v_lshlrev_b32_e32 v3, 20, v3
	v_and_b32_e32 v4, 0x80000000, v4
	v_lshl_add_u32 v2, v2, 23, v6
	v_or3_b32 v2, v4, v2, v3
.LBB13_356:
	s_or_b64 exec, exec, s[6:7]
	s_movk_i32 s4, 0x7f
	v_cmp_gt_i16_sdwa s[6:7], v5, s4 src0_sel:BYTE_0 src1_sel:DWORD
	s_mov_b64 s[4:5], 0
                                        ; implicit-def: $sgpr10
	s_and_saveexec_b64 s[8:9], s[6:7]
	s_xor_b64 s[6:7], exec, s[8:9]
	s_cbranch_execnz .LBB13_2405
; %bb.357:
	s_or_saveexec_b64 s[6:7], s[6:7]
	v_mov_b32_e32 v3, s10
	s_xor_b64 exec, exec, s[6:7]
	s_cbranch_execnz .LBB13_2408
.LBB13_358:
	s_or_b64 exec, exec, s[6:7]
	s_and_saveexec_b64 s[6:7], s[4:5]
	s_cbranch_execz .LBB13_360
.LBB13_359:
	v_mov_b32_e32 v3, 8
	v_and_b32_e32 v4, 7, v5
	v_lshrrev_b32_sdwa v3, v3, v5 dst_sel:BYTE_1 dst_unused:UNUSED_PAD src0_sel:DWORD src1_sel:DWORD
	v_ffbh_u32_e32 v6, v4
	v_or_b32_sdwa v3, v5, v3 dst_sel:DWORD dst_unused:UNUSED_PAD src0_sel:BYTE_0 src1_sel:DWORD
	v_min_u32_e32 v6, 32, v6
	v_lshrrev_b16_e32 v3, 3, v3
	v_subrev_u32_e32 v7, 28, v6
	v_and_b32_e32 v3, 15, v3
	v_lshlrev_b32_e32 v7, v7, v5
	v_sub_u32_e32 v6, 29, v6
	v_and_b32_e32 v7, 7, v7
	v_cmp_eq_u16_e32 vcc, 0, v3
	v_cndmask_b32_e32 v4, v4, v7, vcc
	v_cndmask_b32_e32 v3, v3, v6, vcc
	v_lshlrev_b32_e32 v6, 24, v5
	v_mov_b32_e32 v7, 0x3b800000
	v_lshlrev_b32_e32 v4, 20, v4
	v_and_b32_e32 v6, 0x80000000, v6
	v_lshl_add_u32 v3, v3, 23, v7
	v_or3_b32 v3, v6, v3, v4
.LBB13_360:
	s_or_b64 exec, exec, s[6:7]
	s_nop 0
	v_mfma_f32_16x16x4f32 a[0:3], v2, v3, a[0:3]
	v_lshrrev_b32_e32 v3, 8, v9
	s_movk_i32 s4, 0x7f
	v_cmp_gt_i16_sdwa s[6:7], v3, s4 src0_sel:BYTE_0 src1_sel:DWORD
	s_mov_b64 s[4:5], 0
                                        ; implicit-def: $sgpr10
	s_and_saveexec_b64 s[8:9], s[6:7]
	s_xor_b64 s[6:7], exec, s[8:9]
	s_cbranch_execnz .LBB13_2409
; %bb.361:
	s_or_saveexec_b64 s[6:7], s[6:7]
	v_mov_b32_e32 v2, s10
	s_xor_b64 exec, exec, s[6:7]
	s_cbranch_execnz .LBB13_2412
.LBB13_362:
	s_or_b64 exec, exec, s[6:7]
	s_and_saveexec_b64 s[6:7], s[4:5]
	s_cbranch_execz .LBB13_364
.LBB13_363:
	v_bfe_u32 v2, v9, 8, 3
	v_ffbh_u32_e32 v6, v2
	v_min_u32_e32 v6, 32, v6
	v_lshrrev_b16_e32 v4, 3, v3
	v_subrev_u32_e32 v7, 28, v6
	v_and_b32_e32 v4, 15, v4
	v_lshlrev_b32_e32 v3, v7, v3
	v_sub_u32_e32 v6, 29, v6
	v_and_b32_e32 v3, 7, v3
	v_cmp_eq_u16_e32 vcc, 0, v4
	v_cndmask_b32_e32 v2, v2, v3, vcc
	v_cndmask_b32_e32 v3, v4, v6, vcc
	v_lshlrev_b32_e32 v4, 16, v9
	v_mov_b32_e32 v6, 0x3b800000
	v_lshlrev_b32_e32 v2, 20, v2
	v_and_b32_e32 v4, 0x80000000, v4
	v_lshl_add_u32 v3, v3, 23, v6
	v_or3_b32 v2, v4, v3, v2
.LBB13_364:
	s_or_b64 exec, exec, s[6:7]
	v_lshrrev_b32_e32 v3, 8, v5
	s_movk_i32 s4, 0x7f
	v_cmp_gt_i16_sdwa s[6:7], v3, s4 src0_sel:BYTE_0 src1_sel:DWORD
	s_mov_b64 s[4:5], 0
                                        ; implicit-def: $sgpr10
	s_and_saveexec_b64 s[8:9], s[6:7]
	s_xor_b64 s[6:7], exec, s[8:9]
	s_cbranch_execnz .LBB13_2413
; %bb.365:
	s_or_saveexec_b64 s[6:7], s[6:7]
	v_mov_b32_e32 v4, s10
	s_xor_b64 exec, exec, s[6:7]
	s_cbranch_execnz .LBB13_2416
.LBB13_366:
	s_or_b64 exec, exec, s[6:7]
	s_and_saveexec_b64 s[6:7], s[4:5]
	s_cbranch_execz .LBB13_368
.LBB13_367:
	v_bfe_u32 v4, v5, 8, 3
	v_ffbh_u32_e32 v7, v4
	v_min_u32_e32 v7, 32, v7
	v_lshrrev_b16_e32 v6, 3, v3
	v_subrev_u32_e32 v8, 28, v7
	v_and_b32_e32 v6, 15, v6
	v_lshlrev_b32_e32 v3, v8, v3
	v_sub_u32_e32 v7, 29, v7
	v_and_b32_e32 v3, 7, v3
	v_cmp_eq_u16_e32 vcc, 0, v6
	v_cndmask_b32_e32 v3, v4, v3, vcc
	v_cndmask_b32_e32 v4, v6, v7, vcc
	v_lshlrev_b32_e32 v6, 16, v5
	v_mov_b32_e32 v7, 0x3b800000
	v_lshlrev_b32_e32 v3, 20, v3
	v_and_b32_e32 v6, 0x80000000, v6
	v_lshl_add_u32 v4, v4, 23, v7
	v_or3_b32 v4, v6, v4, v3
.LBB13_368:
	s_or_b64 exec, exec, s[6:7]
	s_nop 0
	v_mfma_f32_16x16x4f32 a[0:3], v2, v4, a[0:3]
	s_movk_i32 s4, 0xff
	v_and_b32_sdwa v3, v9, s4 dst_sel:DWORD dst_unused:UNUSED_PAD src0_sel:WORD_1 src1_sel:DWORD
	s_movk_i32 s4, 0x7f
	v_cmp_lt_i16_e32 vcc, s4, v3
	s_mov_b64 s[4:5], 0
                                        ; implicit-def: $sgpr10
	s_and_saveexec_b64 s[6:7], vcc
	s_xor_b64 s[6:7], exec, s[6:7]
	s_cbranch_execnz .LBB13_2417
; %bb.369:
	s_or_saveexec_b64 s[6:7], s[6:7]
	v_mov_b32_e32 v2, s10
	s_xor_b64 exec, exec, s[6:7]
	s_cbranch_execnz .LBB13_2420
.LBB13_370:
	s_or_b64 exec, exec, s[6:7]
	s_and_saveexec_b64 s[6:7], s[4:5]
	s_cbranch_execz .LBB13_372
.LBB13_371:
	v_bfe_u32 v2, v9, 16, 3
	v_ffbh_u32_e32 v6, v2
	v_min_u32_e32 v6, 32, v6
	v_lshrrev_b32_e32 v3, 19, v9
	v_subrev_u32_e32 v7, 28, v6
	v_and_b32_e32 v3, 15, v3
	v_lshlrev_b32_sdwa v7, v7, v9 dst_sel:DWORD dst_unused:UNUSED_PAD src0_sel:DWORD src1_sel:WORD_1
	v_bfe_u32 v4, v9, 19, 4
	v_sub_u32_e32 v6, 29, v6
	v_and_b32_e32 v7, 7, v7
	v_cmp_eq_u16_e32 vcc, 0, v3
	v_cndmask_b32_e32 v2, v2, v7, vcc
	v_cndmask_b32_e32 v3, v4, v6, vcc
	v_lshlrev_b32_e32 v4, 8, v9
	v_mov_b32_e32 v6, 0x3b800000
	v_lshlrev_b32_e32 v2, 20, v2
	v_and_b32_e32 v4, 0x80000000, v4
	v_lshl_add_u32 v3, v3, 23, v6
	v_or3_b32 v2, v4, v3, v2
.LBB13_372:
	s_or_b64 exec, exec, s[6:7]
	s_movk_i32 s4, 0xff
	v_and_b32_sdwa v3, v5, s4 dst_sel:DWORD dst_unused:UNUSED_PAD src0_sel:WORD_1 src1_sel:DWORD
	s_movk_i32 s4, 0x7f
	v_cmp_lt_i16_e32 vcc, s4, v3
	s_mov_b64 s[4:5], 0
                                        ; implicit-def: $sgpr10
	s_and_saveexec_b64 s[6:7], vcc
	s_xor_b64 s[6:7], exec, s[6:7]
	s_cbranch_execnz .LBB13_2421
; %bb.373:
	s_or_saveexec_b64 s[6:7], s[6:7]
	v_mov_b32_e32 v4, s10
	s_xor_b64 exec, exec, s[6:7]
	s_cbranch_execnz .LBB13_2424
.LBB13_374:
	s_or_b64 exec, exec, s[6:7]
	s_and_saveexec_b64 s[6:7], s[4:5]
	s_cbranch_execz .LBB13_376
.LBB13_375:
	v_bfe_u32 v3, v5, 16, 3
	v_ffbh_u32_e32 v7, v3
	v_min_u32_e32 v7, 32, v7
	v_lshrrev_b32_e32 v4, 19, v5
	v_subrev_u32_e32 v8, 28, v7
	v_and_b32_e32 v4, 15, v4
	v_lshlrev_b32_sdwa v8, v8, v5 dst_sel:DWORD dst_unused:UNUSED_PAD src0_sel:DWORD src1_sel:WORD_1
	v_bfe_u32 v6, v5, 19, 4
	v_sub_u32_e32 v7, 29, v7
	v_and_b32_e32 v8, 7, v8
	v_cmp_eq_u16_e32 vcc, 0, v4
	v_cndmask_b32_e32 v3, v3, v8, vcc
	v_cndmask_b32_e32 v4, v6, v7, vcc
	v_lshlrev_b32_e32 v6, 8, v5
	v_mov_b32_e32 v7, 0x3b800000
	v_lshlrev_b32_e32 v3, 20, v3
	v_and_b32_e32 v6, 0x80000000, v6
	v_lshl_add_u32 v4, v4, 23, v7
	v_or3_b32 v4, v6, v4, v3
.LBB13_376:
	s_or_b64 exec, exec, s[6:7]
	s_nop 0
	v_mfma_f32_16x16x4f32 a[0:3], v2, v4, a[0:3]
	s_movk_i32 s4, 0x7f
	v_cmp_gt_i16_sdwa s[6:7], v9, s4 src0_sel:BYTE_3 src1_sel:DWORD
	s_mov_b64 s[4:5], 0
                                        ; implicit-def: $sgpr10
	s_and_saveexec_b64 s[8:9], s[6:7]
	s_xor_b64 s[6:7], exec, s[8:9]
	s_cbranch_execnz .LBB13_2425
; %bb.377:
	s_or_saveexec_b64 s[6:7], s[6:7]
	v_mov_b32_e32 v2, s10
	s_xor_b64 exec, exec, s[6:7]
	s_cbranch_execnz .LBB13_2428
.LBB13_378:
	s_or_b64 exec, exec, s[6:7]
	s_and_saveexec_b64 s[6:7], s[4:5]
	s_cbranch_execz .LBB13_380
.LBB13_379:
	v_bfe_u32 v2, v9, 24, 3
	v_ffbh_u32_e32 v7, v2
	v_min_u32_e32 v7, 32, v7
	v_lshrrev_b32_e32 v4, 27, v9
	v_subrev_u32_e32 v8, 28, v7
	v_and_b32_e32 v4, 15, v4
	v_lshlrev_b32_sdwa v8, v8, v9 dst_sel:DWORD dst_unused:UNUSED_PAD src0_sel:DWORD src1_sel:BYTE_3
	v_bfe_u32 v6, v9, 27, 4
	v_sub_u32_e32 v7, 29, v7
	v_and_b32_e32 v8, 7, v8
	v_cmp_eq_u16_e32 vcc, 0, v4
	v_cndmask_b32_e32 v2, v2, v8, vcc
	v_cndmask_b32_e32 v4, v6, v7, vcc
	v_mov_b32_e32 v6, 0x3b800000
	v_and_b32_e32 v3, 0x80000000, v9
	v_lshlrev_b32_e32 v2, 20, v2
	v_lshl_add_u32 v4, v4, 23, v6
	v_or3_b32 v2, v3, v4, v2
.LBB13_380:
	s_or_b64 exec, exec, s[6:7]
	s_movk_i32 s4, 0x7f
	v_cmp_gt_i16_sdwa s[6:7], v5, s4 src0_sel:BYTE_3 src1_sel:DWORD
	s_mov_b64 s[4:5], 0
                                        ; implicit-def: $sgpr10
	s_and_saveexec_b64 s[8:9], s[6:7]
	s_xor_b64 s[6:7], exec, s[8:9]
	s_cbranch_execnz .LBB13_2429
; %bb.381:
	s_or_saveexec_b64 s[6:7], s[6:7]
	v_mov_b32_e32 v3, s10
	s_xor_b64 exec, exec, s[6:7]
	s_cbranch_execnz .LBB13_2432
.LBB13_382:
	s_or_b64 exec, exec, s[6:7]
	s_and_saveexec_b64 s[6:7], s[4:5]
	s_cbranch_execz .LBB13_384
.LBB13_383:
	v_bfe_u32 v3, v5, 24, 3
	v_ffbh_u32_e32 v8, v3
	v_min_u32_e32 v8, 32, v8
	v_lshrrev_b32_e32 v6, 27, v5
	v_subrev_u32_e32 v9, 28, v8
	v_and_b32_e32 v4, 0x80000000, v5
	v_and_b32_e32 v6, 15, v6
	v_bfe_u32 v7, v5, 27, 4
	v_lshlrev_b32_sdwa v5, v9, v5 dst_sel:DWORD dst_unused:UNUSED_PAD src0_sel:DWORD src1_sel:BYTE_3
	v_sub_u32_e32 v8, 29, v8
	v_and_b32_e32 v5, 7, v5
	v_cmp_eq_u16_e32 vcc, 0, v6
	v_cndmask_b32_e32 v3, v3, v5, vcc
	v_cndmask_b32_e32 v5, v7, v8, vcc
	v_mov_b32_e32 v6, 0x3b800000
	v_lshlrev_b32_e32 v3, 20, v3
	v_lshl_add_u32 v5, v5, 23, v6
	v_or3_b32 v3, v4, v5, v3
.LBB13_384:
	s_or_b64 exec, exec, s[6:7]
	s_nop 0
	v_mfma_f32_16x16x4f32 a[0:3], v2, v3, a[0:3]
	s_movk_i32 s4, 0x7f
                                        ; implicit-def: $sgpr10
	s_nop 7
	s_nop 1
	flat_store_dwordx4 v[10:11], a[0:3] offset:32
	flat_load_dwordx4 v[12:15], v[0:1] offset:8
	s_nop 0
	flat_load_dwordx2 v[10:11], v[0:1] offset:32
	s_waitcnt vmcnt(0) lgkmcnt(0)
	flat_load_dwordx4 v[6:9], v[12:13] offset:16
	flat_load_dwordx4 v[2:5], v[14:15] offset:112
	s_waitcnt vmcnt(0) lgkmcnt(0)
	v_cmp_gt_i16_sdwa s[6:7], v6, s4 src0_sel:BYTE_0 src1_sel:DWORD
	s_mov_b64 s[4:5], 0
	s_and_saveexec_b64 s[8:9], s[6:7]
	s_xor_b64 s[6:7], exec, s[8:9]
	s_cbranch_execnz .LBB13_2433
; %bb.385:
	s_or_saveexec_b64 s[6:7], s[6:7]
	v_mov_b32_e32 v12, s10
	s_xor_b64 exec, exec, s[6:7]
	s_cbranch_execnz .LBB13_2436
.LBB13_386:
	s_or_b64 exec, exec, s[6:7]
	s_and_saveexec_b64 s[6:7], s[4:5]
	s_cbranch_execz .LBB13_388
.LBB13_387:
	v_and_b32_e32 v12, 7, v6
	v_ffbh_u32_e32 v14, v12
	v_min_u32_e32 v14, 32, v14
	v_lshrrev_b16_e32 v13, 3, v6
	v_subrev_u32_e32 v15, 28, v14
	v_and_b32_e32 v13, 15, v13
	v_lshlrev_b32_e32 v15, v15, v6
	v_sub_u32_e32 v14, 29, v14
	v_and_b32_e32 v15, 7, v15
	v_cmp_eq_u16_e32 vcc, 0, v13
	v_cndmask_b32_e32 v12, v12, v15, vcc
	v_cndmask_b32_e32 v13, v13, v14, vcc
	v_lshlrev_b32_e32 v14, 24, v6
	v_mov_b32_e32 v15, 0x3b800000
	v_lshlrev_b32_e32 v12, 20, v12
	v_and_b32_e32 v14, 0x80000000, v14
	v_lshl_add_u32 v13, v13, 23, v15
	v_or3_b32 v12, v14, v13, v12
.LBB13_388:
	s_or_b64 exec, exec, s[6:7]
	s_movk_i32 s4, 0x7f
	v_cmp_gt_i16_sdwa s[6:7], v2, s4 src0_sel:BYTE_0 src1_sel:DWORD
	s_mov_b64 s[4:5], 0
                                        ; implicit-def: $sgpr10
	s_and_saveexec_b64 s[8:9], s[6:7]
	s_xor_b64 s[6:7], exec, s[8:9]
	s_cbranch_execnz .LBB13_2437
; %bb.389:
	s_or_saveexec_b64 s[6:7], s[6:7]
	v_mov_b32_e32 v13, s10
	s_xor_b64 exec, exec, s[6:7]
	s_cbranch_execnz .LBB13_2440
.LBB13_390:
	s_or_b64 exec, exec, s[6:7]
	s_and_saveexec_b64 s[6:7], s[4:5]
	s_cbranch_execz .LBB13_392
.LBB13_391:
	v_and_b32_e32 v13, 7, v2
	v_ffbh_u32_e32 v15, v13
	v_min_u32_e32 v15, 32, v15
	v_lshrrev_b16_e32 v14, 3, v2
	v_subrev_u32_e32 v16, 28, v15
	v_and_b32_e32 v14, 15, v14
	v_lshlrev_b32_e32 v16, v16, v2
	v_sub_u32_e32 v15, 29, v15
	v_and_b32_e32 v16, 7, v16
	v_cmp_eq_u16_e32 vcc, 0, v14
	v_cndmask_b32_e32 v13, v13, v16, vcc
	v_cndmask_b32_e32 v14, v14, v15, vcc
	v_lshlrev_b32_e32 v15, 24, v2
	v_mov_b32_e32 v16, 0x3b800000
	v_lshlrev_b32_e32 v13, 20, v13
	v_and_b32_e32 v15, 0x80000000, v15
	v_lshl_add_u32 v14, v14, 23, v16
	v_or3_b32 v13, v15, v14, v13
.LBB13_392:
	s_or_b64 exec, exec, s[6:7]
	flat_load_dwordx4 a[0:3], v[10:11] offset:48
	s_movk_i32 s4, 0x7f
                                        ; implicit-def: $sgpr10
	s_waitcnt vmcnt(0) lgkmcnt(0)
	v_mfma_f32_16x16x4f32 a[0:3], v12, v13, a[0:3]
	v_lshrrev_b32_e32 v13, 8, v6
	v_cmp_gt_i16_sdwa s[6:7], v13, s4 src0_sel:BYTE_0 src1_sel:DWORD
	s_mov_b64 s[4:5], 0
	s_and_saveexec_b64 s[8:9], s[6:7]
	s_xor_b64 s[6:7], exec, s[8:9]
	s_cbranch_execnz .LBB13_2441
; %bb.393:
	s_or_saveexec_b64 s[6:7], s[6:7]
	v_mov_b32_e32 v12, s10
	s_xor_b64 exec, exec, s[6:7]
	s_cbranch_execnz .LBB13_2444
.LBB13_394:
	s_or_b64 exec, exec, s[6:7]
	s_and_saveexec_b64 s[6:7], s[4:5]
	s_cbranch_execz .LBB13_396
.LBB13_395:
	v_bfe_u32 v12, v6, 8, 3
	v_ffbh_u32_e32 v15, v12
	v_min_u32_e32 v15, 32, v15
	v_lshrrev_b16_e32 v14, 3, v13
	v_subrev_u32_e32 v16, 28, v15
	v_and_b32_e32 v14, 15, v14
	v_lshlrev_b32_e32 v13, v16, v13
	v_sub_u32_e32 v15, 29, v15
	v_and_b32_e32 v13, 7, v13
	v_cmp_eq_u16_e32 vcc, 0, v14
	v_cndmask_b32_e32 v12, v12, v13, vcc
	v_cndmask_b32_e32 v13, v14, v15, vcc
	v_lshlrev_b32_e32 v14, 16, v6
	v_mov_b32_e32 v15, 0x3b800000
	v_lshlrev_b32_e32 v12, 20, v12
	v_and_b32_e32 v14, 0x80000000, v14
	v_lshl_add_u32 v13, v13, 23, v15
	v_or3_b32 v12, v14, v13, v12
.LBB13_396:
	s_or_b64 exec, exec, s[6:7]
	v_lshrrev_b32_e32 v13, 8, v2
	s_movk_i32 s4, 0x7f
	v_cmp_gt_i16_sdwa s[6:7], v13, s4 src0_sel:BYTE_0 src1_sel:DWORD
	s_mov_b64 s[4:5], 0
                                        ; implicit-def: $sgpr10
	s_and_saveexec_b64 s[8:9], s[6:7]
	s_xor_b64 s[6:7], exec, s[8:9]
	s_cbranch_execnz .LBB13_2445
; %bb.397:
	s_or_saveexec_b64 s[6:7], s[6:7]
	v_mov_b32_e32 v14, s10
	s_xor_b64 exec, exec, s[6:7]
	s_cbranch_execnz .LBB13_2448
.LBB13_398:
	s_or_b64 exec, exec, s[6:7]
	s_and_saveexec_b64 s[6:7], s[4:5]
	s_cbranch_execz .LBB13_400
.LBB13_399:
	v_bfe_u32 v14, v2, 8, 3
	v_ffbh_u32_e32 v16, v14
	v_min_u32_e32 v16, 32, v16
	v_lshrrev_b16_e32 v15, 3, v13
	v_subrev_u32_e32 v17, 28, v16
	v_and_b32_e32 v15, 15, v15
	v_lshlrev_b32_e32 v13, v17, v13
	v_sub_u32_e32 v16, 29, v16
	v_and_b32_e32 v13, 7, v13
	v_cmp_eq_u16_e32 vcc, 0, v15
	v_cndmask_b32_e32 v13, v14, v13, vcc
	v_cndmask_b32_e32 v14, v15, v16, vcc
	v_lshlrev_b32_e32 v15, 16, v2
	v_mov_b32_e32 v16, 0x3b800000
	v_lshlrev_b32_e32 v13, 20, v13
	v_and_b32_e32 v15, 0x80000000, v15
	v_lshl_add_u32 v14, v14, 23, v16
	v_or3_b32 v14, v15, v14, v13
.LBB13_400:
	s_or_b64 exec, exec, s[6:7]
	s_nop 0
	v_mfma_f32_16x16x4f32 a[0:3], v12, v14, a[0:3]
	s_movk_i32 s4, 0xff
	v_and_b32_sdwa v13, v6, s4 dst_sel:DWORD dst_unused:UNUSED_PAD src0_sel:WORD_1 src1_sel:DWORD
	s_movk_i32 s4, 0x7f
	v_cmp_lt_i16_e32 vcc, s4, v13
	s_mov_b64 s[4:5], 0
                                        ; implicit-def: $sgpr10
	s_and_saveexec_b64 s[6:7], vcc
	s_xor_b64 s[6:7], exec, s[6:7]
	s_cbranch_execnz .LBB13_2449
; %bb.401:
	s_or_saveexec_b64 s[6:7], s[6:7]
	v_mov_b32_e32 v12, s10
	s_xor_b64 exec, exec, s[6:7]
	s_cbranch_execnz .LBB13_2452
.LBB13_402:
	s_or_b64 exec, exec, s[6:7]
	s_and_saveexec_b64 s[6:7], s[4:5]
	s_cbranch_execz .LBB13_404
.LBB13_403:
	v_bfe_u32 v12, v6, 16, 3
	v_ffbh_u32_e32 v15, v12
	v_min_u32_e32 v15, 32, v15
	v_lshrrev_b32_e32 v13, 19, v6
	v_subrev_u32_e32 v16, 28, v15
	v_and_b32_e32 v13, 15, v13
	v_lshlrev_b32_sdwa v16, v16, v6 dst_sel:DWORD dst_unused:UNUSED_PAD src0_sel:DWORD src1_sel:WORD_1
	v_bfe_u32 v14, v6, 19, 4
	v_sub_u32_e32 v15, 29, v15
	v_and_b32_e32 v16, 7, v16
	v_cmp_eq_u16_e32 vcc, 0, v13
	v_cndmask_b32_e32 v12, v12, v16, vcc
	v_cndmask_b32_e32 v13, v14, v15, vcc
	v_lshlrev_b32_e32 v14, 8, v6
	v_mov_b32_e32 v15, 0x3b800000
	v_lshlrev_b32_e32 v12, 20, v12
	v_and_b32_e32 v14, 0x80000000, v14
	v_lshl_add_u32 v13, v13, 23, v15
	v_or3_b32 v12, v14, v13, v12
.LBB13_404:
	s_or_b64 exec, exec, s[6:7]
	s_movk_i32 s4, 0xff
	v_and_b32_sdwa v13, v2, s4 dst_sel:DWORD dst_unused:UNUSED_PAD src0_sel:WORD_1 src1_sel:DWORD
	s_movk_i32 s4, 0x7f
	v_cmp_lt_i16_e32 vcc, s4, v13
	s_mov_b64 s[4:5], 0
                                        ; implicit-def: $sgpr10
	s_and_saveexec_b64 s[6:7], vcc
	s_xor_b64 s[6:7], exec, s[6:7]
	s_cbranch_execnz .LBB13_2453
; %bb.405:
	s_or_saveexec_b64 s[6:7], s[6:7]
	v_mov_b32_e32 v14, s10
	s_xor_b64 exec, exec, s[6:7]
	s_cbranch_execnz .LBB13_2456
.LBB13_406:
	s_or_b64 exec, exec, s[6:7]
	s_and_saveexec_b64 s[6:7], s[4:5]
	s_cbranch_execz .LBB13_408
.LBB13_407:
	v_bfe_u32 v13, v2, 16, 3
	v_ffbh_u32_e32 v16, v13
	v_min_u32_e32 v16, 32, v16
	v_lshrrev_b32_e32 v14, 19, v2
	v_subrev_u32_e32 v17, 28, v16
	v_and_b32_e32 v14, 15, v14
	v_lshlrev_b32_sdwa v17, v17, v2 dst_sel:DWORD dst_unused:UNUSED_PAD src0_sel:DWORD src1_sel:WORD_1
	v_bfe_u32 v15, v2, 19, 4
	v_sub_u32_e32 v16, 29, v16
	v_and_b32_e32 v17, 7, v17
	v_cmp_eq_u16_e32 vcc, 0, v14
	v_cndmask_b32_e32 v13, v13, v17, vcc
	v_cndmask_b32_e32 v14, v15, v16, vcc
	v_lshlrev_b32_e32 v15, 8, v2
	v_mov_b32_e32 v16, 0x3b800000
	v_lshlrev_b32_e32 v13, 20, v13
	v_and_b32_e32 v15, 0x80000000, v15
	v_lshl_add_u32 v14, v14, 23, v16
	v_or3_b32 v14, v15, v14, v13
.LBB13_408:
	s_or_b64 exec, exec, s[6:7]
	s_nop 0
	v_mfma_f32_16x16x4f32 a[0:3], v12, v14, a[0:3]
	s_movk_i32 s4, 0x7f
	v_cmp_gt_i16_sdwa s[6:7], v6, s4 src0_sel:BYTE_3 src1_sel:DWORD
	s_mov_b64 s[4:5], 0
                                        ; implicit-def: $sgpr10
	s_and_saveexec_b64 s[8:9], s[6:7]
	s_xor_b64 s[6:7], exec, s[8:9]
	s_cbranch_execnz .LBB13_2457
; %bb.409:
	s_or_saveexec_b64 s[6:7], s[6:7]
	v_mov_b32_e32 v12, s10
	s_xor_b64 exec, exec, s[6:7]
	s_cbranch_execnz .LBB13_2460
.LBB13_410:
	s_or_b64 exec, exec, s[6:7]
	s_and_saveexec_b64 s[6:7], s[4:5]
	s_cbranch_execz .LBB13_412
.LBB13_411:
	v_bfe_u32 v12, v6, 24, 3
	v_ffbh_u32_e32 v16, v12
	v_min_u32_e32 v16, 32, v16
	v_lshrrev_b32_e32 v14, 27, v6
	v_subrev_u32_e32 v17, 28, v16
	v_and_b32_e32 v13, 0x80000000, v6
	v_and_b32_e32 v14, 15, v14
	v_bfe_u32 v15, v6, 27, 4
	v_lshlrev_b32_sdwa v6, v17, v6 dst_sel:DWORD dst_unused:UNUSED_PAD src0_sel:DWORD src1_sel:BYTE_3
	v_sub_u32_e32 v16, 29, v16
	v_and_b32_e32 v6, 7, v6
	v_cmp_eq_u16_e32 vcc, 0, v14
	v_cndmask_b32_e32 v6, v12, v6, vcc
	v_cndmask_b32_e32 v12, v15, v16, vcc
	v_mov_b32_e32 v14, 0x3b800000
	v_lshlrev_b32_e32 v6, 20, v6
	v_lshl_add_u32 v12, v12, 23, v14
	v_or3_b32 v12, v13, v12, v6
.LBB13_412:
	s_or_b64 exec, exec, s[6:7]
	s_movk_i32 s4, 0x7f
	v_cmp_gt_i16_sdwa s[6:7], v2, s4 src0_sel:BYTE_3 src1_sel:DWORD
	s_mov_b64 s[4:5], 0
                                        ; implicit-def: $sgpr10
	s_and_saveexec_b64 s[8:9], s[6:7]
	s_xor_b64 s[6:7], exec, s[8:9]
	s_cbranch_execnz .LBB13_2461
; %bb.413:
	s_or_saveexec_b64 s[6:7], s[6:7]
	v_mov_b32_e32 v6, s10
	s_xor_b64 exec, exec, s[6:7]
	s_cbranch_execnz .LBB13_2464
.LBB13_414:
	s_or_b64 exec, exec, s[6:7]
	s_and_saveexec_b64 s[6:7], s[4:5]
	s_cbranch_execz .LBB13_416
.LBB13_415:
	v_bfe_u32 v6, v2, 24, 3
	v_ffbh_u32_e32 v16, v6
	v_min_u32_e32 v16, 32, v16
	v_lshrrev_b32_e32 v14, 27, v2
	v_subrev_u32_e32 v17, 28, v16
	v_and_b32_e32 v13, 0x80000000, v2
	v_and_b32_e32 v14, 15, v14
	v_bfe_u32 v15, v2, 27, 4
	v_lshlrev_b32_sdwa v2, v17, v2 dst_sel:DWORD dst_unused:UNUSED_PAD src0_sel:DWORD src1_sel:BYTE_3
	v_sub_u32_e32 v16, 29, v16
	v_and_b32_e32 v2, 7, v2
	v_cmp_eq_u16_e32 vcc, 0, v14
	v_cndmask_b32_e32 v2, v6, v2, vcc
	v_cndmask_b32_e32 v6, v15, v16, vcc
	v_mov_b32_e32 v14, 0x3b800000
	v_lshlrev_b32_e32 v2, 20, v2
	v_lshl_add_u32 v6, v6, 23, v14
	v_or3_b32 v6, v13, v6, v2
.LBB13_416:
	s_or_b64 exec, exec, s[6:7]
	s_nop 0
	v_mfma_f32_16x16x4f32 a[0:3], v12, v6, a[0:3]
	s_movk_i32 s4, 0x7f
	v_cmp_gt_i16_sdwa s[6:7], v7, s4 src0_sel:BYTE_0 src1_sel:DWORD
	s_mov_b64 s[4:5], 0
                                        ; implicit-def: $sgpr10
	s_and_saveexec_b64 s[8:9], s[6:7]
	s_xor_b64 s[6:7], exec, s[8:9]
	s_cbranch_execnz .LBB13_2465
; %bb.417:
	s_or_saveexec_b64 s[6:7], s[6:7]
	v_mov_b32_e32 v2, s10
	s_xor_b64 exec, exec, s[6:7]
	s_cbranch_execnz .LBB13_2468
.LBB13_418:
	s_or_b64 exec, exec, s[6:7]
	s_and_saveexec_b64 s[6:7], s[4:5]
	s_cbranch_execz .LBB13_420
.LBB13_419:
	v_and_b32_e32 v2, 7, v7
	v_ffbh_u32_e32 v12, v2
	v_min_u32_e32 v12, 32, v12
	v_lshrrev_b16_e32 v6, 3, v7
	v_subrev_u32_e32 v13, 28, v12
	v_and_b32_e32 v6, 15, v6
	v_lshlrev_b32_e32 v13, v13, v7
	v_sub_u32_e32 v12, 29, v12
	v_and_b32_e32 v13, 7, v13
	v_cmp_eq_u16_e32 vcc, 0, v6
	v_cndmask_b32_e32 v2, v2, v13, vcc
	v_cndmask_b32_e32 v6, v6, v12, vcc
	v_lshlrev_b32_e32 v12, 24, v7
	v_mov_b32_e32 v13, 0x3b800000
	v_lshlrev_b32_e32 v2, 20, v2
	v_and_b32_e32 v12, 0x80000000, v12
	v_lshl_add_u32 v6, v6, 23, v13
	v_or3_b32 v2, v12, v6, v2
.LBB13_420:
	s_or_b64 exec, exec, s[6:7]
	s_movk_i32 s4, 0x7f
	v_cmp_gt_i16_sdwa s[6:7], v3, s4 src0_sel:BYTE_0 src1_sel:DWORD
	s_mov_b64 s[4:5], 0
                                        ; implicit-def: $sgpr10
	s_and_saveexec_b64 s[8:9], s[6:7]
	s_xor_b64 s[6:7], exec, s[8:9]
	s_cbranch_execnz .LBB13_2469
; %bb.421:
	s_or_saveexec_b64 s[6:7], s[6:7]
	v_mov_b32_e32 v6, s10
	s_xor_b64 exec, exec, s[6:7]
	s_cbranch_execnz .LBB13_2472
.LBB13_422:
	s_or_b64 exec, exec, s[6:7]
	s_and_saveexec_b64 s[6:7], s[4:5]
	s_cbranch_execz .LBB13_424
.LBB13_423:
	v_and_b32_e32 v6, 7, v3
	v_ffbh_u32_e32 v13, v6
	v_min_u32_e32 v13, 32, v13
	v_lshrrev_b16_e32 v12, 3, v3
	v_subrev_u32_e32 v14, 28, v13
	v_and_b32_e32 v12, 15, v12
	v_lshlrev_b32_e32 v14, v14, v3
	v_sub_u32_e32 v13, 29, v13
	v_and_b32_e32 v14, 7, v14
	v_cmp_eq_u16_e32 vcc, 0, v12
	v_cndmask_b32_e32 v6, v6, v14, vcc
	v_cndmask_b32_e32 v12, v12, v13, vcc
	v_lshlrev_b32_e32 v13, 24, v3
	v_mov_b32_e32 v14, 0x3b800000
	v_lshlrev_b32_e32 v6, 20, v6
	v_and_b32_e32 v13, 0x80000000, v13
	v_lshl_add_u32 v12, v12, 23, v14
	v_or3_b32 v6, v13, v12, v6
.LBB13_424:
	s_or_b64 exec, exec, s[6:7]
	s_nop 0
	v_mfma_f32_16x16x4f32 a[0:3], v2, v6, a[0:3]
	v_lshrrev_b32_e32 v6, 8, v7
	s_movk_i32 s4, 0x7f
	v_cmp_gt_i16_sdwa s[6:7], v6, s4 src0_sel:BYTE_0 src1_sel:DWORD
	s_mov_b64 s[4:5], 0
                                        ; implicit-def: $sgpr10
	s_and_saveexec_b64 s[8:9], s[6:7]
	s_xor_b64 s[6:7], exec, s[8:9]
	s_cbranch_execnz .LBB13_2473
; %bb.425:
	s_or_saveexec_b64 s[6:7], s[6:7]
	v_mov_b32_e32 v2, s10
	s_xor_b64 exec, exec, s[6:7]
	s_cbranch_execnz .LBB13_2476
.LBB13_426:
	s_or_b64 exec, exec, s[6:7]
	s_and_saveexec_b64 s[6:7], s[4:5]
	s_cbranch_execz .LBB13_428
.LBB13_427:
	v_bfe_u32 v2, v7, 8, 3
	v_ffbh_u32_e32 v13, v2
	v_min_u32_e32 v13, 32, v13
	v_lshrrev_b16_e32 v12, 3, v6
	v_subrev_u32_e32 v14, 28, v13
	v_and_b32_e32 v12, 15, v12
	v_lshlrev_b32_e32 v6, v14, v6
	v_sub_u32_e32 v13, 29, v13
	v_and_b32_e32 v6, 7, v6
	v_cmp_eq_u16_e32 vcc, 0, v12
	v_cndmask_b32_e32 v2, v2, v6, vcc
	v_cndmask_b32_e32 v6, v12, v13, vcc
	v_lshlrev_b32_e32 v12, 16, v7
	v_mov_b32_e32 v13, 0x3b800000
	v_lshlrev_b32_e32 v2, 20, v2
	v_and_b32_e32 v12, 0x80000000, v12
	v_lshl_add_u32 v6, v6, 23, v13
	v_or3_b32 v2, v12, v6, v2
.LBB13_428:
	s_or_b64 exec, exec, s[6:7]
	v_lshrrev_b32_e32 v6, 8, v3
	s_movk_i32 s4, 0x7f
	v_cmp_gt_i16_sdwa s[6:7], v6, s4 src0_sel:BYTE_0 src1_sel:DWORD
	s_mov_b64 s[4:5], 0
                                        ; implicit-def: $sgpr10
	s_and_saveexec_b64 s[8:9], s[6:7]
	s_xor_b64 s[6:7], exec, s[8:9]
	s_cbranch_execnz .LBB13_2477
; %bb.429:
	s_or_saveexec_b64 s[6:7], s[6:7]
	v_mov_b32_e32 v12, s10
	s_xor_b64 exec, exec, s[6:7]
	s_cbranch_execnz .LBB13_2480
.LBB13_430:
	s_or_b64 exec, exec, s[6:7]
	s_and_saveexec_b64 s[6:7], s[4:5]
	s_cbranch_execz .LBB13_432
.LBB13_431:
	v_bfe_u32 v12, v3, 8, 3
	v_ffbh_u32_e32 v14, v12
	v_min_u32_e32 v14, 32, v14
	v_lshrrev_b16_e32 v13, 3, v6
	v_subrev_u32_e32 v15, 28, v14
	v_and_b32_e32 v13, 15, v13
	v_lshlrev_b32_e32 v6, v15, v6
	v_sub_u32_e32 v14, 29, v14
	v_and_b32_e32 v6, 7, v6
	v_cmp_eq_u16_e32 vcc, 0, v13
	v_cndmask_b32_e32 v6, v12, v6, vcc
	v_cndmask_b32_e32 v12, v13, v14, vcc
	v_lshlrev_b32_e32 v13, 16, v3
	v_mov_b32_e32 v14, 0x3b800000
	v_lshlrev_b32_e32 v6, 20, v6
	v_and_b32_e32 v13, 0x80000000, v13
	v_lshl_add_u32 v12, v12, 23, v14
	v_or3_b32 v12, v13, v12, v6
.LBB13_432:
	s_or_b64 exec, exec, s[6:7]
	s_nop 0
	v_mfma_f32_16x16x4f32 a[0:3], v2, v12, a[0:3]
	s_movk_i32 s4, 0xff
	v_and_b32_sdwa v6, v7, s4 dst_sel:DWORD dst_unused:UNUSED_PAD src0_sel:WORD_1 src1_sel:DWORD
	s_movk_i32 s4, 0x7f
	v_cmp_lt_i16_e32 vcc, s4, v6
	s_mov_b64 s[4:5], 0
                                        ; implicit-def: $sgpr10
	s_and_saveexec_b64 s[6:7], vcc
	s_xor_b64 s[6:7], exec, s[6:7]
	s_cbranch_execnz .LBB13_2481
; %bb.433:
	s_or_saveexec_b64 s[6:7], s[6:7]
	v_mov_b32_e32 v2, s10
	s_xor_b64 exec, exec, s[6:7]
	s_cbranch_execnz .LBB13_2484
.LBB13_434:
	s_or_b64 exec, exec, s[6:7]
	s_and_saveexec_b64 s[6:7], s[4:5]
	s_cbranch_execz .LBB13_436
.LBB13_435:
	v_bfe_u32 v2, v7, 16, 3
	v_ffbh_u32_e32 v13, v2
	v_min_u32_e32 v13, 32, v13
	v_lshrrev_b32_e32 v6, 19, v7
	v_subrev_u32_e32 v14, 28, v13
	v_and_b32_e32 v6, 15, v6
	v_lshlrev_b32_sdwa v14, v14, v7 dst_sel:DWORD dst_unused:UNUSED_PAD src0_sel:DWORD src1_sel:WORD_1
	v_bfe_u32 v12, v7, 19, 4
	v_sub_u32_e32 v13, 29, v13
	v_and_b32_e32 v14, 7, v14
	v_cmp_eq_u16_e32 vcc, 0, v6
	v_cndmask_b32_e32 v2, v2, v14, vcc
	v_cndmask_b32_e32 v6, v12, v13, vcc
	v_lshlrev_b32_e32 v12, 8, v7
	v_mov_b32_e32 v13, 0x3b800000
	v_lshlrev_b32_e32 v2, 20, v2
	v_and_b32_e32 v12, 0x80000000, v12
	v_lshl_add_u32 v6, v6, 23, v13
	v_or3_b32 v2, v12, v6, v2
.LBB13_436:
	s_or_b64 exec, exec, s[6:7]
	s_movk_i32 s4, 0xff
	v_and_b32_sdwa v6, v3, s4 dst_sel:DWORD dst_unused:UNUSED_PAD src0_sel:WORD_1 src1_sel:DWORD
	s_movk_i32 s4, 0x7f
	v_cmp_lt_i16_e32 vcc, s4, v6
	s_mov_b64 s[4:5], 0
                                        ; implicit-def: $sgpr10
	s_and_saveexec_b64 s[6:7], vcc
	s_xor_b64 s[6:7], exec, s[6:7]
	s_cbranch_execnz .LBB13_2485
; %bb.437:
	s_or_saveexec_b64 s[6:7], s[6:7]
	v_mov_b32_e32 v12, s10
	s_xor_b64 exec, exec, s[6:7]
	s_cbranch_execnz .LBB13_2488
.LBB13_438:
	s_or_b64 exec, exec, s[6:7]
	s_and_saveexec_b64 s[6:7], s[4:5]
	s_cbranch_execz .LBB13_440
.LBB13_439:
	v_bfe_u32 v6, v3, 16, 3
	v_ffbh_u32_e32 v14, v6
	v_min_u32_e32 v14, 32, v14
	v_lshrrev_b32_e32 v12, 19, v3
	v_subrev_u32_e32 v15, 28, v14
	v_and_b32_e32 v12, 15, v12
	v_lshlrev_b32_sdwa v15, v15, v3 dst_sel:DWORD dst_unused:UNUSED_PAD src0_sel:DWORD src1_sel:WORD_1
	v_bfe_u32 v13, v3, 19, 4
	v_sub_u32_e32 v14, 29, v14
	v_and_b32_e32 v15, 7, v15
	v_cmp_eq_u16_e32 vcc, 0, v12
	v_cndmask_b32_e32 v6, v6, v15, vcc
	v_cndmask_b32_e32 v12, v13, v14, vcc
	v_lshlrev_b32_e32 v13, 8, v3
	v_mov_b32_e32 v14, 0x3b800000
	v_lshlrev_b32_e32 v6, 20, v6
	v_and_b32_e32 v13, 0x80000000, v13
	v_lshl_add_u32 v12, v12, 23, v14
	v_or3_b32 v12, v13, v12, v6
.LBB13_440:
	s_or_b64 exec, exec, s[6:7]
	s_nop 0
	v_mfma_f32_16x16x4f32 a[0:3], v2, v12, a[0:3]
	s_movk_i32 s4, 0x7f
	v_cmp_gt_i16_sdwa s[6:7], v7, s4 src0_sel:BYTE_3 src1_sel:DWORD
	s_mov_b64 s[4:5], 0
                                        ; implicit-def: $sgpr10
	s_and_saveexec_b64 s[8:9], s[6:7]
	s_xor_b64 s[6:7], exec, s[8:9]
	s_cbranch_execnz .LBB13_2489
; %bb.441:
	s_or_saveexec_b64 s[6:7], s[6:7]
	v_mov_b32_e32 v2, s10
	s_xor_b64 exec, exec, s[6:7]
	s_cbranch_execnz .LBB13_2492
.LBB13_442:
	s_or_b64 exec, exec, s[6:7]
	s_and_saveexec_b64 s[6:7], s[4:5]
	s_cbranch_execz .LBB13_444
.LBB13_443:
	v_bfe_u32 v2, v7, 24, 3
	v_ffbh_u32_e32 v14, v2
	v_min_u32_e32 v14, 32, v14
	v_lshrrev_b32_e32 v12, 27, v7
	v_subrev_u32_e32 v15, 28, v14
	v_and_b32_e32 v6, 0x80000000, v7
	v_and_b32_e32 v12, 15, v12
	v_bfe_u32 v13, v7, 27, 4
	v_lshlrev_b32_sdwa v7, v15, v7 dst_sel:DWORD dst_unused:UNUSED_PAD src0_sel:DWORD src1_sel:BYTE_3
	v_sub_u32_e32 v14, 29, v14
	v_and_b32_e32 v7, 7, v7
	v_cmp_eq_u16_e32 vcc, 0, v12
	v_cndmask_b32_e32 v2, v2, v7, vcc
	v_cndmask_b32_e32 v7, v13, v14, vcc
	v_mov_b32_e32 v12, 0x3b800000
	v_lshlrev_b32_e32 v2, 20, v2
	v_lshl_add_u32 v7, v7, 23, v12
	v_or3_b32 v2, v6, v7, v2
.LBB13_444:
	s_or_b64 exec, exec, s[6:7]
	s_movk_i32 s4, 0x7f
	v_cmp_gt_i16_sdwa s[6:7], v3, s4 src0_sel:BYTE_3 src1_sel:DWORD
	s_mov_b64 s[4:5], 0
                                        ; implicit-def: $sgpr10
	s_and_saveexec_b64 s[8:9], s[6:7]
	s_xor_b64 s[6:7], exec, s[8:9]
	s_cbranch_execnz .LBB13_2493
; %bb.445:
	s_or_saveexec_b64 s[6:7], s[6:7]
	v_mov_b32_e32 v6, s10
	s_xor_b64 exec, exec, s[6:7]
	s_cbranch_execnz .LBB13_2496
.LBB13_446:
	s_or_b64 exec, exec, s[6:7]
	s_and_saveexec_b64 s[6:7], s[4:5]
	s_cbranch_execz .LBB13_448
.LBB13_447:
	v_bfe_u32 v6, v3, 24, 3
	v_ffbh_u32_e32 v14, v6
	v_min_u32_e32 v14, 32, v14
	v_lshrrev_b32_e32 v12, 27, v3
	v_subrev_u32_e32 v15, 28, v14
	v_and_b32_e32 v7, 0x80000000, v3
	v_and_b32_e32 v12, 15, v12
	v_bfe_u32 v13, v3, 27, 4
	v_lshlrev_b32_sdwa v3, v15, v3 dst_sel:DWORD dst_unused:UNUSED_PAD src0_sel:DWORD src1_sel:BYTE_3
	v_sub_u32_e32 v14, 29, v14
	v_and_b32_e32 v3, 7, v3
	v_cmp_eq_u16_e32 vcc, 0, v12
	v_cndmask_b32_e32 v3, v6, v3, vcc
	v_cndmask_b32_e32 v6, v13, v14, vcc
	v_mov_b32_e32 v12, 0x3b800000
	v_lshlrev_b32_e32 v3, 20, v3
	v_lshl_add_u32 v6, v6, 23, v12
	v_or3_b32 v6, v7, v6, v3
.LBB13_448:
	s_or_b64 exec, exec, s[6:7]
	s_nop 0
	v_mfma_f32_16x16x4f32 a[0:3], v2, v6, a[0:3]
	s_movk_i32 s4, 0x7f
	v_cmp_gt_i16_sdwa s[6:7], v8, s4 src0_sel:BYTE_0 src1_sel:DWORD
	s_mov_b64 s[4:5], 0
                                        ; implicit-def: $sgpr10
	s_and_saveexec_b64 s[8:9], s[6:7]
	s_xor_b64 s[6:7], exec, s[8:9]
	s_cbranch_execnz .LBB13_2497
; %bb.449:
	s_or_saveexec_b64 s[6:7], s[6:7]
	v_mov_b32_e32 v2, s10
	s_xor_b64 exec, exec, s[6:7]
	s_cbranch_execnz .LBB13_2500
.LBB13_450:
	s_or_b64 exec, exec, s[6:7]
	s_and_saveexec_b64 s[6:7], s[4:5]
	s_cbranch_execz .LBB13_452
.LBB13_451:
	v_and_b32_e32 v2, 7, v8
	v_ffbh_u32_e32 v6, v2
	v_min_u32_e32 v6, 32, v6
	v_lshrrev_b16_e32 v3, 3, v8
	v_subrev_u32_e32 v7, 28, v6
	v_and_b32_e32 v3, 15, v3
	v_lshlrev_b32_e32 v7, v7, v8
	v_sub_u32_e32 v6, 29, v6
	v_and_b32_e32 v7, 7, v7
	v_cmp_eq_u16_e32 vcc, 0, v3
	v_cndmask_b32_e32 v2, v2, v7, vcc
	v_cndmask_b32_e32 v3, v3, v6, vcc
	v_lshlrev_b32_e32 v6, 24, v8
	v_mov_b32_e32 v7, 0x3b800000
	v_lshlrev_b32_e32 v2, 20, v2
	v_and_b32_e32 v6, 0x80000000, v6
	v_lshl_add_u32 v3, v3, 23, v7
	v_or3_b32 v2, v6, v3, v2
.LBB13_452:
	s_or_b64 exec, exec, s[6:7]
	s_movk_i32 s4, 0x7f
	v_cmp_gt_i16_sdwa s[6:7], v4, s4 src0_sel:BYTE_0 src1_sel:DWORD
	s_mov_b64 s[4:5], 0
                                        ; implicit-def: $sgpr10
	s_and_saveexec_b64 s[8:9], s[6:7]
	s_xor_b64 s[6:7], exec, s[8:9]
	s_cbranch_execnz .LBB13_2501
; %bb.453:
	s_or_saveexec_b64 s[6:7], s[6:7]
	v_mov_b32_e32 v3, s10
	s_xor_b64 exec, exec, s[6:7]
	s_cbranch_execnz .LBB13_2504
.LBB13_454:
	s_or_b64 exec, exec, s[6:7]
	s_and_saveexec_b64 s[6:7], s[4:5]
	s_cbranch_execz .LBB13_456
.LBB13_455:
	v_and_b32_e32 v3, 7, v4
	v_ffbh_u32_e32 v7, v3
	v_min_u32_e32 v7, 32, v7
	v_lshrrev_b16_e32 v6, 3, v4
	v_subrev_u32_e32 v12, 28, v7
	v_and_b32_e32 v6, 15, v6
	v_lshlrev_b32_e32 v12, v12, v4
	v_sub_u32_e32 v7, 29, v7
	v_and_b32_e32 v12, 7, v12
	v_cmp_eq_u16_e32 vcc, 0, v6
	v_cndmask_b32_e32 v3, v3, v12, vcc
	v_cndmask_b32_e32 v6, v6, v7, vcc
	v_lshlrev_b32_e32 v7, 24, v4
	v_mov_b32_e32 v12, 0x3b800000
	v_lshlrev_b32_e32 v3, 20, v3
	v_and_b32_e32 v7, 0x80000000, v7
	v_lshl_add_u32 v6, v6, 23, v12
	v_or3_b32 v3, v7, v6, v3
.LBB13_456:
	s_or_b64 exec, exec, s[6:7]
	s_nop 0
	v_mfma_f32_16x16x4f32 a[0:3], v2, v3, a[0:3]
	v_lshrrev_b32_e32 v3, 8, v8
	s_movk_i32 s4, 0x7f
	v_cmp_gt_i16_sdwa s[6:7], v3, s4 src0_sel:BYTE_0 src1_sel:DWORD
	s_mov_b64 s[4:5], 0
                                        ; implicit-def: $sgpr10
	s_and_saveexec_b64 s[8:9], s[6:7]
	s_xor_b64 s[6:7], exec, s[8:9]
	s_cbranch_execnz .LBB13_2505
; %bb.457:
	s_or_saveexec_b64 s[6:7], s[6:7]
	v_mov_b32_e32 v2, s10
	s_xor_b64 exec, exec, s[6:7]
	s_cbranch_execnz .LBB13_2508
.LBB13_458:
	s_or_b64 exec, exec, s[6:7]
	s_and_saveexec_b64 s[6:7], s[4:5]
	s_cbranch_execz .LBB13_460
.LBB13_459:
	v_bfe_u32 v2, v8, 8, 3
	v_ffbh_u32_e32 v7, v2
	v_min_u32_e32 v7, 32, v7
	v_lshrrev_b16_e32 v6, 3, v3
	v_subrev_u32_e32 v12, 28, v7
	v_and_b32_e32 v6, 15, v6
	v_lshlrev_b32_e32 v3, v12, v3
	v_sub_u32_e32 v7, 29, v7
	v_and_b32_e32 v3, 7, v3
	v_cmp_eq_u16_e32 vcc, 0, v6
	v_cndmask_b32_e32 v2, v2, v3, vcc
	v_cndmask_b32_e32 v3, v6, v7, vcc
	v_lshlrev_b32_e32 v6, 16, v8
	v_mov_b32_e32 v7, 0x3b800000
	v_lshlrev_b32_e32 v2, 20, v2
	v_and_b32_e32 v6, 0x80000000, v6
	v_lshl_add_u32 v3, v3, 23, v7
	v_or3_b32 v2, v6, v3, v2
.LBB13_460:
	s_or_b64 exec, exec, s[6:7]
	v_lshrrev_b32_e32 v3, 8, v4
	s_movk_i32 s4, 0x7f
	v_cmp_gt_i16_sdwa s[6:7], v3, s4 src0_sel:BYTE_0 src1_sel:DWORD
	s_mov_b64 s[4:5], 0
                                        ; implicit-def: $sgpr10
	s_and_saveexec_b64 s[8:9], s[6:7]
	s_xor_b64 s[6:7], exec, s[8:9]
	s_cbranch_execnz .LBB13_2509
; %bb.461:
	s_or_saveexec_b64 s[6:7], s[6:7]
	v_mov_b32_e32 v6, s10
	s_xor_b64 exec, exec, s[6:7]
	s_cbranch_execnz .LBB13_2512
.LBB13_462:
	s_or_b64 exec, exec, s[6:7]
	s_and_saveexec_b64 s[6:7], s[4:5]
	s_cbranch_execz .LBB13_464
.LBB13_463:
	v_bfe_u32 v6, v4, 8, 3
	v_ffbh_u32_e32 v12, v6
	v_min_u32_e32 v12, 32, v12
	v_lshrrev_b16_e32 v7, 3, v3
	v_subrev_u32_e32 v13, 28, v12
	v_and_b32_e32 v7, 15, v7
	v_lshlrev_b32_e32 v3, v13, v3
	v_sub_u32_e32 v12, 29, v12
	v_and_b32_e32 v3, 7, v3
	v_cmp_eq_u16_e32 vcc, 0, v7
	v_cndmask_b32_e32 v3, v6, v3, vcc
	v_cndmask_b32_e32 v6, v7, v12, vcc
	v_lshlrev_b32_e32 v7, 16, v4
	v_mov_b32_e32 v12, 0x3b800000
	v_lshlrev_b32_e32 v3, 20, v3
	v_and_b32_e32 v7, 0x80000000, v7
	v_lshl_add_u32 v6, v6, 23, v12
	v_or3_b32 v6, v7, v6, v3
.LBB13_464:
	s_or_b64 exec, exec, s[6:7]
	s_nop 0
	v_mfma_f32_16x16x4f32 a[0:3], v2, v6, a[0:3]
	s_movk_i32 s4, 0xff
	v_and_b32_sdwa v3, v8, s4 dst_sel:DWORD dst_unused:UNUSED_PAD src0_sel:WORD_1 src1_sel:DWORD
	s_movk_i32 s4, 0x7f
	v_cmp_lt_i16_e32 vcc, s4, v3
	s_mov_b64 s[4:5], 0
                                        ; implicit-def: $sgpr10
	s_and_saveexec_b64 s[6:7], vcc
	s_xor_b64 s[6:7], exec, s[6:7]
	s_cbranch_execnz .LBB13_2513
; %bb.465:
	s_or_saveexec_b64 s[6:7], s[6:7]
	v_mov_b32_e32 v2, s10
	s_xor_b64 exec, exec, s[6:7]
	s_cbranch_execnz .LBB13_2516
.LBB13_466:
	s_or_b64 exec, exec, s[6:7]
	s_and_saveexec_b64 s[6:7], s[4:5]
	s_cbranch_execz .LBB13_468
.LBB13_467:
	v_bfe_u32 v2, v8, 16, 3
	v_ffbh_u32_e32 v7, v2
	v_min_u32_e32 v7, 32, v7
	v_lshrrev_b32_e32 v3, 19, v8
	v_subrev_u32_e32 v12, 28, v7
	v_and_b32_e32 v3, 15, v3
	v_lshlrev_b32_sdwa v12, v12, v8 dst_sel:DWORD dst_unused:UNUSED_PAD src0_sel:DWORD src1_sel:WORD_1
	v_bfe_u32 v6, v8, 19, 4
	v_sub_u32_e32 v7, 29, v7
	v_and_b32_e32 v12, 7, v12
	v_cmp_eq_u16_e32 vcc, 0, v3
	v_cndmask_b32_e32 v2, v2, v12, vcc
	v_cndmask_b32_e32 v3, v6, v7, vcc
	v_lshlrev_b32_e32 v6, 8, v8
	v_mov_b32_e32 v7, 0x3b800000
	v_lshlrev_b32_e32 v2, 20, v2
	v_and_b32_e32 v6, 0x80000000, v6
	v_lshl_add_u32 v3, v3, 23, v7
	v_or3_b32 v2, v6, v3, v2
.LBB13_468:
	s_or_b64 exec, exec, s[6:7]
	s_movk_i32 s4, 0xff
	v_and_b32_sdwa v3, v4, s4 dst_sel:DWORD dst_unused:UNUSED_PAD src0_sel:WORD_1 src1_sel:DWORD
	s_movk_i32 s4, 0x7f
	v_cmp_lt_i16_e32 vcc, s4, v3
	s_mov_b64 s[4:5], 0
                                        ; implicit-def: $sgpr10
	s_and_saveexec_b64 s[6:7], vcc
	s_xor_b64 s[6:7], exec, s[6:7]
	s_cbranch_execnz .LBB13_2517
; %bb.469:
	s_or_saveexec_b64 s[6:7], s[6:7]
	v_mov_b32_e32 v6, s10
	s_xor_b64 exec, exec, s[6:7]
	s_cbranch_execnz .LBB13_2520
.LBB13_470:
	s_or_b64 exec, exec, s[6:7]
	s_and_saveexec_b64 s[6:7], s[4:5]
	s_cbranch_execz .LBB13_472
.LBB13_471:
	v_bfe_u32 v3, v4, 16, 3
	v_ffbh_u32_e32 v12, v3
	v_min_u32_e32 v12, 32, v12
	v_lshrrev_b32_e32 v6, 19, v4
	v_subrev_u32_e32 v13, 28, v12
	v_and_b32_e32 v6, 15, v6
	v_lshlrev_b32_sdwa v13, v13, v4 dst_sel:DWORD dst_unused:UNUSED_PAD src0_sel:DWORD src1_sel:WORD_1
	v_bfe_u32 v7, v4, 19, 4
	v_sub_u32_e32 v12, 29, v12
	v_and_b32_e32 v13, 7, v13
	v_cmp_eq_u16_e32 vcc, 0, v6
	v_cndmask_b32_e32 v3, v3, v13, vcc
	v_cndmask_b32_e32 v6, v7, v12, vcc
	v_lshlrev_b32_e32 v7, 8, v4
	v_mov_b32_e32 v12, 0x3b800000
	v_lshlrev_b32_e32 v3, 20, v3
	v_and_b32_e32 v7, 0x80000000, v7
	v_lshl_add_u32 v6, v6, 23, v12
	v_or3_b32 v6, v7, v6, v3
.LBB13_472:
	s_or_b64 exec, exec, s[6:7]
	s_nop 0
	v_mfma_f32_16x16x4f32 a[0:3], v2, v6, a[0:3]
	s_movk_i32 s4, 0x7f
	v_cmp_gt_i16_sdwa s[6:7], v8, s4 src0_sel:BYTE_3 src1_sel:DWORD
	s_mov_b64 s[4:5], 0
                                        ; implicit-def: $sgpr10
	s_and_saveexec_b64 s[8:9], s[6:7]
	s_xor_b64 s[6:7], exec, s[8:9]
	s_cbranch_execnz .LBB13_2521
; %bb.473:
	s_or_saveexec_b64 s[6:7], s[6:7]
	v_mov_b32_e32 v2, s10
	s_xor_b64 exec, exec, s[6:7]
	s_cbranch_execnz .LBB13_2524
.LBB13_474:
	s_or_b64 exec, exec, s[6:7]
	s_and_saveexec_b64 s[6:7], s[4:5]
	s_cbranch_execz .LBB13_476
.LBB13_475:
	v_bfe_u32 v2, v8, 24, 3
	v_ffbh_u32_e32 v12, v2
	v_min_u32_e32 v12, 32, v12
	v_lshrrev_b32_e32 v6, 27, v8
	v_subrev_u32_e32 v13, 28, v12
	v_and_b32_e32 v3, 0x80000000, v8
	v_and_b32_e32 v6, 15, v6
	v_bfe_u32 v7, v8, 27, 4
	v_lshlrev_b32_sdwa v8, v13, v8 dst_sel:DWORD dst_unused:UNUSED_PAD src0_sel:DWORD src1_sel:BYTE_3
	v_sub_u32_e32 v12, 29, v12
	v_and_b32_e32 v8, 7, v8
	v_cmp_eq_u16_e32 vcc, 0, v6
	v_cndmask_b32_e32 v2, v2, v8, vcc
	v_cndmask_b32_e32 v6, v7, v12, vcc
	v_mov_b32_e32 v7, 0x3b800000
	v_lshlrev_b32_e32 v2, 20, v2
	v_lshl_add_u32 v6, v6, 23, v7
	v_or3_b32 v2, v3, v6, v2
.LBB13_476:
	s_or_b64 exec, exec, s[6:7]
	s_movk_i32 s4, 0x7f
	v_cmp_gt_i16_sdwa s[6:7], v4, s4 src0_sel:BYTE_3 src1_sel:DWORD
	s_mov_b64 s[4:5], 0
                                        ; implicit-def: $sgpr10
	s_and_saveexec_b64 s[8:9], s[6:7]
	s_xor_b64 s[6:7], exec, s[8:9]
	s_cbranch_execnz .LBB13_2525
; %bb.477:
	s_or_saveexec_b64 s[6:7], s[6:7]
	v_mov_b32_e32 v3, s10
	s_xor_b64 exec, exec, s[6:7]
	s_cbranch_execnz .LBB13_2528
.LBB13_478:
	s_or_b64 exec, exec, s[6:7]
	s_and_saveexec_b64 s[6:7], s[4:5]
	s_cbranch_execz .LBB13_480
.LBB13_479:
	v_bfe_u32 v3, v4, 24, 3
	v_ffbh_u32_e32 v12, v3
	v_min_u32_e32 v12, 32, v12
	v_lshrrev_b32_e32 v7, 27, v4
	v_subrev_u32_e32 v13, 28, v12
	v_and_b32_e32 v6, 0x80000000, v4
	v_and_b32_e32 v7, 15, v7
	v_bfe_u32 v8, v4, 27, 4
	v_lshlrev_b32_sdwa v4, v13, v4 dst_sel:DWORD dst_unused:UNUSED_PAD src0_sel:DWORD src1_sel:BYTE_3
	v_sub_u32_e32 v12, 29, v12
	v_and_b32_e32 v4, 7, v4
	v_cmp_eq_u16_e32 vcc, 0, v7
	v_cndmask_b32_e32 v3, v3, v4, vcc
	v_cndmask_b32_e32 v4, v8, v12, vcc
	v_mov_b32_e32 v7, 0x3b800000
	v_lshlrev_b32_e32 v3, 20, v3
	v_lshl_add_u32 v4, v4, 23, v7
	v_or3_b32 v3, v6, v4, v3
.LBB13_480:
	s_or_b64 exec, exec, s[6:7]
	s_nop 0
	v_mfma_f32_16x16x4f32 a[0:3], v2, v3, a[0:3]
	s_movk_i32 s4, 0x7f
	v_cmp_gt_i16_sdwa s[6:7], v9, s4 src0_sel:BYTE_0 src1_sel:DWORD
	s_mov_b64 s[4:5], 0
                                        ; implicit-def: $sgpr10
	s_and_saveexec_b64 s[8:9], s[6:7]
	s_xor_b64 s[6:7], exec, s[8:9]
	s_cbranch_execnz .LBB13_2529
; %bb.481:
	s_or_saveexec_b64 s[6:7], s[6:7]
	v_mov_b32_e32 v2, s10
	s_xor_b64 exec, exec, s[6:7]
	s_cbranch_execnz .LBB13_2532
.LBB13_482:
	s_or_b64 exec, exec, s[6:7]
	s_and_saveexec_b64 s[6:7], s[4:5]
	s_cbranch_execz .LBB13_484
.LBB13_483:
	v_mov_b32_e32 v2, 8
	v_and_b32_e32 v3, 7, v9
	v_lshrrev_b32_sdwa v2, v2, v9 dst_sel:BYTE_1 dst_unused:UNUSED_PAD src0_sel:DWORD src1_sel:DWORD
	v_ffbh_u32_e32 v4, v3
	v_or_b32_sdwa v2, v9, v2 dst_sel:DWORD dst_unused:UNUSED_PAD src0_sel:BYTE_0 src1_sel:DWORD
	v_min_u32_e32 v4, 32, v4
	v_lshrrev_b16_e32 v2, 3, v2
	v_subrev_u32_e32 v6, 28, v4
	v_and_b32_e32 v2, 15, v2
	v_lshlrev_b32_e32 v6, v6, v9
	v_sub_u32_e32 v4, 29, v4
	v_and_b32_e32 v6, 7, v6
	v_cmp_eq_u16_e32 vcc, 0, v2
	v_cndmask_b32_e32 v3, v3, v6, vcc
	v_cndmask_b32_e32 v2, v2, v4, vcc
	v_lshlrev_b32_e32 v4, 24, v9
	v_mov_b32_e32 v6, 0x3b800000
	v_lshlrev_b32_e32 v3, 20, v3
	v_and_b32_e32 v4, 0x80000000, v4
	v_lshl_add_u32 v2, v2, 23, v6
	v_or3_b32 v2, v4, v2, v3
.LBB13_484:
	s_or_b64 exec, exec, s[6:7]
	s_movk_i32 s4, 0x7f
	v_cmp_gt_i16_sdwa s[6:7], v5, s4 src0_sel:BYTE_0 src1_sel:DWORD
	s_mov_b64 s[4:5], 0
                                        ; implicit-def: $sgpr10
	s_and_saveexec_b64 s[8:9], s[6:7]
	s_xor_b64 s[6:7], exec, s[8:9]
	s_cbranch_execnz .LBB13_2533
; %bb.485:
	s_or_saveexec_b64 s[6:7], s[6:7]
	v_mov_b32_e32 v3, s10
	s_xor_b64 exec, exec, s[6:7]
	s_cbranch_execnz .LBB13_2536
.LBB13_486:
	s_or_b64 exec, exec, s[6:7]
	s_and_saveexec_b64 s[6:7], s[4:5]
	s_cbranch_execz .LBB13_488
.LBB13_487:
	v_mov_b32_e32 v3, 8
	v_and_b32_e32 v4, 7, v5
	v_lshrrev_b32_sdwa v3, v3, v5 dst_sel:BYTE_1 dst_unused:UNUSED_PAD src0_sel:DWORD src1_sel:DWORD
	v_ffbh_u32_e32 v6, v4
	v_or_b32_sdwa v3, v5, v3 dst_sel:DWORD dst_unused:UNUSED_PAD src0_sel:BYTE_0 src1_sel:DWORD
	v_min_u32_e32 v6, 32, v6
	v_lshrrev_b16_e32 v3, 3, v3
	v_subrev_u32_e32 v7, 28, v6
	v_and_b32_e32 v3, 15, v3
	v_lshlrev_b32_e32 v7, v7, v5
	v_sub_u32_e32 v6, 29, v6
	v_and_b32_e32 v7, 7, v7
	v_cmp_eq_u16_e32 vcc, 0, v3
	v_cndmask_b32_e32 v4, v4, v7, vcc
	v_cndmask_b32_e32 v3, v3, v6, vcc
	v_lshlrev_b32_e32 v6, 24, v5
	v_mov_b32_e32 v7, 0x3b800000
	v_lshlrev_b32_e32 v4, 20, v4
	v_and_b32_e32 v6, 0x80000000, v6
	v_lshl_add_u32 v3, v3, 23, v7
	v_or3_b32 v3, v6, v3, v4
.LBB13_488:
	s_or_b64 exec, exec, s[6:7]
	s_nop 0
	v_mfma_f32_16x16x4f32 a[0:3], v2, v3, a[0:3]
	v_lshrrev_b32_e32 v3, 8, v9
	s_movk_i32 s4, 0x7f
	v_cmp_gt_i16_sdwa s[6:7], v3, s4 src0_sel:BYTE_0 src1_sel:DWORD
	s_mov_b64 s[4:5], 0
                                        ; implicit-def: $sgpr10
	s_and_saveexec_b64 s[8:9], s[6:7]
	s_xor_b64 s[6:7], exec, s[8:9]
	s_cbranch_execnz .LBB13_2537
; %bb.489:
	s_or_saveexec_b64 s[6:7], s[6:7]
	v_mov_b32_e32 v2, s10
	s_xor_b64 exec, exec, s[6:7]
	s_cbranch_execnz .LBB13_2540
.LBB13_490:
	s_or_b64 exec, exec, s[6:7]
	s_and_saveexec_b64 s[6:7], s[4:5]
	s_cbranch_execz .LBB13_492
.LBB13_491:
	v_bfe_u32 v2, v9, 8, 3
	v_ffbh_u32_e32 v6, v2
	v_min_u32_e32 v6, 32, v6
	v_lshrrev_b16_e32 v4, 3, v3
	v_subrev_u32_e32 v7, 28, v6
	v_and_b32_e32 v4, 15, v4
	v_lshlrev_b32_e32 v3, v7, v3
	v_sub_u32_e32 v6, 29, v6
	v_and_b32_e32 v3, 7, v3
	v_cmp_eq_u16_e32 vcc, 0, v4
	v_cndmask_b32_e32 v2, v2, v3, vcc
	v_cndmask_b32_e32 v3, v4, v6, vcc
	v_lshlrev_b32_e32 v4, 16, v9
	v_mov_b32_e32 v6, 0x3b800000
	v_lshlrev_b32_e32 v2, 20, v2
	v_and_b32_e32 v4, 0x80000000, v4
	v_lshl_add_u32 v3, v3, 23, v6
	v_or3_b32 v2, v4, v3, v2
.LBB13_492:
	s_or_b64 exec, exec, s[6:7]
	v_lshrrev_b32_e32 v3, 8, v5
	s_movk_i32 s4, 0x7f
	v_cmp_gt_i16_sdwa s[6:7], v3, s4 src0_sel:BYTE_0 src1_sel:DWORD
	s_mov_b64 s[4:5], 0
                                        ; implicit-def: $sgpr10
	s_and_saveexec_b64 s[8:9], s[6:7]
	s_xor_b64 s[6:7], exec, s[8:9]
	s_cbranch_execnz .LBB13_2541
; %bb.493:
	s_or_saveexec_b64 s[6:7], s[6:7]
	v_mov_b32_e32 v4, s10
	s_xor_b64 exec, exec, s[6:7]
	s_cbranch_execnz .LBB13_2544
.LBB13_494:
	s_or_b64 exec, exec, s[6:7]
	s_and_saveexec_b64 s[6:7], s[4:5]
	s_cbranch_execz .LBB13_496
.LBB13_495:
	v_bfe_u32 v4, v5, 8, 3
	v_ffbh_u32_e32 v7, v4
	v_min_u32_e32 v7, 32, v7
	v_lshrrev_b16_e32 v6, 3, v3
	v_subrev_u32_e32 v8, 28, v7
	v_and_b32_e32 v6, 15, v6
	v_lshlrev_b32_e32 v3, v8, v3
	v_sub_u32_e32 v7, 29, v7
	v_and_b32_e32 v3, 7, v3
	v_cmp_eq_u16_e32 vcc, 0, v6
	v_cndmask_b32_e32 v3, v4, v3, vcc
	v_cndmask_b32_e32 v4, v6, v7, vcc
	v_lshlrev_b32_e32 v6, 16, v5
	v_mov_b32_e32 v7, 0x3b800000
	v_lshlrev_b32_e32 v3, 20, v3
	v_and_b32_e32 v6, 0x80000000, v6
	v_lshl_add_u32 v4, v4, 23, v7
	v_or3_b32 v4, v6, v4, v3
.LBB13_496:
	s_or_b64 exec, exec, s[6:7]
	s_nop 0
	v_mfma_f32_16x16x4f32 a[0:3], v2, v4, a[0:3]
	s_movk_i32 s4, 0xff
	v_and_b32_sdwa v3, v9, s4 dst_sel:DWORD dst_unused:UNUSED_PAD src0_sel:WORD_1 src1_sel:DWORD
	s_movk_i32 s4, 0x7f
	v_cmp_lt_i16_e32 vcc, s4, v3
	s_mov_b64 s[4:5], 0
                                        ; implicit-def: $sgpr10
	s_and_saveexec_b64 s[6:7], vcc
	s_xor_b64 s[6:7], exec, s[6:7]
	s_cbranch_execnz .LBB13_2545
; %bb.497:
	s_or_saveexec_b64 s[6:7], s[6:7]
	v_mov_b32_e32 v2, s10
	s_xor_b64 exec, exec, s[6:7]
	s_cbranch_execnz .LBB13_2548
.LBB13_498:
	s_or_b64 exec, exec, s[6:7]
	s_and_saveexec_b64 s[6:7], s[4:5]
	s_cbranch_execz .LBB13_500
.LBB13_499:
	v_bfe_u32 v2, v9, 16, 3
	v_ffbh_u32_e32 v6, v2
	v_min_u32_e32 v6, 32, v6
	v_lshrrev_b32_e32 v3, 19, v9
	v_subrev_u32_e32 v7, 28, v6
	v_and_b32_e32 v3, 15, v3
	v_lshlrev_b32_sdwa v7, v7, v9 dst_sel:DWORD dst_unused:UNUSED_PAD src0_sel:DWORD src1_sel:WORD_1
	v_bfe_u32 v4, v9, 19, 4
	v_sub_u32_e32 v6, 29, v6
	v_and_b32_e32 v7, 7, v7
	v_cmp_eq_u16_e32 vcc, 0, v3
	v_cndmask_b32_e32 v2, v2, v7, vcc
	v_cndmask_b32_e32 v3, v4, v6, vcc
	v_lshlrev_b32_e32 v4, 8, v9
	v_mov_b32_e32 v6, 0x3b800000
	v_lshlrev_b32_e32 v2, 20, v2
	v_and_b32_e32 v4, 0x80000000, v4
	v_lshl_add_u32 v3, v3, 23, v6
	v_or3_b32 v2, v4, v3, v2
.LBB13_500:
	s_or_b64 exec, exec, s[6:7]
	s_movk_i32 s4, 0xff
	v_and_b32_sdwa v3, v5, s4 dst_sel:DWORD dst_unused:UNUSED_PAD src0_sel:WORD_1 src1_sel:DWORD
	s_movk_i32 s4, 0x7f
	v_cmp_lt_i16_e32 vcc, s4, v3
	s_mov_b64 s[4:5], 0
                                        ; implicit-def: $sgpr10
	s_and_saveexec_b64 s[6:7], vcc
	s_xor_b64 s[6:7], exec, s[6:7]
	s_cbranch_execnz .LBB13_2549
; %bb.501:
	s_or_saveexec_b64 s[6:7], s[6:7]
	v_mov_b32_e32 v4, s10
	s_xor_b64 exec, exec, s[6:7]
	s_cbranch_execnz .LBB13_2552
.LBB13_502:
	s_or_b64 exec, exec, s[6:7]
	s_and_saveexec_b64 s[6:7], s[4:5]
	s_cbranch_execz .LBB13_504
.LBB13_503:
	v_bfe_u32 v3, v5, 16, 3
	v_ffbh_u32_e32 v7, v3
	v_min_u32_e32 v7, 32, v7
	v_lshrrev_b32_e32 v4, 19, v5
	v_subrev_u32_e32 v8, 28, v7
	v_and_b32_e32 v4, 15, v4
	v_lshlrev_b32_sdwa v8, v8, v5 dst_sel:DWORD dst_unused:UNUSED_PAD src0_sel:DWORD src1_sel:WORD_1
	v_bfe_u32 v6, v5, 19, 4
	v_sub_u32_e32 v7, 29, v7
	v_and_b32_e32 v8, 7, v8
	v_cmp_eq_u16_e32 vcc, 0, v4
	v_cndmask_b32_e32 v3, v3, v8, vcc
	v_cndmask_b32_e32 v4, v6, v7, vcc
	v_lshlrev_b32_e32 v6, 8, v5
	v_mov_b32_e32 v7, 0x3b800000
	v_lshlrev_b32_e32 v3, 20, v3
	v_and_b32_e32 v6, 0x80000000, v6
	v_lshl_add_u32 v4, v4, 23, v7
	v_or3_b32 v4, v6, v4, v3
.LBB13_504:
	s_or_b64 exec, exec, s[6:7]
	s_nop 0
	v_mfma_f32_16x16x4f32 a[0:3], v2, v4, a[0:3]
	s_movk_i32 s4, 0x7f
	v_cmp_gt_i16_sdwa s[6:7], v9, s4 src0_sel:BYTE_3 src1_sel:DWORD
	s_mov_b64 s[4:5], 0
                                        ; implicit-def: $sgpr10
	s_and_saveexec_b64 s[8:9], s[6:7]
	s_xor_b64 s[6:7], exec, s[8:9]
	s_cbranch_execnz .LBB13_2553
; %bb.505:
	s_or_saveexec_b64 s[6:7], s[6:7]
	v_mov_b32_e32 v2, s10
	s_xor_b64 exec, exec, s[6:7]
	s_cbranch_execnz .LBB13_2556
.LBB13_506:
	s_or_b64 exec, exec, s[6:7]
	s_and_saveexec_b64 s[6:7], s[4:5]
	s_cbranch_execz .LBB13_508
.LBB13_507:
	v_bfe_u32 v2, v9, 24, 3
	v_ffbh_u32_e32 v7, v2
	v_min_u32_e32 v7, 32, v7
	v_lshrrev_b32_e32 v4, 27, v9
	v_subrev_u32_e32 v8, 28, v7
	v_and_b32_e32 v4, 15, v4
	v_lshlrev_b32_sdwa v8, v8, v9 dst_sel:DWORD dst_unused:UNUSED_PAD src0_sel:DWORD src1_sel:BYTE_3
	v_bfe_u32 v6, v9, 27, 4
	v_sub_u32_e32 v7, 29, v7
	v_and_b32_e32 v8, 7, v8
	v_cmp_eq_u16_e32 vcc, 0, v4
	v_cndmask_b32_e32 v2, v2, v8, vcc
	v_cndmask_b32_e32 v4, v6, v7, vcc
	v_mov_b32_e32 v6, 0x3b800000
	v_and_b32_e32 v3, 0x80000000, v9
	v_lshlrev_b32_e32 v2, 20, v2
	v_lshl_add_u32 v4, v4, 23, v6
	v_or3_b32 v2, v3, v4, v2
.LBB13_508:
	s_or_b64 exec, exec, s[6:7]
	s_movk_i32 s4, 0x7f
	v_cmp_gt_i16_sdwa s[6:7], v5, s4 src0_sel:BYTE_3 src1_sel:DWORD
	s_mov_b64 s[4:5], 0
                                        ; implicit-def: $sgpr10
	s_and_saveexec_b64 s[8:9], s[6:7]
	s_xor_b64 s[6:7], exec, s[8:9]
	s_cbranch_execnz .LBB13_2557
; %bb.509:
	s_or_saveexec_b64 s[6:7], s[6:7]
	v_mov_b32_e32 v3, s10
	s_xor_b64 exec, exec, s[6:7]
	s_cbranch_execnz .LBB13_2560
.LBB13_510:
	s_or_b64 exec, exec, s[6:7]
	s_and_saveexec_b64 s[6:7], s[4:5]
	s_cbranch_execz .LBB13_512
.LBB13_511:
	v_bfe_u32 v3, v5, 24, 3
	v_ffbh_u32_e32 v8, v3
	v_min_u32_e32 v8, 32, v8
	v_lshrrev_b32_e32 v6, 27, v5
	v_subrev_u32_e32 v9, 28, v8
	v_and_b32_e32 v4, 0x80000000, v5
	v_and_b32_e32 v6, 15, v6
	v_bfe_u32 v7, v5, 27, 4
	v_lshlrev_b32_sdwa v5, v9, v5 dst_sel:DWORD dst_unused:UNUSED_PAD src0_sel:DWORD src1_sel:BYTE_3
	v_sub_u32_e32 v8, 29, v8
	v_and_b32_e32 v5, 7, v5
	v_cmp_eq_u16_e32 vcc, 0, v6
	v_cndmask_b32_e32 v3, v3, v5, vcc
	v_cndmask_b32_e32 v5, v7, v8, vcc
	v_mov_b32_e32 v6, 0x3b800000
	v_lshlrev_b32_e32 v3, 20, v3
	v_lshl_add_u32 v5, v5, 23, v6
	v_or3_b32 v3, v4, v5, v3
.LBB13_512:
	s_or_b64 exec, exec, s[6:7]
	s_nop 0
	v_mfma_f32_16x16x4f32 a[0:3], v2, v3, a[0:3]
	s_movk_i32 s4, 0x7f
                                        ; implicit-def: $sgpr10
	s_nop 7
	s_nop 1
	flat_store_dwordx4 v[10:11], a[0:3] offset:48
	flat_load_dwordx4 v[12:15], v[0:1] offset:8
	s_nop 0
	flat_load_dwordx2 v[10:11], v[0:1] offset:32
	s_waitcnt vmcnt(0) lgkmcnt(0)
	flat_load_dwordx4 v[6:9], v[12:13] offset:48
	flat_load_dwordx4 v[2:5], v[14:15] offset:16
	s_waitcnt vmcnt(0) lgkmcnt(0)
	v_cmp_gt_i16_sdwa s[6:7], v6, s4 src0_sel:BYTE_0 src1_sel:DWORD
	s_mov_b64 s[4:5], 0
	s_and_saveexec_b64 s[8:9], s[6:7]
	s_xor_b64 s[6:7], exec, s[8:9]
	s_cbranch_execnz .LBB13_2561
; %bb.513:
	s_or_saveexec_b64 s[6:7], s[6:7]
	v_mov_b32_e32 v12, s10
	s_xor_b64 exec, exec, s[6:7]
	s_cbranch_execnz .LBB13_2564
.LBB13_514:
	s_or_b64 exec, exec, s[6:7]
	s_and_saveexec_b64 s[6:7], s[4:5]
	s_cbranch_execz .LBB13_516
.LBB13_515:
	v_and_b32_e32 v12, 7, v6
	v_ffbh_u32_e32 v14, v12
	v_min_u32_e32 v14, 32, v14
	v_lshrrev_b16_e32 v13, 3, v6
	v_subrev_u32_e32 v15, 28, v14
	v_and_b32_e32 v13, 15, v13
	v_lshlrev_b32_e32 v15, v15, v6
	v_sub_u32_e32 v14, 29, v14
	v_and_b32_e32 v15, 7, v15
	v_cmp_eq_u16_e32 vcc, 0, v13
	v_cndmask_b32_e32 v12, v12, v15, vcc
	v_cndmask_b32_e32 v13, v13, v14, vcc
	v_lshlrev_b32_e32 v14, 24, v6
	v_mov_b32_e32 v15, 0x3b800000
	v_lshlrev_b32_e32 v12, 20, v12
	v_and_b32_e32 v14, 0x80000000, v14
	v_lshl_add_u32 v13, v13, 23, v15
	v_or3_b32 v12, v14, v13, v12
.LBB13_516:
	s_or_b64 exec, exec, s[6:7]
	s_movk_i32 s4, 0x7f
	v_cmp_gt_i16_sdwa s[6:7], v2, s4 src0_sel:BYTE_0 src1_sel:DWORD
	s_mov_b64 s[4:5], 0
                                        ; implicit-def: $sgpr10
	s_and_saveexec_b64 s[8:9], s[6:7]
	s_xor_b64 s[6:7], exec, s[8:9]
	s_cbranch_execnz .LBB13_2565
; %bb.517:
	s_or_saveexec_b64 s[6:7], s[6:7]
	v_mov_b32_e32 v13, s10
	s_xor_b64 exec, exec, s[6:7]
	s_cbranch_execnz .LBB13_2568
.LBB13_518:
	s_or_b64 exec, exec, s[6:7]
	s_and_saveexec_b64 s[6:7], s[4:5]
	s_cbranch_execz .LBB13_520
.LBB13_519:
	v_and_b32_e32 v13, 7, v2
	v_ffbh_u32_e32 v15, v13
	v_min_u32_e32 v15, 32, v15
	v_lshrrev_b16_e32 v14, 3, v2
	v_subrev_u32_e32 v16, 28, v15
	v_and_b32_e32 v14, 15, v14
	v_lshlrev_b32_e32 v16, v16, v2
	v_sub_u32_e32 v15, 29, v15
	v_and_b32_e32 v16, 7, v16
	v_cmp_eq_u16_e32 vcc, 0, v14
	v_cndmask_b32_e32 v13, v13, v16, vcc
	v_cndmask_b32_e32 v14, v14, v15, vcc
	v_lshlrev_b32_e32 v15, 24, v2
	v_mov_b32_e32 v16, 0x3b800000
	v_lshlrev_b32_e32 v13, 20, v13
	v_and_b32_e32 v15, 0x80000000, v15
	v_lshl_add_u32 v14, v14, 23, v16
	v_or3_b32 v13, v15, v14, v13
.LBB13_520:
	s_or_b64 exec, exec, s[6:7]
	flat_load_dwordx4 a[0:3], v[10:11] offset:64
	s_movk_i32 s4, 0x7f
                                        ; implicit-def: $sgpr10
	s_waitcnt vmcnt(0) lgkmcnt(0)
	v_mfma_f32_16x16x4f32 a[0:3], v12, v13, a[0:3]
	v_lshrrev_b32_e32 v13, 8, v6
	v_cmp_gt_i16_sdwa s[6:7], v13, s4 src0_sel:BYTE_0 src1_sel:DWORD
	s_mov_b64 s[4:5], 0
	s_and_saveexec_b64 s[8:9], s[6:7]
	s_xor_b64 s[6:7], exec, s[8:9]
	s_cbranch_execnz .LBB13_2569
; %bb.521:
	s_or_saveexec_b64 s[6:7], s[6:7]
	v_mov_b32_e32 v12, s10
	s_xor_b64 exec, exec, s[6:7]
	s_cbranch_execnz .LBB13_2572
.LBB13_522:
	s_or_b64 exec, exec, s[6:7]
	s_and_saveexec_b64 s[6:7], s[4:5]
	s_cbranch_execz .LBB13_524
.LBB13_523:
	v_bfe_u32 v12, v6, 8, 3
	v_ffbh_u32_e32 v15, v12
	v_min_u32_e32 v15, 32, v15
	v_lshrrev_b16_e32 v14, 3, v13
	v_subrev_u32_e32 v16, 28, v15
	v_and_b32_e32 v14, 15, v14
	v_lshlrev_b32_e32 v13, v16, v13
	v_sub_u32_e32 v15, 29, v15
	v_and_b32_e32 v13, 7, v13
	v_cmp_eq_u16_e32 vcc, 0, v14
	v_cndmask_b32_e32 v12, v12, v13, vcc
	v_cndmask_b32_e32 v13, v14, v15, vcc
	v_lshlrev_b32_e32 v14, 16, v6
	v_mov_b32_e32 v15, 0x3b800000
	v_lshlrev_b32_e32 v12, 20, v12
	v_and_b32_e32 v14, 0x80000000, v14
	v_lshl_add_u32 v13, v13, 23, v15
	v_or3_b32 v12, v14, v13, v12
.LBB13_524:
	s_or_b64 exec, exec, s[6:7]
	v_lshrrev_b32_e32 v13, 8, v2
	s_movk_i32 s4, 0x7f
	v_cmp_gt_i16_sdwa s[6:7], v13, s4 src0_sel:BYTE_0 src1_sel:DWORD
	s_mov_b64 s[4:5], 0
                                        ; implicit-def: $sgpr10
	s_and_saveexec_b64 s[8:9], s[6:7]
	s_xor_b64 s[6:7], exec, s[8:9]
	s_cbranch_execnz .LBB13_2573
; %bb.525:
	s_or_saveexec_b64 s[6:7], s[6:7]
	v_mov_b32_e32 v14, s10
	s_xor_b64 exec, exec, s[6:7]
	s_cbranch_execnz .LBB13_2576
.LBB13_526:
	s_or_b64 exec, exec, s[6:7]
	s_and_saveexec_b64 s[6:7], s[4:5]
	s_cbranch_execz .LBB13_528
.LBB13_527:
	v_bfe_u32 v14, v2, 8, 3
	v_ffbh_u32_e32 v16, v14
	v_min_u32_e32 v16, 32, v16
	v_lshrrev_b16_e32 v15, 3, v13
	v_subrev_u32_e32 v17, 28, v16
	v_and_b32_e32 v15, 15, v15
	v_lshlrev_b32_e32 v13, v17, v13
	v_sub_u32_e32 v16, 29, v16
	v_and_b32_e32 v13, 7, v13
	v_cmp_eq_u16_e32 vcc, 0, v15
	v_cndmask_b32_e32 v13, v14, v13, vcc
	v_cndmask_b32_e32 v14, v15, v16, vcc
	v_lshlrev_b32_e32 v15, 16, v2
	v_mov_b32_e32 v16, 0x3b800000
	v_lshlrev_b32_e32 v13, 20, v13
	v_and_b32_e32 v15, 0x80000000, v15
	v_lshl_add_u32 v14, v14, 23, v16
	v_or3_b32 v14, v15, v14, v13
.LBB13_528:
	s_or_b64 exec, exec, s[6:7]
	s_nop 0
	v_mfma_f32_16x16x4f32 a[0:3], v12, v14, a[0:3]
	s_movk_i32 s4, 0xff
	v_and_b32_sdwa v13, v6, s4 dst_sel:DWORD dst_unused:UNUSED_PAD src0_sel:WORD_1 src1_sel:DWORD
	s_movk_i32 s4, 0x7f
	v_cmp_lt_i16_e32 vcc, s4, v13
	s_mov_b64 s[4:5], 0
                                        ; implicit-def: $sgpr10
	s_and_saveexec_b64 s[6:7], vcc
	s_xor_b64 s[6:7], exec, s[6:7]
	s_cbranch_execnz .LBB13_2577
; %bb.529:
	s_or_saveexec_b64 s[6:7], s[6:7]
	v_mov_b32_e32 v12, s10
	s_xor_b64 exec, exec, s[6:7]
	s_cbranch_execnz .LBB13_2580
.LBB13_530:
	s_or_b64 exec, exec, s[6:7]
	s_and_saveexec_b64 s[6:7], s[4:5]
	s_cbranch_execz .LBB13_532
.LBB13_531:
	v_bfe_u32 v12, v6, 16, 3
	v_ffbh_u32_e32 v15, v12
	v_min_u32_e32 v15, 32, v15
	v_lshrrev_b32_e32 v13, 19, v6
	v_subrev_u32_e32 v16, 28, v15
	v_and_b32_e32 v13, 15, v13
	v_lshlrev_b32_sdwa v16, v16, v6 dst_sel:DWORD dst_unused:UNUSED_PAD src0_sel:DWORD src1_sel:WORD_1
	v_bfe_u32 v14, v6, 19, 4
	v_sub_u32_e32 v15, 29, v15
	v_and_b32_e32 v16, 7, v16
	v_cmp_eq_u16_e32 vcc, 0, v13
	v_cndmask_b32_e32 v12, v12, v16, vcc
	v_cndmask_b32_e32 v13, v14, v15, vcc
	v_lshlrev_b32_e32 v14, 8, v6
	v_mov_b32_e32 v15, 0x3b800000
	v_lshlrev_b32_e32 v12, 20, v12
	v_and_b32_e32 v14, 0x80000000, v14
	v_lshl_add_u32 v13, v13, 23, v15
	v_or3_b32 v12, v14, v13, v12
.LBB13_532:
	s_or_b64 exec, exec, s[6:7]
	s_movk_i32 s4, 0xff
	v_and_b32_sdwa v13, v2, s4 dst_sel:DWORD dst_unused:UNUSED_PAD src0_sel:WORD_1 src1_sel:DWORD
	s_movk_i32 s4, 0x7f
	v_cmp_lt_i16_e32 vcc, s4, v13
	s_mov_b64 s[4:5], 0
                                        ; implicit-def: $sgpr10
	s_and_saveexec_b64 s[6:7], vcc
	s_xor_b64 s[6:7], exec, s[6:7]
	s_cbranch_execnz .LBB13_2581
; %bb.533:
	s_or_saveexec_b64 s[6:7], s[6:7]
	v_mov_b32_e32 v14, s10
	s_xor_b64 exec, exec, s[6:7]
	s_cbranch_execnz .LBB13_2584
.LBB13_534:
	s_or_b64 exec, exec, s[6:7]
	s_and_saveexec_b64 s[6:7], s[4:5]
	s_cbranch_execz .LBB13_536
.LBB13_535:
	v_bfe_u32 v13, v2, 16, 3
	v_ffbh_u32_e32 v16, v13
	v_min_u32_e32 v16, 32, v16
	v_lshrrev_b32_e32 v14, 19, v2
	v_subrev_u32_e32 v17, 28, v16
	v_and_b32_e32 v14, 15, v14
	v_lshlrev_b32_sdwa v17, v17, v2 dst_sel:DWORD dst_unused:UNUSED_PAD src0_sel:DWORD src1_sel:WORD_1
	v_bfe_u32 v15, v2, 19, 4
	v_sub_u32_e32 v16, 29, v16
	v_and_b32_e32 v17, 7, v17
	v_cmp_eq_u16_e32 vcc, 0, v14
	v_cndmask_b32_e32 v13, v13, v17, vcc
	v_cndmask_b32_e32 v14, v15, v16, vcc
	v_lshlrev_b32_e32 v15, 8, v2
	v_mov_b32_e32 v16, 0x3b800000
	v_lshlrev_b32_e32 v13, 20, v13
	v_and_b32_e32 v15, 0x80000000, v15
	v_lshl_add_u32 v14, v14, 23, v16
	v_or3_b32 v14, v15, v14, v13
.LBB13_536:
	s_or_b64 exec, exec, s[6:7]
	s_nop 0
	v_mfma_f32_16x16x4f32 a[0:3], v12, v14, a[0:3]
	s_movk_i32 s4, 0x7f
	v_cmp_gt_i16_sdwa s[6:7], v6, s4 src0_sel:BYTE_3 src1_sel:DWORD
	s_mov_b64 s[4:5], 0
                                        ; implicit-def: $sgpr10
	s_and_saveexec_b64 s[8:9], s[6:7]
	s_xor_b64 s[6:7], exec, s[8:9]
	s_cbranch_execnz .LBB13_2585
; %bb.537:
	s_or_saveexec_b64 s[6:7], s[6:7]
	v_mov_b32_e32 v12, s10
	s_xor_b64 exec, exec, s[6:7]
	s_cbranch_execnz .LBB13_2588
.LBB13_538:
	s_or_b64 exec, exec, s[6:7]
	s_and_saveexec_b64 s[6:7], s[4:5]
	s_cbranch_execz .LBB13_540
.LBB13_539:
	v_bfe_u32 v12, v6, 24, 3
	v_ffbh_u32_e32 v16, v12
	v_min_u32_e32 v16, 32, v16
	v_lshrrev_b32_e32 v14, 27, v6
	v_subrev_u32_e32 v17, 28, v16
	v_and_b32_e32 v13, 0x80000000, v6
	v_and_b32_e32 v14, 15, v14
	v_bfe_u32 v15, v6, 27, 4
	v_lshlrev_b32_sdwa v6, v17, v6 dst_sel:DWORD dst_unused:UNUSED_PAD src0_sel:DWORD src1_sel:BYTE_3
	v_sub_u32_e32 v16, 29, v16
	v_and_b32_e32 v6, 7, v6
	v_cmp_eq_u16_e32 vcc, 0, v14
	v_cndmask_b32_e32 v6, v12, v6, vcc
	v_cndmask_b32_e32 v12, v15, v16, vcc
	v_mov_b32_e32 v14, 0x3b800000
	v_lshlrev_b32_e32 v6, 20, v6
	v_lshl_add_u32 v12, v12, 23, v14
	v_or3_b32 v12, v13, v12, v6
.LBB13_540:
	s_or_b64 exec, exec, s[6:7]
	s_movk_i32 s4, 0x7f
	v_cmp_gt_i16_sdwa s[6:7], v2, s4 src0_sel:BYTE_3 src1_sel:DWORD
	s_mov_b64 s[4:5], 0
                                        ; implicit-def: $sgpr10
	s_and_saveexec_b64 s[8:9], s[6:7]
	s_xor_b64 s[6:7], exec, s[8:9]
	s_cbranch_execnz .LBB13_2589
; %bb.541:
	s_or_saveexec_b64 s[6:7], s[6:7]
	v_mov_b32_e32 v6, s10
	s_xor_b64 exec, exec, s[6:7]
	s_cbranch_execnz .LBB13_2592
.LBB13_542:
	s_or_b64 exec, exec, s[6:7]
	s_and_saveexec_b64 s[6:7], s[4:5]
	s_cbranch_execz .LBB13_544
.LBB13_543:
	v_bfe_u32 v6, v2, 24, 3
	v_ffbh_u32_e32 v16, v6
	v_min_u32_e32 v16, 32, v16
	v_lshrrev_b32_e32 v14, 27, v2
	v_subrev_u32_e32 v17, 28, v16
	v_and_b32_e32 v13, 0x80000000, v2
	v_and_b32_e32 v14, 15, v14
	v_bfe_u32 v15, v2, 27, 4
	v_lshlrev_b32_sdwa v2, v17, v2 dst_sel:DWORD dst_unused:UNUSED_PAD src0_sel:DWORD src1_sel:BYTE_3
	v_sub_u32_e32 v16, 29, v16
	v_and_b32_e32 v2, 7, v2
	v_cmp_eq_u16_e32 vcc, 0, v14
	v_cndmask_b32_e32 v2, v6, v2, vcc
	v_cndmask_b32_e32 v6, v15, v16, vcc
	v_mov_b32_e32 v14, 0x3b800000
	v_lshlrev_b32_e32 v2, 20, v2
	v_lshl_add_u32 v6, v6, 23, v14
	v_or3_b32 v6, v13, v6, v2
.LBB13_544:
	s_or_b64 exec, exec, s[6:7]
	s_nop 0
	v_mfma_f32_16x16x4f32 a[0:3], v12, v6, a[0:3]
	s_movk_i32 s4, 0x7f
	v_cmp_gt_i16_sdwa s[6:7], v7, s4 src0_sel:BYTE_0 src1_sel:DWORD
	s_mov_b64 s[4:5], 0
                                        ; implicit-def: $sgpr10
	s_and_saveexec_b64 s[8:9], s[6:7]
	s_xor_b64 s[6:7], exec, s[8:9]
	s_cbranch_execnz .LBB13_2593
; %bb.545:
	s_or_saveexec_b64 s[6:7], s[6:7]
	v_mov_b32_e32 v2, s10
	s_xor_b64 exec, exec, s[6:7]
	s_cbranch_execnz .LBB13_2596
.LBB13_546:
	s_or_b64 exec, exec, s[6:7]
	s_and_saveexec_b64 s[6:7], s[4:5]
	s_cbranch_execz .LBB13_548
.LBB13_547:
	v_and_b32_e32 v2, 7, v7
	v_ffbh_u32_e32 v12, v2
	v_min_u32_e32 v12, 32, v12
	v_lshrrev_b16_e32 v6, 3, v7
	v_subrev_u32_e32 v13, 28, v12
	v_and_b32_e32 v6, 15, v6
	v_lshlrev_b32_e32 v13, v13, v7
	v_sub_u32_e32 v12, 29, v12
	v_and_b32_e32 v13, 7, v13
	v_cmp_eq_u16_e32 vcc, 0, v6
	v_cndmask_b32_e32 v2, v2, v13, vcc
	v_cndmask_b32_e32 v6, v6, v12, vcc
	v_lshlrev_b32_e32 v12, 24, v7
	v_mov_b32_e32 v13, 0x3b800000
	v_lshlrev_b32_e32 v2, 20, v2
	v_and_b32_e32 v12, 0x80000000, v12
	v_lshl_add_u32 v6, v6, 23, v13
	v_or3_b32 v2, v12, v6, v2
.LBB13_548:
	s_or_b64 exec, exec, s[6:7]
	s_movk_i32 s4, 0x7f
	v_cmp_gt_i16_sdwa s[6:7], v3, s4 src0_sel:BYTE_0 src1_sel:DWORD
	s_mov_b64 s[4:5], 0
                                        ; implicit-def: $sgpr10
	s_and_saveexec_b64 s[8:9], s[6:7]
	s_xor_b64 s[6:7], exec, s[8:9]
	s_cbranch_execnz .LBB13_2597
; %bb.549:
	s_or_saveexec_b64 s[6:7], s[6:7]
	v_mov_b32_e32 v6, s10
	s_xor_b64 exec, exec, s[6:7]
	s_cbranch_execnz .LBB13_2600
.LBB13_550:
	s_or_b64 exec, exec, s[6:7]
	s_and_saveexec_b64 s[6:7], s[4:5]
	s_cbranch_execz .LBB13_552
.LBB13_551:
	v_and_b32_e32 v6, 7, v3
	v_ffbh_u32_e32 v13, v6
	v_min_u32_e32 v13, 32, v13
	v_lshrrev_b16_e32 v12, 3, v3
	v_subrev_u32_e32 v14, 28, v13
	v_and_b32_e32 v12, 15, v12
	v_lshlrev_b32_e32 v14, v14, v3
	v_sub_u32_e32 v13, 29, v13
	v_and_b32_e32 v14, 7, v14
	v_cmp_eq_u16_e32 vcc, 0, v12
	v_cndmask_b32_e32 v6, v6, v14, vcc
	v_cndmask_b32_e32 v12, v12, v13, vcc
	v_lshlrev_b32_e32 v13, 24, v3
	v_mov_b32_e32 v14, 0x3b800000
	v_lshlrev_b32_e32 v6, 20, v6
	v_and_b32_e32 v13, 0x80000000, v13
	v_lshl_add_u32 v12, v12, 23, v14
	v_or3_b32 v6, v13, v12, v6
.LBB13_552:
	s_or_b64 exec, exec, s[6:7]
	s_nop 0
	v_mfma_f32_16x16x4f32 a[0:3], v2, v6, a[0:3]
	v_lshrrev_b32_e32 v6, 8, v7
	s_movk_i32 s4, 0x7f
	v_cmp_gt_i16_sdwa s[6:7], v6, s4 src0_sel:BYTE_0 src1_sel:DWORD
	s_mov_b64 s[4:5], 0
                                        ; implicit-def: $sgpr10
	s_and_saveexec_b64 s[8:9], s[6:7]
	s_xor_b64 s[6:7], exec, s[8:9]
	s_cbranch_execnz .LBB13_2601
; %bb.553:
	s_or_saveexec_b64 s[6:7], s[6:7]
	v_mov_b32_e32 v2, s10
	s_xor_b64 exec, exec, s[6:7]
	s_cbranch_execnz .LBB13_2604
.LBB13_554:
	s_or_b64 exec, exec, s[6:7]
	s_and_saveexec_b64 s[6:7], s[4:5]
	s_cbranch_execz .LBB13_556
.LBB13_555:
	v_bfe_u32 v2, v7, 8, 3
	v_ffbh_u32_e32 v13, v2
	v_min_u32_e32 v13, 32, v13
	v_lshrrev_b16_e32 v12, 3, v6
	v_subrev_u32_e32 v14, 28, v13
	v_and_b32_e32 v12, 15, v12
	v_lshlrev_b32_e32 v6, v14, v6
	v_sub_u32_e32 v13, 29, v13
	v_and_b32_e32 v6, 7, v6
	v_cmp_eq_u16_e32 vcc, 0, v12
	v_cndmask_b32_e32 v2, v2, v6, vcc
	v_cndmask_b32_e32 v6, v12, v13, vcc
	v_lshlrev_b32_e32 v12, 16, v7
	v_mov_b32_e32 v13, 0x3b800000
	v_lshlrev_b32_e32 v2, 20, v2
	v_and_b32_e32 v12, 0x80000000, v12
	v_lshl_add_u32 v6, v6, 23, v13
	v_or3_b32 v2, v12, v6, v2
.LBB13_556:
	s_or_b64 exec, exec, s[6:7]
	v_lshrrev_b32_e32 v6, 8, v3
	s_movk_i32 s4, 0x7f
	v_cmp_gt_i16_sdwa s[6:7], v6, s4 src0_sel:BYTE_0 src1_sel:DWORD
	s_mov_b64 s[4:5], 0
                                        ; implicit-def: $sgpr10
	s_and_saveexec_b64 s[8:9], s[6:7]
	s_xor_b64 s[6:7], exec, s[8:9]
	s_cbranch_execnz .LBB13_2605
; %bb.557:
	s_or_saveexec_b64 s[6:7], s[6:7]
	v_mov_b32_e32 v12, s10
	s_xor_b64 exec, exec, s[6:7]
	s_cbranch_execnz .LBB13_2608
.LBB13_558:
	s_or_b64 exec, exec, s[6:7]
	s_and_saveexec_b64 s[6:7], s[4:5]
	s_cbranch_execz .LBB13_560
.LBB13_559:
	v_bfe_u32 v12, v3, 8, 3
	v_ffbh_u32_e32 v14, v12
	v_min_u32_e32 v14, 32, v14
	v_lshrrev_b16_e32 v13, 3, v6
	v_subrev_u32_e32 v15, 28, v14
	v_and_b32_e32 v13, 15, v13
	v_lshlrev_b32_e32 v6, v15, v6
	v_sub_u32_e32 v14, 29, v14
	v_and_b32_e32 v6, 7, v6
	v_cmp_eq_u16_e32 vcc, 0, v13
	v_cndmask_b32_e32 v6, v12, v6, vcc
	v_cndmask_b32_e32 v12, v13, v14, vcc
	v_lshlrev_b32_e32 v13, 16, v3
	v_mov_b32_e32 v14, 0x3b800000
	v_lshlrev_b32_e32 v6, 20, v6
	v_and_b32_e32 v13, 0x80000000, v13
	v_lshl_add_u32 v12, v12, 23, v14
	v_or3_b32 v12, v13, v12, v6
.LBB13_560:
	s_or_b64 exec, exec, s[6:7]
	s_nop 0
	v_mfma_f32_16x16x4f32 a[0:3], v2, v12, a[0:3]
	s_movk_i32 s4, 0xff
	v_and_b32_sdwa v6, v7, s4 dst_sel:DWORD dst_unused:UNUSED_PAD src0_sel:WORD_1 src1_sel:DWORD
	s_movk_i32 s4, 0x7f
	v_cmp_lt_i16_e32 vcc, s4, v6
	s_mov_b64 s[4:5], 0
                                        ; implicit-def: $sgpr10
	s_and_saveexec_b64 s[6:7], vcc
	s_xor_b64 s[6:7], exec, s[6:7]
	s_cbranch_execnz .LBB13_2609
; %bb.561:
	s_or_saveexec_b64 s[6:7], s[6:7]
	v_mov_b32_e32 v2, s10
	s_xor_b64 exec, exec, s[6:7]
	s_cbranch_execnz .LBB13_2612
.LBB13_562:
	s_or_b64 exec, exec, s[6:7]
	s_and_saveexec_b64 s[6:7], s[4:5]
	s_cbranch_execz .LBB13_564
.LBB13_563:
	v_bfe_u32 v2, v7, 16, 3
	v_ffbh_u32_e32 v13, v2
	v_min_u32_e32 v13, 32, v13
	v_lshrrev_b32_e32 v6, 19, v7
	v_subrev_u32_e32 v14, 28, v13
	v_and_b32_e32 v6, 15, v6
	v_lshlrev_b32_sdwa v14, v14, v7 dst_sel:DWORD dst_unused:UNUSED_PAD src0_sel:DWORD src1_sel:WORD_1
	v_bfe_u32 v12, v7, 19, 4
	v_sub_u32_e32 v13, 29, v13
	v_and_b32_e32 v14, 7, v14
	v_cmp_eq_u16_e32 vcc, 0, v6
	v_cndmask_b32_e32 v2, v2, v14, vcc
	v_cndmask_b32_e32 v6, v12, v13, vcc
	v_lshlrev_b32_e32 v12, 8, v7
	v_mov_b32_e32 v13, 0x3b800000
	v_lshlrev_b32_e32 v2, 20, v2
	v_and_b32_e32 v12, 0x80000000, v12
	v_lshl_add_u32 v6, v6, 23, v13
	v_or3_b32 v2, v12, v6, v2
.LBB13_564:
	s_or_b64 exec, exec, s[6:7]
	s_movk_i32 s4, 0xff
	v_and_b32_sdwa v6, v3, s4 dst_sel:DWORD dst_unused:UNUSED_PAD src0_sel:WORD_1 src1_sel:DWORD
	s_movk_i32 s4, 0x7f
	v_cmp_lt_i16_e32 vcc, s4, v6
	s_mov_b64 s[4:5], 0
                                        ; implicit-def: $sgpr10
	s_and_saveexec_b64 s[6:7], vcc
	s_xor_b64 s[6:7], exec, s[6:7]
	s_cbranch_execnz .LBB13_2613
; %bb.565:
	s_or_saveexec_b64 s[6:7], s[6:7]
	v_mov_b32_e32 v12, s10
	s_xor_b64 exec, exec, s[6:7]
	s_cbranch_execnz .LBB13_2616
.LBB13_566:
	s_or_b64 exec, exec, s[6:7]
	s_and_saveexec_b64 s[6:7], s[4:5]
	s_cbranch_execz .LBB13_568
.LBB13_567:
	v_bfe_u32 v6, v3, 16, 3
	v_ffbh_u32_e32 v14, v6
	v_min_u32_e32 v14, 32, v14
	v_lshrrev_b32_e32 v12, 19, v3
	v_subrev_u32_e32 v15, 28, v14
	v_and_b32_e32 v12, 15, v12
	v_lshlrev_b32_sdwa v15, v15, v3 dst_sel:DWORD dst_unused:UNUSED_PAD src0_sel:DWORD src1_sel:WORD_1
	v_bfe_u32 v13, v3, 19, 4
	v_sub_u32_e32 v14, 29, v14
	v_and_b32_e32 v15, 7, v15
	v_cmp_eq_u16_e32 vcc, 0, v12
	v_cndmask_b32_e32 v6, v6, v15, vcc
	v_cndmask_b32_e32 v12, v13, v14, vcc
	v_lshlrev_b32_e32 v13, 8, v3
	v_mov_b32_e32 v14, 0x3b800000
	v_lshlrev_b32_e32 v6, 20, v6
	v_and_b32_e32 v13, 0x80000000, v13
	v_lshl_add_u32 v12, v12, 23, v14
	v_or3_b32 v12, v13, v12, v6
.LBB13_568:
	s_or_b64 exec, exec, s[6:7]
	s_nop 0
	v_mfma_f32_16x16x4f32 a[0:3], v2, v12, a[0:3]
	s_movk_i32 s4, 0x7f
	v_cmp_gt_i16_sdwa s[6:7], v7, s4 src0_sel:BYTE_3 src1_sel:DWORD
	s_mov_b64 s[4:5], 0
                                        ; implicit-def: $sgpr10
	s_and_saveexec_b64 s[8:9], s[6:7]
	s_xor_b64 s[6:7], exec, s[8:9]
	s_cbranch_execnz .LBB13_2617
; %bb.569:
	s_or_saveexec_b64 s[6:7], s[6:7]
	v_mov_b32_e32 v2, s10
	s_xor_b64 exec, exec, s[6:7]
	s_cbranch_execnz .LBB13_2620
.LBB13_570:
	s_or_b64 exec, exec, s[6:7]
	s_and_saveexec_b64 s[6:7], s[4:5]
	s_cbranch_execz .LBB13_572
.LBB13_571:
	v_bfe_u32 v2, v7, 24, 3
	v_ffbh_u32_e32 v14, v2
	v_min_u32_e32 v14, 32, v14
	v_lshrrev_b32_e32 v12, 27, v7
	v_subrev_u32_e32 v15, 28, v14
	v_and_b32_e32 v6, 0x80000000, v7
	v_and_b32_e32 v12, 15, v12
	v_bfe_u32 v13, v7, 27, 4
	v_lshlrev_b32_sdwa v7, v15, v7 dst_sel:DWORD dst_unused:UNUSED_PAD src0_sel:DWORD src1_sel:BYTE_3
	v_sub_u32_e32 v14, 29, v14
	v_and_b32_e32 v7, 7, v7
	v_cmp_eq_u16_e32 vcc, 0, v12
	v_cndmask_b32_e32 v2, v2, v7, vcc
	v_cndmask_b32_e32 v7, v13, v14, vcc
	v_mov_b32_e32 v12, 0x3b800000
	v_lshlrev_b32_e32 v2, 20, v2
	v_lshl_add_u32 v7, v7, 23, v12
	v_or3_b32 v2, v6, v7, v2
.LBB13_572:
	s_or_b64 exec, exec, s[6:7]
	s_movk_i32 s4, 0x7f
	v_cmp_gt_i16_sdwa s[6:7], v3, s4 src0_sel:BYTE_3 src1_sel:DWORD
	s_mov_b64 s[4:5], 0
                                        ; implicit-def: $sgpr10
	s_and_saveexec_b64 s[8:9], s[6:7]
	s_xor_b64 s[6:7], exec, s[8:9]
	s_cbranch_execnz .LBB13_2621
; %bb.573:
	s_or_saveexec_b64 s[6:7], s[6:7]
	v_mov_b32_e32 v6, s10
	s_xor_b64 exec, exec, s[6:7]
	s_cbranch_execnz .LBB13_2624
.LBB13_574:
	s_or_b64 exec, exec, s[6:7]
	s_and_saveexec_b64 s[6:7], s[4:5]
	s_cbranch_execz .LBB13_576
.LBB13_575:
	v_bfe_u32 v6, v3, 24, 3
	v_ffbh_u32_e32 v14, v6
	v_min_u32_e32 v14, 32, v14
	v_lshrrev_b32_e32 v12, 27, v3
	v_subrev_u32_e32 v15, 28, v14
	v_and_b32_e32 v7, 0x80000000, v3
	v_and_b32_e32 v12, 15, v12
	v_bfe_u32 v13, v3, 27, 4
	v_lshlrev_b32_sdwa v3, v15, v3 dst_sel:DWORD dst_unused:UNUSED_PAD src0_sel:DWORD src1_sel:BYTE_3
	v_sub_u32_e32 v14, 29, v14
	v_and_b32_e32 v3, 7, v3
	v_cmp_eq_u16_e32 vcc, 0, v12
	v_cndmask_b32_e32 v3, v6, v3, vcc
	v_cndmask_b32_e32 v6, v13, v14, vcc
	v_mov_b32_e32 v12, 0x3b800000
	v_lshlrev_b32_e32 v3, 20, v3
	v_lshl_add_u32 v6, v6, 23, v12
	v_or3_b32 v6, v7, v6, v3
.LBB13_576:
	s_or_b64 exec, exec, s[6:7]
	s_nop 0
	v_mfma_f32_16x16x4f32 a[0:3], v2, v6, a[0:3]
	s_movk_i32 s4, 0x7f
	v_cmp_gt_i16_sdwa s[6:7], v8, s4 src0_sel:BYTE_0 src1_sel:DWORD
	s_mov_b64 s[4:5], 0
                                        ; implicit-def: $sgpr10
	s_and_saveexec_b64 s[8:9], s[6:7]
	s_xor_b64 s[6:7], exec, s[8:9]
	s_cbranch_execnz .LBB13_2625
; %bb.577:
	s_or_saveexec_b64 s[6:7], s[6:7]
	v_mov_b32_e32 v2, s10
	s_xor_b64 exec, exec, s[6:7]
	s_cbranch_execnz .LBB13_2628
.LBB13_578:
	s_or_b64 exec, exec, s[6:7]
	s_and_saveexec_b64 s[6:7], s[4:5]
	s_cbranch_execz .LBB13_580
.LBB13_579:
	v_and_b32_e32 v2, 7, v8
	v_ffbh_u32_e32 v6, v2
	v_min_u32_e32 v6, 32, v6
	v_lshrrev_b16_e32 v3, 3, v8
	v_subrev_u32_e32 v7, 28, v6
	v_and_b32_e32 v3, 15, v3
	v_lshlrev_b32_e32 v7, v7, v8
	v_sub_u32_e32 v6, 29, v6
	v_and_b32_e32 v7, 7, v7
	v_cmp_eq_u16_e32 vcc, 0, v3
	v_cndmask_b32_e32 v2, v2, v7, vcc
	v_cndmask_b32_e32 v3, v3, v6, vcc
	v_lshlrev_b32_e32 v6, 24, v8
	v_mov_b32_e32 v7, 0x3b800000
	v_lshlrev_b32_e32 v2, 20, v2
	v_and_b32_e32 v6, 0x80000000, v6
	v_lshl_add_u32 v3, v3, 23, v7
	v_or3_b32 v2, v6, v3, v2
.LBB13_580:
	s_or_b64 exec, exec, s[6:7]
	s_movk_i32 s4, 0x7f
	v_cmp_gt_i16_sdwa s[6:7], v4, s4 src0_sel:BYTE_0 src1_sel:DWORD
	s_mov_b64 s[4:5], 0
                                        ; implicit-def: $sgpr10
	s_and_saveexec_b64 s[8:9], s[6:7]
	s_xor_b64 s[6:7], exec, s[8:9]
	s_cbranch_execnz .LBB13_2629
; %bb.581:
	s_or_saveexec_b64 s[6:7], s[6:7]
	v_mov_b32_e32 v3, s10
	s_xor_b64 exec, exec, s[6:7]
	s_cbranch_execnz .LBB13_2632
.LBB13_582:
	s_or_b64 exec, exec, s[6:7]
	s_and_saveexec_b64 s[6:7], s[4:5]
	s_cbranch_execz .LBB13_584
.LBB13_583:
	v_and_b32_e32 v3, 7, v4
	v_ffbh_u32_e32 v7, v3
	v_min_u32_e32 v7, 32, v7
	v_lshrrev_b16_e32 v6, 3, v4
	v_subrev_u32_e32 v12, 28, v7
	v_and_b32_e32 v6, 15, v6
	v_lshlrev_b32_e32 v12, v12, v4
	v_sub_u32_e32 v7, 29, v7
	v_and_b32_e32 v12, 7, v12
	v_cmp_eq_u16_e32 vcc, 0, v6
	v_cndmask_b32_e32 v3, v3, v12, vcc
	v_cndmask_b32_e32 v6, v6, v7, vcc
	v_lshlrev_b32_e32 v7, 24, v4
	v_mov_b32_e32 v12, 0x3b800000
	v_lshlrev_b32_e32 v3, 20, v3
	v_and_b32_e32 v7, 0x80000000, v7
	v_lshl_add_u32 v6, v6, 23, v12
	v_or3_b32 v3, v7, v6, v3
.LBB13_584:
	s_or_b64 exec, exec, s[6:7]
	s_nop 0
	v_mfma_f32_16x16x4f32 a[0:3], v2, v3, a[0:3]
	v_lshrrev_b32_e32 v3, 8, v8
	s_movk_i32 s4, 0x7f
	v_cmp_gt_i16_sdwa s[6:7], v3, s4 src0_sel:BYTE_0 src1_sel:DWORD
	s_mov_b64 s[4:5], 0
                                        ; implicit-def: $sgpr10
	s_and_saveexec_b64 s[8:9], s[6:7]
	s_xor_b64 s[6:7], exec, s[8:9]
	s_cbranch_execnz .LBB13_2633
; %bb.585:
	s_or_saveexec_b64 s[6:7], s[6:7]
	v_mov_b32_e32 v2, s10
	s_xor_b64 exec, exec, s[6:7]
	s_cbranch_execnz .LBB13_2636
.LBB13_586:
	s_or_b64 exec, exec, s[6:7]
	s_and_saveexec_b64 s[6:7], s[4:5]
	s_cbranch_execz .LBB13_588
.LBB13_587:
	v_bfe_u32 v2, v8, 8, 3
	v_ffbh_u32_e32 v7, v2
	v_min_u32_e32 v7, 32, v7
	v_lshrrev_b16_e32 v6, 3, v3
	v_subrev_u32_e32 v12, 28, v7
	v_and_b32_e32 v6, 15, v6
	v_lshlrev_b32_e32 v3, v12, v3
	v_sub_u32_e32 v7, 29, v7
	v_and_b32_e32 v3, 7, v3
	v_cmp_eq_u16_e32 vcc, 0, v6
	v_cndmask_b32_e32 v2, v2, v3, vcc
	v_cndmask_b32_e32 v3, v6, v7, vcc
	v_lshlrev_b32_e32 v6, 16, v8
	v_mov_b32_e32 v7, 0x3b800000
	v_lshlrev_b32_e32 v2, 20, v2
	v_and_b32_e32 v6, 0x80000000, v6
	v_lshl_add_u32 v3, v3, 23, v7
	v_or3_b32 v2, v6, v3, v2
.LBB13_588:
	s_or_b64 exec, exec, s[6:7]
	v_lshrrev_b32_e32 v3, 8, v4
	s_movk_i32 s4, 0x7f
	v_cmp_gt_i16_sdwa s[6:7], v3, s4 src0_sel:BYTE_0 src1_sel:DWORD
	s_mov_b64 s[4:5], 0
                                        ; implicit-def: $sgpr10
	s_and_saveexec_b64 s[8:9], s[6:7]
	s_xor_b64 s[6:7], exec, s[8:9]
	s_cbranch_execnz .LBB13_2637
; %bb.589:
	s_or_saveexec_b64 s[6:7], s[6:7]
	v_mov_b32_e32 v6, s10
	s_xor_b64 exec, exec, s[6:7]
	s_cbranch_execnz .LBB13_2640
.LBB13_590:
	s_or_b64 exec, exec, s[6:7]
	s_and_saveexec_b64 s[6:7], s[4:5]
	s_cbranch_execz .LBB13_592
.LBB13_591:
	v_bfe_u32 v6, v4, 8, 3
	v_ffbh_u32_e32 v12, v6
	v_min_u32_e32 v12, 32, v12
	v_lshrrev_b16_e32 v7, 3, v3
	v_subrev_u32_e32 v13, 28, v12
	v_and_b32_e32 v7, 15, v7
	v_lshlrev_b32_e32 v3, v13, v3
	v_sub_u32_e32 v12, 29, v12
	v_and_b32_e32 v3, 7, v3
	v_cmp_eq_u16_e32 vcc, 0, v7
	v_cndmask_b32_e32 v3, v6, v3, vcc
	v_cndmask_b32_e32 v6, v7, v12, vcc
	v_lshlrev_b32_e32 v7, 16, v4
	v_mov_b32_e32 v12, 0x3b800000
	v_lshlrev_b32_e32 v3, 20, v3
	v_and_b32_e32 v7, 0x80000000, v7
	v_lshl_add_u32 v6, v6, 23, v12
	v_or3_b32 v6, v7, v6, v3
.LBB13_592:
	s_or_b64 exec, exec, s[6:7]
	s_nop 0
	v_mfma_f32_16x16x4f32 a[0:3], v2, v6, a[0:3]
	s_movk_i32 s4, 0xff
	v_and_b32_sdwa v3, v8, s4 dst_sel:DWORD dst_unused:UNUSED_PAD src0_sel:WORD_1 src1_sel:DWORD
	s_movk_i32 s4, 0x7f
	v_cmp_lt_i16_e32 vcc, s4, v3
	s_mov_b64 s[4:5], 0
                                        ; implicit-def: $sgpr10
	s_and_saveexec_b64 s[6:7], vcc
	s_xor_b64 s[6:7], exec, s[6:7]
	s_cbranch_execnz .LBB13_2641
; %bb.593:
	s_or_saveexec_b64 s[6:7], s[6:7]
	v_mov_b32_e32 v2, s10
	s_xor_b64 exec, exec, s[6:7]
	s_cbranch_execnz .LBB13_2644
.LBB13_594:
	s_or_b64 exec, exec, s[6:7]
	s_and_saveexec_b64 s[6:7], s[4:5]
	s_cbranch_execz .LBB13_596
.LBB13_595:
	v_bfe_u32 v2, v8, 16, 3
	v_ffbh_u32_e32 v7, v2
	v_min_u32_e32 v7, 32, v7
	v_lshrrev_b32_e32 v3, 19, v8
	v_subrev_u32_e32 v12, 28, v7
	v_and_b32_e32 v3, 15, v3
	v_lshlrev_b32_sdwa v12, v12, v8 dst_sel:DWORD dst_unused:UNUSED_PAD src0_sel:DWORD src1_sel:WORD_1
	v_bfe_u32 v6, v8, 19, 4
	v_sub_u32_e32 v7, 29, v7
	v_and_b32_e32 v12, 7, v12
	v_cmp_eq_u16_e32 vcc, 0, v3
	v_cndmask_b32_e32 v2, v2, v12, vcc
	v_cndmask_b32_e32 v3, v6, v7, vcc
	v_lshlrev_b32_e32 v6, 8, v8
	v_mov_b32_e32 v7, 0x3b800000
	v_lshlrev_b32_e32 v2, 20, v2
	v_and_b32_e32 v6, 0x80000000, v6
	v_lshl_add_u32 v3, v3, 23, v7
	v_or3_b32 v2, v6, v3, v2
.LBB13_596:
	s_or_b64 exec, exec, s[6:7]
	s_movk_i32 s4, 0xff
	v_and_b32_sdwa v3, v4, s4 dst_sel:DWORD dst_unused:UNUSED_PAD src0_sel:WORD_1 src1_sel:DWORD
	s_movk_i32 s4, 0x7f
	v_cmp_lt_i16_e32 vcc, s4, v3
	s_mov_b64 s[4:5], 0
                                        ; implicit-def: $sgpr10
	s_and_saveexec_b64 s[6:7], vcc
	s_xor_b64 s[6:7], exec, s[6:7]
	s_cbranch_execnz .LBB13_2645
; %bb.597:
	s_or_saveexec_b64 s[6:7], s[6:7]
	v_mov_b32_e32 v6, s10
	s_xor_b64 exec, exec, s[6:7]
	s_cbranch_execnz .LBB13_2648
.LBB13_598:
	s_or_b64 exec, exec, s[6:7]
	s_and_saveexec_b64 s[6:7], s[4:5]
	s_cbranch_execz .LBB13_600
.LBB13_599:
	v_bfe_u32 v3, v4, 16, 3
	v_ffbh_u32_e32 v12, v3
	v_min_u32_e32 v12, 32, v12
	v_lshrrev_b32_e32 v6, 19, v4
	v_subrev_u32_e32 v13, 28, v12
	v_and_b32_e32 v6, 15, v6
	v_lshlrev_b32_sdwa v13, v13, v4 dst_sel:DWORD dst_unused:UNUSED_PAD src0_sel:DWORD src1_sel:WORD_1
	v_bfe_u32 v7, v4, 19, 4
	v_sub_u32_e32 v12, 29, v12
	v_and_b32_e32 v13, 7, v13
	v_cmp_eq_u16_e32 vcc, 0, v6
	v_cndmask_b32_e32 v3, v3, v13, vcc
	v_cndmask_b32_e32 v6, v7, v12, vcc
	v_lshlrev_b32_e32 v7, 8, v4
	v_mov_b32_e32 v12, 0x3b800000
	v_lshlrev_b32_e32 v3, 20, v3
	v_and_b32_e32 v7, 0x80000000, v7
	v_lshl_add_u32 v6, v6, 23, v12
	v_or3_b32 v6, v7, v6, v3
.LBB13_600:
	s_or_b64 exec, exec, s[6:7]
	s_nop 0
	v_mfma_f32_16x16x4f32 a[0:3], v2, v6, a[0:3]
	s_movk_i32 s4, 0x7f
	v_cmp_gt_i16_sdwa s[6:7], v8, s4 src0_sel:BYTE_3 src1_sel:DWORD
	s_mov_b64 s[4:5], 0
                                        ; implicit-def: $sgpr10
	s_and_saveexec_b64 s[8:9], s[6:7]
	s_xor_b64 s[6:7], exec, s[8:9]
	s_cbranch_execnz .LBB13_2649
; %bb.601:
	s_or_saveexec_b64 s[6:7], s[6:7]
	v_mov_b32_e32 v2, s10
	s_xor_b64 exec, exec, s[6:7]
	s_cbranch_execnz .LBB13_2652
.LBB13_602:
	s_or_b64 exec, exec, s[6:7]
	s_and_saveexec_b64 s[6:7], s[4:5]
	s_cbranch_execz .LBB13_604
.LBB13_603:
	v_bfe_u32 v2, v8, 24, 3
	v_ffbh_u32_e32 v12, v2
	v_min_u32_e32 v12, 32, v12
	v_lshrrev_b32_e32 v6, 27, v8
	v_subrev_u32_e32 v13, 28, v12
	v_and_b32_e32 v3, 0x80000000, v8
	v_and_b32_e32 v6, 15, v6
	v_bfe_u32 v7, v8, 27, 4
	v_lshlrev_b32_sdwa v8, v13, v8 dst_sel:DWORD dst_unused:UNUSED_PAD src0_sel:DWORD src1_sel:BYTE_3
	v_sub_u32_e32 v12, 29, v12
	v_and_b32_e32 v8, 7, v8
	v_cmp_eq_u16_e32 vcc, 0, v6
	v_cndmask_b32_e32 v2, v2, v8, vcc
	v_cndmask_b32_e32 v6, v7, v12, vcc
	v_mov_b32_e32 v7, 0x3b800000
	v_lshlrev_b32_e32 v2, 20, v2
	v_lshl_add_u32 v6, v6, 23, v7
	v_or3_b32 v2, v3, v6, v2
.LBB13_604:
	s_or_b64 exec, exec, s[6:7]
	s_movk_i32 s4, 0x7f
	v_cmp_gt_i16_sdwa s[6:7], v4, s4 src0_sel:BYTE_3 src1_sel:DWORD
	s_mov_b64 s[4:5], 0
                                        ; implicit-def: $sgpr10
	s_and_saveexec_b64 s[8:9], s[6:7]
	s_xor_b64 s[6:7], exec, s[8:9]
	s_cbranch_execnz .LBB13_2653
; %bb.605:
	s_or_saveexec_b64 s[6:7], s[6:7]
	v_mov_b32_e32 v3, s10
	s_xor_b64 exec, exec, s[6:7]
	s_cbranch_execnz .LBB13_2656
.LBB13_606:
	s_or_b64 exec, exec, s[6:7]
	s_and_saveexec_b64 s[6:7], s[4:5]
	s_cbranch_execz .LBB13_608
.LBB13_607:
	v_bfe_u32 v3, v4, 24, 3
	v_ffbh_u32_e32 v12, v3
	v_min_u32_e32 v12, 32, v12
	v_lshrrev_b32_e32 v7, 27, v4
	v_subrev_u32_e32 v13, 28, v12
	v_and_b32_e32 v6, 0x80000000, v4
	v_and_b32_e32 v7, 15, v7
	v_bfe_u32 v8, v4, 27, 4
	v_lshlrev_b32_sdwa v4, v13, v4 dst_sel:DWORD dst_unused:UNUSED_PAD src0_sel:DWORD src1_sel:BYTE_3
	v_sub_u32_e32 v12, 29, v12
	v_and_b32_e32 v4, 7, v4
	v_cmp_eq_u16_e32 vcc, 0, v7
	v_cndmask_b32_e32 v3, v3, v4, vcc
	v_cndmask_b32_e32 v4, v8, v12, vcc
	v_mov_b32_e32 v7, 0x3b800000
	v_lshlrev_b32_e32 v3, 20, v3
	v_lshl_add_u32 v4, v4, 23, v7
	v_or3_b32 v3, v6, v4, v3
.LBB13_608:
	s_or_b64 exec, exec, s[6:7]
	s_nop 0
	v_mfma_f32_16x16x4f32 a[0:3], v2, v3, a[0:3]
	s_movk_i32 s4, 0x7f
	v_cmp_gt_i16_sdwa s[6:7], v9, s4 src0_sel:BYTE_0 src1_sel:DWORD
	s_mov_b64 s[4:5], 0
                                        ; implicit-def: $sgpr10
	s_and_saveexec_b64 s[8:9], s[6:7]
	s_xor_b64 s[6:7], exec, s[8:9]
	s_cbranch_execnz .LBB13_2657
; %bb.609:
	s_or_saveexec_b64 s[6:7], s[6:7]
	v_mov_b32_e32 v2, s10
	s_xor_b64 exec, exec, s[6:7]
	s_cbranch_execnz .LBB13_2660
.LBB13_610:
	s_or_b64 exec, exec, s[6:7]
	s_and_saveexec_b64 s[6:7], s[4:5]
	s_cbranch_execz .LBB13_612
.LBB13_611:
	v_mov_b32_e32 v2, 8
	v_and_b32_e32 v3, 7, v9
	v_lshrrev_b32_sdwa v2, v2, v9 dst_sel:BYTE_1 dst_unused:UNUSED_PAD src0_sel:DWORD src1_sel:DWORD
	v_ffbh_u32_e32 v4, v3
	v_or_b32_sdwa v2, v9, v2 dst_sel:DWORD dst_unused:UNUSED_PAD src0_sel:BYTE_0 src1_sel:DWORD
	v_min_u32_e32 v4, 32, v4
	v_lshrrev_b16_e32 v2, 3, v2
	v_subrev_u32_e32 v6, 28, v4
	v_and_b32_e32 v2, 15, v2
	v_lshlrev_b32_e32 v6, v6, v9
	v_sub_u32_e32 v4, 29, v4
	v_and_b32_e32 v6, 7, v6
	v_cmp_eq_u16_e32 vcc, 0, v2
	v_cndmask_b32_e32 v3, v3, v6, vcc
	v_cndmask_b32_e32 v2, v2, v4, vcc
	v_lshlrev_b32_e32 v4, 24, v9
	v_mov_b32_e32 v6, 0x3b800000
	v_lshlrev_b32_e32 v3, 20, v3
	v_and_b32_e32 v4, 0x80000000, v4
	v_lshl_add_u32 v2, v2, 23, v6
	v_or3_b32 v2, v4, v2, v3
.LBB13_612:
	s_or_b64 exec, exec, s[6:7]
	s_movk_i32 s4, 0x7f
	v_cmp_gt_i16_sdwa s[6:7], v5, s4 src0_sel:BYTE_0 src1_sel:DWORD
	s_mov_b64 s[4:5], 0
                                        ; implicit-def: $sgpr10
	s_and_saveexec_b64 s[8:9], s[6:7]
	s_xor_b64 s[6:7], exec, s[8:9]
	s_cbranch_execnz .LBB13_2661
; %bb.613:
	s_or_saveexec_b64 s[6:7], s[6:7]
	v_mov_b32_e32 v3, s10
	s_xor_b64 exec, exec, s[6:7]
	s_cbranch_execnz .LBB13_2664
.LBB13_614:
	s_or_b64 exec, exec, s[6:7]
	s_and_saveexec_b64 s[6:7], s[4:5]
	s_cbranch_execz .LBB13_616
.LBB13_615:
	v_mov_b32_e32 v3, 8
	v_and_b32_e32 v4, 7, v5
	v_lshrrev_b32_sdwa v3, v3, v5 dst_sel:BYTE_1 dst_unused:UNUSED_PAD src0_sel:DWORD src1_sel:DWORD
	v_ffbh_u32_e32 v6, v4
	v_or_b32_sdwa v3, v5, v3 dst_sel:DWORD dst_unused:UNUSED_PAD src0_sel:BYTE_0 src1_sel:DWORD
	v_min_u32_e32 v6, 32, v6
	v_lshrrev_b16_e32 v3, 3, v3
	v_subrev_u32_e32 v7, 28, v6
	v_and_b32_e32 v3, 15, v3
	v_lshlrev_b32_e32 v7, v7, v5
	v_sub_u32_e32 v6, 29, v6
	v_and_b32_e32 v7, 7, v7
	v_cmp_eq_u16_e32 vcc, 0, v3
	v_cndmask_b32_e32 v4, v4, v7, vcc
	v_cndmask_b32_e32 v3, v3, v6, vcc
	v_lshlrev_b32_e32 v6, 24, v5
	v_mov_b32_e32 v7, 0x3b800000
	v_lshlrev_b32_e32 v4, 20, v4
	v_and_b32_e32 v6, 0x80000000, v6
	v_lshl_add_u32 v3, v3, 23, v7
	v_or3_b32 v3, v6, v3, v4
.LBB13_616:
	s_or_b64 exec, exec, s[6:7]
	s_nop 0
	v_mfma_f32_16x16x4f32 a[0:3], v2, v3, a[0:3]
	v_lshrrev_b32_e32 v3, 8, v9
	s_movk_i32 s4, 0x7f
	v_cmp_gt_i16_sdwa s[6:7], v3, s4 src0_sel:BYTE_0 src1_sel:DWORD
	s_mov_b64 s[4:5], 0
                                        ; implicit-def: $sgpr10
	s_and_saveexec_b64 s[8:9], s[6:7]
	s_xor_b64 s[6:7], exec, s[8:9]
	s_cbranch_execnz .LBB13_2665
; %bb.617:
	s_or_saveexec_b64 s[6:7], s[6:7]
	v_mov_b32_e32 v2, s10
	s_xor_b64 exec, exec, s[6:7]
	s_cbranch_execnz .LBB13_2668
.LBB13_618:
	s_or_b64 exec, exec, s[6:7]
	s_and_saveexec_b64 s[6:7], s[4:5]
	s_cbranch_execz .LBB13_620
.LBB13_619:
	v_bfe_u32 v2, v9, 8, 3
	v_ffbh_u32_e32 v6, v2
	v_min_u32_e32 v6, 32, v6
	v_lshrrev_b16_e32 v4, 3, v3
	v_subrev_u32_e32 v7, 28, v6
	v_and_b32_e32 v4, 15, v4
	v_lshlrev_b32_e32 v3, v7, v3
	v_sub_u32_e32 v6, 29, v6
	v_and_b32_e32 v3, 7, v3
	v_cmp_eq_u16_e32 vcc, 0, v4
	v_cndmask_b32_e32 v2, v2, v3, vcc
	v_cndmask_b32_e32 v3, v4, v6, vcc
	v_lshlrev_b32_e32 v4, 16, v9
	v_mov_b32_e32 v6, 0x3b800000
	v_lshlrev_b32_e32 v2, 20, v2
	v_and_b32_e32 v4, 0x80000000, v4
	v_lshl_add_u32 v3, v3, 23, v6
	v_or3_b32 v2, v4, v3, v2
.LBB13_620:
	s_or_b64 exec, exec, s[6:7]
	v_lshrrev_b32_e32 v3, 8, v5
	s_movk_i32 s4, 0x7f
	v_cmp_gt_i16_sdwa s[6:7], v3, s4 src0_sel:BYTE_0 src1_sel:DWORD
	s_mov_b64 s[4:5], 0
                                        ; implicit-def: $sgpr10
	s_and_saveexec_b64 s[8:9], s[6:7]
	s_xor_b64 s[6:7], exec, s[8:9]
	s_cbranch_execnz .LBB13_2669
; %bb.621:
	s_or_saveexec_b64 s[6:7], s[6:7]
	v_mov_b32_e32 v4, s10
	s_xor_b64 exec, exec, s[6:7]
	s_cbranch_execnz .LBB13_2672
.LBB13_622:
	s_or_b64 exec, exec, s[6:7]
	s_and_saveexec_b64 s[6:7], s[4:5]
	s_cbranch_execz .LBB13_624
.LBB13_623:
	v_bfe_u32 v4, v5, 8, 3
	v_ffbh_u32_e32 v7, v4
	v_min_u32_e32 v7, 32, v7
	v_lshrrev_b16_e32 v6, 3, v3
	v_subrev_u32_e32 v8, 28, v7
	v_and_b32_e32 v6, 15, v6
	v_lshlrev_b32_e32 v3, v8, v3
	v_sub_u32_e32 v7, 29, v7
	v_and_b32_e32 v3, 7, v3
	v_cmp_eq_u16_e32 vcc, 0, v6
	v_cndmask_b32_e32 v3, v4, v3, vcc
	v_cndmask_b32_e32 v4, v6, v7, vcc
	v_lshlrev_b32_e32 v6, 16, v5
	v_mov_b32_e32 v7, 0x3b800000
	v_lshlrev_b32_e32 v3, 20, v3
	v_and_b32_e32 v6, 0x80000000, v6
	v_lshl_add_u32 v4, v4, 23, v7
	v_or3_b32 v4, v6, v4, v3
.LBB13_624:
	s_or_b64 exec, exec, s[6:7]
	s_nop 0
	v_mfma_f32_16x16x4f32 a[0:3], v2, v4, a[0:3]
	s_movk_i32 s4, 0xff
	v_and_b32_sdwa v3, v9, s4 dst_sel:DWORD dst_unused:UNUSED_PAD src0_sel:WORD_1 src1_sel:DWORD
	s_movk_i32 s4, 0x7f
	v_cmp_lt_i16_e32 vcc, s4, v3
	s_mov_b64 s[4:5], 0
                                        ; implicit-def: $sgpr10
	s_and_saveexec_b64 s[6:7], vcc
	s_xor_b64 s[6:7], exec, s[6:7]
	s_cbranch_execnz .LBB13_2673
; %bb.625:
	s_or_saveexec_b64 s[6:7], s[6:7]
	v_mov_b32_e32 v2, s10
	s_xor_b64 exec, exec, s[6:7]
	s_cbranch_execnz .LBB13_2676
.LBB13_626:
	s_or_b64 exec, exec, s[6:7]
	s_and_saveexec_b64 s[6:7], s[4:5]
	s_cbranch_execz .LBB13_628
.LBB13_627:
	v_bfe_u32 v2, v9, 16, 3
	v_ffbh_u32_e32 v6, v2
	v_min_u32_e32 v6, 32, v6
	v_lshrrev_b32_e32 v3, 19, v9
	v_subrev_u32_e32 v7, 28, v6
	v_and_b32_e32 v3, 15, v3
	v_lshlrev_b32_sdwa v7, v7, v9 dst_sel:DWORD dst_unused:UNUSED_PAD src0_sel:DWORD src1_sel:WORD_1
	v_bfe_u32 v4, v9, 19, 4
	v_sub_u32_e32 v6, 29, v6
	v_and_b32_e32 v7, 7, v7
	v_cmp_eq_u16_e32 vcc, 0, v3
	v_cndmask_b32_e32 v2, v2, v7, vcc
	v_cndmask_b32_e32 v3, v4, v6, vcc
	v_lshlrev_b32_e32 v4, 8, v9
	v_mov_b32_e32 v6, 0x3b800000
	v_lshlrev_b32_e32 v2, 20, v2
	v_and_b32_e32 v4, 0x80000000, v4
	v_lshl_add_u32 v3, v3, 23, v6
	v_or3_b32 v2, v4, v3, v2
.LBB13_628:
	s_or_b64 exec, exec, s[6:7]
	s_movk_i32 s4, 0xff
	v_and_b32_sdwa v3, v5, s4 dst_sel:DWORD dst_unused:UNUSED_PAD src0_sel:WORD_1 src1_sel:DWORD
	s_movk_i32 s4, 0x7f
	v_cmp_lt_i16_e32 vcc, s4, v3
	s_mov_b64 s[4:5], 0
                                        ; implicit-def: $sgpr10
	s_and_saveexec_b64 s[6:7], vcc
	s_xor_b64 s[6:7], exec, s[6:7]
	s_cbranch_execnz .LBB13_2677
; %bb.629:
	s_or_saveexec_b64 s[6:7], s[6:7]
	v_mov_b32_e32 v4, s10
	s_xor_b64 exec, exec, s[6:7]
	s_cbranch_execnz .LBB13_2680
.LBB13_630:
	s_or_b64 exec, exec, s[6:7]
	s_and_saveexec_b64 s[6:7], s[4:5]
	s_cbranch_execz .LBB13_632
.LBB13_631:
	v_bfe_u32 v3, v5, 16, 3
	v_ffbh_u32_e32 v7, v3
	v_min_u32_e32 v7, 32, v7
	v_lshrrev_b32_e32 v4, 19, v5
	v_subrev_u32_e32 v8, 28, v7
	v_and_b32_e32 v4, 15, v4
	v_lshlrev_b32_sdwa v8, v8, v5 dst_sel:DWORD dst_unused:UNUSED_PAD src0_sel:DWORD src1_sel:WORD_1
	v_bfe_u32 v6, v5, 19, 4
	v_sub_u32_e32 v7, 29, v7
	v_and_b32_e32 v8, 7, v8
	v_cmp_eq_u16_e32 vcc, 0, v4
	v_cndmask_b32_e32 v3, v3, v8, vcc
	v_cndmask_b32_e32 v4, v6, v7, vcc
	v_lshlrev_b32_e32 v6, 8, v5
	v_mov_b32_e32 v7, 0x3b800000
	v_lshlrev_b32_e32 v3, 20, v3
	v_and_b32_e32 v6, 0x80000000, v6
	v_lshl_add_u32 v4, v4, 23, v7
	v_or3_b32 v4, v6, v4, v3
.LBB13_632:
	s_or_b64 exec, exec, s[6:7]
	s_nop 0
	v_mfma_f32_16x16x4f32 a[0:3], v2, v4, a[0:3]
	s_movk_i32 s4, 0x7f
	v_cmp_gt_i16_sdwa s[6:7], v9, s4 src0_sel:BYTE_3 src1_sel:DWORD
	s_mov_b64 s[4:5], 0
                                        ; implicit-def: $sgpr10
	s_and_saveexec_b64 s[8:9], s[6:7]
	s_xor_b64 s[6:7], exec, s[8:9]
	s_cbranch_execnz .LBB13_2681
; %bb.633:
	s_or_saveexec_b64 s[6:7], s[6:7]
	v_mov_b32_e32 v2, s10
	s_xor_b64 exec, exec, s[6:7]
	s_cbranch_execnz .LBB13_2684
.LBB13_634:
	s_or_b64 exec, exec, s[6:7]
	s_and_saveexec_b64 s[6:7], s[4:5]
	s_cbranch_execz .LBB13_636
.LBB13_635:
	v_bfe_u32 v2, v9, 24, 3
	v_ffbh_u32_e32 v7, v2
	v_min_u32_e32 v7, 32, v7
	v_lshrrev_b32_e32 v4, 27, v9
	v_subrev_u32_e32 v8, 28, v7
	v_and_b32_e32 v4, 15, v4
	v_lshlrev_b32_sdwa v8, v8, v9 dst_sel:DWORD dst_unused:UNUSED_PAD src0_sel:DWORD src1_sel:BYTE_3
	v_bfe_u32 v6, v9, 27, 4
	v_sub_u32_e32 v7, 29, v7
	v_and_b32_e32 v8, 7, v8
	v_cmp_eq_u16_e32 vcc, 0, v4
	v_cndmask_b32_e32 v2, v2, v8, vcc
	v_cndmask_b32_e32 v4, v6, v7, vcc
	v_mov_b32_e32 v6, 0x3b800000
	v_and_b32_e32 v3, 0x80000000, v9
	v_lshlrev_b32_e32 v2, 20, v2
	v_lshl_add_u32 v4, v4, 23, v6
	v_or3_b32 v2, v3, v4, v2
.LBB13_636:
	s_or_b64 exec, exec, s[6:7]
	s_movk_i32 s4, 0x7f
	v_cmp_gt_i16_sdwa s[6:7], v5, s4 src0_sel:BYTE_3 src1_sel:DWORD
	s_mov_b64 s[4:5], 0
                                        ; implicit-def: $sgpr10
	s_and_saveexec_b64 s[8:9], s[6:7]
	s_xor_b64 s[6:7], exec, s[8:9]
	s_cbranch_execnz .LBB13_2685
; %bb.637:
	s_or_saveexec_b64 s[6:7], s[6:7]
	v_mov_b32_e32 v3, s10
	s_xor_b64 exec, exec, s[6:7]
	s_cbranch_execnz .LBB13_2688
.LBB13_638:
	s_or_b64 exec, exec, s[6:7]
	s_and_saveexec_b64 s[6:7], s[4:5]
	s_cbranch_execz .LBB13_640
.LBB13_639:
	v_bfe_u32 v3, v5, 24, 3
	v_ffbh_u32_e32 v8, v3
	v_min_u32_e32 v8, 32, v8
	v_lshrrev_b32_e32 v6, 27, v5
	v_subrev_u32_e32 v9, 28, v8
	v_and_b32_e32 v4, 0x80000000, v5
	v_and_b32_e32 v6, 15, v6
	v_bfe_u32 v7, v5, 27, 4
	v_lshlrev_b32_sdwa v5, v9, v5 dst_sel:DWORD dst_unused:UNUSED_PAD src0_sel:DWORD src1_sel:BYTE_3
	v_sub_u32_e32 v8, 29, v8
	v_and_b32_e32 v5, 7, v5
	v_cmp_eq_u16_e32 vcc, 0, v6
	v_cndmask_b32_e32 v3, v3, v5, vcc
	v_cndmask_b32_e32 v5, v7, v8, vcc
	v_mov_b32_e32 v6, 0x3b800000
	v_lshlrev_b32_e32 v3, 20, v3
	v_lshl_add_u32 v5, v5, 23, v6
	v_or3_b32 v3, v4, v5, v3
.LBB13_640:
	s_or_b64 exec, exec, s[6:7]
	s_nop 0
	v_mfma_f32_16x16x4f32 a[0:3], v2, v3, a[0:3]
	s_movk_i32 s4, 0x7f
                                        ; implicit-def: $sgpr10
	s_nop 7
	s_nop 1
	flat_store_dwordx4 v[10:11], a[0:3] offset:64
	flat_load_dwordx4 v[12:15], v[0:1] offset:8
	s_nop 0
	flat_load_dwordx2 v[10:11], v[0:1] offset:32
	s_waitcnt vmcnt(0) lgkmcnt(0)
	flat_load_dwordx4 v[6:9], v[12:13] offset:48
	flat_load_dwordx4 v[2:5], v[14:15] offset:48
	s_waitcnt vmcnt(0) lgkmcnt(0)
	v_cmp_gt_i16_sdwa s[6:7], v6, s4 src0_sel:BYTE_0 src1_sel:DWORD
	s_mov_b64 s[4:5], 0
	s_and_saveexec_b64 s[8:9], s[6:7]
	s_xor_b64 s[6:7], exec, s[8:9]
	s_cbranch_execnz .LBB13_2689
; %bb.641:
	s_or_saveexec_b64 s[6:7], s[6:7]
	v_mov_b32_e32 v12, s10
	s_xor_b64 exec, exec, s[6:7]
	s_cbranch_execnz .LBB13_2692
.LBB13_642:
	s_or_b64 exec, exec, s[6:7]
	s_and_saveexec_b64 s[6:7], s[4:5]
	s_cbranch_execz .LBB13_644
.LBB13_643:
	v_and_b32_e32 v12, 7, v6
	v_ffbh_u32_e32 v14, v12
	v_min_u32_e32 v14, 32, v14
	v_lshrrev_b16_e32 v13, 3, v6
	v_subrev_u32_e32 v15, 28, v14
	v_and_b32_e32 v13, 15, v13
	v_lshlrev_b32_e32 v15, v15, v6
	v_sub_u32_e32 v14, 29, v14
	v_and_b32_e32 v15, 7, v15
	v_cmp_eq_u16_e32 vcc, 0, v13
	v_cndmask_b32_e32 v12, v12, v15, vcc
	v_cndmask_b32_e32 v13, v13, v14, vcc
	v_lshlrev_b32_e32 v14, 24, v6
	v_mov_b32_e32 v15, 0x3b800000
	v_lshlrev_b32_e32 v12, 20, v12
	v_and_b32_e32 v14, 0x80000000, v14
	v_lshl_add_u32 v13, v13, 23, v15
	v_or3_b32 v12, v14, v13, v12
.LBB13_644:
	s_or_b64 exec, exec, s[6:7]
	s_movk_i32 s4, 0x7f
	v_cmp_gt_i16_sdwa s[6:7], v2, s4 src0_sel:BYTE_0 src1_sel:DWORD
	s_mov_b64 s[4:5], 0
                                        ; implicit-def: $sgpr10
	s_and_saveexec_b64 s[8:9], s[6:7]
	s_xor_b64 s[6:7], exec, s[8:9]
	s_cbranch_execnz .LBB13_2693
; %bb.645:
	s_or_saveexec_b64 s[6:7], s[6:7]
	v_mov_b32_e32 v13, s10
	s_xor_b64 exec, exec, s[6:7]
	s_cbranch_execnz .LBB13_2696
.LBB13_646:
	s_or_b64 exec, exec, s[6:7]
	s_and_saveexec_b64 s[6:7], s[4:5]
	s_cbranch_execz .LBB13_648
.LBB13_647:
	v_and_b32_e32 v13, 7, v2
	v_ffbh_u32_e32 v15, v13
	v_min_u32_e32 v15, 32, v15
	v_lshrrev_b16_e32 v14, 3, v2
	v_subrev_u32_e32 v16, 28, v15
	v_and_b32_e32 v14, 15, v14
	v_lshlrev_b32_e32 v16, v16, v2
	v_sub_u32_e32 v15, 29, v15
	v_and_b32_e32 v16, 7, v16
	v_cmp_eq_u16_e32 vcc, 0, v14
	v_cndmask_b32_e32 v13, v13, v16, vcc
	v_cndmask_b32_e32 v14, v14, v15, vcc
	v_lshlrev_b32_e32 v15, 24, v2
	v_mov_b32_e32 v16, 0x3b800000
	v_lshlrev_b32_e32 v13, 20, v13
	v_and_b32_e32 v15, 0x80000000, v15
	v_lshl_add_u32 v14, v14, 23, v16
	v_or3_b32 v13, v15, v14, v13
.LBB13_648:
	s_or_b64 exec, exec, s[6:7]
	flat_load_dwordx4 a[0:3], v[10:11] offset:80
	s_movk_i32 s4, 0x7f
                                        ; implicit-def: $sgpr10
	s_waitcnt vmcnt(0) lgkmcnt(0)
	v_mfma_f32_16x16x4f32 a[0:3], v12, v13, a[0:3]
	v_lshrrev_b32_e32 v13, 8, v6
	v_cmp_gt_i16_sdwa s[6:7], v13, s4 src0_sel:BYTE_0 src1_sel:DWORD
	s_mov_b64 s[4:5], 0
	s_and_saveexec_b64 s[8:9], s[6:7]
	s_xor_b64 s[6:7], exec, s[8:9]
	s_cbranch_execnz .LBB13_2697
; %bb.649:
	s_or_saveexec_b64 s[6:7], s[6:7]
	v_mov_b32_e32 v12, s10
	s_xor_b64 exec, exec, s[6:7]
	s_cbranch_execnz .LBB13_2700
.LBB13_650:
	s_or_b64 exec, exec, s[6:7]
	s_and_saveexec_b64 s[6:7], s[4:5]
	s_cbranch_execz .LBB13_652
.LBB13_651:
	v_bfe_u32 v12, v6, 8, 3
	v_ffbh_u32_e32 v15, v12
	v_min_u32_e32 v15, 32, v15
	v_lshrrev_b16_e32 v14, 3, v13
	v_subrev_u32_e32 v16, 28, v15
	v_and_b32_e32 v14, 15, v14
	v_lshlrev_b32_e32 v13, v16, v13
	v_sub_u32_e32 v15, 29, v15
	v_and_b32_e32 v13, 7, v13
	v_cmp_eq_u16_e32 vcc, 0, v14
	v_cndmask_b32_e32 v12, v12, v13, vcc
	v_cndmask_b32_e32 v13, v14, v15, vcc
	v_lshlrev_b32_e32 v14, 16, v6
	v_mov_b32_e32 v15, 0x3b800000
	v_lshlrev_b32_e32 v12, 20, v12
	v_and_b32_e32 v14, 0x80000000, v14
	v_lshl_add_u32 v13, v13, 23, v15
	v_or3_b32 v12, v14, v13, v12
.LBB13_652:
	s_or_b64 exec, exec, s[6:7]
	v_lshrrev_b32_e32 v13, 8, v2
	s_movk_i32 s4, 0x7f
	v_cmp_gt_i16_sdwa s[6:7], v13, s4 src0_sel:BYTE_0 src1_sel:DWORD
	s_mov_b64 s[4:5], 0
                                        ; implicit-def: $sgpr10
	s_and_saveexec_b64 s[8:9], s[6:7]
	s_xor_b64 s[6:7], exec, s[8:9]
	s_cbranch_execnz .LBB13_2701
; %bb.653:
	s_or_saveexec_b64 s[6:7], s[6:7]
	v_mov_b32_e32 v14, s10
	s_xor_b64 exec, exec, s[6:7]
	s_cbranch_execnz .LBB13_2704
.LBB13_654:
	s_or_b64 exec, exec, s[6:7]
	s_and_saveexec_b64 s[6:7], s[4:5]
	s_cbranch_execz .LBB13_656
.LBB13_655:
	v_bfe_u32 v14, v2, 8, 3
	v_ffbh_u32_e32 v16, v14
	v_min_u32_e32 v16, 32, v16
	v_lshrrev_b16_e32 v15, 3, v13
	v_subrev_u32_e32 v17, 28, v16
	v_and_b32_e32 v15, 15, v15
	v_lshlrev_b32_e32 v13, v17, v13
	v_sub_u32_e32 v16, 29, v16
	v_and_b32_e32 v13, 7, v13
	v_cmp_eq_u16_e32 vcc, 0, v15
	v_cndmask_b32_e32 v13, v14, v13, vcc
	v_cndmask_b32_e32 v14, v15, v16, vcc
	v_lshlrev_b32_e32 v15, 16, v2
	v_mov_b32_e32 v16, 0x3b800000
	v_lshlrev_b32_e32 v13, 20, v13
	v_and_b32_e32 v15, 0x80000000, v15
	v_lshl_add_u32 v14, v14, 23, v16
	v_or3_b32 v14, v15, v14, v13
.LBB13_656:
	s_or_b64 exec, exec, s[6:7]
	s_nop 0
	v_mfma_f32_16x16x4f32 a[0:3], v12, v14, a[0:3]
	s_movk_i32 s4, 0xff
	v_and_b32_sdwa v13, v6, s4 dst_sel:DWORD dst_unused:UNUSED_PAD src0_sel:WORD_1 src1_sel:DWORD
	s_movk_i32 s4, 0x7f
	v_cmp_lt_i16_e32 vcc, s4, v13
	s_mov_b64 s[4:5], 0
                                        ; implicit-def: $sgpr10
	s_and_saveexec_b64 s[6:7], vcc
	s_xor_b64 s[6:7], exec, s[6:7]
	s_cbranch_execnz .LBB13_2705
; %bb.657:
	s_or_saveexec_b64 s[6:7], s[6:7]
	v_mov_b32_e32 v12, s10
	s_xor_b64 exec, exec, s[6:7]
	s_cbranch_execnz .LBB13_2708
.LBB13_658:
	s_or_b64 exec, exec, s[6:7]
	s_and_saveexec_b64 s[6:7], s[4:5]
	s_cbranch_execz .LBB13_660
.LBB13_659:
	v_bfe_u32 v12, v6, 16, 3
	v_ffbh_u32_e32 v15, v12
	v_min_u32_e32 v15, 32, v15
	v_lshrrev_b32_e32 v13, 19, v6
	v_subrev_u32_e32 v16, 28, v15
	v_and_b32_e32 v13, 15, v13
	v_lshlrev_b32_sdwa v16, v16, v6 dst_sel:DWORD dst_unused:UNUSED_PAD src0_sel:DWORD src1_sel:WORD_1
	v_bfe_u32 v14, v6, 19, 4
	v_sub_u32_e32 v15, 29, v15
	v_and_b32_e32 v16, 7, v16
	v_cmp_eq_u16_e32 vcc, 0, v13
	v_cndmask_b32_e32 v12, v12, v16, vcc
	v_cndmask_b32_e32 v13, v14, v15, vcc
	v_lshlrev_b32_e32 v14, 8, v6
	v_mov_b32_e32 v15, 0x3b800000
	v_lshlrev_b32_e32 v12, 20, v12
	v_and_b32_e32 v14, 0x80000000, v14
	v_lshl_add_u32 v13, v13, 23, v15
	v_or3_b32 v12, v14, v13, v12
.LBB13_660:
	s_or_b64 exec, exec, s[6:7]
	s_movk_i32 s4, 0xff
	v_and_b32_sdwa v13, v2, s4 dst_sel:DWORD dst_unused:UNUSED_PAD src0_sel:WORD_1 src1_sel:DWORD
	s_movk_i32 s4, 0x7f
	v_cmp_lt_i16_e32 vcc, s4, v13
	s_mov_b64 s[4:5], 0
                                        ; implicit-def: $sgpr10
	s_and_saveexec_b64 s[6:7], vcc
	s_xor_b64 s[6:7], exec, s[6:7]
	s_cbranch_execnz .LBB13_2709
; %bb.661:
	s_or_saveexec_b64 s[6:7], s[6:7]
	v_mov_b32_e32 v14, s10
	s_xor_b64 exec, exec, s[6:7]
	s_cbranch_execnz .LBB13_2712
.LBB13_662:
	s_or_b64 exec, exec, s[6:7]
	s_and_saveexec_b64 s[6:7], s[4:5]
	s_cbranch_execz .LBB13_664
.LBB13_663:
	v_bfe_u32 v13, v2, 16, 3
	v_ffbh_u32_e32 v16, v13
	v_min_u32_e32 v16, 32, v16
	v_lshrrev_b32_e32 v14, 19, v2
	v_subrev_u32_e32 v17, 28, v16
	v_and_b32_e32 v14, 15, v14
	v_lshlrev_b32_sdwa v17, v17, v2 dst_sel:DWORD dst_unused:UNUSED_PAD src0_sel:DWORD src1_sel:WORD_1
	v_bfe_u32 v15, v2, 19, 4
	v_sub_u32_e32 v16, 29, v16
	v_and_b32_e32 v17, 7, v17
	v_cmp_eq_u16_e32 vcc, 0, v14
	v_cndmask_b32_e32 v13, v13, v17, vcc
	v_cndmask_b32_e32 v14, v15, v16, vcc
	v_lshlrev_b32_e32 v15, 8, v2
	v_mov_b32_e32 v16, 0x3b800000
	v_lshlrev_b32_e32 v13, 20, v13
	v_and_b32_e32 v15, 0x80000000, v15
	v_lshl_add_u32 v14, v14, 23, v16
	v_or3_b32 v14, v15, v14, v13
.LBB13_664:
	s_or_b64 exec, exec, s[6:7]
	s_nop 0
	v_mfma_f32_16x16x4f32 a[0:3], v12, v14, a[0:3]
	s_movk_i32 s4, 0x7f
	v_cmp_gt_i16_sdwa s[6:7], v6, s4 src0_sel:BYTE_3 src1_sel:DWORD
	s_mov_b64 s[4:5], 0
                                        ; implicit-def: $sgpr10
	s_and_saveexec_b64 s[8:9], s[6:7]
	s_xor_b64 s[6:7], exec, s[8:9]
	s_cbranch_execnz .LBB13_2713
; %bb.665:
	s_or_saveexec_b64 s[6:7], s[6:7]
	v_mov_b32_e32 v12, s10
	s_xor_b64 exec, exec, s[6:7]
	s_cbranch_execnz .LBB13_2716
.LBB13_666:
	s_or_b64 exec, exec, s[6:7]
	s_and_saveexec_b64 s[6:7], s[4:5]
	s_cbranch_execz .LBB13_668
.LBB13_667:
	v_bfe_u32 v12, v6, 24, 3
	v_ffbh_u32_e32 v16, v12
	v_min_u32_e32 v16, 32, v16
	v_lshrrev_b32_e32 v14, 27, v6
	v_subrev_u32_e32 v17, 28, v16
	v_and_b32_e32 v13, 0x80000000, v6
	v_and_b32_e32 v14, 15, v14
	v_bfe_u32 v15, v6, 27, 4
	v_lshlrev_b32_sdwa v6, v17, v6 dst_sel:DWORD dst_unused:UNUSED_PAD src0_sel:DWORD src1_sel:BYTE_3
	v_sub_u32_e32 v16, 29, v16
	v_and_b32_e32 v6, 7, v6
	v_cmp_eq_u16_e32 vcc, 0, v14
	v_cndmask_b32_e32 v6, v12, v6, vcc
	v_cndmask_b32_e32 v12, v15, v16, vcc
	v_mov_b32_e32 v14, 0x3b800000
	v_lshlrev_b32_e32 v6, 20, v6
	v_lshl_add_u32 v12, v12, 23, v14
	v_or3_b32 v12, v13, v12, v6
.LBB13_668:
	s_or_b64 exec, exec, s[6:7]
	s_movk_i32 s4, 0x7f
	v_cmp_gt_i16_sdwa s[6:7], v2, s4 src0_sel:BYTE_3 src1_sel:DWORD
	s_mov_b64 s[4:5], 0
                                        ; implicit-def: $sgpr10
	s_and_saveexec_b64 s[8:9], s[6:7]
	s_xor_b64 s[6:7], exec, s[8:9]
	s_cbranch_execnz .LBB13_2717
; %bb.669:
	s_or_saveexec_b64 s[6:7], s[6:7]
	v_mov_b32_e32 v6, s10
	s_xor_b64 exec, exec, s[6:7]
	s_cbranch_execnz .LBB13_2720
.LBB13_670:
	s_or_b64 exec, exec, s[6:7]
	s_and_saveexec_b64 s[6:7], s[4:5]
	s_cbranch_execz .LBB13_672
.LBB13_671:
	v_bfe_u32 v6, v2, 24, 3
	v_ffbh_u32_e32 v16, v6
	v_min_u32_e32 v16, 32, v16
	v_lshrrev_b32_e32 v14, 27, v2
	v_subrev_u32_e32 v17, 28, v16
	v_and_b32_e32 v13, 0x80000000, v2
	v_and_b32_e32 v14, 15, v14
	v_bfe_u32 v15, v2, 27, 4
	v_lshlrev_b32_sdwa v2, v17, v2 dst_sel:DWORD dst_unused:UNUSED_PAD src0_sel:DWORD src1_sel:BYTE_3
	v_sub_u32_e32 v16, 29, v16
	v_and_b32_e32 v2, 7, v2
	v_cmp_eq_u16_e32 vcc, 0, v14
	v_cndmask_b32_e32 v2, v6, v2, vcc
	v_cndmask_b32_e32 v6, v15, v16, vcc
	v_mov_b32_e32 v14, 0x3b800000
	v_lshlrev_b32_e32 v2, 20, v2
	v_lshl_add_u32 v6, v6, 23, v14
	v_or3_b32 v6, v13, v6, v2
.LBB13_672:
	s_or_b64 exec, exec, s[6:7]
	s_nop 0
	v_mfma_f32_16x16x4f32 a[0:3], v12, v6, a[0:3]
	s_movk_i32 s4, 0x7f
	v_cmp_gt_i16_sdwa s[6:7], v7, s4 src0_sel:BYTE_0 src1_sel:DWORD
	s_mov_b64 s[4:5], 0
                                        ; implicit-def: $sgpr10
	s_and_saveexec_b64 s[8:9], s[6:7]
	s_xor_b64 s[6:7], exec, s[8:9]
	s_cbranch_execnz .LBB13_2721
; %bb.673:
	s_or_saveexec_b64 s[6:7], s[6:7]
	v_mov_b32_e32 v2, s10
	s_xor_b64 exec, exec, s[6:7]
	s_cbranch_execnz .LBB13_2724
.LBB13_674:
	s_or_b64 exec, exec, s[6:7]
	s_and_saveexec_b64 s[6:7], s[4:5]
	s_cbranch_execz .LBB13_676
.LBB13_675:
	v_and_b32_e32 v2, 7, v7
	v_ffbh_u32_e32 v12, v2
	v_min_u32_e32 v12, 32, v12
	v_lshrrev_b16_e32 v6, 3, v7
	v_subrev_u32_e32 v13, 28, v12
	v_and_b32_e32 v6, 15, v6
	v_lshlrev_b32_e32 v13, v13, v7
	v_sub_u32_e32 v12, 29, v12
	v_and_b32_e32 v13, 7, v13
	v_cmp_eq_u16_e32 vcc, 0, v6
	v_cndmask_b32_e32 v2, v2, v13, vcc
	v_cndmask_b32_e32 v6, v6, v12, vcc
	v_lshlrev_b32_e32 v12, 24, v7
	v_mov_b32_e32 v13, 0x3b800000
	v_lshlrev_b32_e32 v2, 20, v2
	v_and_b32_e32 v12, 0x80000000, v12
	v_lshl_add_u32 v6, v6, 23, v13
	v_or3_b32 v2, v12, v6, v2
.LBB13_676:
	s_or_b64 exec, exec, s[6:7]
	s_movk_i32 s4, 0x7f
	v_cmp_gt_i16_sdwa s[6:7], v3, s4 src0_sel:BYTE_0 src1_sel:DWORD
	s_mov_b64 s[4:5], 0
                                        ; implicit-def: $sgpr10
	s_and_saveexec_b64 s[8:9], s[6:7]
	s_xor_b64 s[6:7], exec, s[8:9]
	s_cbranch_execnz .LBB13_2725
; %bb.677:
	s_or_saveexec_b64 s[6:7], s[6:7]
	v_mov_b32_e32 v6, s10
	s_xor_b64 exec, exec, s[6:7]
	s_cbranch_execnz .LBB13_2728
.LBB13_678:
	s_or_b64 exec, exec, s[6:7]
	s_and_saveexec_b64 s[6:7], s[4:5]
	s_cbranch_execz .LBB13_680
.LBB13_679:
	v_and_b32_e32 v6, 7, v3
	v_ffbh_u32_e32 v13, v6
	v_min_u32_e32 v13, 32, v13
	v_lshrrev_b16_e32 v12, 3, v3
	v_subrev_u32_e32 v14, 28, v13
	v_and_b32_e32 v12, 15, v12
	v_lshlrev_b32_e32 v14, v14, v3
	v_sub_u32_e32 v13, 29, v13
	v_and_b32_e32 v14, 7, v14
	v_cmp_eq_u16_e32 vcc, 0, v12
	v_cndmask_b32_e32 v6, v6, v14, vcc
	v_cndmask_b32_e32 v12, v12, v13, vcc
	v_lshlrev_b32_e32 v13, 24, v3
	v_mov_b32_e32 v14, 0x3b800000
	v_lshlrev_b32_e32 v6, 20, v6
	v_and_b32_e32 v13, 0x80000000, v13
	v_lshl_add_u32 v12, v12, 23, v14
	v_or3_b32 v6, v13, v12, v6
.LBB13_680:
	s_or_b64 exec, exec, s[6:7]
	s_nop 0
	v_mfma_f32_16x16x4f32 a[0:3], v2, v6, a[0:3]
	v_lshrrev_b32_e32 v6, 8, v7
	s_movk_i32 s4, 0x7f
	v_cmp_gt_i16_sdwa s[6:7], v6, s4 src0_sel:BYTE_0 src1_sel:DWORD
	s_mov_b64 s[4:5], 0
                                        ; implicit-def: $sgpr10
	s_and_saveexec_b64 s[8:9], s[6:7]
	s_xor_b64 s[6:7], exec, s[8:9]
	s_cbranch_execnz .LBB13_2729
; %bb.681:
	s_or_saveexec_b64 s[6:7], s[6:7]
	v_mov_b32_e32 v2, s10
	s_xor_b64 exec, exec, s[6:7]
	s_cbranch_execnz .LBB13_2732
.LBB13_682:
	s_or_b64 exec, exec, s[6:7]
	s_and_saveexec_b64 s[6:7], s[4:5]
	s_cbranch_execz .LBB13_684
.LBB13_683:
	v_bfe_u32 v2, v7, 8, 3
	v_ffbh_u32_e32 v13, v2
	v_min_u32_e32 v13, 32, v13
	v_lshrrev_b16_e32 v12, 3, v6
	v_subrev_u32_e32 v14, 28, v13
	v_and_b32_e32 v12, 15, v12
	v_lshlrev_b32_e32 v6, v14, v6
	v_sub_u32_e32 v13, 29, v13
	v_and_b32_e32 v6, 7, v6
	v_cmp_eq_u16_e32 vcc, 0, v12
	v_cndmask_b32_e32 v2, v2, v6, vcc
	v_cndmask_b32_e32 v6, v12, v13, vcc
	v_lshlrev_b32_e32 v12, 16, v7
	v_mov_b32_e32 v13, 0x3b800000
	v_lshlrev_b32_e32 v2, 20, v2
	v_and_b32_e32 v12, 0x80000000, v12
	v_lshl_add_u32 v6, v6, 23, v13
	v_or3_b32 v2, v12, v6, v2
.LBB13_684:
	s_or_b64 exec, exec, s[6:7]
	v_lshrrev_b32_e32 v6, 8, v3
	s_movk_i32 s4, 0x7f
	v_cmp_gt_i16_sdwa s[6:7], v6, s4 src0_sel:BYTE_0 src1_sel:DWORD
	s_mov_b64 s[4:5], 0
                                        ; implicit-def: $sgpr10
	s_and_saveexec_b64 s[8:9], s[6:7]
	s_xor_b64 s[6:7], exec, s[8:9]
	s_cbranch_execnz .LBB13_2733
; %bb.685:
	s_or_saveexec_b64 s[6:7], s[6:7]
	v_mov_b32_e32 v12, s10
	s_xor_b64 exec, exec, s[6:7]
	s_cbranch_execnz .LBB13_2736
.LBB13_686:
	s_or_b64 exec, exec, s[6:7]
	s_and_saveexec_b64 s[6:7], s[4:5]
	s_cbranch_execz .LBB13_688
.LBB13_687:
	v_bfe_u32 v12, v3, 8, 3
	v_ffbh_u32_e32 v14, v12
	v_min_u32_e32 v14, 32, v14
	v_lshrrev_b16_e32 v13, 3, v6
	v_subrev_u32_e32 v15, 28, v14
	v_and_b32_e32 v13, 15, v13
	v_lshlrev_b32_e32 v6, v15, v6
	v_sub_u32_e32 v14, 29, v14
	v_and_b32_e32 v6, 7, v6
	v_cmp_eq_u16_e32 vcc, 0, v13
	v_cndmask_b32_e32 v6, v12, v6, vcc
	v_cndmask_b32_e32 v12, v13, v14, vcc
	v_lshlrev_b32_e32 v13, 16, v3
	v_mov_b32_e32 v14, 0x3b800000
	v_lshlrev_b32_e32 v6, 20, v6
	v_and_b32_e32 v13, 0x80000000, v13
	v_lshl_add_u32 v12, v12, 23, v14
	v_or3_b32 v12, v13, v12, v6
.LBB13_688:
	s_or_b64 exec, exec, s[6:7]
	s_nop 0
	v_mfma_f32_16x16x4f32 a[0:3], v2, v12, a[0:3]
	s_movk_i32 s4, 0xff
	v_and_b32_sdwa v6, v7, s4 dst_sel:DWORD dst_unused:UNUSED_PAD src0_sel:WORD_1 src1_sel:DWORD
	s_movk_i32 s4, 0x7f
	v_cmp_lt_i16_e32 vcc, s4, v6
	s_mov_b64 s[4:5], 0
                                        ; implicit-def: $sgpr10
	s_and_saveexec_b64 s[6:7], vcc
	s_xor_b64 s[6:7], exec, s[6:7]
	s_cbranch_execnz .LBB13_2737
; %bb.689:
	s_or_saveexec_b64 s[6:7], s[6:7]
	v_mov_b32_e32 v2, s10
	s_xor_b64 exec, exec, s[6:7]
	s_cbranch_execnz .LBB13_2740
.LBB13_690:
	s_or_b64 exec, exec, s[6:7]
	s_and_saveexec_b64 s[6:7], s[4:5]
	s_cbranch_execz .LBB13_692
.LBB13_691:
	v_bfe_u32 v2, v7, 16, 3
	v_ffbh_u32_e32 v13, v2
	v_min_u32_e32 v13, 32, v13
	v_lshrrev_b32_e32 v6, 19, v7
	v_subrev_u32_e32 v14, 28, v13
	v_and_b32_e32 v6, 15, v6
	v_lshlrev_b32_sdwa v14, v14, v7 dst_sel:DWORD dst_unused:UNUSED_PAD src0_sel:DWORD src1_sel:WORD_1
	v_bfe_u32 v12, v7, 19, 4
	v_sub_u32_e32 v13, 29, v13
	v_and_b32_e32 v14, 7, v14
	v_cmp_eq_u16_e32 vcc, 0, v6
	v_cndmask_b32_e32 v2, v2, v14, vcc
	v_cndmask_b32_e32 v6, v12, v13, vcc
	v_lshlrev_b32_e32 v12, 8, v7
	v_mov_b32_e32 v13, 0x3b800000
	v_lshlrev_b32_e32 v2, 20, v2
	v_and_b32_e32 v12, 0x80000000, v12
	v_lshl_add_u32 v6, v6, 23, v13
	v_or3_b32 v2, v12, v6, v2
.LBB13_692:
	s_or_b64 exec, exec, s[6:7]
	s_movk_i32 s4, 0xff
	v_and_b32_sdwa v6, v3, s4 dst_sel:DWORD dst_unused:UNUSED_PAD src0_sel:WORD_1 src1_sel:DWORD
	s_movk_i32 s4, 0x7f
	v_cmp_lt_i16_e32 vcc, s4, v6
	s_mov_b64 s[4:5], 0
                                        ; implicit-def: $sgpr10
	s_and_saveexec_b64 s[6:7], vcc
	s_xor_b64 s[6:7], exec, s[6:7]
	s_cbranch_execnz .LBB13_2741
; %bb.693:
	s_or_saveexec_b64 s[6:7], s[6:7]
	v_mov_b32_e32 v12, s10
	s_xor_b64 exec, exec, s[6:7]
	s_cbranch_execnz .LBB13_2744
.LBB13_694:
	s_or_b64 exec, exec, s[6:7]
	s_and_saveexec_b64 s[6:7], s[4:5]
	s_cbranch_execz .LBB13_696
.LBB13_695:
	v_bfe_u32 v6, v3, 16, 3
	v_ffbh_u32_e32 v14, v6
	v_min_u32_e32 v14, 32, v14
	v_lshrrev_b32_e32 v12, 19, v3
	v_subrev_u32_e32 v15, 28, v14
	v_and_b32_e32 v12, 15, v12
	v_lshlrev_b32_sdwa v15, v15, v3 dst_sel:DWORD dst_unused:UNUSED_PAD src0_sel:DWORD src1_sel:WORD_1
	v_bfe_u32 v13, v3, 19, 4
	v_sub_u32_e32 v14, 29, v14
	v_and_b32_e32 v15, 7, v15
	v_cmp_eq_u16_e32 vcc, 0, v12
	v_cndmask_b32_e32 v6, v6, v15, vcc
	v_cndmask_b32_e32 v12, v13, v14, vcc
	v_lshlrev_b32_e32 v13, 8, v3
	v_mov_b32_e32 v14, 0x3b800000
	v_lshlrev_b32_e32 v6, 20, v6
	v_and_b32_e32 v13, 0x80000000, v13
	v_lshl_add_u32 v12, v12, 23, v14
	v_or3_b32 v12, v13, v12, v6
.LBB13_696:
	s_or_b64 exec, exec, s[6:7]
	s_nop 0
	v_mfma_f32_16x16x4f32 a[0:3], v2, v12, a[0:3]
	s_movk_i32 s4, 0x7f
	v_cmp_gt_i16_sdwa s[6:7], v7, s4 src0_sel:BYTE_3 src1_sel:DWORD
	s_mov_b64 s[4:5], 0
                                        ; implicit-def: $sgpr10
	s_and_saveexec_b64 s[8:9], s[6:7]
	s_xor_b64 s[6:7], exec, s[8:9]
	s_cbranch_execnz .LBB13_2745
; %bb.697:
	s_or_saveexec_b64 s[6:7], s[6:7]
	v_mov_b32_e32 v2, s10
	s_xor_b64 exec, exec, s[6:7]
	s_cbranch_execnz .LBB13_2748
.LBB13_698:
	s_or_b64 exec, exec, s[6:7]
	s_and_saveexec_b64 s[6:7], s[4:5]
	s_cbranch_execz .LBB13_700
.LBB13_699:
	v_bfe_u32 v2, v7, 24, 3
	v_ffbh_u32_e32 v14, v2
	v_min_u32_e32 v14, 32, v14
	v_lshrrev_b32_e32 v12, 27, v7
	v_subrev_u32_e32 v15, 28, v14
	v_and_b32_e32 v6, 0x80000000, v7
	v_and_b32_e32 v12, 15, v12
	v_bfe_u32 v13, v7, 27, 4
	v_lshlrev_b32_sdwa v7, v15, v7 dst_sel:DWORD dst_unused:UNUSED_PAD src0_sel:DWORD src1_sel:BYTE_3
	v_sub_u32_e32 v14, 29, v14
	v_and_b32_e32 v7, 7, v7
	v_cmp_eq_u16_e32 vcc, 0, v12
	v_cndmask_b32_e32 v2, v2, v7, vcc
	v_cndmask_b32_e32 v7, v13, v14, vcc
	v_mov_b32_e32 v12, 0x3b800000
	v_lshlrev_b32_e32 v2, 20, v2
	v_lshl_add_u32 v7, v7, 23, v12
	v_or3_b32 v2, v6, v7, v2
.LBB13_700:
	s_or_b64 exec, exec, s[6:7]
	s_movk_i32 s4, 0x7f
	v_cmp_gt_i16_sdwa s[6:7], v3, s4 src0_sel:BYTE_3 src1_sel:DWORD
	s_mov_b64 s[4:5], 0
                                        ; implicit-def: $sgpr10
	s_and_saveexec_b64 s[8:9], s[6:7]
	s_xor_b64 s[6:7], exec, s[8:9]
	s_cbranch_execnz .LBB13_2749
; %bb.701:
	s_or_saveexec_b64 s[6:7], s[6:7]
	v_mov_b32_e32 v6, s10
	s_xor_b64 exec, exec, s[6:7]
	s_cbranch_execnz .LBB13_2752
.LBB13_702:
	s_or_b64 exec, exec, s[6:7]
	s_and_saveexec_b64 s[6:7], s[4:5]
	s_cbranch_execz .LBB13_704
.LBB13_703:
	v_bfe_u32 v6, v3, 24, 3
	v_ffbh_u32_e32 v14, v6
	v_min_u32_e32 v14, 32, v14
	v_lshrrev_b32_e32 v12, 27, v3
	v_subrev_u32_e32 v15, 28, v14
	v_and_b32_e32 v7, 0x80000000, v3
	v_and_b32_e32 v12, 15, v12
	v_bfe_u32 v13, v3, 27, 4
	v_lshlrev_b32_sdwa v3, v15, v3 dst_sel:DWORD dst_unused:UNUSED_PAD src0_sel:DWORD src1_sel:BYTE_3
	v_sub_u32_e32 v14, 29, v14
	v_and_b32_e32 v3, 7, v3
	v_cmp_eq_u16_e32 vcc, 0, v12
	v_cndmask_b32_e32 v3, v6, v3, vcc
	v_cndmask_b32_e32 v6, v13, v14, vcc
	v_mov_b32_e32 v12, 0x3b800000
	v_lshlrev_b32_e32 v3, 20, v3
	v_lshl_add_u32 v6, v6, 23, v12
	v_or3_b32 v6, v7, v6, v3
.LBB13_704:
	s_or_b64 exec, exec, s[6:7]
	s_nop 0
	v_mfma_f32_16x16x4f32 a[0:3], v2, v6, a[0:3]
	s_movk_i32 s4, 0x7f
	v_cmp_gt_i16_sdwa s[6:7], v8, s4 src0_sel:BYTE_0 src1_sel:DWORD
	s_mov_b64 s[4:5], 0
                                        ; implicit-def: $sgpr10
	s_and_saveexec_b64 s[8:9], s[6:7]
	s_xor_b64 s[6:7], exec, s[8:9]
	s_cbranch_execnz .LBB13_2753
; %bb.705:
	s_or_saveexec_b64 s[6:7], s[6:7]
	v_mov_b32_e32 v2, s10
	s_xor_b64 exec, exec, s[6:7]
	s_cbranch_execnz .LBB13_2756
.LBB13_706:
	s_or_b64 exec, exec, s[6:7]
	s_and_saveexec_b64 s[6:7], s[4:5]
	s_cbranch_execz .LBB13_708
.LBB13_707:
	v_and_b32_e32 v2, 7, v8
	v_ffbh_u32_e32 v6, v2
	v_min_u32_e32 v6, 32, v6
	v_lshrrev_b16_e32 v3, 3, v8
	v_subrev_u32_e32 v7, 28, v6
	v_and_b32_e32 v3, 15, v3
	v_lshlrev_b32_e32 v7, v7, v8
	v_sub_u32_e32 v6, 29, v6
	v_and_b32_e32 v7, 7, v7
	v_cmp_eq_u16_e32 vcc, 0, v3
	v_cndmask_b32_e32 v2, v2, v7, vcc
	v_cndmask_b32_e32 v3, v3, v6, vcc
	v_lshlrev_b32_e32 v6, 24, v8
	v_mov_b32_e32 v7, 0x3b800000
	v_lshlrev_b32_e32 v2, 20, v2
	v_and_b32_e32 v6, 0x80000000, v6
	v_lshl_add_u32 v3, v3, 23, v7
	v_or3_b32 v2, v6, v3, v2
.LBB13_708:
	s_or_b64 exec, exec, s[6:7]
	s_movk_i32 s4, 0x7f
	v_cmp_gt_i16_sdwa s[6:7], v4, s4 src0_sel:BYTE_0 src1_sel:DWORD
	s_mov_b64 s[4:5], 0
                                        ; implicit-def: $sgpr10
	s_and_saveexec_b64 s[8:9], s[6:7]
	s_xor_b64 s[6:7], exec, s[8:9]
	s_cbranch_execnz .LBB13_2757
; %bb.709:
	s_or_saveexec_b64 s[6:7], s[6:7]
	v_mov_b32_e32 v3, s10
	s_xor_b64 exec, exec, s[6:7]
	s_cbranch_execnz .LBB13_2760
.LBB13_710:
	s_or_b64 exec, exec, s[6:7]
	s_and_saveexec_b64 s[6:7], s[4:5]
	s_cbranch_execz .LBB13_712
.LBB13_711:
	v_and_b32_e32 v3, 7, v4
	v_ffbh_u32_e32 v7, v3
	v_min_u32_e32 v7, 32, v7
	v_lshrrev_b16_e32 v6, 3, v4
	v_subrev_u32_e32 v12, 28, v7
	v_and_b32_e32 v6, 15, v6
	v_lshlrev_b32_e32 v12, v12, v4
	v_sub_u32_e32 v7, 29, v7
	v_and_b32_e32 v12, 7, v12
	v_cmp_eq_u16_e32 vcc, 0, v6
	v_cndmask_b32_e32 v3, v3, v12, vcc
	v_cndmask_b32_e32 v6, v6, v7, vcc
	v_lshlrev_b32_e32 v7, 24, v4
	v_mov_b32_e32 v12, 0x3b800000
	v_lshlrev_b32_e32 v3, 20, v3
	v_and_b32_e32 v7, 0x80000000, v7
	v_lshl_add_u32 v6, v6, 23, v12
	v_or3_b32 v3, v7, v6, v3
.LBB13_712:
	s_or_b64 exec, exec, s[6:7]
	s_nop 0
	v_mfma_f32_16x16x4f32 a[0:3], v2, v3, a[0:3]
	v_lshrrev_b32_e32 v3, 8, v8
	s_movk_i32 s4, 0x7f
	v_cmp_gt_i16_sdwa s[6:7], v3, s4 src0_sel:BYTE_0 src1_sel:DWORD
	s_mov_b64 s[4:5], 0
                                        ; implicit-def: $sgpr10
	s_and_saveexec_b64 s[8:9], s[6:7]
	s_xor_b64 s[6:7], exec, s[8:9]
	s_cbranch_execnz .LBB13_2761
; %bb.713:
	s_or_saveexec_b64 s[6:7], s[6:7]
	v_mov_b32_e32 v2, s10
	s_xor_b64 exec, exec, s[6:7]
	s_cbranch_execnz .LBB13_2764
.LBB13_714:
	s_or_b64 exec, exec, s[6:7]
	s_and_saveexec_b64 s[6:7], s[4:5]
	s_cbranch_execz .LBB13_716
.LBB13_715:
	v_bfe_u32 v2, v8, 8, 3
	v_ffbh_u32_e32 v7, v2
	v_min_u32_e32 v7, 32, v7
	v_lshrrev_b16_e32 v6, 3, v3
	v_subrev_u32_e32 v12, 28, v7
	v_and_b32_e32 v6, 15, v6
	v_lshlrev_b32_e32 v3, v12, v3
	v_sub_u32_e32 v7, 29, v7
	v_and_b32_e32 v3, 7, v3
	v_cmp_eq_u16_e32 vcc, 0, v6
	v_cndmask_b32_e32 v2, v2, v3, vcc
	v_cndmask_b32_e32 v3, v6, v7, vcc
	v_lshlrev_b32_e32 v6, 16, v8
	v_mov_b32_e32 v7, 0x3b800000
	v_lshlrev_b32_e32 v2, 20, v2
	v_and_b32_e32 v6, 0x80000000, v6
	v_lshl_add_u32 v3, v3, 23, v7
	v_or3_b32 v2, v6, v3, v2
.LBB13_716:
	s_or_b64 exec, exec, s[6:7]
	v_lshrrev_b32_e32 v3, 8, v4
	s_movk_i32 s4, 0x7f
	v_cmp_gt_i16_sdwa s[6:7], v3, s4 src0_sel:BYTE_0 src1_sel:DWORD
	s_mov_b64 s[4:5], 0
                                        ; implicit-def: $sgpr10
	s_and_saveexec_b64 s[8:9], s[6:7]
	s_xor_b64 s[6:7], exec, s[8:9]
	s_cbranch_execnz .LBB13_2765
; %bb.717:
	s_or_saveexec_b64 s[6:7], s[6:7]
	v_mov_b32_e32 v6, s10
	s_xor_b64 exec, exec, s[6:7]
	s_cbranch_execnz .LBB13_2768
.LBB13_718:
	s_or_b64 exec, exec, s[6:7]
	s_and_saveexec_b64 s[6:7], s[4:5]
	s_cbranch_execz .LBB13_720
.LBB13_719:
	v_bfe_u32 v6, v4, 8, 3
	v_ffbh_u32_e32 v12, v6
	v_min_u32_e32 v12, 32, v12
	v_lshrrev_b16_e32 v7, 3, v3
	v_subrev_u32_e32 v13, 28, v12
	v_and_b32_e32 v7, 15, v7
	v_lshlrev_b32_e32 v3, v13, v3
	v_sub_u32_e32 v12, 29, v12
	v_and_b32_e32 v3, 7, v3
	v_cmp_eq_u16_e32 vcc, 0, v7
	v_cndmask_b32_e32 v3, v6, v3, vcc
	v_cndmask_b32_e32 v6, v7, v12, vcc
	v_lshlrev_b32_e32 v7, 16, v4
	v_mov_b32_e32 v12, 0x3b800000
	v_lshlrev_b32_e32 v3, 20, v3
	v_and_b32_e32 v7, 0x80000000, v7
	v_lshl_add_u32 v6, v6, 23, v12
	v_or3_b32 v6, v7, v6, v3
.LBB13_720:
	s_or_b64 exec, exec, s[6:7]
	s_nop 0
	v_mfma_f32_16x16x4f32 a[0:3], v2, v6, a[0:3]
	s_movk_i32 s4, 0xff
	v_and_b32_sdwa v3, v8, s4 dst_sel:DWORD dst_unused:UNUSED_PAD src0_sel:WORD_1 src1_sel:DWORD
	s_movk_i32 s4, 0x7f
	v_cmp_lt_i16_e32 vcc, s4, v3
	s_mov_b64 s[4:5], 0
                                        ; implicit-def: $sgpr10
	s_and_saveexec_b64 s[6:7], vcc
	s_xor_b64 s[6:7], exec, s[6:7]
	s_cbranch_execnz .LBB13_2769
; %bb.721:
	s_or_saveexec_b64 s[6:7], s[6:7]
	v_mov_b32_e32 v2, s10
	s_xor_b64 exec, exec, s[6:7]
	s_cbranch_execnz .LBB13_2772
.LBB13_722:
	s_or_b64 exec, exec, s[6:7]
	s_and_saveexec_b64 s[6:7], s[4:5]
	s_cbranch_execz .LBB13_724
.LBB13_723:
	v_bfe_u32 v2, v8, 16, 3
	v_ffbh_u32_e32 v7, v2
	v_min_u32_e32 v7, 32, v7
	v_lshrrev_b32_e32 v3, 19, v8
	v_subrev_u32_e32 v12, 28, v7
	v_and_b32_e32 v3, 15, v3
	v_lshlrev_b32_sdwa v12, v12, v8 dst_sel:DWORD dst_unused:UNUSED_PAD src0_sel:DWORD src1_sel:WORD_1
	v_bfe_u32 v6, v8, 19, 4
	v_sub_u32_e32 v7, 29, v7
	v_and_b32_e32 v12, 7, v12
	v_cmp_eq_u16_e32 vcc, 0, v3
	v_cndmask_b32_e32 v2, v2, v12, vcc
	v_cndmask_b32_e32 v3, v6, v7, vcc
	v_lshlrev_b32_e32 v6, 8, v8
	v_mov_b32_e32 v7, 0x3b800000
	v_lshlrev_b32_e32 v2, 20, v2
	v_and_b32_e32 v6, 0x80000000, v6
	v_lshl_add_u32 v3, v3, 23, v7
	v_or3_b32 v2, v6, v3, v2
.LBB13_724:
	s_or_b64 exec, exec, s[6:7]
	s_movk_i32 s4, 0xff
	v_and_b32_sdwa v3, v4, s4 dst_sel:DWORD dst_unused:UNUSED_PAD src0_sel:WORD_1 src1_sel:DWORD
	s_movk_i32 s4, 0x7f
	v_cmp_lt_i16_e32 vcc, s4, v3
	s_mov_b64 s[4:5], 0
                                        ; implicit-def: $sgpr10
	s_and_saveexec_b64 s[6:7], vcc
	s_xor_b64 s[6:7], exec, s[6:7]
	s_cbranch_execnz .LBB13_2773
; %bb.725:
	s_or_saveexec_b64 s[6:7], s[6:7]
	v_mov_b32_e32 v6, s10
	s_xor_b64 exec, exec, s[6:7]
	s_cbranch_execnz .LBB13_2776
.LBB13_726:
	s_or_b64 exec, exec, s[6:7]
	s_and_saveexec_b64 s[6:7], s[4:5]
	s_cbranch_execz .LBB13_728
.LBB13_727:
	v_bfe_u32 v3, v4, 16, 3
	v_ffbh_u32_e32 v12, v3
	v_min_u32_e32 v12, 32, v12
	v_lshrrev_b32_e32 v6, 19, v4
	v_subrev_u32_e32 v13, 28, v12
	v_and_b32_e32 v6, 15, v6
	v_lshlrev_b32_sdwa v13, v13, v4 dst_sel:DWORD dst_unused:UNUSED_PAD src0_sel:DWORD src1_sel:WORD_1
	v_bfe_u32 v7, v4, 19, 4
	v_sub_u32_e32 v12, 29, v12
	v_and_b32_e32 v13, 7, v13
	v_cmp_eq_u16_e32 vcc, 0, v6
	v_cndmask_b32_e32 v3, v3, v13, vcc
	v_cndmask_b32_e32 v6, v7, v12, vcc
	v_lshlrev_b32_e32 v7, 8, v4
	v_mov_b32_e32 v12, 0x3b800000
	v_lshlrev_b32_e32 v3, 20, v3
	v_and_b32_e32 v7, 0x80000000, v7
	v_lshl_add_u32 v6, v6, 23, v12
	v_or3_b32 v6, v7, v6, v3
.LBB13_728:
	s_or_b64 exec, exec, s[6:7]
	s_nop 0
	v_mfma_f32_16x16x4f32 a[0:3], v2, v6, a[0:3]
	s_movk_i32 s4, 0x7f
	v_cmp_gt_i16_sdwa s[6:7], v8, s4 src0_sel:BYTE_3 src1_sel:DWORD
	s_mov_b64 s[4:5], 0
                                        ; implicit-def: $sgpr10
	s_and_saveexec_b64 s[8:9], s[6:7]
	s_xor_b64 s[6:7], exec, s[8:9]
	s_cbranch_execnz .LBB13_2777
; %bb.729:
	s_or_saveexec_b64 s[6:7], s[6:7]
	v_mov_b32_e32 v2, s10
	s_xor_b64 exec, exec, s[6:7]
	s_cbranch_execnz .LBB13_2780
.LBB13_730:
	s_or_b64 exec, exec, s[6:7]
	s_and_saveexec_b64 s[6:7], s[4:5]
	s_cbranch_execz .LBB13_732
.LBB13_731:
	v_bfe_u32 v2, v8, 24, 3
	v_ffbh_u32_e32 v12, v2
	v_min_u32_e32 v12, 32, v12
	v_lshrrev_b32_e32 v6, 27, v8
	v_subrev_u32_e32 v13, 28, v12
	v_and_b32_e32 v3, 0x80000000, v8
	v_and_b32_e32 v6, 15, v6
	v_bfe_u32 v7, v8, 27, 4
	v_lshlrev_b32_sdwa v8, v13, v8 dst_sel:DWORD dst_unused:UNUSED_PAD src0_sel:DWORD src1_sel:BYTE_3
	v_sub_u32_e32 v12, 29, v12
	v_and_b32_e32 v8, 7, v8
	v_cmp_eq_u16_e32 vcc, 0, v6
	v_cndmask_b32_e32 v2, v2, v8, vcc
	v_cndmask_b32_e32 v6, v7, v12, vcc
	v_mov_b32_e32 v7, 0x3b800000
	v_lshlrev_b32_e32 v2, 20, v2
	v_lshl_add_u32 v6, v6, 23, v7
	v_or3_b32 v2, v3, v6, v2
.LBB13_732:
	s_or_b64 exec, exec, s[6:7]
	s_movk_i32 s4, 0x7f
	v_cmp_gt_i16_sdwa s[6:7], v4, s4 src0_sel:BYTE_3 src1_sel:DWORD
	s_mov_b64 s[4:5], 0
                                        ; implicit-def: $sgpr10
	s_and_saveexec_b64 s[8:9], s[6:7]
	s_xor_b64 s[6:7], exec, s[8:9]
	s_cbranch_execnz .LBB13_2781
; %bb.733:
	s_or_saveexec_b64 s[6:7], s[6:7]
	v_mov_b32_e32 v3, s10
	s_xor_b64 exec, exec, s[6:7]
	s_cbranch_execnz .LBB13_2784
.LBB13_734:
	s_or_b64 exec, exec, s[6:7]
	s_and_saveexec_b64 s[6:7], s[4:5]
	s_cbranch_execz .LBB13_736
.LBB13_735:
	v_bfe_u32 v3, v4, 24, 3
	v_ffbh_u32_e32 v12, v3
	v_min_u32_e32 v12, 32, v12
	v_lshrrev_b32_e32 v7, 27, v4
	v_subrev_u32_e32 v13, 28, v12
	v_and_b32_e32 v6, 0x80000000, v4
	v_and_b32_e32 v7, 15, v7
	v_bfe_u32 v8, v4, 27, 4
	v_lshlrev_b32_sdwa v4, v13, v4 dst_sel:DWORD dst_unused:UNUSED_PAD src0_sel:DWORD src1_sel:BYTE_3
	v_sub_u32_e32 v12, 29, v12
	v_and_b32_e32 v4, 7, v4
	v_cmp_eq_u16_e32 vcc, 0, v7
	v_cndmask_b32_e32 v3, v3, v4, vcc
	v_cndmask_b32_e32 v4, v8, v12, vcc
	v_mov_b32_e32 v7, 0x3b800000
	v_lshlrev_b32_e32 v3, 20, v3
	v_lshl_add_u32 v4, v4, 23, v7
	v_or3_b32 v3, v6, v4, v3
.LBB13_736:
	s_or_b64 exec, exec, s[6:7]
	s_nop 0
	v_mfma_f32_16x16x4f32 a[0:3], v2, v3, a[0:3]
	s_movk_i32 s4, 0x7f
	v_cmp_gt_i16_sdwa s[6:7], v9, s4 src0_sel:BYTE_0 src1_sel:DWORD
	s_mov_b64 s[4:5], 0
                                        ; implicit-def: $sgpr10
	s_and_saveexec_b64 s[8:9], s[6:7]
	s_xor_b64 s[6:7], exec, s[8:9]
	s_cbranch_execnz .LBB13_2785
; %bb.737:
	s_or_saveexec_b64 s[6:7], s[6:7]
	v_mov_b32_e32 v2, s10
	s_xor_b64 exec, exec, s[6:7]
	s_cbranch_execnz .LBB13_2788
.LBB13_738:
	s_or_b64 exec, exec, s[6:7]
	s_and_saveexec_b64 s[6:7], s[4:5]
	s_cbranch_execz .LBB13_740
.LBB13_739:
	v_mov_b32_e32 v2, 8
	v_and_b32_e32 v3, 7, v9
	v_lshrrev_b32_sdwa v2, v2, v9 dst_sel:BYTE_1 dst_unused:UNUSED_PAD src0_sel:DWORD src1_sel:DWORD
	v_ffbh_u32_e32 v4, v3
	v_or_b32_sdwa v2, v9, v2 dst_sel:DWORD dst_unused:UNUSED_PAD src0_sel:BYTE_0 src1_sel:DWORD
	v_min_u32_e32 v4, 32, v4
	v_lshrrev_b16_e32 v2, 3, v2
	v_subrev_u32_e32 v6, 28, v4
	v_and_b32_e32 v2, 15, v2
	v_lshlrev_b32_e32 v6, v6, v9
	v_sub_u32_e32 v4, 29, v4
	v_and_b32_e32 v6, 7, v6
	v_cmp_eq_u16_e32 vcc, 0, v2
	v_cndmask_b32_e32 v3, v3, v6, vcc
	v_cndmask_b32_e32 v2, v2, v4, vcc
	v_lshlrev_b32_e32 v4, 24, v9
	v_mov_b32_e32 v6, 0x3b800000
	v_lshlrev_b32_e32 v3, 20, v3
	v_and_b32_e32 v4, 0x80000000, v4
	v_lshl_add_u32 v2, v2, 23, v6
	v_or3_b32 v2, v4, v2, v3
.LBB13_740:
	s_or_b64 exec, exec, s[6:7]
	s_movk_i32 s4, 0x7f
	v_cmp_gt_i16_sdwa s[6:7], v5, s4 src0_sel:BYTE_0 src1_sel:DWORD
	s_mov_b64 s[4:5], 0
                                        ; implicit-def: $sgpr10
	s_and_saveexec_b64 s[8:9], s[6:7]
	s_xor_b64 s[6:7], exec, s[8:9]
	s_cbranch_execnz .LBB13_2789
; %bb.741:
	s_or_saveexec_b64 s[6:7], s[6:7]
	v_mov_b32_e32 v3, s10
	s_xor_b64 exec, exec, s[6:7]
	s_cbranch_execnz .LBB13_2792
.LBB13_742:
	s_or_b64 exec, exec, s[6:7]
	s_and_saveexec_b64 s[6:7], s[4:5]
	s_cbranch_execz .LBB13_744
.LBB13_743:
	v_mov_b32_e32 v3, 8
	v_and_b32_e32 v4, 7, v5
	v_lshrrev_b32_sdwa v3, v3, v5 dst_sel:BYTE_1 dst_unused:UNUSED_PAD src0_sel:DWORD src1_sel:DWORD
	v_ffbh_u32_e32 v6, v4
	v_or_b32_sdwa v3, v5, v3 dst_sel:DWORD dst_unused:UNUSED_PAD src0_sel:BYTE_0 src1_sel:DWORD
	v_min_u32_e32 v6, 32, v6
	v_lshrrev_b16_e32 v3, 3, v3
	v_subrev_u32_e32 v7, 28, v6
	v_and_b32_e32 v3, 15, v3
	v_lshlrev_b32_e32 v7, v7, v5
	v_sub_u32_e32 v6, 29, v6
	v_and_b32_e32 v7, 7, v7
	v_cmp_eq_u16_e32 vcc, 0, v3
	v_cndmask_b32_e32 v4, v4, v7, vcc
	v_cndmask_b32_e32 v3, v3, v6, vcc
	v_lshlrev_b32_e32 v6, 24, v5
	v_mov_b32_e32 v7, 0x3b800000
	v_lshlrev_b32_e32 v4, 20, v4
	v_and_b32_e32 v6, 0x80000000, v6
	v_lshl_add_u32 v3, v3, 23, v7
	v_or3_b32 v3, v6, v3, v4
.LBB13_744:
	s_or_b64 exec, exec, s[6:7]
	s_nop 0
	v_mfma_f32_16x16x4f32 a[0:3], v2, v3, a[0:3]
	v_lshrrev_b32_e32 v3, 8, v9
	s_movk_i32 s4, 0x7f
	v_cmp_gt_i16_sdwa s[6:7], v3, s4 src0_sel:BYTE_0 src1_sel:DWORD
	s_mov_b64 s[4:5], 0
                                        ; implicit-def: $sgpr10
	s_and_saveexec_b64 s[8:9], s[6:7]
	s_xor_b64 s[6:7], exec, s[8:9]
	s_cbranch_execnz .LBB13_2793
; %bb.745:
	s_or_saveexec_b64 s[6:7], s[6:7]
	v_mov_b32_e32 v2, s10
	s_xor_b64 exec, exec, s[6:7]
	s_cbranch_execnz .LBB13_2796
.LBB13_746:
	s_or_b64 exec, exec, s[6:7]
	s_and_saveexec_b64 s[6:7], s[4:5]
	s_cbranch_execz .LBB13_748
.LBB13_747:
	v_bfe_u32 v2, v9, 8, 3
	v_ffbh_u32_e32 v6, v2
	v_min_u32_e32 v6, 32, v6
	v_lshrrev_b16_e32 v4, 3, v3
	v_subrev_u32_e32 v7, 28, v6
	v_and_b32_e32 v4, 15, v4
	v_lshlrev_b32_e32 v3, v7, v3
	v_sub_u32_e32 v6, 29, v6
	v_and_b32_e32 v3, 7, v3
	v_cmp_eq_u16_e32 vcc, 0, v4
	v_cndmask_b32_e32 v2, v2, v3, vcc
	v_cndmask_b32_e32 v3, v4, v6, vcc
	v_lshlrev_b32_e32 v4, 16, v9
	v_mov_b32_e32 v6, 0x3b800000
	v_lshlrev_b32_e32 v2, 20, v2
	v_and_b32_e32 v4, 0x80000000, v4
	v_lshl_add_u32 v3, v3, 23, v6
	v_or3_b32 v2, v4, v3, v2
.LBB13_748:
	s_or_b64 exec, exec, s[6:7]
	v_lshrrev_b32_e32 v3, 8, v5
	s_movk_i32 s4, 0x7f
	v_cmp_gt_i16_sdwa s[6:7], v3, s4 src0_sel:BYTE_0 src1_sel:DWORD
	s_mov_b64 s[4:5], 0
                                        ; implicit-def: $sgpr10
	s_and_saveexec_b64 s[8:9], s[6:7]
	s_xor_b64 s[6:7], exec, s[8:9]
	s_cbranch_execnz .LBB13_2797
; %bb.749:
	s_or_saveexec_b64 s[6:7], s[6:7]
	v_mov_b32_e32 v4, s10
	s_xor_b64 exec, exec, s[6:7]
	s_cbranch_execnz .LBB13_2800
.LBB13_750:
	s_or_b64 exec, exec, s[6:7]
	s_and_saveexec_b64 s[6:7], s[4:5]
	s_cbranch_execz .LBB13_752
.LBB13_751:
	v_bfe_u32 v4, v5, 8, 3
	v_ffbh_u32_e32 v7, v4
	v_min_u32_e32 v7, 32, v7
	v_lshrrev_b16_e32 v6, 3, v3
	v_subrev_u32_e32 v8, 28, v7
	v_and_b32_e32 v6, 15, v6
	v_lshlrev_b32_e32 v3, v8, v3
	v_sub_u32_e32 v7, 29, v7
	v_and_b32_e32 v3, 7, v3
	v_cmp_eq_u16_e32 vcc, 0, v6
	v_cndmask_b32_e32 v3, v4, v3, vcc
	v_cndmask_b32_e32 v4, v6, v7, vcc
	v_lshlrev_b32_e32 v6, 16, v5
	v_mov_b32_e32 v7, 0x3b800000
	v_lshlrev_b32_e32 v3, 20, v3
	v_and_b32_e32 v6, 0x80000000, v6
	v_lshl_add_u32 v4, v4, 23, v7
	v_or3_b32 v4, v6, v4, v3
.LBB13_752:
	s_or_b64 exec, exec, s[6:7]
	s_nop 0
	v_mfma_f32_16x16x4f32 a[0:3], v2, v4, a[0:3]
	s_movk_i32 s4, 0xff
	v_and_b32_sdwa v3, v9, s4 dst_sel:DWORD dst_unused:UNUSED_PAD src0_sel:WORD_1 src1_sel:DWORD
	s_movk_i32 s4, 0x7f
	v_cmp_lt_i16_e32 vcc, s4, v3
	s_mov_b64 s[4:5], 0
                                        ; implicit-def: $sgpr10
	s_and_saveexec_b64 s[6:7], vcc
	s_xor_b64 s[6:7], exec, s[6:7]
	s_cbranch_execnz .LBB13_2801
; %bb.753:
	s_or_saveexec_b64 s[6:7], s[6:7]
	v_mov_b32_e32 v2, s10
	s_xor_b64 exec, exec, s[6:7]
	s_cbranch_execnz .LBB13_2804
.LBB13_754:
	s_or_b64 exec, exec, s[6:7]
	s_and_saveexec_b64 s[6:7], s[4:5]
	s_cbranch_execz .LBB13_756
.LBB13_755:
	v_bfe_u32 v2, v9, 16, 3
	v_ffbh_u32_e32 v6, v2
	v_min_u32_e32 v6, 32, v6
	v_lshrrev_b32_e32 v3, 19, v9
	v_subrev_u32_e32 v7, 28, v6
	v_and_b32_e32 v3, 15, v3
	v_lshlrev_b32_sdwa v7, v7, v9 dst_sel:DWORD dst_unused:UNUSED_PAD src0_sel:DWORD src1_sel:WORD_1
	v_bfe_u32 v4, v9, 19, 4
	v_sub_u32_e32 v6, 29, v6
	v_and_b32_e32 v7, 7, v7
	v_cmp_eq_u16_e32 vcc, 0, v3
	v_cndmask_b32_e32 v2, v2, v7, vcc
	v_cndmask_b32_e32 v3, v4, v6, vcc
	v_lshlrev_b32_e32 v4, 8, v9
	v_mov_b32_e32 v6, 0x3b800000
	v_lshlrev_b32_e32 v2, 20, v2
	v_and_b32_e32 v4, 0x80000000, v4
	v_lshl_add_u32 v3, v3, 23, v6
	v_or3_b32 v2, v4, v3, v2
.LBB13_756:
	s_or_b64 exec, exec, s[6:7]
	s_movk_i32 s4, 0xff
	v_and_b32_sdwa v3, v5, s4 dst_sel:DWORD dst_unused:UNUSED_PAD src0_sel:WORD_1 src1_sel:DWORD
	s_movk_i32 s4, 0x7f
	v_cmp_lt_i16_e32 vcc, s4, v3
	s_mov_b64 s[4:5], 0
                                        ; implicit-def: $sgpr10
	s_and_saveexec_b64 s[6:7], vcc
	s_xor_b64 s[6:7], exec, s[6:7]
	s_cbranch_execnz .LBB13_2805
; %bb.757:
	s_or_saveexec_b64 s[6:7], s[6:7]
	v_mov_b32_e32 v4, s10
	s_xor_b64 exec, exec, s[6:7]
	s_cbranch_execnz .LBB13_2808
.LBB13_758:
	s_or_b64 exec, exec, s[6:7]
	s_and_saveexec_b64 s[6:7], s[4:5]
	s_cbranch_execz .LBB13_760
.LBB13_759:
	v_bfe_u32 v3, v5, 16, 3
	v_ffbh_u32_e32 v7, v3
	v_min_u32_e32 v7, 32, v7
	v_lshrrev_b32_e32 v4, 19, v5
	v_subrev_u32_e32 v8, 28, v7
	v_and_b32_e32 v4, 15, v4
	v_lshlrev_b32_sdwa v8, v8, v5 dst_sel:DWORD dst_unused:UNUSED_PAD src0_sel:DWORD src1_sel:WORD_1
	v_bfe_u32 v6, v5, 19, 4
	v_sub_u32_e32 v7, 29, v7
	v_and_b32_e32 v8, 7, v8
	v_cmp_eq_u16_e32 vcc, 0, v4
	v_cndmask_b32_e32 v3, v3, v8, vcc
	v_cndmask_b32_e32 v4, v6, v7, vcc
	v_lshlrev_b32_e32 v6, 8, v5
	v_mov_b32_e32 v7, 0x3b800000
	v_lshlrev_b32_e32 v3, 20, v3
	v_and_b32_e32 v6, 0x80000000, v6
	v_lshl_add_u32 v4, v4, 23, v7
	v_or3_b32 v4, v6, v4, v3
.LBB13_760:
	s_or_b64 exec, exec, s[6:7]
	s_nop 0
	v_mfma_f32_16x16x4f32 a[0:3], v2, v4, a[0:3]
	s_movk_i32 s4, 0x7f
	v_cmp_gt_i16_sdwa s[6:7], v9, s4 src0_sel:BYTE_3 src1_sel:DWORD
	s_mov_b64 s[4:5], 0
                                        ; implicit-def: $sgpr10
	s_and_saveexec_b64 s[8:9], s[6:7]
	s_xor_b64 s[6:7], exec, s[8:9]
	s_cbranch_execnz .LBB13_2809
; %bb.761:
	s_or_saveexec_b64 s[6:7], s[6:7]
	v_mov_b32_e32 v2, s10
	s_xor_b64 exec, exec, s[6:7]
	s_cbranch_execnz .LBB13_2812
.LBB13_762:
	s_or_b64 exec, exec, s[6:7]
	s_and_saveexec_b64 s[6:7], s[4:5]
	s_cbranch_execz .LBB13_764
.LBB13_763:
	v_bfe_u32 v2, v9, 24, 3
	v_ffbh_u32_e32 v7, v2
	v_min_u32_e32 v7, 32, v7
	v_lshrrev_b32_e32 v4, 27, v9
	v_subrev_u32_e32 v8, 28, v7
	v_and_b32_e32 v4, 15, v4
	v_lshlrev_b32_sdwa v8, v8, v9 dst_sel:DWORD dst_unused:UNUSED_PAD src0_sel:DWORD src1_sel:BYTE_3
	v_bfe_u32 v6, v9, 27, 4
	v_sub_u32_e32 v7, 29, v7
	v_and_b32_e32 v8, 7, v8
	v_cmp_eq_u16_e32 vcc, 0, v4
	v_cndmask_b32_e32 v2, v2, v8, vcc
	v_cndmask_b32_e32 v4, v6, v7, vcc
	v_mov_b32_e32 v6, 0x3b800000
	v_and_b32_e32 v3, 0x80000000, v9
	v_lshlrev_b32_e32 v2, 20, v2
	v_lshl_add_u32 v4, v4, 23, v6
	v_or3_b32 v2, v3, v4, v2
.LBB13_764:
	s_or_b64 exec, exec, s[6:7]
	s_movk_i32 s4, 0x7f
	v_cmp_gt_i16_sdwa s[6:7], v5, s4 src0_sel:BYTE_3 src1_sel:DWORD
	s_mov_b64 s[4:5], 0
                                        ; implicit-def: $sgpr10
	s_and_saveexec_b64 s[8:9], s[6:7]
	s_xor_b64 s[6:7], exec, s[8:9]
	s_cbranch_execnz .LBB13_2813
; %bb.765:
	s_or_saveexec_b64 s[6:7], s[6:7]
	v_mov_b32_e32 v3, s10
	s_xor_b64 exec, exec, s[6:7]
	s_cbranch_execnz .LBB13_2816
.LBB13_766:
	s_or_b64 exec, exec, s[6:7]
	s_and_saveexec_b64 s[6:7], s[4:5]
	s_cbranch_execz .LBB13_768
.LBB13_767:
	v_bfe_u32 v3, v5, 24, 3
	v_ffbh_u32_e32 v8, v3
	v_min_u32_e32 v8, 32, v8
	v_lshrrev_b32_e32 v6, 27, v5
	v_subrev_u32_e32 v9, 28, v8
	v_and_b32_e32 v4, 0x80000000, v5
	v_and_b32_e32 v6, 15, v6
	v_bfe_u32 v7, v5, 27, 4
	v_lshlrev_b32_sdwa v5, v9, v5 dst_sel:DWORD dst_unused:UNUSED_PAD src0_sel:DWORD src1_sel:BYTE_3
	v_sub_u32_e32 v8, 29, v8
	v_and_b32_e32 v5, 7, v5
	v_cmp_eq_u16_e32 vcc, 0, v6
	v_cndmask_b32_e32 v3, v3, v5, vcc
	v_cndmask_b32_e32 v5, v7, v8, vcc
	v_mov_b32_e32 v6, 0x3b800000
	v_lshlrev_b32_e32 v3, 20, v3
	v_lshl_add_u32 v5, v5, 23, v6
	v_or3_b32 v3, v4, v5, v3
.LBB13_768:
	s_or_b64 exec, exec, s[6:7]
	s_nop 0
	v_mfma_f32_16x16x4f32 a[0:3], v2, v3, a[0:3]
	s_movk_i32 s4, 0x7f
                                        ; implicit-def: $sgpr10
	s_nop 7
	s_nop 1
	flat_store_dwordx4 v[10:11], a[0:3] offset:80
	flat_load_dwordx4 v[12:15], v[0:1] offset:8
	s_nop 0
	flat_load_dwordx2 v[10:11], v[0:1] offset:32
	s_waitcnt vmcnt(0) lgkmcnt(0)
	flat_load_dwordx4 v[6:9], v[12:13] offset:48
	flat_load_dwordx4 v[2:5], v[14:15] offset:80
	s_waitcnt vmcnt(0) lgkmcnt(0)
	v_cmp_gt_i16_sdwa s[6:7], v6, s4 src0_sel:BYTE_0 src1_sel:DWORD
	s_mov_b64 s[4:5], 0
	s_and_saveexec_b64 s[8:9], s[6:7]
	s_xor_b64 s[6:7], exec, s[8:9]
	s_cbranch_execnz .LBB13_2817
; %bb.769:
	s_or_saveexec_b64 s[6:7], s[6:7]
	v_mov_b32_e32 v12, s10
	s_xor_b64 exec, exec, s[6:7]
	s_cbranch_execnz .LBB13_2820
.LBB13_770:
	s_or_b64 exec, exec, s[6:7]
	s_and_saveexec_b64 s[6:7], s[4:5]
	s_cbranch_execz .LBB13_772
.LBB13_771:
	v_and_b32_e32 v12, 7, v6
	v_ffbh_u32_e32 v14, v12
	v_min_u32_e32 v14, 32, v14
	v_lshrrev_b16_e32 v13, 3, v6
	v_subrev_u32_e32 v15, 28, v14
	v_and_b32_e32 v13, 15, v13
	v_lshlrev_b32_e32 v15, v15, v6
	v_sub_u32_e32 v14, 29, v14
	v_and_b32_e32 v15, 7, v15
	v_cmp_eq_u16_e32 vcc, 0, v13
	v_cndmask_b32_e32 v12, v12, v15, vcc
	v_cndmask_b32_e32 v13, v13, v14, vcc
	v_lshlrev_b32_e32 v14, 24, v6
	v_mov_b32_e32 v15, 0x3b800000
	v_lshlrev_b32_e32 v12, 20, v12
	v_and_b32_e32 v14, 0x80000000, v14
	v_lshl_add_u32 v13, v13, 23, v15
	v_or3_b32 v12, v14, v13, v12
.LBB13_772:
	s_or_b64 exec, exec, s[6:7]
	s_movk_i32 s4, 0x7f
	v_cmp_gt_i16_sdwa s[6:7], v2, s4 src0_sel:BYTE_0 src1_sel:DWORD
	s_mov_b64 s[4:5], 0
                                        ; implicit-def: $sgpr10
	s_and_saveexec_b64 s[8:9], s[6:7]
	s_xor_b64 s[6:7], exec, s[8:9]
	s_cbranch_execnz .LBB13_2821
; %bb.773:
	s_or_saveexec_b64 s[6:7], s[6:7]
	v_mov_b32_e32 v13, s10
	s_xor_b64 exec, exec, s[6:7]
	s_cbranch_execnz .LBB13_2824
.LBB13_774:
	s_or_b64 exec, exec, s[6:7]
	s_and_saveexec_b64 s[6:7], s[4:5]
	s_cbranch_execz .LBB13_776
.LBB13_775:
	v_and_b32_e32 v13, 7, v2
	v_ffbh_u32_e32 v15, v13
	v_min_u32_e32 v15, 32, v15
	v_lshrrev_b16_e32 v14, 3, v2
	v_subrev_u32_e32 v16, 28, v15
	v_and_b32_e32 v14, 15, v14
	v_lshlrev_b32_e32 v16, v16, v2
	v_sub_u32_e32 v15, 29, v15
	v_and_b32_e32 v16, 7, v16
	v_cmp_eq_u16_e32 vcc, 0, v14
	v_cndmask_b32_e32 v13, v13, v16, vcc
	v_cndmask_b32_e32 v14, v14, v15, vcc
	v_lshlrev_b32_e32 v15, 24, v2
	v_mov_b32_e32 v16, 0x3b800000
	v_lshlrev_b32_e32 v13, 20, v13
	v_and_b32_e32 v15, 0x80000000, v15
	v_lshl_add_u32 v14, v14, 23, v16
	v_or3_b32 v13, v15, v14, v13
.LBB13_776:
	s_or_b64 exec, exec, s[6:7]
	flat_load_dwordx4 a[0:3], v[10:11] offset:96
	s_movk_i32 s4, 0x7f
                                        ; implicit-def: $sgpr10
	s_waitcnt vmcnt(0) lgkmcnt(0)
	v_mfma_f32_16x16x4f32 a[0:3], v12, v13, a[0:3]
	v_lshrrev_b32_e32 v13, 8, v6
	v_cmp_gt_i16_sdwa s[6:7], v13, s4 src0_sel:BYTE_0 src1_sel:DWORD
	s_mov_b64 s[4:5], 0
	s_and_saveexec_b64 s[8:9], s[6:7]
	s_xor_b64 s[6:7], exec, s[8:9]
	s_cbranch_execnz .LBB13_2825
; %bb.777:
	s_or_saveexec_b64 s[6:7], s[6:7]
	v_mov_b32_e32 v12, s10
	s_xor_b64 exec, exec, s[6:7]
	s_cbranch_execnz .LBB13_2828
.LBB13_778:
	s_or_b64 exec, exec, s[6:7]
	s_and_saveexec_b64 s[6:7], s[4:5]
	s_cbranch_execz .LBB13_780
.LBB13_779:
	v_bfe_u32 v12, v6, 8, 3
	v_ffbh_u32_e32 v15, v12
	v_min_u32_e32 v15, 32, v15
	v_lshrrev_b16_e32 v14, 3, v13
	v_subrev_u32_e32 v16, 28, v15
	v_and_b32_e32 v14, 15, v14
	v_lshlrev_b32_e32 v13, v16, v13
	v_sub_u32_e32 v15, 29, v15
	v_and_b32_e32 v13, 7, v13
	v_cmp_eq_u16_e32 vcc, 0, v14
	v_cndmask_b32_e32 v12, v12, v13, vcc
	v_cndmask_b32_e32 v13, v14, v15, vcc
	v_lshlrev_b32_e32 v14, 16, v6
	v_mov_b32_e32 v15, 0x3b800000
	v_lshlrev_b32_e32 v12, 20, v12
	v_and_b32_e32 v14, 0x80000000, v14
	v_lshl_add_u32 v13, v13, 23, v15
	v_or3_b32 v12, v14, v13, v12
.LBB13_780:
	s_or_b64 exec, exec, s[6:7]
	v_lshrrev_b32_e32 v13, 8, v2
	s_movk_i32 s4, 0x7f
	v_cmp_gt_i16_sdwa s[6:7], v13, s4 src0_sel:BYTE_0 src1_sel:DWORD
	s_mov_b64 s[4:5], 0
                                        ; implicit-def: $sgpr10
	s_and_saveexec_b64 s[8:9], s[6:7]
	s_xor_b64 s[6:7], exec, s[8:9]
	s_cbranch_execnz .LBB13_2829
; %bb.781:
	s_or_saveexec_b64 s[6:7], s[6:7]
	v_mov_b32_e32 v14, s10
	s_xor_b64 exec, exec, s[6:7]
	s_cbranch_execnz .LBB13_2832
.LBB13_782:
	s_or_b64 exec, exec, s[6:7]
	s_and_saveexec_b64 s[6:7], s[4:5]
	s_cbranch_execz .LBB13_784
.LBB13_783:
	v_bfe_u32 v14, v2, 8, 3
	v_ffbh_u32_e32 v16, v14
	v_min_u32_e32 v16, 32, v16
	v_lshrrev_b16_e32 v15, 3, v13
	v_subrev_u32_e32 v17, 28, v16
	v_and_b32_e32 v15, 15, v15
	v_lshlrev_b32_e32 v13, v17, v13
	v_sub_u32_e32 v16, 29, v16
	v_and_b32_e32 v13, 7, v13
	v_cmp_eq_u16_e32 vcc, 0, v15
	v_cndmask_b32_e32 v13, v14, v13, vcc
	v_cndmask_b32_e32 v14, v15, v16, vcc
	v_lshlrev_b32_e32 v15, 16, v2
	v_mov_b32_e32 v16, 0x3b800000
	v_lshlrev_b32_e32 v13, 20, v13
	v_and_b32_e32 v15, 0x80000000, v15
	v_lshl_add_u32 v14, v14, 23, v16
	v_or3_b32 v14, v15, v14, v13
.LBB13_784:
	s_or_b64 exec, exec, s[6:7]
	s_nop 0
	v_mfma_f32_16x16x4f32 a[0:3], v12, v14, a[0:3]
	s_movk_i32 s4, 0xff
	v_and_b32_sdwa v13, v6, s4 dst_sel:DWORD dst_unused:UNUSED_PAD src0_sel:WORD_1 src1_sel:DWORD
	s_movk_i32 s4, 0x7f
	v_cmp_lt_i16_e32 vcc, s4, v13
	s_mov_b64 s[4:5], 0
                                        ; implicit-def: $sgpr10
	s_and_saveexec_b64 s[6:7], vcc
	s_xor_b64 s[6:7], exec, s[6:7]
	s_cbranch_execnz .LBB13_2833
; %bb.785:
	s_or_saveexec_b64 s[6:7], s[6:7]
	v_mov_b32_e32 v12, s10
	s_xor_b64 exec, exec, s[6:7]
	s_cbranch_execnz .LBB13_2836
.LBB13_786:
	s_or_b64 exec, exec, s[6:7]
	s_and_saveexec_b64 s[6:7], s[4:5]
	s_cbranch_execz .LBB13_788
.LBB13_787:
	v_bfe_u32 v12, v6, 16, 3
	v_ffbh_u32_e32 v15, v12
	v_min_u32_e32 v15, 32, v15
	v_lshrrev_b32_e32 v13, 19, v6
	v_subrev_u32_e32 v16, 28, v15
	v_and_b32_e32 v13, 15, v13
	v_lshlrev_b32_sdwa v16, v16, v6 dst_sel:DWORD dst_unused:UNUSED_PAD src0_sel:DWORD src1_sel:WORD_1
	v_bfe_u32 v14, v6, 19, 4
	v_sub_u32_e32 v15, 29, v15
	v_and_b32_e32 v16, 7, v16
	v_cmp_eq_u16_e32 vcc, 0, v13
	v_cndmask_b32_e32 v12, v12, v16, vcc
	v_cndmask_b32_e32 v13, v14, v15, vcc
	v_lshlrev_b32_e32 v14, 8, v6
	v_mov_b32_e32 v15, 0x3b800000
	v_lshlrev_b32_e32 v12, 20, v12
	v_and_b32_e32 v14, 0x80000000, v14
	v_lshl_add_u32 v13, v13, 23, v15
	v_or3_b32 v12, v14, v13, v12
.LBB13_788:
	s_or_b64 exec, exec, s[6:7]
	s_movk_i32 s4, 0xff
	v_and_b32_sdwa v13, v2, s4 dst_sel:DWORD dst_unused:UNUSED_PAD src0_sel:WORD_1 src1_sel:DWORD
	s_movk_i32 s4, 0x7f
	v_cmp_lt_i16_e32 vcc, s4, v13
	s_mov_b64 s[4:5], 0
                                        ; implicit-def: $sgpr10
	s_and_saveexec_b64 s[6:7], vcc
	s_xor_b64 s[6:7], exec, s[6:7]
	s_cbranch_execnz .LBB13_2837
; %bb.789:
	s_or_saveexec_b64 s[6:7], s[6:7]
	v_mov_b32_e32 v14, s10
	s_xor_b64 exec, exec, s[6:7]
	s_cbranch_execnz .LBB13_2840
.LBB13_790:
	s_or_b64 exec, exec, s[6:7]
	s_and_saveexec_b64 s[6:7], s[4:5]
	s_cbranch_execz .LBB13_792
.LBB13_791:
	v_bfe_u32 v13, v2, 16, 3
	v_ffbh_u32_e32 v16, v13
	v_min_u32_e32 v16, 32, v16
	v_lshrrev_b32_e32 v14, 19, v2
	v_subrev_u32_e32 v17, 28, v16
	v_and_b32_e32 v14, 15, v14
	v_lshlrev_b32_sdwa v17, v17, v2 dst_sel:DWORD dst_unused:UNUSED_PAD src0_sel:DWORD src1_sel:WORD_1
	v_bfe_u32 v15, v2, 19, 4
	v_sub_u32_e32 v16, 29, v16
	v_and_b32_e32 v17, 7, v17
	v_cmp_eq_u16_e32 vcc, 0, v14
	v_cndmask_b32_e32 v13, v13, v17, vcc
	v_cndmask_b32_e32 v14, v15, v16, vcc
	v_lshlrev_b32_e32 v15, 8, v2
	v_mov_b32_e32 v16, 0x3b800000
	v_lshlrev_b32_e32 v13, 20, v13
	v_and_b32_e32 v15, 0x80000000, v15
	v_lshl_add_u32 v14, v14, 23, v16
	v_or3_b32 v14, v15, v14, v13
.LBB13_792:
	s_or_b64 exec, exec, s[6:7]
	s_nop 0
	v_mfma_f32_16x16x4f32 a[0:3], v12, v14, a[0:3]
	s_movk_i32 s4, 0x7f
	v_cmp_gt_i16_sdwa s[6:7], v6, s4 src0_sel:BYTE_3 src1_sel:DWORD
	s_mov_b64 s[4:5], 0
                                        ; implicit-def: $sgpr10
	s_and_saveexec_b64 s[8:9], s[6:7]
	s_xor_b64 s[6:7], exec, s[8:9]
	s_cbranch_execnz .LBB13_2841
; %bb.793:
	s_or_saveexec_b64 s[6:7], s[6:7]
	v_mov_b32_e32 v12, s10
	s_xor_b64 exec, exec, s[6:7]
	s_cbranch_execnz .LBB13_2844
.LBB13_794:
	s_or_b64 exec, exec, s[6:7]
	s_and_saveexec_b64 s[6:7], s[4:5]
	s_cbranch_execz .LBB13_796
.LBB13_795:
	v_bfe_u32 v12, v6, 24, 3
	v_ffbh_u32_e32 v16, v12
	v_min_u32_e32 v16, 32, v16
	v_lshrrev_b32_e32 v14, 27, v6
	v_subrev_u32_e32 v17, 28, v16
	v_and_b32_e32 v13, 0x80000000, v6
	v_and_b32_e32 v14, 15, v14
	v_bfe_u32 v15, v6, 27, 4
	v_lshlrev_b32_sdwa v6, v17, v6 dst_sel:DWORD dst_unused:UNUSED_PAD src0_sel:DWORD src1_sel:BYTE_3
	v_sub_u32_e32 v16, 29, v16
	v_and_b32_e32 v6, 7, v6
	v_cmp_eq_u16_e32 vcc, 0, v14
	v_cndmask_b32_e32 v6, v12, v6, vcc
	v_cndmask_b32_e32 v12, v15, v16, vcc
	v_mov_b32_e32 v14, 0x3b800000
	v_lshlrev_b32_e32 v6, 20, v6
	v_lshl_add_u32 v12, v12, 23, v14
	v_or3_b32 v12, v13, v12, v6
.LBB13_796:
	s_or_b64 exec, exec, s[6:7]
	s_movk_i32 s4, 0x7f
	v_cmp_gt_i16_sdwa s[6:7], v2, s4 src0_sel:BYTE_3 src1_sel:DWORD
	s_mov_b64 s[4:5], 0
                                        ; implicit-def: $sgpr10
	s_and_saveexec_b64 s[8:9], s[6:7]
	s_xor_b64 s[6:7], exec, s[8:9]
	s_cbranch_execnz .LBB13_2845
; %bb.797:
	s_or_saveexec_b64 s[6:7], s[6:7]
	v_mov_b32_e32 v6, s10
	s_xor_b64 exec, exec, s[6:7]
	s_cbranch_execnz .LBB13_2848
.LBB13_798:
	s_or_b64 exec, exec, s[6:7]
	s_and_saveexec_b64 s[6:7], s[4:5]
	s_cbranch_execz .LBB13_800
.LBB13_799:
	v_bfe_u32 v6, v2, 24, 3
	v_ffbh_u32_e32 v16, v6
	v_min_u32_e32 v16, 32, v16
	v_lshrrev_b32_e32 v14, 27, v2
	v_subrev_u32_e32 v17, 28, v16
	v_and_b32_e32 v13, 0x80000000, v2
	v_and_b32_e32 v14, 15, v14
	v_bfe_u32 v15, v2, 27, 4
	v_lshlrev_b32_sdwa v2, v17, v2 dst_sel:DWORD dst_unused:UNUSED_PAD src0_sel:DWORD src1_sel:BYTE_3
	v_sub_u32_e32 v16, 29, v16
	v_and_b32_e32 v2, 7, v2
	v_cmp_eq_u16_e32 vcc, 0, v14
	v_cndmask_b32_e32 v2, v6, v2, vcc
	v_cndmask_b32_e32 v6, v15, v16, vcc
	v_mov_b32_e32 v14, 0x3b800000
	v_lshlrev_b32_e32 v2, 20, v2
	v_lshl_add_u32 v6, v6, 23, v14
	v_or3_b32 v6, v13, v6, v2
.LBB13_800:
	s_or_b64 exec, exec, s[6:7]
	s_nop 0
	v_mfma_f32_16x16x4f32 a[0:3], v12, v6, a[0:3]
	s_movk_i32 s4, 0x7f
	v_cmp_gt_i16_sdwa s[6:7], v7, s4 src0_sel:BYTE_0 src1_sel:DWORD
	s_mov_b64 s[4:5], 0
                                        ; implicit-def: $sgpr10
	s_and_saveexec_b64 s[8:9], s[6:7]
	s_xor_b64 s[6:7], exec, s[8:9]
	s_cbranch_execnz .LBB13_2849
; %bb.801:
	s_or_saveexec_b64 s[6:7], s[6:7]
	v_mov_b32_e32 v2, s10
	s_xor_b64 exec, exec, s[6:7]
	s_cbranch_execnz .LBB13_2852
.LBB13_802:
	s_or_b64 exec, exec, s[6:7]
	s_and_saveexec_b64 s[6:7], s[4:5]
	s_cbranch_execz .LBB13_804
.LBB13_803:
	v_and_b32_e32 v2, 7, v7
	v_ffbh_u32_e32 v12, v2
	v_min_u32_e32 v12, 32, v12
	v_lshrrev_b16_e32 v6, 3, v7
	v_subrev_u32_e32 v13, 28, v12
	v_and_b32_e32 v6, 15, v6
	v_lshlrev_b32_e32 v13, v13, v7
	v_sub_u32_e32 v12, 29, v12
	v_and_b32_e32 v13, 7, v13
	v_cmp_eq_u16_e32 vcc, 0, v6
	v_cndmask_b32_e32 v2, v2, v13, vcc
	v_cndmask_b32_e32 v6, v6, v12, vcc
	v_lshlrev_b32_e32 v12, 24, v7
	v_mov_b32_e32 v13, 0x3b800000
	v_lshlrev_b32_e32 v2, 20, v2
	v_and_b32_e32 v12, 0x80000000, v12
	v_lshl_add_u32 v6, v6, 23, v13
	v_or3_b32 v2, v12, v6, v2
.LBB13_804:
	s_or_b64 exec, exec, s[6:7]
	s_movk_i32 s4, 0x7f
	v_cmp_gt_i16_sdwa s[6:7], v3, s4 src0_sel:BYTE_0 src1_sel:DWORD
	s_mov_b64 s[4:5], 0
                                        ; implicit-def: $sgpr10
	s_and_saveexec_b64 s[8:9], s[6:7]
	s_xor_b64 s[6:7], exec, s[8:9]
	s_cbranch_execnz .LBB13_2853
; %bb.805:
	s_or_saveexec_b64 s[6:7], s[6:7]
	v_mov_b32_e32 v6, s10
	s_xor_b64 exec, exec, s[6:7]
	s_cbranch_execnz .LBB13_2856
.LBB13_806:
	s_or_b64 exec, exec, s[6:7]
	s_and_saveexec_b64 s[6:7], s[4:5]
	s_cbranch_execz .LBB13_808
.LBB13_807:
	v_and_b32_e32 v6, 7, v3
	v_ffbh_u32_e32 v13, v6
	v_min_u32_e32 v13, 32, v13
	v_lshrrev_b16_e32 v12, 3, v3
	v_subrev_u32_e32 v14, 28, v13
	v_and_b32_e32 v12, 15, v12
	v_lshlrev_b32_e32 v14, v14, v3
	v_sub_u32_e32 v13, 29, v13
	v_and_b32_e32 v14, 7, v14
	v_cmp_eq_u16_e32 vcc, 0, v12
	v_cndmask_b32_e32 v6, v6, v14, vcc
	v_cndmask_b32_e32 v12, v12, v13, vcc
	v_lshlrev_b32_e32 v13, 24, v3
	v_mov_b32_e32 v14, 0x3b800000
	v_lshlrev_b32_e32 v6, 20, v6
	v_and_b32_e32 v13, 0x80000000, v13
	v_lshl_add_u32 v12, v12, 23, v14
	v_or3_b32 v6, v13, v12, v6
.LBB13_808:
	s_or_b64 exec, exec, s[6:7]
	s_nop 0
	v_mfma_f32_16x16x4f32 a[0:3], v2, v6, a[0:3]
	v_lshrrev_b32_e32 v6, 8, v7
	s_movk_i32 s4, 0x7f
	v_cmp_gt_i16_sdwa s[6:7], v6, s4 src0_sel:BYTE_0 src1_sel:DWORD
	s_mov_b64 s[4:5], 0
                                        ; implicit-def: $sgpr10
	s_and_saveexec_b64 s[8:9], s[6:7]
	s_xor_b64 s[6:7], exec, s[8:9]
	s_cbranch_execnz .LBB13_2857
; %bb.809:
	s_or_saveexec_b64 s[6:7], s[6:7]
	v_mov_b32_e32 v2, s10
	s_xor_b64 exec, exec, s[6:7]
	s_cbranch_execnz .LBB13_2860
.LBB13_810:
	s_or_b64 exec, exec, s[6:7]
	s_and_saveexec_b64 s[6:7], s[4:5]
	s_cbranch_execz .LBB13_812
.LBB13_811:
	v_bfe_u32 v2, v7, 8, 3
	v_ffbh_u32_e32 v13, v2
	v_min_u32_e32 v13, 32, v13
	v_lshrrev_b16_e32 v12, 3, v6
	v_subrev_u32_e32 v14, 28, v13
	v_and_b32_e32 v12, 15, v12
	v_lshlrev_b32_e32 v6, v14, v6
	v_sub_u32_e32 v13, 29, v13
	v_and_b32_e32 v6, 7, v6
	v_cmp_eq_u16_e32 vcc, 0, v12
	v_cndmask_b32_e32 v2, v2, v6, vcc
	v_cndmask_b32_e32 v6, v12, v13, vcc
	v_lshlrev_b32_e32 v12, 16, v7
	v_mov_b32_e32 v13, 0x3b800000
	v_lshlrev_b32_e32 v2, 20, v2
	v_and_b32_e32 v12, 0x80000000, v12
	v_lshl_add_u32 v6, v6, 23, v13
	v_or3_b32 v2, v12, v6, v2
.LBB13_812:
	s_or_b64 exec, exec, s[6:7]
	v_lshrrev_b32_e32 v6, 8, v3
	s_movk_i32 s4, 0x7f
	v_cmp_gt_i16_sdwa s[6:7], v6, s4 src0_sel:BYTE_0 src1_sel:DWORD
	s_mov_b64 s[4:5], 0
                                        ; implicit-def: $sgpr10
	s_and_saveexec_b64 s[8:9], s[6:7]
	s_xor_b64 s[6:7], exec, s[8:9]
	s_cbranch_execnz .LBB13_2861
; %bb.813:
	s_or_saveexec_b64 s[6:7], s[6:7]
	v_mov_b32_e32 v12, s10
	s_xor_b64 exec, exec, s[6:7]
	s_cbranch_execnz .LBB13_2864
.LBB13_814:
	s_or_b64 exec, exec, s[6:7]
	s_and_saveexec_b64 s[6:7], s[4:5]
	s_cbranch_execz .LBB13_816
.LBB13_815:
	v_bfe_u32 v12, v3, 8, 3
	v_ffbh_u32_e32 v14, v12
	v_min_u32_e32 v14, 32, v14
	v_lshrrev_b16_e32 v13, 3, v6
	v_subrev_u32_e32 v15, 28, v14
	v_and_b32_e32 v13, 15, v13
	v_lshlrev_b32_e32 v6, v15, v6
	v_sub_u32_e32 v14, 29, v14
	v_and_b32_e32 v6, 7, v6
	v_cmp_eq_u16_e32 vcc, 0, v13
	v_cndmask_b32_e32 v6, v12, v6, vcc
	v_cndmask_b32_e32 v12, v13, v14, vcc
	v_lshlrev_b32_e32 v13, 16, v3
	v_mov_b32_e32 v14, 0x3b800000
	v_lshlrev_b32_e32 v6, 20, v6
	v_and_b32_e32 v13, 0x80000000, v13
	v_lshl_add_u32 v12, v12, 23, v14
	v_or3_b32 v12, v13, v12, v6
.LBB13_816:
	s_or_b64 exec, exec, s[6:7]
	s_nop 0
	v_mfma_f32_16x16x4f32 a[0:3], v2, v12, a[0:3]
	s_movk_i32 s4, 0xff
	v_and_b32_sdwa v6, v7, s4 dst_sel:DWORD dst_unused:UNUSED_PAD src0_sel:WORD_1 src1_sel:DWORD
	s_movk_i32 s4, 0x7f
	v_cmp_lt_i16_e32 vcc, s4, v6
	s_mov_b64 s[4:5], 0
                                        ; implicit-def: $sgpr10
	s_and_saveexec_b64 s[6:7], vcc
	s_xor_b64 s[6:7], exec, s[6:7]
	s_cbranch_execnz .LBB13_2865
; %bb.817:
	s_or_saveexec_b64 s[6:7], s[6:7]
	v_mov_b32_e32 v2, s10
	s_xor_b64 exec, exec, s[6:7]
	s_cbranch_execnz .LBB13_2868
.LBB13_818:
	s_or_b64 exec, exec, s[6:7]
	s_and_saveexec_b64 s[6:7], s[4:5]
	s_cbranch_execz .LBB13_820
.LBB13_819:
	v_bfe_u32 v2, v7, 16, 3
	v_ffbh_u32_e32 v13, v2
	v_min_u32_e32 v13, 32, v13
	v_lshrrev_b32_e32 v6, 19, v7
	v_subrev_u32_e32 v14, 28, v13
	v_and_b32_e32 v6, 15, v6
	v_lshlrev_b32_sdwa v14, v14, v7 dst_sel:DWORD dst_unused:UNUSED_PAD src0_sel:DWORD src1_sel:WORD_1
	v_bfe_u32 v12, v7, 19, 4
	v_sub_u32_e32 v13, 29, v13
	v_and_b32_e32 v14, 7, v14
	v_cmp_eq_u16_e32 vcc, 0, v6
	v_cndmask_b32_e32 v2, v2, v14, vcc
	v_cndmask_b32_e32 v6, v12, v13, vcc
	v_lshlrev_b32_e32 v12, 8, v7
	v_mov_b32_e32 v13, 0x3b800000
	v_lshlrev_b32_e32 v2, 20, v2
	v_and_b32_e32 v12, 0x80000000, v12
	v_lshl_add_u32 v6, v6, 23, v13
	v_or3_b32 v2, v12, v6, v2
.LBB13_820:
	s_or_b64 exec, exec, s[6:7]
	s_movk_i32 s4, 0xff
	v_and_b32_sdwa v6, v3, s4 dst_sel:DWORD dst_unused:UNUSED_PAD src0_sel:WORD_1 src1_sel:DWORD
	s_movk_i32 s4, 0x7f
	v_cmp_lt_i16_e32 vcc, s4, v6
	s_mov_b64 s[4:5], 0
                                        ; implicit-def: $sgpr10
	s_and_saveexec_b64 s[6:7], vcc
	s_xor_b64 s[6:7], exec, s[6:7]
	s_cbranch_execnz .LBB13_2869
; %bb.821:
	s_or_saveexec_b64 s[6:7], s[6:7]
	v_mov_b32_e32 v12, s10
	s_xor_b64 exec, exec, s[6:7]
	s_cbranch_execnz .LBB13_2872
.LBB13_822:
	s_or_b64 exec, exec, s[6:7]
	s_and_saveexec_b64 s[6:7], s[4:5]
	s_cbranch_execz .LBB13_824
.LBB13_823:
	v_bfe_u32 v6, v3, 16, 3
	v_ffbh_u32_e32 v14, v6
	v_min_u32_e32 v14, 32, v14
	v_lshrrev_b32_e32 v12, 19, v3
	v_subrev_u32_e32 v15, 28, v14
	v_and_b32_e32 v12, 15, v12
	v_lshlrev_b32_sdwa v15, v15, v3 dst_sel:DWORD dst_unused:UNUSED_PAD src0_sel:DWORD src1_sel:WORD_1
	v_bfe_u32 v13, v3, 19, 4
	v_sub_u32_e32 v14, 29, v14
	v_and_b32_e32 v15, 7, v15
	v_cmp_eq_u16_e32 vcc, 0, v12
	v_cndmask_b32_e32 v6, v6, v15, vcc
	v_cndmask_b32_e32 v12, v13, v14, vcc
	v_lshlrev_b32_e32 v13, 8, v3
	v_mov_b32_e32 v14, 0x3b800000
	v_lshlrev_b32_e32 v6, 20, v6
	v_and_b32_e32 v13, 0x80000000, v13
	v_lshl_add_u32 v12, v12, 23, v14
	v_or3_b32 v12, v13, v12, v6
.LBB13_824:
	s_or_b64 exec, exec, s[6:7]
	s_nop 0
	v_mfma_f32_16x16x4f32 a[0:3], v2, v12, a[0:3]
	s_movk_i32 s4, 0x7f
	v_cmp_gt_i16_sdwa s[6:7], v7, s4 src0_sel:BYTE_3 src1_sel:DWORD
	s_mov_b64 s[4:5], 0
                                        ; implicit-def: $sgpr10
	s_and_saveexec_b64 s[8:9], s[6:7]
	s_xor_b64 s[6:7], exec, s[8:9]
	s_cbranch_execnz .LBB13_2873
; %bb.825:
	s_or_saveexec_b64 s[6:7], s[6:7]
	v_mov_b32_e32 v2, s10
	s_xor_b64 exec, exec, s[6:7]
	s_cbranch_execnz .LBB13_2876
.LBB13_826:
	s_or_b64 exec, exec, s[6:7]
	s_and_saveexec_b64 s[6:7], s[4:5]
	s_cbranch_execz .LBB13_828
.LBB13_827:
	v_bfe_u32 v2, v7, 24, 3
	v_ffbh_u32_e32 v14, v2
	v_min_u32_e32 v14, 32, v14
	v_lshrrev_b32_e32 v12, 27, v7
	v_subrev_u32_e32 v15, 28, v14
	v_and_b32_e32 v6, 0x80000000, v7
	v_and_b32_e32 v12, 15, v12
	v_bfe_u32 v13, v7, 27, 4
	v_lshlrev_b32_sdwa v7, v15, v7 dst_sel:DWORD dst_unused:UNUSED_PAD src0_sel:DWORD src1_sel:BYTE_3
	v_sub_u32_e32 v14, 29, v14
	v_and_b32_e32 v7, 7, v7
	v_cmp_eq_u16_e32 vcc, 0, v12
	v_cndmask_b32_e32 v2, v2, v7, vcc
	v_cndmask_b32_e32 v7, v13, v14, vcc
	v_mov_b32_e32 v12, 0x3b800000
	v_lshlrev_b32_e32 v2, 20, v2
	v_lshl_add_u32 v7, v7, 23, v12
	v_or3_b32 v2, v6, v7, v2
.LBB13_828:
	s_or_b64 exec, exec, s[6:7]
	s_movk_i32 s4, 0x7f
	v_cmp_gt_i16_sdwa s[6:7], v3, s4 src0_sel:BYTE_3 src1_sel:DWORD
	s_mov_b64 s[4:5], 0
                                        ; implicit-def: $sgpr10
	s_and_saveexec_b64 s[8:9], s[6:7]
	s_xor_b64 s[6:7], exec, s[8:9]
	s_cbranch_execnz .LBB13_2877
; %bb.829:
	s_or_saveexec_b64 s[6:7], s[6:7]
	v_mov_b32_e32 v6, s10
	s_xor_b64 exec, exec, s[6:7]
	s_cbranch_execnz .LBB13_2880
.LBB13_830:
	s_or_b64 exec, exec, s[6:7]
	s_and_saveexec_b64 s[6:7], s[4:5]
	s_cbranch_execz .LBB13_832
.LBB13_831:
	v_bfe_u32 v6, v3, 24, 3
	v_ffbh_u32_e32 v14, v6
	v_min_u32_e32 v14, 32, v14
	v_lshrrev_b32_e32 v12, 27, v3
	v_subrev_u32_e32 v15, 28, v14
	v_and_b32_e32 v7, 0x80000000, v3
	v_and_b32_e32 v12, 15, v12
	v_bfe_u32 v13, v3, 27, 4
	v_lshlrev_b32_sdwa v3, v15, v3 dst_sel:DWORD dst_unused:UNUSED_PAD src0_sel:DWORD src1_sel:BYTE_3
	v_sub_u32_e32 v14, 29, v14
	v_and_b32_e32 v3, 7, v3
	v_cmp_eq_u16_e32 vcc, 0, v12
	v_cndmask_b32_e32 v3, v6, v3, vcc
	v_cndmask_b32_e32 v6, v13, v14, vcc
	v_mov_b32_e32 v12, 0x3b800000
	v_lshlrev_b32_e32 v3, 20, v3
	v_lshl_add_u32 v6, v6, 23, v12
	v_or3_b32 v6, v7, v6, v3
.LBB13_832:
	s_or_b64 exec, exec, s[6:7]
	s_nop 0
	v_mfma_f32_16x16x4f32 a[0:3], v2, v6, a[0:3]
	s_movk_i32 s4, 0x7f
	v_cmp_gt_i16_sdwa s[6:7], v8, s4 src0_sel:BYTE_0 src1_sel:DWORD
	s_mov_b64 s[4:5], 0
                                        ; implicit-def: $sgpr10
	s_and_saveexec_b64 s[8:9], s[6:7]
	s_xor_b64 s[6:7], exec, s[8:9]
	s_cbranch_execnz .LBB13_2881
; %bb.833:
	s_or_saveexec_b64 s[6:7], s[6:7]
	v_mov_b32_e32 v2, s10
	s_xor_b64 exec, exec, s[6:7]
	s_cbranch_execnz .LBB13_2884
.LBB13_834:
	s_or_b64 exec, exec, s[6:7]
	s_and_saveexec_b64 s[6:7], s[4:5]
	s_cbranch_execz .LBB13_836
.LBB13_835:
	v_and_b32_e32 v2, 7, v8
	v_ffbh_u32_e32 v6, v2
	v_min_u32_e32 v6, 32, v6
	v_lshrrev_b16_e32 v3, 3, v8
	v_subrev_u32_e32 v7, 28, v6
	v_and_b32_e32 v3, 15, v3
	v_lshlrev_b32_e32 v7, v7, v8
	v_sub_u32_e32 v6, 29, v6
	v_and_b32_e32 v7, 7, v7
	v_cmp_eq_u16_e32 vcc, 0, v3
	v_cndmask_b32_e32 v2, v2, v7, vcc
	v_cndmask_b32_e32 v3, v3, v6, vcc
	v_lshlrev_b32_e32 v6, 24, v8
	v_mov_b32_e32 v7, 0x3b800000
	v_lshlrev_b32_e32 v2, 20, v2
	v_and_b32_e32 v6, 0x80000000, v6
	v_lshl_add_u32 v3, v3, 23, v7
	v_or3_b32 v2, v6, v3, v2
.LBB13_836:
	s_or_b64 exec, exec, s[6:7]
	s_movk_i32 s4, 0x7f
	v_cmp_gt_i16_sdwa s[6:7], v4, s4 src0_sel:BYTE_0 src1_sel:DWORD
	s_mov_b64 s[4:5], 0
                                        ; implicit-def: $sgpr10
	s_and_saveexec_b64 s[8:9], s[6:7]
	s_xor_b64 s[6:7], exec, s[8:9]
	s_cbranch_execnz .LBB13_2885
; %bb.837:
	s_or_saveexec_b64 s[6:7], s[6:7]
	v_mov_b32_e32 v3, s10
	s_xor_b64 exec, exec, s[6:7]
	s_cbranch_execnz .LBB13_2888
.LBB13_838:
	s_or_b64 exec, exec, s[6:7]
	s_and_saveexec_b64 s[6:7], s[4:5]
	s_cbranch_execz .LBB13_840
.LBB13_839:
	v_and_b32_e32 v3, 7, v4
	v_ffbh_u32_e32 v7, v3
	v_min_u32_e32 v7, 32, v7
	v_lshrrev_b16_e32 v6, 3, v4
	v_subrev_u32_e32 v12, 28, v7
	v_and_b32_e32 v6, 15, v6
	v_lshlrev_b32_e32 v12, v12, v4
	v_sub_u32_e32 v7, 29, v7
	v_and_b32_e32 v12, 7, v12
	v_cmp_eq_u16_e32 vcc, 0, v6
	v_cndmask_b32_e32 v3, v3, v12, vcc
	v_cndmask_b32_e32 v6, v6, v7, vcc
	v_lshlrev_b32_e32 v7, 24, v4
	v_mov_b32_e32 v12, 0x3b800000
	v_lshlrev_b32_e32 v3, 20, v3
	v_and_b32_e32 v7, 0x80000000, v7
	v_lshl_add_u32 v6, v6, 23, v12
	v_or3_b32 v3, v7, v6, v3
.LBB13_840:
	s_or_b64 exec, exec, s[6:7]
	s_nop 0
	v_mfma_f32_16x16x4f32 a[0:3], v2, v3, a[0:3]
	v_lshrrev_b32_e32 v3, 8, v8
	s_movk_i32 s4, 0x7f
	v_cmp_gt_i16_sdwa s[6:7], v3, s4 src0_sel:BYTE_0 src1_sel:DWORD
	s_mov_b64 s[4:5], 0
                                        ; implicit-def: $sgpr10
	s_and_saveexec_b64 s[8:9], s[6:7]
	s_xor_b64 s[6:7], exec, s[8:9]
	s_cbranch_execnz .LBB13_2889
; %bb.841:
	s_or_saveexec_b64 s[6:7], s[6:7]
	v_mov_b32_e32 v2, s10
	s_xor_b64 exec, exec, s[6:7]
	s_cbranch_execnz .LBB13_2892
.LBB13_842:
	s_or_b64 exec, exec, s[6:7]
	s_and_saveexec_b64 s[6:7], s[4:5]
	s_cbranch_execz .LBB13_844
.LBB13_843:
	v_bfe_u32 v2, v8, 8, 3
	v_ffbh_u32_e32 v7, v2
	v_min_u32_e32 v7, 32, v7
	v_lshrrev_b16_e32 v6, 3, v3
	v_subrev_u32_e32 v12, 28, v7
	v_and_b32_e32 v6, 15, v6
	v_lshlrev_b32_e32 v3, v12, v3
	v_sub_u32_e32 v7, 29, v7
	v_and_b32_e32 v3, 7, v3
	v_cmp_eq_u16_e32 vcc, 0, v6
	v_cndmask_b32_e32 v2, v2, v3, vcc
	v_cndmask_b32_e32 v3, v6, v7, vcc
	v_lshlrev_b32_e32 v6, 16, v8
	v_mov_b32_e32 v7, 0x3b800000
	v_lshlrev_b32_e32 v2, 20, v2
	v_and_b32_e32 v6, 0x80000000, v6
	v_lshl_add_u32 v3, v3, 23, v7
	v_or3_b32 v2, v6, v3, v2
.LBB13_844:
	s_or_b64 exec, exec, s[6:7]
	v_lshrrev_b32_e32 v3, 8, v4
	s_movk_i32 s4, 0x7f
	v_cmp_gt_i16_sdwa s[6:7], v3, s4 src0_sel:BYTE_0 src1_sel:DWORD
	s_mov_b64 s[4:5], 0
                                        ; implicit-def: $sgpr10
	s_and_saveexec_b64 s[8:9], s[6:7]
	s_xor_b64 s[6:7], exec, s[8:9]
	s_cbranch_execnz .LBB13_2893
; %bb.845:
	s_or_saveexec_b64 s[6:7], s[6:7]
	v_mov_b32_e32 v6, s10
	s_xor_b64 exec, exec, s[6:7]
	s_cbranch_execnz .LBB13_2896
.LBB13_846:
	s_or_b64 exec, exec, s[6:7]
	s_and_saveexec_b64 s[6:7], s[4:5]
	s_cbranch_execz .LBB13_848
.LBB13_847:
	v_bfe_u32 v6, v4, 8, 3
	v_ffbh_u32_e32 v12, v6
	v_min_u32_e32 v12, 32, v12
	v_lshrrev_b16_e32 v7, 3, v3
	v_subrev_u32_e32 v13, 28, v12
	v_and_b32_e32 v7, 15, v7
	v_lshlrev_b32_e32 v3, v13, v3
	v_sub_u32_e32 v12, 29, v12
	v_and_b32_e32 v3, 7, v3
	v_cmp_eq_u16_e32 vcc, 0, v7
	v_cndmask_b32_e32 v3, v6, v3, vcc
	v_cndmask_b32_e32 v6, v7, v12, vcc
	v_lshlrev_b32_e32 v7, 16, v4
	v_mov_b32_e32 v12, 0x3b800000
	v_lshlrev_b32_e32 v3, 20, v3
	v_and_b32_e32 v7, 0x80000000, v7
	v_lshl_add_u32 v6, v6, 23, v12
	v_or3_b32 v6, v7, v6, v3
.LBB13_848:
	s_or_b64 exec, exec, s[6:7]
	s_nop 0
	v_mfma_f32_16x16x4f32 a[0:3], v2, v6, a[0:3]
	s_movk_i32 s4, 0xff
	v_and_b32_sdwa v3, v8, s4 dst_sel:DWORD dst_unused:UNUSED_PAD src0_sel:WORD_1 src1_sel:DWORD
	s_movk_i32 s4, 0x7f
	v_cmp_lt_i16_e32 vcc, s4, v3
	s_mov_b64 s[4:5], 0
                                        ; implicit-def: $sgpr10
	s_and_saveexec_b64 s[6:7], vcc
	s_xor_b64 s[6:7], exec, s[6:7]
	s_cbranch_execnz .LBB13_2897
; %bb.849:
	s_or_saveexec_b64 s[6:7], s[6:7]
	v_mov_b32_e32 v2, s10
	s_xor_b64 exec, exec, s[6:7]
	s_cbranch_execnz .LBB13_2900
.LBB13_850:
	s_or_b64 exec, exec, s[6:7]
	s_and_saveexec_b64 s[6:7], s[4:5]
	s_cbranch_execz .LBB13_852
.LBB13_851:
	v_bfe_u32 v2, v8, 16, 3
	v_ffbh_u32_e32 v7, v2
	v_min_u32_e32 v7, 32, v7
	v_lshrrev_b32_e32 v3, 19, v8
	v_subrev_u32_e32 v12, 28, v7
	v_and_b32_e32 v3, 15, v3
	v_lshlrev_b32_sdwa v12, v12, v8 dst_sel:DWORD dst_unused:UNUSED_PAD src0_sel:DWORD src1_sel:WORD_1
	v_bfe_u32 v6, v8, 19, 4
	v_sub_u32_e32 v7, 29, v7
	v_and_b32_e32 v12, 7, v12
	v_cmp_eq_u16_e32 vcc, 0, v3
	v_cndmask_b32_e32 v2, v2, v12, vcc
	v_cndmask_b32_e32 v3, v6, v7, vcc
	v_lshlrev_b32_e32 v6, 8, v8
	v_mov_b32_e32 v7, 0x3b800000
	v_lshlrev_b32_e32 v2, 20, v2
	v_and_b32_e32 v6, 0x80000000, v6
	v_lshl_add_u32 v3, v3, 23, v7
	v_or3_b32 v2, v6, v3, v2
.LBB13_852:
	s_or_b64 exec, exec, s[6:7]
	s_movk_i32 s4, 0xff
	v_and_b32_sdwa v3, v4, s4 dst_sel:DWORD dst_unused:UNUSED_PAD src0_sel:WORD_1 src1_sel:DWORD
	s_movk_i32 s4, 0x7f
	v_cmp_lt_i16_e32 vcc, s4, v3
	s_mov_b64 s[4:5], 0
                                        ; implicit-def: $sgpr10
	s_and_saveexec_b64 s[6:7], vcc
	s_xor_b64 s[6:7], exec, s[6:7]
	s_cbranch_execnz .LBB13_2901
; %bb.853:
	s_or_saveexec_b64 s[6:7], s[6:7]
	v_mov_b32_e32 v6, s10
	s_xor_b64 exec, exec, s[6:7]
	s_cbranch_execnz .LBB13_2904
.LBB13_854:
	s_or_b64 exec, exec, s[6:7]
	s_and_saveexec_b64 s[6:7], s[4:5]
	s_cbranch_execz .LBB13_856
.LBB13_855:
	v_bfe_u32 v3, v4, 16, 3
	v_ffbh_u32_e32 v12, v3
	v_min_u32_e32 v12, 32, v12
	v_lshrrev_b32_e32 v6, 19, v4
	v_subrev_u32_e32 v13, 28, v12
	v_and_b32_e32 v6, 15, v6
	v_lshlrev_b32_sdwa v13, v13, v4 dst_sel:DWORD dst_unused:UNUSED_PAD src0_sel:DWORD src1_sel:WORD_1
	v_bfe_u32 v7, v4, 19, 4
	v_sub_u32_e32 v12, 29, v12
	v_and_b32_e32 v13, 7, v13
	v_cmp_eq_u16_e32 vcc, 0, v6
	v_cndmask_b32_e32 v3, v3, v13, vcc
	v_cndmask_b32_e32 v6, v7, v12, vcc
	v_lshlrev_b32_e32 v7, 8, v4
	v_mov_b32_e32 v12, 0x3b800000
	v_lshlrev_b32_e32 v3, 20, v3
	v_and_b32_e32 v7, 0x80000000, v7
	v_lshl_add_u32 v6, v6, 23, v12
	v_or3_b32 v6, v7, v6, v3
.LBB13_856:
	s_or_b64 exec, exec, s[6:7]
	s_nop 0
	v_mfma_f32_16x16x4f32 a[0:3], v2, v6, a[0:3]
	s_movk_i32 s4, 0x7f
	v_cmp_gt_i16_sdwa s[6:7], v8, s4 src0_sel:BYTE_3 src1_sel:DWORD
	s_mov_b64 s[4:5], 0
                                        ; implicit-def: $sgpr10
	s_and_saveexec_b64 s[8:9], s[6:7]
	s_xor_b64 s[6:7], exec, s[8:9]
	s_cbranch_execnz .LBB13_2905
; %bb.857:
	s_or_saveexec_b64 s[6:7], s[6:7]
	v_mov_b32_e32 v2, s10
	s_xor_b64 exec, exec, s[6:7]
	s_cbranch_execnz .LBB13_2908
.LBB13_858:
	s_or_b64 exec, exec, s[6:7]
	s_and_saveexec_b64 s[6:7], s[4:5]
	s_cbranch_execz .LBB13_860
.LBB13_859:
	v_bfe_u32 v2, v8, 24, 3
	v_ffbh_u32_e32 v12, v2
	v_min_u32_e32 v12, 32, v12
	v_lshrrev_b32_e32 v6, 27, v8
	v_subrev_u32_e32 v13, 28, v12
	v_and_b32_e32 v3, 0x80000000, v8
	v_and_b32_e32 v6, 15, v6
	v_bfe_u32 v7, v8, 27, 4
	v_lshlrev_b32_sdwa v8, v13, v8 dst_sel:DWORD dst_unused:UNUSED_PAD src0_sel:DWORD src1_sel:BYTE_3
	v_sub_u32_e32 v12, 29, v12
	v_and_b32_e32 v8, 7, v8
	v_cmp_eq_u16_e32 vcc, 0, v6
	v_cndmask_b32_e32 v2, v2, v8, vcc
	v_cndmask_b32_e32 v6, v7, v12, vcc
	v_mov_b32_e32 v7, 0x3b800000
	v_lshlrev_b32_e32 v2, 20, v2
	v_lshl_add_u32 v6, v6, 23, v7
	v_or3_b32 v2, v3, v6, v2
.LBB13_860:
	s_or_b64 exec, exec, s[6:7]
	s_movk_i32 s4, 0x7f
	v_cmp_gt_i16_sdwa s[6:7], v4, s4 src0_sel:BYTE_3 src1_sel:DWORD
	s_mov_b64 s[4:5], 0
                                        ; implicit-def: $sgpr10
	s_and_saveexec_b64 s[8:9], s[6:7]
	s_xor_b64 s[6:7], exec, s[8:9]
	s_cbranch_execnz .LBB13_2909
; %bb.861:
	s_or_saveexec_b64 s[6:7], s[6:7]
	v_mov_b32_e32 v3, s10
	s_xor_b64 exec, exec, s[6:7]
	s_cbranch_execnz .LBB13_2912
.LBB13_862:
	s_or_b64 exec, exec, s[6:7]
	s_and_saveexec_b64 s[6:7], s[4:5]
	s_cbranch_execz .LBB13_864
.LBB13_863:
	v_bfe_u32 v3, v4, 24, 3
	v_ffbh_u32_e32 v12, v3
	v_min_u32_e32 v12, 32, v12
	v_lshrrev_b32_e32 v7, 27, v4
	v_subrev_u32_e32 v13, 28, v12
	v_and_b32_e32 v6, 0x80000000, v4
	v_and_b32_e32 v7, 15, v7
	v_bfe_u32 v8, v4, 27, 4
	v_lshlrev_b32_sdwa v4, v13, v4 dst_sel:DWORD dst_unused:UNUSED_PAD src0_sel:DWORD src1_sel:BYTE_3
	v_sub_u32_e32 v12, 29, v12
	v_and_b32_e32 v4, 7, v4
	v_cmp_eq_u16_e32 vcc, 0, v7
	v_cndmask_b32_e32 v3, v3, v4, vcc
	v_cndmask_b32_e32 v4, v8, v12, vcc
	v_mov_b32_e32 v7, 0x3b800000
	v_lshlrev_b32_e32 v3, 20, v3
	v_lshl_add_u32 v4, v4, 23, v7
	v_or3_b32 v3, v6, v4, v3
.LBB13_864:
	s_or_b64 exec, exec, s[6:7]
	s_nop 0
	v_mfma_f32_16x16x4f32 a[0:3], v2, v3, a[0:3]
	s_movk_i32 s4, 0x7f
	v_cmp_gt_i16_sdwa s[6:7], v9, s4 src0_sel:BYTE_0 src1_sel:DWORD
	s_mov_b64 s[4:5], 0
                                        ; implicit-def: $sgpr10
	s_and_saveexec_b64 s[8:9], s[6:7]
	s_xor_b64 s[6:7], exec, s[8:9]
	s_cbranch_execnz .LBB13_2913
; %bb.865:
	s_or_saveexec_b64 s[6:7], s[6:7]
	v_mov_b32_e32 v2, s10
	s_xor_b64 exec, exec, s[6:7]
	s_cbranch_execnz .LBB13_2916
.LBB13_866:
	s_or_b64 exec, exec, s[6:7]
	s_and_saveexec_b64 s[6:7], s[4:5]
	s_cbranch_execz .LBB13_868
.LBB13_867:
	v_mov_b32_e32 v2, 8
	v_and_b32_e32 v3, 7, v9
	v_lshrrev_b32_sdwa v2, v2, v9 dst_sel:BYTE_1 dst_unused:UNUSED_PAD src0_sel:DWORD src1_sel:DWORD
	v_ffbh_u32_e32 v4, v3
	v_or_b32_sdwa v2, v9, v2 dst_sel:DWORD dst_unused:UNUSED_PAD src0_sel:BYTE_0 src1_sel:DWORD
	v_min_u32_e32 v4, 32, v4
	v_lshrrev_b16_e32 v2, 3, v2
	v_subrev_u32_e32 v6, 28, v4
	v_and_b32_e32 v2, 15, v2
	v_lshlrev_b32_e32 v6, v6, v9
	v_sub_u32_e32 v4, 29, v4
	v_and_b32_e32 v6, 7, v6
	v_cmp_eq_u16_e32 vcc, 0, v2
	v_cndmask_b32_e32 v3, v3, v6, vcc
	v_cndmask_b32_e32 v2, v2, v4, vcc
	v_lshlrev_b32_e32 v4, 24, v9
	v_mov_b32_e32 v6, 0x3b800000
	v_lshlrev_b32_e32 v3, 20, v3
	v_and_b32_e32 v4, 0x80000000, v4
	v_lshl_add_u32 v2, v2, 23, v6
	v_or3_b32 v2, v4, v2, v3
.LBB13_868:
	s_or_b64 exec, exec, s[6:7]
	s_movk_i32 s4, 0x7f
	v_cmp_gt_i16_sdwa s[6:7], v5, s4 src0_sel:BYTE_0 src1_sel:DWORD
	s_mov_b64 s[4:5], 0
                                        ; implicit-def: $sgpr10
	s_and_saveexec_b64 s[8:9], s[6:7]
	s_xor_b64 s[6:7], exec, s[8:9]
	s_cbranch_execnz .LBB13_2917
; %bb.869:
	s_or_saveexec_b64 s[6:7], s[6:7]
	v_mov_b32_e32 v3, s10
	s_xor_b64 exec, exec, s[6:7]
	s_cbranch_execnz .LBB13_2920
.LBB13_870:
	s_or_b64 exec, exec, s[6:7]
	s_and_saveexec_b64 s[6:7], s[4:5]
	s_cbranch_execz .LBB13_872
.LBB13_871:
	v_mov_b32_e32 v3, 8
	v_and_b32_e32 v4, 7, v5
	v_lshrrev_b32_sdwa v3, v3, v5 dst_sel:BYTE_1 dst_unused:UNUSED_PAD src0_sel:DWORD src1_sel:DWORD
	v_ffbh_u32_e32 v6, v4
	v_or_b32_sdwa v3, v5, v3 dst_sel:DWORD dst_unused:UNUSED_PAD src0_sel:BYTE_0 src1_sel:DWORD
	v_min_u32_e32 v6, 32, v6
	v_lshrrev_b16_e32 v3, 3, v3
	v_subrev_u32_e32 v7, 28, v6
	v_and_b32_e32 v3, 15, v3
	v_lshlrev_b32_e32 v7, v7, v5
	v_sub_u32_e32 v6, 29, v6
	v_and_b32_e32 v7, 7, v7
	v_cmp_eq_u16_e32 vcc, 0, v3
	v_cndmask_b32_e32 v4, v4, v7, vcc
	v_cndmask_b32_e32 v3, v3, v6, vcc
	v_lshlrev_b32_e32 v6, 24, v5
	v_mov_b32_e32 v7, 0x3b800000
	v_lshlrev_b32_e32 v4, 20, v4
	v_and_b32_e32 v6, 0x80000000, v6
	v_lshl_add_u32 v3, v3, 23, v7
	v_or3_b32 v3, v6, v3, v4
.LBB13_872:
	s_or_b64 exec, exec, s[6:7]
	s_nop 0
	v_mfma_f32_16x16x4f32 a[0:3], v2, v3, a[0:3]
	v_lshrrev_b32_e32 v3, 8, v9
	s_movk_i32 s4, 0x7f
	v_cmp_gt_i16_sdwa s[6:7], v3, s4 src0_sel:BYTE_0 src1_sel:DWORD
	s_mov_b64 s[4:5], 0
                                        ; implicit-def: $sgpr10
	s_and_saveexec_b64 s[8:9], s[6:7]
	s_xor_b64 s[6:7], exec, s[8:9]
	s_cbranch_execnz .LBB13_2921
; %bb.873:
	s_or_saveexec_b64 s[6:7], s[6:7]
	v_mov_b32_e32 v2, s10
	s_xor_b64 exec, exec, s[6:7]
	s_cbranch_execnz .LBB13_2924
.LBB13_874:
	s_or_b64 exec, exec, s[6:7]
	s_and_saveexec_b64 s[6:7], s[4:5]
	s_cbranch_execz .LBB13_876
.LBB13_875:
	v_bfe_u32 v2, v9, 8, 3
	v_ffbh_u32_e32 v6, v2
	v_min_u32_e32 v6, 32, v6
	v_lshrrev_b16_e32 v4, 3, v3
	v_subrev_u32_e32 v7, 28, v6
	v_and_b32_e32 v4, 15, v4
	v_lshlrev_b32_e32 v3, v7, v3
	v_sub_u32_e32 v6, 29, v6
	v_and_b32_e32 v3, 7, v3
	v_cmp_eq_u16_e32 vcc, 0, v4
	v_cndmask_b32_e32 v2, v2, v3, vcc
	v_cndmask_b32_e32 v3, v4, v6, vcc
	v_lshlrev_b32_e32 v4, 16, v9
	v_mov_b32_e32 v6, 0x3b800000
	v_lshlrev_b32_e32 v2, 20, v2
	v_and_b32_e32 v4, 0x80000000, v4
	v_lshl_add_u32 v3, v3, 23, v6
	v_or3_b32 v2, v4, v3, v2
.LBB13_876:
	s_or_b64 exec, exec, s[6:7]
	v_lshrrev_b32_e32 v3, 8, v5
	s_movk_i32 s4, 0x7f
	v_cmp_gt_i16_sdwa s[6:7], v3, s4 src0_sel:BYTE_0 src1_sel:DWORD
	s_mov_b64 s[4:5], 0
                                        ; implicit-def: $sgpr10
	s_and_saveexec_b64 s[8:9], s[6:7]
	s_xor_b64 s[6:7], exec, s[8:9]
	s_cbranch_execnz .LBB13_2925
; %bb.877:
	s_or_saveexec_b64 s[6:7], s[6:7]
	v_mov_b32_e32 v4, s10
	s_xor_b64 exec, exec, s[6:7]
	s_cbranch_execnz .LBB13_2928
.LBB13_878:
	s_or_b64 exec, exec, s[6:7]
	s_and_saveexec_b64 s[6:7], s[4:5]
	s_cbranch_execz .LBB13_880
.LBB13_879:
	v_bfe_u32 v4, v5, 8, 3
	v_ffbh_u32_e32 v7, v4
	v_min_u32_e32 v7, 32, v7
	v_lshrrev_b16_e32 v6, 3, v3
	v_subrev_u32_e32 v8, 28, v7
	v_and_b32_e32 v6, 15, v6
	v_lshlrev_b32_e32 v3, v8, v3
	v_sub_u32_e32 v7, 29, v7
	v_and_b32_e32 v3, 7, v3
	v_cmp_eq_u16_e32 vcc, 0, v6
	v_cndmask_b32_e32 v3, v4, v3, vcc
	v_cndmask_b32_e32 v4, v6, v7, vcc
	v_lshlrev_b32_e32 v6, 16, v5
	v_mov_b32_e32 v7, 0x3b800000
	v_lshlrev_b32_e32 v3, 20, v3
	v_and_b32_e32 v6, 0x80000000, v6
	v_lshl_add_u32 v4, v4, 23, v7
	v_or3_b32 v4, v6, v4, v3
.LBB13_880:
	s_or_b64 exec, exec, s[6:7]
	s_nop 0
	v_mfma_f32_16x16x4f32 a[0:3], v2, v4, a[0:3]
	s_movk_i32 s4, 0xff
	v_and_b32_sdwa v3, v9, s4 dst_sel:DWORD dst_unused:UNUSED_PAD src0_sel:WORD_1 src1_sel:DWORD
	s_movk_i32 s4, 0x7f
	v_cmp_lt_i16_e32 vcc, s4, v3
	s_mov_b64 s[4:5], 0
                                        ; implicit-def: $sgpr10
	s_and_saveexec_b64 s[6:7], vcc
	s_xor_b64 s[6:7], exec, s[6:7]
	s_cbranch_execnz .LBB13_2929
; %bb.881:
	s_or_saveexec_b64 s[6:7], s[6:7]
	v_mov_b32_e32 v2, s10
	s_xor_b64 exec, exec, s[6:7]
	s_cbranch_execnz .LBB13_2932
.LBB13_882:
	s_or_b64 exec, exec, s[6:7]
	s_and_saveexec_b64 s[6:7], s[4:5]
	s_cbranch_execz .LBB13_884
.LBB13_883:
	v_bfe_u32 v2, v9, 16, 3
	v_ffbh_u32_e32 v6, v2
	v_min_u32_e32 v6, 32, v6
	v_lshrrev_b32_e32 v3, 19, v9
	v_subrev_u32_e32 v7, 28, v6
	v_and_b32_e32 v3, 15, v3
	v_lshlrev_b32_sdwa v7, v7, v9 dst_sel:DWORD dst_unused:UNUSED_PAD src0_sel:DWORD src1_sel:WORD_1
	v_bfe_u32 v4, v9, 19, 4
	v_sub_u32_e32 v6, 29, v6
	v_and_b32_e32 v7, 7, v7
	v_cmp_eq_u16_e32 vcc, 0, v3
	v_cndmask_b32_e32 v2, v2, v7, vcc
	v_cndmask_b32_e32 v3, v4, v6, vcc
	v_lshlrev_b32_e32 v4, 8, v9
	v_mov_b32_e32 v6, 0x3b800000
	v_lshlrev_b32_e32 v2, 20, v2
	v_and_b32_e32 v4, 0x80000000, v4
	v_lshl_add_u32 v3, v3, 23, v6
	v_or3_b32 v2, v4, v3, v2
.LBB13_884:
	s_or_b64 exec, exec, s[6:7]
	s_movk_i32 s4, 0xff
	v_and_b32_sdwa v3, v5, s4 dst_sel:DWORD dst_unused:UNUSED_PAD src0_sel:WORD_1 src1_sel:DWORD
	s_movk_i32 s4, 0x7f
	v_cmp_lt_i16_e32 vcc, s4, v3
	s_mov_b64 s[4:5], 0
                                        ; implicit-def: $sgpr10
	s_and_saveexec_b64 s[6:7], vcc
	s_xor_b64 s[6:7], exec, s[6:7]
	s_cbranch_execnz .LBB13_2933
; %bb.885:
	s_or_saveexec_b64 s[6:7], s[6:7]
	v_mov_b32_e32 v4, s10
	s_xor_b64 exec, exec, s[6:7]
	s_cbranch_execnz .LBB13_2936
.LBB13_886:
	s_or_b64 exec, exec, s[6:7]
	s_and_saveexec_b64 s[6:7], s[4:5]
	s_cbranch_execz .LBB13_888
.LBB13_887:
	v_bfe_u32 v3, v5, 16, 3
	v_ffbh_u32_e32 v7, v3
	v_min_u32_e32 v7, 32, v7
	v_lshrrev_b32_e32 v4, 19, v5
	v_subrev_u32_e32 v8, 28, v7
	v_and_b32_e32 v4, 15, v4
	v_lshlrev_b32_sdwa v8, v8, v5 dst_sel:DWORD dst_unused:UNUSED_PAD src0_sel:DWORD src1_sel:WORD_1
	v_bfe_u32 v6, v5, 19, 4
	v_sub_u32_e32 v7, 29, v7
	v_and_b32_e32 v8, 7, v8
	v_cmp_eq_u16_e32 vcc, 0, v4
	v_cndmask_b32_e32 v3, v3, v8, vcc
	v_cndmask_b32_e32 v4, v6, v7, vcc
	v_lshlrev_b32_e32 v6, 8, v5
	v_mov_b32_e32 v7, 0x3b800000
	v_lshlrev_b32_e32 v3, 20, v3
	v_and_b32_e32 v6, 0x80000000, v6
	v_lshl_add_u32 v4, v4, 23, v7
	v_or3_b32 v4, v6, v4, v3
.LBB13_888:
	s_or_b64 exec, exec, s[6:7]
	s_nop 0
	v_mfma_f32_16x16x4f32 a[0:3], v2, v4, a[0:3]
	s_movk_i32 s4, 0x7f
	v_cmp_gt_i16_sdwa s[6:7], v9, s4 src0_sel:BYTE_3 src1_sel:DWORD
	s_mov_b64 s[4:5], 0
                                        ; implicit-def: $sgpr10
	s_and_saveexec_b64 s[8:9], s[6:7]
	s_xor_b64 s[6:7], exec, s[8:9]
	s_cbranch_execnz .LBB13_2937
; %bb.889:
	s_or_saveexec_b64 s[6:7], s[6:7]
	v_mov_b32_e32 v2, s10
	s_xor_b64 exec, exec, s[6:7]
	s_cbranch_execnz .LBB13_2940
.LBB13_890:
	s_or_b64 exec, exec, s[6:7]
	s_and_saveexec_b64 s[6:7], s[4:5]
	s_cbranch_execz .LBB13_892
.LBB13_891:
	v_bfe_u32 v2, v9, 24, 3
	v_ffbh_u32_e32 v7, v2
	v_min_u32_e32 v7, 32, v7
	v_lshrrev_b32_e32 v4, 27, v9
	v_subrev_u32_e32 v8, 28, v7
	v_and_b32_e32 v4, 15, v4
	v_lshlrev_b32_sdwa v8, v8, v9 dst_sel:DWORD dst_unused:UNUSED_PAD src0_sel:DWORD src1_sel:BYTE_3
	v_bfe_u32 v6, v9, 27, 4
	v_sub_u32_e32 v7, 29, v7
	v_and_b32_e32 v8, 7, v8
	v_cmp_eq_u16_e32 vcc, 0, v4
	v_cndmask_b32_e32 v2, v2, v8, vcc
	v_cndmask_b32_e32 v4, v6, v7, vcc
	v_mov_b32_e32 v6, 0x3b800000
	v_and_b32_e32 v3, 0x80000000, v9
	v_lshlrev_b32_e32 v2, 20, v2
	v_lshl_add_u32 v4, v4, 23, v6
	v_or3_b32 v2, v3, v4, v2
.LBB13_892:
	s_or_b64 exec, exec, s[6:7]
	s_movk_i32 s4, 0x7f
	v_cmp_gt_i16_sdwa s[6:7], v5, s4 src0_sel:BYTE_3 src1_sel:DWORD
	s_mov_b64 s[4:5], 0
                                        ; implicit-def: $sgpr10
	s_and_saveexec_b64 s[8:9], s[6:7]
	s_xor_b64 s[6:7], exec, s[8:9]
	s_cbranch_execnz .LBB13_2941
; %bb.893:
	s_or_saveexec_b64 s[6:7], s[6:7]
	v_mov_b32_e32 v3, s10
	s_xor_b64 exec, exec, s[6:7]
	s_cbranch_execnz .LBB13_2944
.LBB13_894:
	s_or_b64 exec, exec, s[6:7]
	s_and_saveexec_b64 s[6:7], s[4:5]
	s_cbranch_execz .LBB13_896
.LBB13_895:
	v_bfe_u32 v3, v5, 24, 3
	v_ffbh_u32_e32 v8, v3
	v_min_u32_e32 v8, 32, v8
	v_lshrrev_b32_e32 v6, 27, v5
	v_subrev_u32_e32 v9, 28, v8
	v_and_b32_e32 v4, 0x80000000, v5
	v_and_b32_e32 v6, 15, v6
	v_bfe_u32 v7, v5, 27, 4
	v_lshlrev_b32_sdwa v5, v9, v5 dst_sel:DWORD dst_unused:UNUSED_PAD src0_sel:DWORD src1_sel:BYTE_3
	v_sub_u32_e32 v8, 29, v8
	v_and_b32_e32 v5, 7, v5
	v_cmp_eq_u16_e32 vcc, 0, v6
	v_cndmask_b32_e32 v3, v3, v5, vcc
	v_cndmask_b32_e32 v5, v7, v8, vcc
	v_mov_b32_e32 v6, 0x3b800000
	v_lshlrev_b32_e32 v3, 20, v3
	v_lshl_add_u32 v5, v5, 23, v6
	v_or3_b32 v3, v4, v5, v3
.LBB13_896:
	s_or_b64 exec, exec, s[6:7]
	s_nop 0
	v_mfma_f32_16x16x4f32 a[0:3], v2, v3, a[0:3]
	s_movk_i32 s4, 0x7f
                                        ; implicit-def: $sgpr10
	s_nop 7
	s_nop 1
	flat_store_dwordx4 v[10:11], a[0:3] offset:96
	flat_load_dwordx4 v[12:15], v[0:1] offset:8
	s_nop 0
	flat_load_dwordx2 v[10:11], v[0:1] offset:32
	s_waitcnt vmcnt(0) lgkmcnt(0)
	flat_load_dwordx4 v[6:9], v[12:13] offset:48
	flat_load_dwordx4 v[2:5], v[14:15] offset:112
	s_waitcnt vmcnt(0) lgkmcnt(0)
	v_cmp_gt_i16_sdwa s[6:7], v6, s4 src0_sel:BYTE_0 src1_sel:DWORD
	s_mov_b64 s[4:5], 0
	s_and_saveexec_b64 s[8:9], s[6:7]
	s_xor_b64 s[6:7], exec, s[8:9]
	s_cbranch_execnz .LBB13_2945
; %bb.897:
	s_or_saveexec_b64 s[6:7], s[6:7]
	v_mov_b32_e32 v12, s10
	s_xor_b64 exec, exec, s[6:7]
	s_cbranch_execnz .LBB13_2948
.LBB13_898:
	s_or_b64 exec, exec, s[6:7]
	s_and_saveexec_b64 s[6:7], s[4:5]
	s_cbranch_execz .LBB13_900
.LBB13_899:
	v_and_b32_e32 v12, 7, v6
	v_ffbh_u32_e32 v14, v12
	v_min_u32_e32 v14, 32, v14
	v_lshrrev_b16_e32 v13, 3, v6
	v_subrev_u32_e32 v15, 28, v14
	v_and_b32_e32 v13, 15, v13
	v_lshlrev_b32_e32 v15, v15, v6
	v_sub_u32_e32 v14, 29, v14
	v_and_b32_e32 v15, 7, v15
	v_cmp_eq_u16_e32 vcc, 0, v13
	v_cndmask_b32_e32 v12, v12, v15, vcc
	v_cndmask_b32_e32 v13, v13, v14, vcc
	v_lshlrev_b32_e32 v14, 24, v6
	v_mov_b32_e32 v15, 0x3b800000
	v_lshlrev_b32_e32 v12, 20, v12
	v_and_b32_e32 v14, 0x80000000, v14
	v_lshl_add_u32 v13, v13, 23, v15
	v_or3_b32 v12, v14, v13, v12
.LBB13_900:
	s_or_b64 exec, exec, s[6:7]
	s_movk_i32 s4, 0x7f
	v_cmp_gt_i16_sdwa s[6:7], v2, s4 src0_sel:BYTE_0 src1_sel:DWORD
	s_mov_b64 s[4:5], 0
                                        ; implicit-def: $sgpr10
	s_and_saveexec_b64 s[8:9], s[6:7]
	s_xor_b64 s[6:7], exec, s[8:9]
	s_cbranch_execnz .LBB13_2949
; %bb.901:
	s_or_saveexec_b64 s[6:7], s[6:7]
	v_mov_b32_e32 v13, s10
	s_xor_b64 exec, exec, s[6:7]
	s_cbranch_execnz .LBB13_2952
.LBB13_902:
	s_or_b64 exec, exec, s[6:7]
	s_and_saveexec_b64 s[6:7], s[4:5]
	s_cbranch_execz .LBB13_904
.LBB13_903:
	v_and_b32_e32 v13, 7, v2
	v_ffbh_u32_e32 v15, v13
	v_min_u32_e32 v15, 32, v15
	v_lshrrev_b16_e32 v14, 3, v2
	v_subrev_u32_e32 v16, 28, v15
	v_and_b32_e32 v14, 15, v14
	v_lshlrev_b32_e32 v16, v16, v2
	v_sub_u32_e32 v15, 29, v15
	v_and_b32_e32 v16, 7, v16
	v_cmp_eq_u16_e32 vcc, 0, v14
	v_cndmask_b32_e32 v13, v13, v16, vcc
	v_cndmask_b32_e32 v14, v14, v15, vcc
	v_lshlrev_b32_e32 v15, 24, v2
	v_mov_b32_e32 v16, 0x3b800000
	v_lshlrev_b32_e32 v13, 20, v13
	v_and_b32_e32 v15, 0x80000000, v15
	v_lshl_add_u32 v14, v14, 23, v16
	v_or3_b32 v13, v15, v14, v13
.LBB13_904:
	s_or_b64 exec, exec, s[6:7]
	flat_load_dwordx4 a[0:3], v[10:11] offset:112
	s_movk_i32 s4, 0x7f
                                        ; implicit-def: $sgpr10
	s_waitcnt vmcnt(0) lgkmcnt(0)
	v_mfma_f32_16x16x4f32 a[0:3], v12, v13, a[0:3]
	v_lshrrev_b32_e32 v13, 8, v6
	v_cmp_gt_i16_sdwa s[6:7], v13, s4 src0_sel:BYTE_0 src1_sel:DWORD
	s_mov_b64 s[4:5], 0
	s_and_saveexec_b64 s[8:9], s[6:7]
	s_xor_b64 s[6:7], exec, s[8:9]
	s_cbranch_execnz .LBB13_2953
; %bb.905:
	s_or_saveexec_b64 s[6:7], s[6:7]
	v_mov_b32_e32 v12, s10
	s_xor_b64 exec, exec, s[6:7]
	s_cbranch_execnz .LBB13_2956
.LBB13_906:
	s_or_b64 exec, exec, s[6:7]
	s_and_saveexec_b64 s[6:7], s[4:5]
	s_cbranch_execz .LBB13_908
.LBB13_907:
	v_bfe_u32 v12, v6, 8, 3
	v_ffbh_u32_e32 v15, v12
	v_min_u32_e32 v15, 32, v15
	v_lshrrev_b16_e32 v14, 3, v13
	v_subrev_u32_e32 v16, 28, v15
	v_and_b32_e32 v14, 15, v14
	v_lshlrev_b32_e32 v13, v16, v13
	v_sub_u32_e32 v15, 29, v15
	v_and_b32_e32 v13, 7, v13
	v_cmp_eq_u16_e32 vcc, 0, v14
	v_cndmask_b32_e32 v12, v12, v13, vcc
	v_cndmask_b32_e32 v13, v14, v15, vcc
	v_lshlrev_b32_e32 v14, 16, v6
	v_mov_b32_e32 v15, 0x3b800000
	v_lshlrev_b32_e32 v12, 20, v12
	v_and_b32_e32 v14, 0x80000000, v14
	v_lshl_add_u32 v13, v13, 23, v15
	v_or3_b32 v12, v14, v13, v12
.LBB13_908:
	s_or_b64 exec, exec, s[6:7]
	v_lshrrev_b32_e32 v13, 8, v2
	s_movk_i32 s4, 0x7f
	v_cmp_gt_i16_sdwa s[6:7], v13, s4 src0_sel:BYTE_0 src1_sel:DWORD
	s_mov_b64 s[4:5], 0
                                        ; implicit-def: $sgpr10
	s_and_saveexec_b64 s[8:9], s[6:7]
	s_xor_b64 s[6:7], exec, s[8:9]
	s_cbranch_execnz .LBB13_2957
; %bb.909:
	s_or_saveexec_b64 s[6:7], s[6:7]
	v_mov_b32_e32 v14, s10
	s_xor_b64 exec, exec, s[6:7]
	s_cbranch_execnz .LBB13_2960
.LBB13_910:
	s_or_b64 exec, exec, s[6:7]
	s_and_saveexec_b64 s[6:7], s[4:5]
	s_cbranch_execz .LBB13_912
.LBB13_911:
	v_bfe_u32 v14, v2, 8, 3
	v_ffbh_u32_e32 v16, v14
	v_min_u32_e32 v16, 32, v16
	v_lshrrev_b16_e32 v15, 3, v13
	v_subrev_u32_e32 v17, 28, v16
	v_and_b32_e32 v15, 15, v15
	v_lshlrev_b32_e32 v13, v17, v13
	v_sub_u32_e32 v16, 29, v16
	v_and_b32_e32 v13, 7, v13
	v_cmp_eq_u16_e32 vcc, 0, v15
	v_cndmask_b32_e32 v13, v14, v13, vcc
	v_cndmask_b32_e32 v14, v15, v16, vcc
	v_lshlrev_b32_e32 v15, 16, v2
	v_mov_b32_e32 v16, 0x3b800000
	v_lshlrev_b32_e32 v13, 20, v13
	v_and_b32_e32 v15, 0x80000000, v15
	v_lshl_add_u32 v14, v14, 23, v16
	v_or3_b32 v14, v15, v14, v13
.LBB13_912:
	s_or_b64 exec, exec, s[6:7]
	s_nop 0
	v_mfma_f32_16x16x4f32 a[0:3], v12, v14, a[0:3]
	s_movk_i32 s4, 0xff
	v_and_b32_sdwa v13, v6, s4 dst_sel:DWORD dst_unused:UNUSED_PAD src0_sel:WORD_1 src1_sel:DWORD
	s_movk_i32 s4, 0x7f
	v_cmp_lt_i16_e32 vcc, s4, v13
	s_mov_b64 s[4:5], 0
                                        ; implicit-def: $sgpr10
	s_and_saveexec_b64 s[6:7], vcc
	s_xor_b64 s[6:7], exec, s[6:7]
	s_cbranch_execnz .LBB13_2961
; %bb.913:
	s_or_saveexec_b64 s[6:7], s[6:7]
	v_mov_b32_e32 v12, s10
	s_xor_b64 exec, exec, s[6:7]
	s_cbranch_execnz .LBB13_2964
.LBB13_914:
	s_or_b64 exec, exec, s[6:7]
	s_and_saveexec_b64 s[6:7], s[4:5]
	s_cbranch_execz .LBB13_916
.LBB13_915:
	v_bfe_u32 v12, v6, 16, 3
	v_ffbh_u32_e32 v15, v12
	v_min_u32_e32 v15, 32, v15
	v_lshrrev_b32_e32 v13, 19, v6
	v_subrev_u32_e32 v16, 28, v15
	v_and_b32_e32 v13, 15, v13
	v_lshlrev_b32_sdwa v16, v16, v6 dst_sel:DWORD dst_unused:UNUSED_PAD src0_sel:DWORD src1_sel:WORD_1
	v_bfe_u32 v14, v6, 19, 4
	v_sub_u32_e32 v15, 29, v15
	v_and_b32_e32 v16, 7, v16
	v_cmp_eq_u16_e32 vcc, 0, v13
	v_cndmask_b32_e32 v12, v12, v16, vcc
	v_cndmask_b32_e32 v13, v14, v15, vcc
	v_lshlrev_b32_e32 v14, 8, v6
	v_mov_b32_e32 v15, 0x3b800000
	v_lshlrev_b32_e32 v12, 20, v12
	v_and_b32_e32 v14, 0x80000000, v14
	v_lshl_add_u32 v13, v13, 23, v15
	v_or3_b32 v12, v14, v13, v12
.LBB13_916:
	s_or_b64 exec, exec, s[6:7]
	s_movk_i32 s4, 0xff
	v_and_b32_sdwa v13, v2, s4 dst_sel:DWORD dst_unused:UNUSED_PAD src0_sel:WORD_1 src1_sel:DWORD
	s_movk_i32 s4, 0x7f
	v_cmp_lt_i16_e32 vcc, s4, v13
	s_mov_b64 s[4:5], 0
                                        ; implicit-def: $sgpr10
	s_and_saveexec_b64 s[6:7], vcc
	s_xor_b64 s[6:7], exec, s[6:7]
	s_cbranch_execnz .LBB13_2965
; %bb.917:
	s_or_saveexec_b64 s[6:7], s[6:7]
	v_mov_b32_e32 v14, s10
	s_xor_b64 exec, exec, s[6:7]
	s_cbranch_execnz .LBB13_2968
.LBB13_918:
	s_or_b64 exec, exec, s[6:7]
	s_and_saveexec_b64 s[6:7], s[4:5]
	s_cbranch_execz .LBB13_920
.LBB13_919:
	v_bfe_u32 v13, v2, 16, 3
	v_ffbh_u32_e32 v16, v13
	v_min_u32_e32 v16, 32, v16
	v_lshrrev_b32_e32 v14, 19, v2
	v_subrev_u32_e32 v17, 28, v16
	v_and_b32_e32 v14, 15, v14
	v_lshlrev_b32_sdwa v17, v17, v2 dst_sel:DWORD dst_unused:UNUSED_PAD src0_sel:DWORD src1_sel:WORD_1
	v_bfe_u32 v15, v2, 19, 4
	v_sub_u32_e32 v16, 29, v16
	v_and_b32_e32 v17, 7, v17
	v_cmp_eq_u16_e32 vcc, 0, v14
	v_cndmask_b32_e32 v13, v13, v17, vcc
	v_cndmask_b32_e32 v14, v15, v16, vcc
	v_lshlrev_b32_e32 v15, 8, v2
	v_mov_b32_e32 v16, 0x3b800000
	v_lshlrev_b32_e32 v13, 20, v13
	v_and_b32_e32 v15, 0x80000000, v15
	v_lshl_add_u32 v14, v14, 23, v16
	v_or3_b32 v14, v15, v14, v13
.LBB13_920:
	s_or_b64 exec, exec, s[6:7]
	s_nop 0
	v_mfma_f32_16x16x4f32 a[0:3], v12, v14, a[0:3]
	s_movk_i32 s4, 0x7f
	v_cmp_gt_i16_sdwa s[6:7], v6, s4 src0_sel:BYTE_3 src1_sel:DWORD
	s_mov_b64 s[4:5], 0
                                        ; implicit-def: $sgpr10
	s_and_saveexec_b64 s[8:9], s[6:7]
	s_xor_b64 s[6:7], exec, s[8:9]
	s_cbranch_execnz .LBB13_2969
; %bb.921:
	s_or_saveexec_b64 s[6:7], s[6:7]
	v_mov_b32_e32 v12, s10
	s_xor_b64 exec, exec, s[6:7]
	s_cbranch_execnz .LBB13_2972
.LBB13_922:
	s_or_b64 exec, exec, s[6:7]
	s_and_saveexec_b64 s[6:7], s[4:5]
	s_cbranch_execz .LBB13_924
.LBB13_923:
	v_bfe_u32 v12, v6, 24, 3
	v_ffbh_u32_e32 v16, v12
	v_min_u32_e32 v16, 32, v16
	v_lshrrev_b32_e32 v14, 27, v6
	v_subrev_u32_e32 v17, 28, v16
	v_and_b32_e32 v13, 0x80000000, v6
	v_and_b32_e32 v14, 15, v14
	v_bfe_u32 v15, v6, 27, 4
	v_lshlrev_b32_sdwa v6, v17, v6 dst_sel:DWORD dst_unused:UNUSED_PAD src0_sel:DWORD src1_sel:BYTE_3
	v_sub_u32_e32 v16, 29, v16
	v_and_b32_e32 v6, 7, v6
	v_cmp_eq_u16_e32 vcc, 0, v14
	v_cndmask_b32_e32 v6, v12, v6, vcc
	v_cndmask_b32_e32 v12, v15, v16, vcc
	v_mov_b32_e32 v14, 0x3b800000
	v_lshlrev_b32_e32 v6, 20, v6
	v_lshl_add_u32 v12, v12, 23, v14
	v_or3_b32 v12, v13, v12, v6
.LBB13_924:
	s_or_b64 exec, exec, s[6:7]
	s_movk_i32 s4, 0x7f
	v_cmp_gt_i16_sdwa s[6:7], v2, s4 src0_sel:BYTE_3 src1_sel:DWORD
	s_mov_b64 s[4:5], 0
                                        ; implicit-def: $sgpr10
	s_and_saveexec_b64 s[8:9], s[6:7]
	s_xor_b64 s[6:7], exec, s[8:9]
	s_cbranch_execnz .LBB13_2973
; %bb.925:
	s_or_saveexec_b64 s[6:7], s[6:7]
	v_mov_b32_e32 v6, s10
	s_xor_b64 exec, exec, s[6:7]
	s_cbranch_execnz .LBB13_2976
.LBB13_926:
	s_or_b64 exec, exec, s[6:7]
	s_and_saveexec_b64 s[6:7], s[4:5]
	s_cbranch_execz .LBB13_928
.LBB13_927:
	v_bfe_u32 v6, v2, 24, 3
	v_ffbh_u32_e32 v16, v6
	v_min_u32_e32 v16, 32, v16
	v_lshrrev_b32_e32 v14, 27, v2
	v_subrev_u32_e32 v17, 28, v16
	v_and_b32_e32 v13, 0x80000000, v2
	v_and_b32_e32 v14, 15, v14
	v_bfe_u32 v15, v2, 27, 4
	v_lshlrev_b32_sdwa v2, v17, v2 dst_sel:DWORD dst_unused:UNUSED_PAD src0_sel:DWORD src1_sel:BYTE_3
	v_sub_u32_e32 v16, 29, v16
	v_and_b32_e32 v2, 7, v2
	v_cmp_eq_u16_e32 vcc, 0, v14
	v_cndmask_b32_e32 v2, v6, v2, vcc
	v_cndmask_b32_e32 v6, v15, v16, vcc
	v_mov_b32_e32 v14, 0x3b800000
	v_lshlrev_b32_e32 v2, 20, v2
	v_lshl_add_u32 v6, v6, 23, v14
	v_or3_b32 v6, v13, v6, v2
.LBB13_928:
	s_or_b64 exec, exec, s[6:7]
	s_nop 0
	v_mfma_f32_16x16x4f32 a[0:3], v12, v6, a[0:3]
	s_movk_i32 s4, 0x7f
	v_cmp_gt_i16_sdwa s[6:7], v7, s4 src0_sel:BYTE_0 src1_sel:DWORD
	s_mov_b64 s[4:5], 0
                                        ; implicit-def: $sgpr10
	s_and_saveexec_b64 s[8:9], s[6:7]
	s_xor_b64 s[6:7], exec, s[8:9]
	s_cbranch_execnz .LBB13_2977
; %bb.929:
	s_or_saveexec_b64 s[6:7], s[6:7]
	v_mov_b32_e32 v2, s10
	s_xor_b64 exec, exec, s[6:7]
	s_cbranch_execnz .LBB13_2980
.LBB13_930:
	s_or_b64 exec, exec, s[6:7]
	s_and_saveexec_b64 s[6:7], s[4:5]
	s_cbranch_execz .LBB13_932
.LBB13_931:
	v_and_b32_e32 v2, 7, v7
	v_ffbh_u32_e32 v12, v2
	v_min_u32_e32 v12, 32, v12
	v_lshrrev_b16_e32 v6, 3, v7
	v_subrev_u32_e32 v13, 28, v12
	v_and_b32_e32 v6, 15, v6
	v_lshlrev_b32_e32 v13, v13, v7
	v_sub_u32_e32 v12, 29, v12
	v_and_b32_e32 v13, 7, v13
	v_cmp_eq_u16_e32 vcc, 0, v6
	v_cndmask_b32_e32 v2, v2, v13, vcc
	v_cndmask_b32_e32 v6, v6, v12, vcc
	v_lshlrev_b32_e32 v12, 24, v7
	v_mov_b32_e32 v13, 0x3b800000
	v_lshlrev_b32_e32 v2, 20, v2
	v_and_b32_e32 v12, 0x80000000, v12
	v_lshl_add_u32 v6, v6, 23, v13
	v_or3_b32 v2, v12, v6, v2
.LBB13_932:
	s_or_b64 exec, exec, s[6:7]
	s_movk_i32 s4, 0x7f
	v_cmp_gt_i16_sdwa s[6:7], v3, s4 src0_sel:BYTE_0 src1_sel:DWORD
	s_mov_b64 s[4:5], 0
                                        ; implicit-def: $sgpr10
	s_and_saveexec_b64 s[8:9], s[6:7]
	s_xor_b64 s[6:7], exec, s[8:9]
	s_cbranch_execnz .LBB13_2981
; %bb.933:
	s_or_saveexec_b64 s[6:7], s[6:7]
	v_mov_b32_e32 v6, s10
	s_xor_b64 exec, exec, s[6:7]
	s_cbranch_execnz .LBB13_2984
.LBB13_934:
	s_or_b64 exec, exec, s[6:7]
	s_and_saveexec_b64 s[6:7], s[4:5]
	s_cbranch_execz .LBB13_936
.LBB13_935:
	v_and_b32_e32 v6, 7, v3
	v_ffbh_u32_e32 v13, v6
	v_min_u32_e32 v13, 32, v13
	v_lshrrev_b16_e32 v12, 3, v3
	v_subrev_u32_e32 v14, 28, v13
	v_and_b32_e32 v12, 15, v12
	v_lshlrev_b32_e32 v14, v14, v3
	v_sub_u32_e32 v13, 29, v13
	v_and_b32_e32 v14, 7, v14
	v_cmp_eq_u16_e32 vcc, 0, v12
	v_cndmask_b32_e32 v6, v6, v14, vcc
	v_cndmask_b32_e32 v12, v12, v13, vcc
	v_lshlrev_b32_e32 v13, 24, v3
	v_mov_b32_e32 v14, 0x3b800000
	v_lshlrev_b32_e32 v6, 20, v6
	v_and_b32_e32 v13, 0x80000000, v13
	v_lshl_add_u32 v12, v12, 23, v14
	v_or3_b32 v6, v13, v12, v6
.LBB13_936:
	s_or_b64 exec, exec, s[6:7]
	s_nop 0
	v_mfma_f32_16x16x4f32 a[0:3], v2, v6, a[0:3]
	v_lshrrev_b32_e32 v6, 8, v7
	s_movk_i32 s4, 0x7f
	v_cmp_gt_i16_sdwa s[6:7], v6, s4 src0_sel:BYTE_0 src1_sel:DWORD
	s_mov_b64 s[4:5], 0
                                        ; implicit-def: $sgpr10
	s_and_saveexec_b64 s[8:9], s[6:7]
	s_xor_b64 s[6:7], exec, s[8:9]
	s_cbranch_execnz .LBB13_2985
; %bb.937:
	s_or_saveexec_b64 s[6:7], s[6:7]
	v_mov_b32_e32 v2, s10
	s_xor_b64 exec, exec, s[6:7]
	s_cbranch_execnz .LBB13_2988
.LBB13_938:
	s_or_b64 exec, exec, s[6:7]
	s_and_saveexec_b64 s[6:7], s[4:5]
	s_cbranch_execz .LBB13_940
.LBB13_939:
	v_bfe_u32 v2, v7, 8, 3
	v_ffbh_u32_e32 v13, v2
	v_min_u32_e32 v13, 32, v13
	v_lshrrev_b16_e32 v12, 3, v6
	v_subrev_u32_e32 v14, 28, v13
	v_and_b32_e32 v12, 15, v12
	v_lshlrev_b32_e32 v6, v14, v6
	v_sub_u32_e32 v13, 29, v13
	v_and_b32_e32 v6, 7, v6
	v_cmp_eq_u16_e32 vcc, 0, v12
	v_cndmask_b32_e32 v2, v2, v6, vcc
	v_cndmask_b32_e32 v6, v12, v13, vcc
	v_lshlrev_b32_e32 v12, 16, v7
	v_mov_b32_e32 v13, 0x3b800000
	v_lshlrev_b32_e32 v2, 20, v2
	v_and_b32_e32 v12, 0x80000000, v12
	v_lshl_add_u32 v6, v6, 23, v13
	v_or3_b32 v2, v12, v6, v2
.LBB13_940:
	s_or_b64 exec, exec, s[6:7]
	v_lshrrev_b32_e32 v6, 8, v3
	s_movk_i32 s4, 0x7f
	v_cmp_gt_i16_sdwa s[6:7], v6, s4 src0_sel:BYTE_0 src1_sel:DWORD
	s_mov_b64 s[4:5], 0
                                        ; implicit-def: $sgpr10
	s_and_saveexec_b64 s[8:9], s[6:7]
	s_xor_b64 s[6:7], exec, s[8:9]
	s_cbranch_execnz .LBB13_2989
; %bb.941:
	s_or_saveexec_b64 s[6:7], s[6:7]
	v_mov_b32_e32 v12, s10
	s_xor_b64 exec, exec, s[6:7]
	s_cbranch_execnz .LBB13_2992
.LBB13_942:
	s_or_b64 exec, exec, s[6:7]
	s_and_saveexec_b64 s[6:7], s[4:5]
	s_cbranch_execz .LBB13_944
.LBB13_943:
	v_bfe_u32 v12, v3, 8, 3
	v_ffbh_u32_e32 v14, v12
	v_min_u32_e32 v14, 32, v14
	v_lshrrev_b16_e32 v13, 3, v6
	v_subrev_u32_e32 v15, 28, v14
	v_and_b32_e32 v13, 15, v13
	v_lshlrev_b32_e32 v6, v15, v6
	v_sub_u32_e32 v14, 29, v14
	v_and_b32_e32 v6, 7, v6
	v_cmp_eq_u16_e32 vcc, 0, v13
	v_cndmask_b32_e32 v6, v12, v6, vcc
	v_cndmask_b32_e32 v12, v13, v14, vcc
	v_lshlrev_b32_e32 v13, 16, v3
	v_mov_b32_e32 v14, 0x3b800000
	v_lshlrev_b32_e32 v6, 20, v6
	v_and_b32_e32 v13, 0x80000000, v13
	v_lshl_add_u32 v12, v12, 23, v14
	v_or3_b32 v12, v13, v12, v6
.LBB13_944:
	s_or_b64 exec, exec, s[6:7]
	s_nop 0
	v_mfma_f32_16x16x4f32 a[0:3], v2, v12, a[0:3]
	s_movk_i32 s4, 0xff
	v_and_b32_sdwa v6, v7, s4 dst_sel:DWORD dst_unused:UNUSED_PAD src0_sel:WORD_1 src1_sel:DWORD
	s_movk_i32 s4, 0x7f
	v_cmp_lt_i16_e32 vcc, s4, v6
	s_mov_b64 s[4:5], 0
                                        ; implicit-def: $sgpr10
	s_and_saveexec_b64 s[6:7], vcc
	s_xor_b64 s[6:7], exec, s[6:7]
	s_cbranch_execnz .LBB13_2993
; %bb.945:
	s_or_saveexec_b64 s[6:7], s[6:7]
	v_mov_b32_e32 v2, s10
	s_xor_b64 exec, exec, s[6:7]
	s_cbranch_execnz .LBB13_2996
.LBB13_946:
	s_or_b64 exec, exec, s[6:7]
	s_and_saveexec_b64 s[6:7], s[4:5]
	s_cbranch_execz .LBB13_948
.LBB13_947:
	v_bfe_u32 v2, v7, 16, 3
	v_ffbh_u32_e32 v13, v2
	v_min_u32_e32 v13, 32, v13
	v_lshrrev_b32_e32 v6, 19, v7
	v_subrev_u32_e32 v14, 28, v13
	v_and_b32_e32 v6, 15, v6
	v_lshlrev_b32_sdwa v14, v14, v7 dst_sel:DWORD dst_unused:UNUSED_PAD src0_sel:DWORD src1_sel:WORD_1
	v_bfe_u32 v12, v7, 19, 4
	v_sub_u32_e32 v13, 29, v13
	v_and_b32_e32 v14, 7, v14
	v_cmp_eq_u16_e32 vcc, 0, v6
	v_cndmask_b32_e32 v2, v2, v14, vcc
	v_cndmask_b32_e32 v6, v12, v13, vcc
	v_lshlrev_b32_e32 v12, 8, v7
	v_mov_b32_e32 v13, 0x3b800000
	v_lshlrev_b32_e32 v2, 20, v2
	v_and_b32_e32 v12, 0x80000000, v12
	v_lshl_add_u32 v6, v6, 23, v13
	v_or3_b32 v2, v12, v6, v2
.LBB13_948:
	s_or_b64 exec, exec, s[6:7]
	s_movk_i32 s4, 0xff
	v_and_b32_sdwa v6, v3, s4 dst_sel:DWORD dst_unused:UNUSED_PAD src0_sel:WORD_1 src1_sel:DWORD
	s_movk_i32 s4, 0x7f
	v_cmp_lt_i16_e32 vcc, s4, v6
	s_mov_b64 s[4:5], 0
                                        ; implicit-def: $sgpr10
	s_and_saveexec_b64 s[6:7], vcc
	s_xor_b64 s[6:7], exec, s[6:7]
	s_cbranch_execnz .LBB13_2997
; %bb.949:
	s_or_saveexec_b64 s[6:7], s[6:7]
	v_mov_b32_e32 v12, s10
	s_xor_b64 exec, exec, s[6:7]
	s_cbranch_execnz .LBB13_3000
.LBB13_950:
	s_or_b64 exec, exec, s[6:7]
	s_and_saveexec_b64 s[6:7], s[4:5]
	s_cbranch_execz .LBB13_952
.LBB13_951:
	v_bfe_u32 v6, v3, 16, 3
	v_ffbh_u32_e32 v14, v6
	v_min_u32_e32 v14, 32, v14
	v_lshrrev_b32_e32 v12, 19, v3
	v_subrev_u32_e32 v15, 28, v14
	v_and_b32_e32 v12, 15, v12
	v_lshlrev_b32_sdwa v15, v15, v3 dst_sel:DWORD dst_unused:UNUSED_PAD src0_sel:DWORD src1_sel:WORD_1
	v_bfe_u32 v13, v3, 19, 4
	v_sub_u32_e32 v14, 29, v14
	v_and_b32_e32 v15, 7, v15
	v_cmp_eq_u16_e32 vcc, 0, v12
	v_cndmask_b32_e32 v6, v6, v15, vcc
	v_cndmask_b32_e32 v12, v13, v14, vcc
	v_lshlrev_b32_e32 v13, 8, v3
	v_mov_b32_e32 v14, 0x3b800000
	v_lshlrev_b32_e32 v6, 20, v6
	v_and_b32_e32 v13, 0x80000000, v13
	v_lshl_add_u32 v12, v12, 23, v14
	v_or3_b32 v12, v13, v12, v6
.LBB13_952:
	s_or_b64 exec, exec, s[6:7]
	s_nop 0
	v_mfma_f32_16x16x4f32 a[0:3], v2, v12, a[0:3]
	s_movk_i32 s4, 0x7f
	v_cmp_gt_i16_sdwa s[6:7], v7, s4 src0_sel:BYTE_3 src1_sel:DWORD
	s_mov_b64 s[4:5], 0
                                        ; implicit-def: $sgpr10
	s_and_saveexec_b64 s[8:9], s[6:7]
	s_xor_b64 s[6:7], exec, s[8:9]
	s_cbranch_execnz .LBB13_3001
; %bb.953:
	s_or_saveexec_b64 s[6:7], s[6:7]
	v_mov_b32_e32 v2, s10
	s_xor_b64 exec, exec, s[6:7]
	s_cbranch_execnz .LBB13_3004
.LBB13_954:
	s_or_b64 exec, exec, s[6:7]
	s_and_saveexec_b64 s[6:7], s[4:5]
	s_cbranch_execz .LBB13_956
.LBB13_955:
	v_bfe_u32 v2, v7, 24, 3
	v_ffbh_u32_e32 v14, v2
	v_min_u32_e32 v14, 32, v14
	v_lshrrev_b32_e32 v12, 27, v7
	v_subrev_u32_e32 v15, 28, v14
	v_and_b32_e32 v6, 0x80000000, v7
	v_and_b32_e32 v12, 15, v12
	v_bfe_u32 v13, v7, 27, 4
	v_lshlrev_b32_sdwa v7, v15, v7 dst_sel:DWORD dst_unused:UNUSED_PAD src0_sel:DWORD src1_sel:BYTE_3
	v_sub_u32_e32 v14, 29, v14
	v_and_b32_e32 v7, 7, v7
	v_cmp_eq_u16_e32 vcc, 0, v12
	v_cndmask_b32_e32 v2, v2, v7, vcc
	v_cndmask_b32_e32 v7, v13, v14, vcc
	v_mov_b32_e32 v12, 0x3b800000
	v_lshlrev_b32_e32 v2, 20, v2
	v_lshl_add_u32 v7, v7, 23, v12
	v_or3_b32 v2, v6, v7, v2
.LBB13_956:
	s_or_b64 exec, exec, s[6:7]
	s_movk_i32 s4, 0x7f
	v_cmp_gt_i16_sdwa s[6:7], v3, s4 src0_sel:BYTE_3 src1_sel:DWORD
	s_mov_b64 s[4:5], 0
                                        ; implicit-def: $sgpr10
	s_and_saveexec_b64 s[8:9], s[6:7]
	s_xor_b64 s[6:7], exec, s[8:9]
	s_cbranch_execnz .LBB13_3005
; %bb.957:
	s_or_saveexec_b64 s[6:7], s[6:7]
	v_mov_b32_e32 v6, s10
	s_xor_b64 exec, exec, s[6:7]
	s_cbranch_execnz .LBB13_3008
.LBB13_958:
	s_or_b64 exec, exec, s[6:7]
	s_and_saveexec_b64 s[6:7], s[4:5]
	s_cbranch_execz .LBB13_960
.LBB13_959:
	v_bfe_u32 v6, v3, 24, 3
	v_ffbh_u32_e32 v14, v6
	v_min_u32_e32 v14, 32, v14
	v_lshrrev_b32_e32 v12, 27, v3
	v_subrev_u32_e32 v15, 28, v14
	v_and_b32_e32 v7, 0x80000000, v3
	v_and_b32_e32 v12, 15, v12
	v_bfe_u32 v13, v3, 27, 4
	v_lshlrev_b32_sdwa v3, v15, v3 dst_sel:DWORD dst_unused:UNUSED_PAD src0_sel:DWORD src1_sel:BYTE_3
	v_sub_u32_e32 v14, 29, v14
	v_and_b32_e32 v3, 7, v3
	v_cmp_eq_u16_e32 vcc, 0, v12
	v_cndmask_b32_e32 v3, v6, v3, vcc
	v_cndmask_b32_e32 v6, v13, v14, vcc
	v_mov_b32_e32 v12, 0x3b800000
	v_lshlrev_b32_e32 v3, 20, v3
	v_lshl_add_u32 v6, v6, 23, v12
	v_or3_b32 v6, v7, v6, v3
.LBB13_960:
	s_or_b64 exec, exec, s[6:7]
	s_nop 0
	v_mfma_f32_16x16x4f32 a[0:3], v2, v6, a[0:3]
	s_movk_i32 s4, 0x7f
	v_cmp_gt_i16_sdwa s[6:7], v8, s4 src0_sel:BYTE_0 src1_sel:DWORD
	s_mov_b64 s[4:5], 0
                                        ; implicit-def: $sgpr10
	s_and_saveexec_b64 s[8:9], s[6:7]
	s_xor_b64 s[6:7], exec, s[8:9]
	s_cbranch_execnz .LBB13_3009
; %bb.961:
	s_or_saveexec_b64 s[6:7], s[6:7]
	v_mov_b32_e32 v2, s10
	s_xor_b64 exec, exec, s[6:7]
	s_cbranch_execnz .LBB13_3012
.LBB13_962:
	s_or_b64 exec, exec, s[6:7]
	s_and_saveexec_b64 s[6:7], s[4:5]
	s_cbranch_execz .LBB13_964
.LBB13_963:
	v_and_b32_e32 v2, 7, v8
	v_ffbh_u32_e32 v6, v2
	v_min_u32_e32 v6, 32, v6
	v_lshrrev_b16_e32 v3, 3, v8
	v_subrev_u32_e32 v7, 28, v6
	v_and_b32_e32 v3, 15, v3
	v_lshlrev_b32_e32 v7, v7, v8
	v_sub_u32_e32 v6, 29, v6
	v_and_b32_e32 v7, 7, v7
	v_cmp_eq_u16_e32 vcc, 0, v3
	v_cndmask_b32_e32 v2, v2, v7, vcc
	v_cndmask_b32_e32 v3, v3, v6, vcc
	v_lshlrev_b32_e32 v6, 24, v8
	v_mov_b32_e32 v7, 0x3b800000
	v_lshlrev_b32_e32 v2, 20, v2
	v_and_b32_e32 v6, 0x80000000, v6
	v_lshl_add_u32 v3, v3, 23, v7
	v_or3_b32 v2, v6, v3, v2
.LBB13_964:
	s_or_b64 exec, exec, s[6:7]
	s_movk_i32 s4, 0x7f
	v_cmp_gt_i16_sdwa s[6:7], v4, s4 src0_sel:BYTE_0 src1_sel:DWORD
	s_mov_b64 s[4:5], 0
                                        ; implicit-def: $sgpr10
	s_and_saveexec_b64 s[8:9], s[6:7]
	s_xor_b64 s[6:7], exec, s[8:9]
	s_cbranch_execnz .LBB13_3013
; %bb.965:
	s_or_saveexec_b64 s[6:7], s[6:7]
	v_mov_b32_e32 v3, s10
	s_xor_b64 exec, exec, s[6:7]
	s_cbranch_execnz .LBB13_3016
.LBB13_966:
	s_or_b64 exec, exec, s[6:7]
	s_and_saveexec_b64 s[6:7], s[4:5]
	s_cbranch_execz .LBB13_968
.LBB13_967:
	v_and_b32_e32 v3, 7, v4
	v_ffbh_u32_e32 v7, v3
	v_min_u32_e32 v7, 32, v7
	v_lshrrev_b16_e32 v6, 3, v4
	v_subrev_u32_e32 v12, 28, v7
	v_and_b32_e32 v6, 15, v6
	v_lshlrev_b32_e32 v12, v12, v4
	v_sub_u32_e32 v7, 29, v7
	v_and_b32_e32 v12, 7, v12
	v_cmp_eq_u16_e32 vcc, 0, v6
	v_cndmask_b32_e32 v3, v3, v12, vcc
	v_cndmask_b32_e32 v6, v6, v7, vcc
	v_lshlrev_b32_e32 v7, 24, v4
	v_mov_b32_e32 v12, 0x3b800000
	v_lshlrev_b32_e32 v3, 20, v3
	v_and_b32_e32 v7, 0x80000000, v7
	v_lshl_add_u32 v6, v6, 23, v12
	v_or3_b32 v3, v7, v6, v3
.LBB13_968:
	s_or_b64 exec, exec, s[6:7]
	s_nop 0
	v_mfma_f32_16x16x4f32 a[0:3], v2, v3, a[0:3]
	v_lshrrev_b32_e32 v3, 8, v8
	s_movk_i32 s4, 0x7f
	v_cmp_gt_i16_sdwa s[6:7], v3, s4 src0_sel:BYTE_0 src1_sel:DWORD
	s_mov_b64 s[4:5], 0
                                        ; implicit-def: $sgpr10
	s_and_saveexec_b64 s[8:9], s[6:7]
	s_xor_b64 s[6:7], exec, s[8:9]
	s_cbranch_execnz .LBB13_3017
; %bb.969:
	s_or_saveexec_b64 s[6:7], s[6:7]
	v_mov_b32_e32 v2, s10
	s_xor_b64 exec, exec, s[6:7]
	s_cbranch_execnz .LBB13_3020
.LBB13_970:
	s_or_b64 exec, exec, s[6:7]
	s_and_saveexec_b64 s[6:7], s[4:5]
	s_cbranch_execz .LBB13_972
.LBB13_971:
	v_bfe_u32 v2, v8, 8, 3
	v_ffbh_u32_e32 v7, v2
	v_min_u32_e32 v7, 32, v7
	v_lshrrev_b16_e32 v6, 3, v3
	v_subrev_u32_e32 v12, 28, v7
	v_and_b32_e32 v6, 15, v6
	v_lshlrev_b32_e32 v3, v12, v3
	v_sub_u32_e32 v7, 29, v7
	v_and_b32_e32 v3, 7, v3
	v_cmp_eq_u16_e32 vcc, 0, v6
	v_cndmask_b32_e32 v2, v2, v3, vcc
	v_cndmask_b32_e32 v3, v6, v7, vcc
	v_lshlrev_b32_e32 v6, 16, v8
	v_mov_b32_e32 v7, 0x3b800000
	v_lshlrev_b32_e32 v2, 20, v2
	v_and_b32_e32 v6, 0x80000000, v6
	v_lshl_add_u32 v3, v3, 23, v7
	v_or3_b32 v2, v6, v3, v2
.LBB13_972:
	s_or_b64 exec, exec, s[6:7]
	v_lshrrev_b32_e32 v3, 8, v4
	s_movk_i32 s4, 0x7f
	v_cmp_gt_i16_sdwa s[6:7], v3, s4 src0_sel:BYTE_0 src1_sel:DWORD
	s_mov_b64 s[4:5], 0
                                        ; implicit-def: $sgpr10
	s_and_saveexec_b64 s[8:9], s[6:7]
	s_xor_b64 s[6:7], exec, s[8:9]
	s_cbranch_execnz .LBB13_3021
; %bb.973:
	s_or_saveexec_b64 s[6:7], s[6:7]
	v_mov_b32_e32 v6, s10
	s_xor_b64 exec, exec, s[6:7]
	s_cbranch_execnz .LBB13_3024
.LBB13_974:
	s_or_b64 exec, exec, s[6:7]
	s_and_saveexec_b64 s[6:7], s[4:5]
	s_cbranch_execz .LBB13_976
.LBB13_975:
	v_bfe_u32 v6, v4, 8, 3
	v_ffbh_u32_e32 v12, v6
	v_min_u32_e32 v12, 32, v12
	v_lshrrev_b16_e32 v7, 3, v3
	v_subrev_u32_e32 v13, 28, v12
	v_and_b32_e32 v7, 15, v7
	v_lshlrev_b32_e32 v3, v13, v3
	v_sub_u32_e32 v12, 29, v12
	v_and_b32_e32 v3, 7, v3
	v_cmp_eq_u16_e32 vcc, 0, v7
	v_cndmask_b32_e32 v3, v6, v3, vcc
	v_cndmask_b32_e32 v6, v7, v12, vcc
	v_lshlrev_b32_e32 v7, 16, v4
	v_mov_b32_e32 v12, 0x3b800000
	v_lshlrev_b32_e32 v3, 20, v3
	v_and_b32_e32 v7, 0x80000000, v7
	v_lshl_add_u32 v6, v6, 23, v12
	v_or3_b32 v6, v7, v6, v3
.LBB13_976:
	s_or_b64 exec, exec, s[6:7]
	s_nop 0
	v_mfma_f32_16x16x4f32 a[0:3], v2, v6, a[0:3]
	s_movk_i32 s4, 0xff
	v_and_b32_sdwa v3, v8, s4 dst_sel:DWORD dst_unused:UNUSED_PAD src0_sel:WORD_1 src1_sel:DWORD
	s_movk_i32 s4, 0x7f
	v_cmp_lt_i16_e32 vcc, s4, v3
	s_mov_b64 s[4:5], 0
                                        ; implicit-def: $sgpr10
	s_and_saveexec_b64 s[6:7], vcc
	s_xor_b64 s[6:7], exec, s[6:7]
	s_cbranch_execnz .LBB13_3025
; %bb.977:
	s_or_saveexec_b64 s[6:7], s[6:7]
	v_mov_b32_e32 v2, s10
	s_xor_b64 exec, exec, s[6:7]
	s_cbranch_execnz .LBB13_3028
.LBB13_978:
	s_or_b64 exec, exec, s[6:7]
	s_and_saveexec_b64 s[6:7], s[4:5]
	s_cbranch_execz .LBB13_980
.LBB13_979:
	v_bfe_u32 v2, v8, 16, 3
	v_ffbh_u32_e32 v7, v2
	v_min_u32_e32 v7, 32, v7
	v_lshrrev_b32_e32 v3, 19, v8
	v_subrev_u32_e32 v12, 28, v7
	v_and_b32_e32 v3, 15, v3
	v_lshlrev_b32_sdwa v12, v12, v8 dst_sel:DWORD dst_unused:UNUSED_PAD src0_sel:DWORD src1_sel:WORD_1
	v_bfe_u32 v6, v8, 19, 4
	v_sub_u32_e32 v7, 29, v7
	v_and_b32_e32 v12, 7, v12
	v_cmp_eq_u16_e32 vcc, 0, v3
	v_cndmask_b32_e32 v2, v2, v12, vcc
	v_cndmask_b32_e32 v3, v6, v7, vcc
	v_lshlrev_b32_e32 v6, 8, v8
	v_mov_b32_e32 v7, 0x3b800000
	v_lshlrev_b32_e32 v2, 20, v2
	v_and_b32_e32 v6, 0x80000000, v6
	v_lshl_add_u32 v3, v3, 23, v7
	v_or3_b32 v2, v6, v3, v2
.LBB13_980:
	s_or_b64 exec, exec, s[6:7]
	s_movk_i32 s4, 0xff
	v_and_b32_sdwa v3, v4, s4 dst_sel:DWORD dst_unused:UNUSED_PAD src0_sel:WORD_1 src1_sel:DWORD
	s_movk_i32 s4, 0x7f
	v_cmp_lt_i16_e32 vcc, s4, v3
	s_mov_b64 s[4:5], 0
                                        ; implicit-def: $sgpr10
	s_and_saveexec_b64 s[6:7], vcc
	s_xor_b64 s[6:7], exec, s[6:7]
	s_cbranch_execnz .LBB13_3029
; %bb.981:
	s_or_saveexec_b64 s[6:7], s[6:7]
	v_mov_b32_e32 v6, s10
	s_xor_b64 exec, exec, s[6:7]
	s_cbranch_execnz .LBB13_3032
.LBB13_982:
	s_or_b64 exec, exec, s[6:7]
	s_and_saveexec_b64 s[6:7], s[4:5]
	s_cbranch_execz .LBB13_984
.LBB13_983:
	v_bfe_u32 v3, v4, 16, 3
	v_ffbh_u32_e32 v12, v3
	v_min_u32_e32 v12, 32, v12
	v_lshrrev_b32_e32 v6, 19, v4
	v_subrev_u32_e32 v13, 28, v12
	v_and_b32_e32 v6, 15, v6
	v_lshlrev_b32_sdwa v13, v13, v4 dst_sel:DWORD dst_unused:UNUSED_PAD src0_sel:DWORD src1_sel:WORD_1
	v_bfe_u32 v7, v4, 19, 4
	v_sub_u32_e32 v12, 29, v12
	v_and_b32_e32 v13, 7, v13
	v_cmp_eq_u16_e32 vcc, 0, v6
	v_cndmask_b32_e32 v3, v3, v13, vcc
	v_cndmask_b32_e32 v6, v7, v12, vcc
	v_lshlrev_b32_e32 v7, 8, v4
	v_mov_b32_e32 v12, 0x3b800000
	v_lshlrev_b32_e32 v3, 20, v3
	v_and_b32_e32 v7, 0x80000000, v7
	v_lshl_add_u32 v6, v6, 23, v12
	v_or3_b32 v6, v7, v6, v3
.LBB13_984:
	s_or_b64 exec, exec, s[6:7]
	s_nop 0
	v_mfma_f32_16x16x4f32 a[0:3], v2, v6, a[0:3]
	s_movk_i32 s4, 0x7f
	v_cmp_gt_i16_sdwa s[6:7], v8, s4 src0_sel:BYTE_3 src1_sel:DWORD
	s_mov_b64 s[4:5], 0
                                        ; implicit-def: $sgpr10
	s_and_saveexec_b64 s[8:9], s[6:7]
	s_xor_b64 s[6:7], exec, s[8:9]
	s_cbranch_execnz .LBB13_3033
; %bb.985:
	s_or_saveexec_b64 s[6:7], s[6:7]
	v_mov_b32_e32 v2, s10
	s_xor_b64 exec, exec, s[6:7]
	s_cbranch_execnz .LBB13_3036
.LBB13_986:
	s_or_b64 exec, exec, s[6:7]
	s_and_saveexec_b64 s[6:7], s[4:5]
	s_cbranch_execz .LBB13_988
.LBB13_987:
	v_bfe_u32 v2, v8, 24, 3
	v_ffbh_u32_e32 v12, v2
	v_min_u32_e32 v12, 32, v12
	v_lshrrev_b32_e32 v6, 27, v8
	v_subrev_u32_e32 v13, 28, v12
	v_and_b32_e32 v3, 0x80000000, v8
	v_and_b32_e32 v6, 15, v6
	v_bfe_u32 v7, v8, 27, 4
	v_lshlrev_b32_sdwa v8, v13, v8 dst_sel:DWORD dst_unused:UNUSED_PAD src0_sel:DWORD src1_sel:BYTE_3
	v_sub_u32_e32 v12, 29, v12
	v_and_b32_e32 v8, 7, v8
	v_cmp_eq_u16_e32 vcc, 0, v6
	v_cndmask_b32_e32 v2, v2, v8, vcc
	v_cndmask_b32_e32 v6, v7, v12, vcc
	v_mov_b32_e32 v7, 0x3b800000
	v_lshlrev_b32_e32 v2, 20, v2
	v_lshl_add_u32 v6, v6, 23, v7
	v_or3_b32 v2, v3, v6, v2
.LBB13_988:
	s_or_b64 exec, exec, s[6:7]
	s_movk_i32 s4, 0x7f
	v_cmp_gt_i16_sdwa s[6:7], v4, s4 src0_sel:BYTE_3 src1_sel:DWORD
	s_mov_b64 s[4:5], 0
                                        ; implicit-def: $sgpr10
	s_and_saveexec_b64 s[8:9], s[6:7]
	s_xor_b64 s[6:7], exec, s[8:9]
	s_cbranch_execnz .LBB13_3037
; %bb.989:
	s_or_saveexec_b64 s[6:7], s[6:7]
	v_mov_b32_e32 v3, s10
	s_xor_b64 exec, exec, s[6:7]
	s_cbranch_execnz .LBB13_3040
.LBB13_990:
	s_or_b64 exec, exec, s[6:7]
	s_and_saveexec_b64 s[6:7], s[4:5]
	s_cbranch_execz .LBB13_992
.LBB13_991:
	v_bfe_u32 v3, v4, 24, 3
	v_ffbh_u32_e32 v12, v3
	v_min_u32_e32 v12, 32, v12
	v_lshrrev_b32_e32 v7, 27, v4
	v_subrev_u32_e32 v13, 28, v12
	v_and_b32_e32 v6, 0x80000000, v4
	v_and_b32_e32 v7, 15, v7
	v_bfe_u32 v8, v4, 27, 4
	v_lshlrev_b32_sdwa v4, v13, v4 dst_sel:DWORD dst_unused:UNUSED_PAD src0_sel:DWORD src1_sel:BYTE_3
	v_sub_u32_e32 v12, 29, v12
	v_and_b32_e32 v4, 7, v4
	v_cmp_eq_u16_e32 vcc, 0, v7
	v_cndmask_b32_e32 v3, v3, v4, vcc
	v_cndmask_b32_e32 v4, v8, v12, vcc
	v_mov_b32_e32 v7, 0x3b800000
	v_lshlrev_b32_e32 v3, 20, v3
	v_lshl_add_u32 v4, v4, 23, v7
	v_or3_b32 v3, v6, v4, v3
.LBB13_992:
	s_or_b64 exec, exec, s[6:7]
	s_nop 0
	v_mfma_f32_16x16x4f32 a[0:3], v2, v3, a[0:3]
	s_movk_i32 s4, 0x7f
	v_cmp_gt_i16_sdwa s[6:7], v9, s4 src0_sel:BYTE_0 src1_sel:DWORD
	s_mov_b64 s[4:5], 0
                                        ; implicit-def: $sgpr10
	s_and_saveexec_b64 s[8:9], s[6:7]
	s_xor_b64 s[6:7], exec, s[8:9]
	s_cbranch_execnz .LBB13_3041
; %bb.993:
	s_or_saveexec_b64 s[6:7], s[6:7]
	v_mov_b32_e32 v2, s10
	s_xor_b64 exec, exec, s[6:7]
	s_cbranch_execnz .LBB13_3044
.LBB13_994:
	s_or_b64 exec, exec, s[6:7]
	s_and_saveexec_b64 s[6:7], s[4:5]
	s_cbranch_execz .LBB13_996
.LBB13_995:
	v_mov_b32_e32 v2, 8
	v_and_b32_e32 v3, 7, v9
	v_lshrrev_b32_sdwa v2, v2, v9 dst_sel:BYTE_1 dst_unused:UNUSED_PAD src0_sel:DWORD src1_sel:DWORD
	v_ffbh_u32_e32 v4, v3
	v_or_b32_sdwa v2, v9, v2 dst_sel:DWORD dst_unused:UNUSED_PAD src0_sel:BYTE_0 src1_sel:DWORD
	v_min_u32_e32 v4, 32, v4
	v_lshrrev_b16_e32 v2, 3, v2
	v_subrev_u32_e32 v6, 28, v4
	v_and_b32_e32 v2, 15, v2
	v_lshlrev_b32_e32 v6, v6, v9
	v_sub_u32_e32 v4, 29, v4
	v_and_b32_e32 v6, 7, v6
	v_cmp_eq_u16_e32 vcc, 0, v2
	v_cndmask_b32_e32 v3, v3, v6, vcc
	v_cndmask_b32_e32 v2, v2, v4, vcc
	v_lshlrev_b32_e32 v4, 24, v9
	v_mov_b32_e32 v6, 0x3b800000
	v_lshlrev_b32_e32 v3, 20, v3
	v_and_b32_e32 v4, 0x80000000, v4
	v_lshl_add_u32 v2, v2, 23, v6
	v_or3_b32 v2, v4, v2, v3
.LBB13_996:
	s_or_b64 exec, exec, s[6:7]
	s_movk_i32 s4, 0x7f
	v_cmp_gt_i16_sdwa s[6:7], v5, s4 src0_sel:BYTE_0 src1_sel:DWORD
	s_mov_b64 s[4:5], 0
                                        ; implicit-def: $sgpr10
	s_and_saveexec_b64 s[8:9], s[6:7]
	s_xor_b64 s[6:7], exec, s[8:9]
	s_cbranch_execnz .LBB13_3045
; %bb.997:
	s_or_saveexec_b64 s[6:7], s[6:7]
	v_mov_b32_e32 v3, s10
	s_xor_b64 exec, exec, s[6:7]
	s_cbranch_execnz .LBB13_3048
.LBB13_998:
	s_or_b64 exec, exec, s[6:7]
	s_and_saveexec_b64 s[6:7], s[4:5]
	s_cbranch_execz .LBB13_1000
.LBB13_999:
	v_mov_b32_e32 v3, 8
	v_and_b32_e32 v4, 7, v5
	v_lshrrev_b32_sdwa v3, v3, v5 dst_sel:BYTE_1 dst_unused:UNUSED_PAD src0_sel:DWORD src1_sel:DWORD
	v_ffbh_u32_e32 v6, v4
	v_or_b32_sdwa v3, v5, v3 dst_sel:DWORD dst_unused:UNUSED_PAD src0_sel:BYTE_0 src1_sel:DWORD
	v_min_u32_e32 v6, 32, v6
	v_lshrrev_b16_e32 v3, 3, v3
	v_subrev_u32_e32 v7, 28, v6
	v_and_b32_e32 v3, 15, v3
	v_lshlrev_b32_e32 v7, v7, v5
	v_sub_u32_e32 v6, 29, v6
	v_and_b32_e32 v7, 7, v7
	v_cmp_eq_u16_e32 vcc, 0, v3
	v_cndmask_b32_e32 v4, v4, v7, vcc
	v_cndmask_b32_e32 v3, v3, v6, vcc
	v_lshlrev_b32_e32 v6, 24, v5
	v_mov_b32_e32 v7, 0x3b800000
	v_lshlrev_b32_e32 v4, 20, v4
	v_and_b32_e32 v6, 0x80000000, v6
	v_lshl_add_u32 v3, v3, 23, v7
	v_or3_b32 v3, v6, v3, v4
.LBB13_1000:
	s_or_b64 exec, exec, s[6:7]
	s_nop 0
	v_mfma_f32_16x16x4f32 a[0:3], v2, v3, a[0:3]
	v_lshrrev_b32_e32 v3, 8, v9
	s_movk_i32 s4, 0x7f
	v_cmp_gt_i16_sdwa s[6:7], v3, s4 src0_sel:BYTE_0 src1_sel:DWORD
	s_mov_b64 s[4:5], 0
                                        ; implicit-def: $sgpr10
	s_and_saveexec_b64 s[8:9], s[6:7]
	s_xor_b64 s[6:7], exec, s[8:9]
	s_cbranch_execnz .LBB13_3049
; %bb.1001:
	s_or_saveexec_b64 s[6:7], s[6:7]
	v_mov_b32_e32 v2, s10
	s_xor_b64 exec, exec, s[6:7]
	s_cbranch_execnz .LBB13_3052
.LBB13_1002:
	s_or_b64 exec, exec, s[6:7]
	s_and_saveexec_b64 s[6:7], s[4:5]
	s_cbranch_execz .LBB13_1004
.LBB13_1003:
	v_bfe_u32 v2, v9, 8, 3
	v_ffbh_u32_e32 v6, v2
	v_min_u32_e32 v6, 32, v6
	v_lshrrev_b16_e32 v4, 3, v3
	v_subrev_u32_e32 v7, 28, v6
	v_and_b32_e32 v4, 15, v4
	v_lshlrev_b32_e32 v3, v7, v3
	v_sub_u32_e32 v6, 29, v6
	v_and_b32_e32 v3, 7, v3
	v_cmp_eq_u16_e32 vcc, 0, v4
	v_cndmask_b32_e32 v2, v2, v3, vcc
	v_cndmask_b32_e32 v3, v4, v6, vcc
	v_lshlrev_b32_e32 v4, 16, v9
	v_mov_b32_e32 v6, 0x3b800000
	v_lshlrev_b32_e32 v2, 20, v2
	v_and_b32_e32 v4, 0x80000000, v4
	v_lshl_add_u32 v3, v3, 23, v6
	v_or3_b32 v2, v4, v3, v2
.LBB13_1004:
	s_or_b64 exec, exec, s[6:7]
	v_lshrrev_b32_e32 v3, 8, v5
	s_movk_i32 s4, 0x7f
	v_cmp_gt_i16_sdwa s[6:7], v3, s4 src0_sel:BYTE_0 src1_sel:DWORD
	s_mov_b64 s[4:5], 0
                                        ; implicit-def: $sgpr10
	s_and_saveexec_b64 s[8:9], s[6:7]
	s_xor_b64 s[6:7], exec, s[8:9]
	s_cbranch_execnz .LBB13_3053
; %bb.1005:
	s_or_saveexec_b64 s[6:7], s[6:7]
	v_mov_b32_e32 v4, s10
	s_xor_b64 exec, exec, s[6:7]
	s_cbranch_execnz .LBB13_3056
.LBB13_1006:
	s_or_b64 exec, exec, s[6:7]
	s_and_saveexec_b64 s[6:7], s[4:5]
	s_cbranch_execz .LBB13_1008
.LBB13_1007:
	v_bfe_u32 v4, v5, 8, 3
	v_ffbh_u32_e32 v7, v4
	v_min_u32_e32 v7, 32, v7
	v_lshrrev_b16_e32 v6, 3, v3
	v_subrev_u32_e32 v8, 28, v7
	v_and_b32_e32 v6, 15, v6
	v_lshlrev_b32_e32 v3, v8, v3
	v_sub_u32_e32 v7, 29, v7
	v_and_b32_e32 v3, 7, v3
	v_cmp_eq_u16_e32 vcc, 0, v6
	v_cndmask_b32_e32 v3, v4, v3, vcc
	v_cndmask_b32_e32 v4, v6, v7, vcc
	v_lshlrev_b32_e32 v6, 16, v5
	v_mov_b32_e32 v7, 0x3b800000
	v_lshlrev_b32_e32 v3, 20, v3
	v_and_b32_e32 v6, 0x80000000, v6
	v_lshl_add_u32 v4, v4, 23, v7
	v_or3_b32 v4, v6, v4, v3
.LBB13_1008:
	s_or_b64 exec, exec, s[6:7]
	s_nop 0
	v_mfma_f32_16x16x4f32 a[0:3], v2, v4, a[0:3]
	s_movk_i32 s4, 0xff
	v_and_b32_sdwa v3, v9, s4 dst_sel:DWORD dst_unused:UNUSED_PAD src0_sel:WORD_1 src1_sel:DWORD
	s_movk_i32 s4, 0x7f
	v_cmp_lt_i16_e32 vcc, s4, v3
	s_mov_b64 s[4:5], 0
                                        ; implicit-def: $sgpr10
	s_and_saveexec_b64 s[6:7], vcc
	s_xor_b64 s[6:7], exec, s[6:7]
	s_cbranch_execnz .LBB13_3057
; %bb.1009:
	s_or_saveexec_b64 s[6:7], s[6:7]
	v_mov_b32_e32 v2, s10
	s_xor_b64 exec, exec, s[6:7]
	s_cbranch_execnz .LBB13_3060
.LBB13_1010:
	s_or_b64 exec, exec, s[6:7]
	s_and_saveexec_b64 s[6:7], s[4:5]
	s_cbranch_execz .LBB13_1012
.LBB13_1011:
	v_bfe_u32 v2, v9, 16, 3
	v_ffbh_u32_e32 v6, v2
	v_min_u32_e32 v6, 32, v6
	v_lshrrev_b32_e32 v3, 19, v9
	v_subrev_u32_e32 v7, 28, v6
	v_and_b32_e32 v3, 15, v3
	v_lshlrev_b32_sdwa v7, v7, v9 dst_sel:DWORD dst_unused:UNUSED_PAD src0_sel:DWORD src1_sel:WORD_1
	v_bfe_u32 v4, v9, 19, 4
	v_sub_u32_e32 v6, 29, v6
	v_and_b32_e32 v7, 7, v7
	v_cmp_eq_u16_e32 vcc, 0, v3
	v_cndmask_b32_e32 v2, v2, v7, vcc
	v_cndmask_b32_e32 v3, v4, v6, vcc
	v_lshlrev_b32_e32 v4, 8, v9
	v_mov_b32_e32 v6, 0x3b800000
	v_lshlrev_b32_e32 v2, 20, v2
	v_and_b32_e32 v4, 0x80000000, v4
	v_lshl_add_u32 v3, v3, 23, v6
	v_or3_b32 v2, v4, v3, v2
.LBB13_1012:
	s_or_b64 exec, exec, s[6:7]
	s_movk_i32 s4, 0xff
	v_and_b32_sdwa v3, v5, s4 dst_sel:DWORD dst_unused:UNUSED_PAD src0_sel:WORD_1 src1_sel:DWORD
	s_movk_i32 s4, 0x7f
	v_cmp_lt_i16_e32 vcc, s4, v3
	s_mov_b64 s[4:5], 0
                                        ; implicit-def: $sgpr10
	s_and_saveexec_b64 s[6:7], vcc
	s_xor_b64 s[6:7], exec, s[6:7]
	s_cbranch_execnz .LBB13_3061
; %bb.1013:
	s_or_saveexec_b64 s[6:7], s[6:7]
	v_mov_b32_e32 v4, s10
	s_xor_b64 exec, exec, s[6:7]
	s_cbranch_execnz .LBB13_3064
.LBB13_1014:
	s_or_b64 exec, exec, s[6:7]
	s_and_saveexec_b64 s[6:7], s[4:5]
	s_cbranch_execz .LBB13_1016
.LBB13_1015:
	v_bfe_u32 v3, v5, 16, 3
	v_ffbh_u32_e32 v7, v3
	v_min_u32_e32 v7, 32, v7
	v_lshrrev_b32_e32 v4, 19, v5
	v_subrev_u32_e32 v8, 28, v7
	v_and_b32_e32 v4, 15, v4
	v_lshlrev_b32_sdwa v8, v8, v5 dst_sel:DWORD dst_unused:UNUSED_PAD src0_sel:DWORD src1_sel:WORD_1
	v_bfe_u32 v6, v5, 19, 4
	v_sub_u32_e32 v7, 29, v7
	v_and_b32_e32 v8, 7, v8
	v_cmp_eq_u16_e32 vcc, 0, v4
	v_cndmask_b32_e32 v3, v3, v8, vcc
	v_cndmask_b32_e32 v4, v6, v7, vcc
	v_lshlrev_b32_e32 v6, 8, v5
	v_mov_b32_e32 v7, 0x3b800000
	v_lshlrev_b32_e32 v3, 20, v3
	v_and_b32_e32 v6, 0x80000000, v6
	v_lshl_add_u32 v4, v4, 23, v7
	v_or3_b32 v4, v6, v4, v3
.LBB13_1016:
	s_or_b64 exec, exec, s[6:7]
	s_nop 0
	v_mfma_f32_16x16x4f32 a[0:3], v2, v4, a[0:3]
	s_movk_i32 s4, 0x7f
	v_cmp_gt_i16_sdwa s[6:7], v9, s4 src0_sel:BYTE_3 src1_sel:DWORD
	s_mov_b64 s[4:5], 0
                                        ; implicit-def: $sgpr10
	s_and_saveexec_b64 s[8:9], s[6:7]
	s_xor_b64 s[6:7], exec, s[8:9]
	s_cbranch_execnz .LBB13_3065
; %bb.1017:
	s_or_saveexec_b64 s[6:7], s[6:7]
	v_mov_b32_e32 v2, s10
	s_xor_b64 exec, exec, s[6:7]
	s_cbranch_execnz .LBB13_3068
.LBB13_1018:
	s_or_b64 exec, exec, s[6:7]
	s_and_saveexec_b64 s[6:7], s[4:5]
	s_cbranch_execz .LBB13_1020
.LBB13_1019:
	v_bfe_u32 v2, v9, 24, 3
	v_ffbh_u32_e32 v7, v2
	v_min_u32_e32 v7, 32, v7
	v_lshrrev_b32_e32 v4, 27, v9
	v_subrev_u32_e32 v8, 28, v7
	v_and_b32_e32 v4, 15, v4
	v_lshlrev_b32_sdwa v8, v8, v9 dst_sel:DWORD dst_unused:UNUSED_PAD src0_sel:DWORD src1_sel:BYTE_3
	v_bfe_u32 v6, v9, 27, 4
	v_sub_u32_e32 v7, 29, v7
	v_and_b32_e32 v8, 7, v8
	v_cmp_eq_u16_e32 vcc, 0, v4
	v_cndmask_b32_e32 v2, v2, v8, vcc
	v_cndmask_b32_e32 v4, v6, v7, vcc
	v_mov_b32_e32 v6, 0x3b800000
	v_and_b32_e32 v3, 0x80000000, v9
	v_lshlrev_b32_e32 v2, 20, v2
	v_lshl_add_u32 v4, v4, 23, v6
	v_or3_b32 v2, v3, v4, v2
.LBB13_1020:
	s_or_b64 exec, exec, s[6:7]
	s_movk_i32 s4, 0x7f
	v_cmp_gt_i16_sdwa s[6:7], v5, s4 src0_sel:BYTE_3 src1_sel:DWORD
	s_mov_b64 s[4:5], 0
                                        ; implicit-def: $sgpr10
	s_and_saveexec_b64 s[8:9], s[6:7]
	s_xor_b64 s[6:7], exec, s[8:9]
	s_cbranch_execnz .LBB13_3069
; %bb.1021:
	s_or_saveexec_b64 s[6:7], s[6:7]
	v_mov_b32_e32 v3, s10
	s_xor_b64 exec, exec, s[6:7]
	s_cbranch_execnz .LBB13_3072
.LBB13_1022:
	s_or_b64 exec, exec, s[6:7]
	s_and_saveexec_b64 s[6:7], s[4:5]
	s_cbranch_execz .LBB13_1024
.LBB13_1023:
	v_bfe_u32 v3, v5, 24, 3
	v_ffbh_u32_e32 v8, v3
	v_min_u32_e32 v8, 32, v8
	v_lshrrev_b32_e32 v6, 27, v5
	v_subrev_u32_e32 v9, 28, v8
	v_and_b32_e32 v4, 0x80000000, v5
	v_and_b32_e32 v6, 15, v6
	v_bfe_u32 v7, v5, 27, 4
	v_lshlrev_b32_sdwa v5, v9, v5 dst_sel:DWORD dst_unused:UNUSED_PAD src0_sel:DWORD src1_sel:BYTE_3
	v_sub_u32_e32 v8, 29, v8
	v_and_b32_e32 v5, 7, v5
	v_cmp_eq_u16_e32 vcc, 0, v6
	v_cndmask_b32_e32 v3, v3, v5, vcc
	v_cndmask_b32_e32 v5, v7, v8, vcc
	v_mov_b32_e32 v6, 0x3b800000
	v_lshlrev_b32_e32 v3, 20, v3
	v_lshl_add_u32 v5, v5, 23, v6
	v_or3_b32 v3, v4, v5, v3
.LBB13_1024:
	s_or_b64 exec, exec, s[6:7]
	s_nop 0
	v_mfma_f32_16x16x4f32 a[0:3], v2, v3, a[0:3]
	s_movk_i32 s4, 0x7f
                                        ; implicit-def: $sgpr10
	s_nop 7
	s_nop 1
	flat_store_dwordx4 v[10:11], a[0:3] offset:112
	flat_load_dwordx4 v[12:15], v[0:1] offset:8
	s_nop 0
	flat_load_dwordx2 v[10:11], v[0:1] offset:32
	s_waitcnt vmcnt(0) lgkmcnt(0)
	flat_load_dwordx4 v[6:9], v[12:13] offset:80
	flat_load_dwordx4 v[2:5], v[14:15] offset:16
	s_waitcnt vmcnt(0) lgkmcnt(0)
	v_cmp_gt_i16_sdwa s[6:7], v6, s4 src0_sel:BYTE_0 src1_sel:DWORD
	s_mov_b64 s[4:5], 0
	s_and_saveexec_b64 s[8:9], s[6:7]
	s_xor_b64 s[6:7], exec, s[8:9]
	s_cbranch_execnz .LBB13_3073
; %bb.1025:
	s_or_saveexec_b64 s[6:7], s[6:7]
	v_mov_b32_e32 v12, s10
	s_xor_b64 exec, exec, s[6:7]
	s_cbranch_execnz .LBB13_3076
.LBB13_1026:
	s_or_b64 exec, exec, s[6:7]
	s_and_saveexec_b64 s[6:7], s[4:5]
	s_cbranch_execz .LBB13_1028
.LBB13_1027:
	v_and_b32_e32 v12, 7, v6
	v_ffbh_u32_e32 v14, v12
	v_min_u32_e32 v14, 32, v14
	v_lshrrev_b16_e32 v13, 3, v6
	v_subrev_u32_e32 v15, 28, v14
	v_and_b32_e32 v13, 15, v13
	v_lshlrev_b32_e32 v15, v15, v6
	v_sub_u32_e32 v14, 29, v14
	v_and_b32_e32 v15, 7, v15
	v_cmp_eq_u16_e32 vcc, 0, v13
	v_cndmask_b32_e32 v12, v12, v15, vcc
	v_cndmask_b32_e32 v13, v13, v14, vcc
	v_lshlrev_b32_e32 v14, 24, v6
	v_mov_b32_e32 v15, 0x3b800000
	v_lshlrev_b32_e32 v12, 20, v12
	v_and_b32_e32 v14, 0x80000000, v14
	v_lshl_add_u32 v13, v13, 23, v15
	v_or3_b32 v12, v14, v13, v12
.LBB13_1028:
	s_or_b64 exec, exec, s[6:7]
	s_movk_i32 s4, 0x7f
	v_cmp_gt_i16_sdwa s[6:7], v2, s4 src0_sel:BYTE_0 src1_sel:DWORD
	s_mov_b64 s[4:5], 0
                                        ; implicit-def: $sgpr10
	s_and_saveexec_b64 s[8:9], s[6:7]
	s_xor_b64 s[6:7], exec, s[8:9]
	s_cbranch_execnz .LBB13_3077
; %bb.1029:
	s_or_saveexec_b64 s[6:7], s[6:7]
	v_mov_b32_e32 v13, s10
	s_xor_b64 exec, exec, s[6:7]
	s_cbranch_execnz .LBB13_3080
.LBB13_1030:
	s_or_b64 exec, exec, s[6:7]
	s_and_saveexec_b64 s[6:7], s[4:5]
	s_cbranch_execz .LBB13_1032
.LBB13_1031:
	v_and_b32_e32 v13, 7, v2
	v_ffbh_u32_e32 v15, v13
	v_min_u32_e32 v15, 32, v15
	v_lshrrev_b16_e32 v14, 3, v2
	v_subrev_u32_e32 v16, 28, v15
	v_and_b32_e32 v14, 15, v14
	v_lshlrev_b32_e32 v16, v16, v2
	v_sub_u32_e32 v15, 29, v15
	v_and_b32_e32 v16, 7, v16
	v_cmp_eq_u16_e32 vcc, 0, v14
	v_cndmask_b32_e32 v13, v13, v16, vcc
	v_cndmask_b32_e32 v14, v14, v15, vcc
	v_lshlrev_b32_e32 v15, 24, v2
	v_mov_b32_e32 v16, 0x3b800000
	v_lshlrev_b32_e32 v13, 20, v13
	v_and_b32_e32 v15, 0x80000000, v15
	v_lshl_add_u32 v14, v14, 23, v16
	v_or3_b32 v13, v15, v14, v13
.LBB13_1032:
	s_or_b64 exec, exec, s[6:7]
	flat_load_dwordx4 a[0:3], v[10:11] offset:128
	s_movk_i32 s4, 0x7f
                                        ; implicit-def: $sgpr10
	s_waitcnt vmcnt(0) lgkmcnt(0)
	v_mfma_f32_16x16x4f32 a[0:3], v12, v13, a[0:3]
	v_lshrrev_b32_e32 v13, 8, v6
	v_cmp_gt_i16_sdwa s[6:7], v13, s4 src0_sel:BYTE_0 src1_sel:DWORD
	s_mov_b64 s[4:5], 0
	s_and_saveexec_b64 s[8:9], s[6:7]
	s_xor_b64 s[6:7], exec, s[8:9]
	s_cbranch_execnz .LBB13_3081
; %bb.1033:
	s_or_saveexec_b64 s[6:7], s[6:7]
	v_mov_b32_e32 v12, s10
	s_xor_b64 exec, exec, s[6:7]
	s_cbranch_execnz .LBB13_3084
.LBB13_1034:
	s_or_b64 exec, exec, s[6:7]
	s_and_saveexec_b64 s[6:7], s[4:5]
	s_cbranch_execz .LBB13_1036
.LBB13_1035:
	v_bfe_u32 v12, v6, 8, 3
	v_ffbh_u32_e32 v15, v12
	v_min_u32_e32 v15, 32, v15
	v_lshrrev_b16_e32 v14, 3, v13
	v_subrev_u32_e32 v16, 28, v15
	v_and_b32_e32 v14, 15, v14
	v_lshlrev_b32_e32 v13, v16, v13
	v_sub_u32_e32 v15, 29, v15
	v_and_b32_e32 v13, 7, v13
	v_cmp_eq_u16_e32 vcc, 0, v14
	v_cndmask_b32_e32 v12, v12, v13, vcc
	v_cndmask_b32_e32 v13, v14, v15, vcc
	v_lshlrev_b32_e32 v14, 16, v6
	v_mov_b32_e32 v15, 0x3b800000
	v_lshlrev_b32_e32 v12, 20, v12
	v_and_b32_e32 v14, 0x80000000, v14
	v_lshl_add_u32 v13, v13, 23, v15
	v_or3_b32 v12, v14, v13, v12
.LBB13_1036:
	s_or_b64 exec, exec, s[6:7]
	v_lshrrev_b32_e32 v13, 8, v2
	s_movk_i32 s4, 0x7f
	v_cmp_gt_i16_sdwa s[6:7], v13, s4 src0_sel:BYTE_0 src1_sel:DWORD
	s_mov_b64 s[4:5], 0
                                        ; implicit-def: $sgpr10
	s_and_saveexec_b64 s[8:9], s[6:7]
	s_xor_b64 s[6:7], exec, s[8:9]
	s_cbranch_execnz .LBB13_3085
; %bb.1037:
	s_or_saveexec_b64 s[6:7], s[6:7]
	v_mov_b32_e32 v14, s10
	s_xor_b64 exec, exec, s[6:7]
	s_cbranch_execnz .LBB13_3088
.LBB13_1038:
	s_or_b64 exec, exec, s[6:7]
	s_and_saveexec_b64 s[6:7], s[4:5]
	s_cbranch_execz .LBB13_1040
.LBB13_1039:
	v_bfe_u32 v14, v2, 8, 3
	v_ffbh_u32_e32 v16, v14
	v_min_u32_e32 v16, 32, v16
	v_lshrrev_b16_e32 v15, 3, v13
	v_subrev_u32_e32 v17, 28, v16
	v_and_b32_e32 v15, 15, v15
	v_lshlrev_b32_e32 v13, v17, v13
	v_sub_u32_e32 v16, 29, v16
	v_and_b32_e32 v13, 7, v13
	v_cmp_eq_u16_e32 vcc, 0, v15
	v_cndmask_b32_e32 v13, v14, v13, vcc
	v_cndmask_b32_e32 v14, v15, v16, vcc
	v_lshlrev_b32_e32 v15, 16, v2
	v_mov_b32_e32 v16, 0x3b800000
	v_lshlrev_b32_e32 v13, 20, v13
	v_and_b32_e32 v15, 0x80000000, v15
	v_lshl_add_u32 v14, v14, 23, v16
	v_or3_b32 v14, v15, v14, v13
.LBB13_1040:
	s_or_b64 exec, exec, s[6:7]
	s_nop 0
	v_mfma_f32_16x16x4f32 a[0:3], v12, v14, a[0:3]
	s_movk_i32 s4, 0xff
	v_and_b32_sdwa v13, v6, s4 dst_sel:DWORD dst_unused:UNUSED_PAD src0_sel:WORD_1 src1_sel:DWORD
	s_movk_i32 s4, 0x7f
	v_cmp_lt_i16_e32 vcc, s4, v13
	s_mov_b64 s[4:5], 0
                                        ; implicit-def: $sgpr10
	s_and_saveexec_b64 s[6:7], vcc
	s_xor_b64 s[6:7], exec, s[6:7]
	s_cbranch_execnz .LBB13_3089
; %bb.1041:
	s_or_saveexec_b64 s[6:7], s[6:7]
	v_mov_b32_e32 v12, s10
	s_xor_b64 exec, exec, s[6:7]
	s_cbranch_execnz .LBB13_3092
.LBB13_1042:
	s_or_b64 exec, exec, s[6:7]
	s_and_saveexec_b64 s[6:7], s[4:5]
	s_cbranch_execz .LBB13_1044
.LBB13_1043:
	v_bfe_u32 v12, v6, 16, 3
	v_ffbh_u32_e32 v15, v12
	v_min_u32_e32 v15, 32, v15
	v_lshrrev_b32_e32 v13, 19, v6
	v_subrev_u32_e32 v16, 28, v15
	v_and_b32_e32 v13, 15, v13
	v_lshlrev_b32_sdwa v16, v16, v6 dst_sel:DWORD dst_unused:UNUSED_PAD src0_sel:DWORD src1_sel:WORD_1
	v_bfe_u32 v14, v6, 19, 4
	v_sub_u32_e32 v15, 29, v15
	v_and_b32_e32 v16, 7, v16
	v_cmp_eq_u16_e32 vcc, 0, v13
	v_cndmask_b32_e32 v12, v12, v16, vcc
	v_cndmask_b32_e32 v13, v14, v15, vcc
	v_lshlrev_b32_e32 v14, 8, v6
	v_mov_b32_e32 v15, 0x3b800000
	v_lshlrev_b32_e32 v12, 20, v12
	v_and_b32_e32 v14, 0x80000000, v14
	v_lshl_add_u32 v13, v13, 23, v15
	v_or3_b32 v12, v14, v13, v12
.LBB13_1044:
	s_or_b64 exec, exec, s[6:7]
	s_movk_i32 s4, 0xff
	v_and_b32_sdwa v13, v2, s4 dst_sel:DWORD dst_unused:UNUSED_PAD src0_sel:WORD_1 src1_sel:DWORD
	s_movk_i32 s4, 0x7f
	v_cmp_lt_i16_e32 vcc, s4, v13
	s_mov_b64 s[4:5], 0
                                        ; implicit-def: $sgpr10
	s_and_saveexec_b64 s[6:7], vcc
	s_xor_b64 s[6:7], exec, s[6:7]
	s_cbranch_execnz .LBB13_3093
; %bb.1045:
	s_or_saveexec_b64 s[6:7], s[6:7]
	v_mov_b32_e32 v14, s10
	s_xor_b64 exec, exec, s[6:7]
	s_cbranch_execnz .LBB13_3096
.LBB13_1046:
	s_or_b64 exec, exec, s[6:7]
	s_and_saveexec_b64 s[6:7], s[4:5]
	s_cbranch_execz .LBB13_1048
.LBB13_1047:
	v_bfe_u32 v13, v2, 16, 3
	v_ffbh_u32_e32 v16, v13
	v_min_u32_e32 v16, 32, v16
	v_lshrrev_b32_e32 v14, 19, v2
	v_subrev_u32_e32 v17, 28, v16
	v_and_b32_e32 v14, 15, v14
	v_lshlrev_b32_sdwa v17, v17, v2 dst_sel:DWORD dst_unused:UNUSED_PAD src0_sel:DWORD src1_sel:WORD_1
	v_bfe_u32 v15, v2, 19, 4
	v_sub_u32_e32 v16, 29, v16
	v_and_b32_e32 v17, 7, v17
	v_cmp_eq_u16_e32 vcc, 0, v14
	v_cndmask_b32_e32 v13, v13, v17, vcc
	v_cndmask_b32_e32 v14, v15, v16, vcc
	v_lshlrev_b32_e32 v15, 8, v2
	v_mov_b32_e32 v16, 0x3b800000
	v_lshlrev_b32_e32 v13, 20, v13
	v_and_b32_e32 v15, 0x80000000, v15
	v_lshl_add_u32 v14, v14, 23, v16
	v_or3_b32 v14, v15, v14, v13
.LBB13_1048:
	s_or_b64 exec, exec, s[6:7]
	s_nop 0
	v_mfma_f32_16x16x4f32 a[0:3], v12, v14, a[0:3]
	s_movk_i32 s4, 0x7f
	v_cmp_gt_i16_sdwa s[6:7], v6, s4 src0_sel:BYTE_3 src1_sel:DWORD
	s_mov_b64 s[4:5], 0
                                        ; implicit-def: $sgpr10
	s_and_saveexec_b64 s[8:9], s[6:7]
	s_xor_b64 s[6:7], exec, s[8:9]
	s_cbranch_execnz .LBB13_3097
; %bb.1049:
	s_or_saveexec_b64 s[6:7], s[6:7]
	v_mov_b32_e32 v12, s10
	s_xor_b64 exec, exec, s[6:7]
	s_cbranch_execnz .LBB13_3100
.LBB13_1050:
	s_or_b64 exec, exec, s[6:7]
	s_and_saveexec_b64 s[6:7], s[4:5]
	s_cbranch_execz .LBB13_1052
.LBB13_1051:
	v_bfe_u32 v12, v6, 24, 3
	v_ffbh_u32_e32 v16, v12
	v_min_u32_e32 v16, 32, v16
	v_lshrrev_b32_e32 v14, 27, v6
	v_subrev_u32_e32 v17, 28, v16
	v_and_b32_e32 v13, 0x80000000, v6
	v_and_b32_e32 v14, 15, v14
	v_bfe_u32 v15, v6, 27, 4
	v_lshlrev_b32_sdwa v6, v17, v6 dst_sel:DWORD dst_unused:UNUSED_PAD src0_sel:DWORD src1_sel:BYTE_3
	v_sub_u32_e32 v16, 29, v16
	v_and_b32_e32 v6, 7, v6
	v_cmp_eq_u16_e32 vcc, 0, v14
	v_cndmask_b32_e32 v6, v12, v6, vcc
	v_cndmask_b32_e32 v12, v15, v16, vcc
	v_mov_b32_e32 v14, 0x3b800000
	v_lshlrev_b32_e32 v6, 20, v6
	v_lshl_add_u32 v12, v12, 23, v14
	v_or3_b32 v12, v13, v12, v6
.LBB13_1052:
	s_or_b64 exec, exec, s[6:7]
	s_movk_i32 s4, 0x7f
	v_cmp_gt_i16_sdwa s[6:7], v2, s4 src0_sel:BYTE_3 src1_sel:DWORD
	s_mov_b64 s[4:5], 0
                                        ; implicit-def: $sgpr10
	s_and_saveexec_b64 s[8:9], s[6:7]
	s_xor_b64 s[6:7], exec, s[8:9]
	s_cbranch_execnz .LBB13_3101
; %bb.1053:
	s_or_saveexec_b64 s[6:7], s[6:7]
	v_mov_b32_e32 v6, s10
	s_xor_b64 exec, exec, s[6:7]
	s_cbranch_execnz .LBB13_3104
.LBB13_1054:
	s_or_b64 exec, exec, s[6:7]
	s_and_saveexec_b64 s[6:7], s[4:5]
	s_cbranch_execz .LBB13_1056
.LBB13_1055:
	v_bfe_u32 v6, v2, 24, 3
	v_ffbh_u32_e32 v16, v6
	v_min_u32_e32 v16, 32, v16
	v_lshrrev_b32_e32 v14, 27, v2
	v_subrev_u32_e32 v17, 28, v16
	v_and_b32_e32 v13, 0x80000000, v2
	v_and_b32_e32 v14, 15, v14
	v_bfe_u32 v15, v2, 27, 4
	v_lshlrev_b32_sdwa v2, v17, v2 dst_sel:DWORD dst_unused:UNUSED_PAD src0_sel:DWORD src1_sel:BYTE_3
	v_sub_u32_e32 v16, 29, v16
	v_and_b32_e32 v2, 7, v2
	v_cmp_eq_u16_e32 vcc, 0, v14
	v_cndmask_b32_e32 v2, v6, v2, vcc
	v_cndmask_b32_e32 v6, v15, v16, vcc
	v_mov_b32_e32 v14, 0x3b800000
	v_lshlrev_b32_e32 v2, 20, v2
	v_lshl_add_u32 v6, v6, 23, v14
	v_or3_b32 v6, v13, v6, v2
.LBB13_1056:
	s_or_b64 exec, exec, s[6:7]
	s_nop 0
	v_mfma_f32_16x16x4f32 a[0:3], v12, v6, a[0:3]
	s_movk_i32 s4, 0x7f
	v_cmp_gt_i16_sdwa s[6:7], v7, s4 src0_sel:BYTE_0 src1_sel:DWORD
	s_mov_b64 s[4:5], 0
                                        ; implicit-def: $sgpr10
	s_and_saveexec_b64 s[8:9], s[6:7]
	s_xor_b64 s[6:7], exec, s[8:9]
	s_cbranch_execnz .LBB13_3105
; %bb.1057:
	s_or_saveexec_b64 s[6:7], s[6:7]
	v_mov_b32_e32 v2, s10
	s_xor_b64 exec, exec, s[6:7]
	s_cbranch_execnz .LBB13_3108
.LBB13_1058:
	s_or_b64 exec, exec, s[6:7]
	s_and_saveexec_b64 s[6:7], s[4:5]
	s_cbranch_execz .LBB13_1060
.LBB13_1059:
	v_and_b32_e32 v2, 7, v7
	v_ffbh_u32_e32 v12, v2
	v_min_u32_e32 v12, 32, v12
	v_lshrrev_b16_e32 v6, 3, v7
	v_subrev_u32_e32 v13, 28, v12
	v_and_b32_e32 v6, 15, v6
	v_lshlrev_b32_e32 v13, v13, v7
	v_sub_u32_e32 v12, 29, v12
	v_and_b32_e32 v13, 7, v13
	v_cmp_eq_u16_e32 vcc, 0, v6
	v_cndmask_b32_e32 v2, v2, v13, vcc
	v_cndmask_b32_e32 v6, v6, v12, vcc
	v_lshlrev_b32_e32 v12, 24, v7
	v_mov_b32_e32 v13, 0x3b800000
	v_lshlrev_b32_e32 v2, 20, v2
	v_and_b32_e32 v12, 0x80000000, v12
	v_lshl_add_u32 v6, v6, 23, v13
	v_or3_b32 v2, v12, v6, v2
.LBB13_1060:
	s_or_b64 exec, exec, s[6:7]
	s_movk_i32 s4, 0x7f
	v_cmp_gt_i16_sdwa s[6:7], v3, s4 src0_sel:BYTE_0 src1_sel:DWORD
	s_mov_b64 s[4:5], 0
                                        ; implicit-def: $sgpr10
	s_and_saveexec_b64 s[8:9], s[6:7]
	s_xor_b64 s[6:7], exec, s[8:9]
	s_cbranch_execnz .LBB13_3109
; %bb.1061:
	s_or_saveexec_b64 s[6:7], s[6:7]
	v_mov_b32_e32 v6, s10
	s_xor_b64 exec, exec, s[6:7]
	s_cbranch_execnz .LBB13_3112
.LBB13_1062:
	s_or_b64 exec, exec, s[6:7]
	s_and_saveexec_b64 s[6:7], s[4:5]
	s_cbranch_execz .LBB13_1064
.LBB13_1063:
	v_and_b32_e32 v6, 7, v3
	v_ffbh_u32_e32 v13, v6
	v_min_u32_e32 v13, 32, v13
	v_lshrrev_b16_e32 v12, 3, v3
	v_subrev_u32_e32 v14, 28, v13
	v_and_b32_e32 v12, 15, v12
	v_lshlrev_b32_e32 v14, v14, v3
	v_sub_u32_e32 v13, 29, v13
	v_and_b32_e32 v14, 7, v14
	v_cmp_eq_u16_e32 vcc, 0, v12
	v_cndmask_b32_e32 v6, v6, v14, vcc
	v_cndmask_b32_e32 v12, v12, v13, vcc
	v_lshlrev_b32_e32 v13, 24, v3
	v_mov_b32_e32 v14, 0x3b800000
	v_lshlrev_b32_e32 v6, 20, v6
	v_and_b32_e32 v13, 0x80000000, v13
	v_lshl_add_u32 v12, v12, 23, v14
	v_or3_b32 v6, v13, v12, v6
.LBB13_1064:
	s_or_b64 exec, exec, s[6:7]
	s_nop 0
	v_mfma_f32_16x16x4f32 a[0:3], v2, v6, a[0:3]
	v_lshrrev_b32_e32 v6, 8, v7
	s_movk_i32 s4, 0x7f
	v_cmp_gt_i16_sdwa s[6:7], v6, s4 src0_sel:BYTE_0 src1_sel:DWORD
	s_mov_b64 s[4:5], 0
                                        ; implicit-def: $sgpr10
	s_and_saveexec_b64 s[8:9], s[6:7]
	s_xor_b64 s[6:7], exec, s[8:9]
	s_cbranch_execnz .LBB13_3113
; %bb.1065:
	s_or_saveexec_b64 s[6:7], s[6:7]
	v_mov_b32_e32 v2, s10
	s_xor_b64 exec, exec, s[6:7]
	s_cbranch_execnz .LBB13_3116
.LBB13_1066:
	s_or_b64 exec, exec, s[6:7]
	s_and_saveexec_b64 s[6:7], s[4:5]
	s_cbranch_execz .LBB13_1068
.LBB13_1067:
	v_bfe_u32 v2, v7, 8, 3
	v_ffbh_u32_e32 v13, v2
	v_min_u32_e32 v13, 32, v13
	v_lshrrev_b16_e32 v12, 3, v6
	v_subrev_u32_e32 v14, 28, v13
	v_and_b32_e32 v12, 15, v12
	v_lshlrev_b32_e32 v6, v14, v6
	v_sub_u32_e32 v13, 29, v13
	v_and_b32_e32 v6, 7, v6
	v_cmp_eq_u16_e32 vcc, 0, v12
	v_cndmask_b32_e32 v2, v2, v6, vcc
	v_cndmask_b32_e32 v6, v12, v13, vcc
	v_lshlrev_b32_e32 v12, 16, v7
	v_mov_b32_e32 v13, 0x3b800000
	v_lshlrev_b32_e32 v2, 20, v2
	v_and_b32_e32 v12, 0x80000000, v12
	v_lshl_add_u32 v6, v6, 23, v13
	v_or3_b32 v2, v12, v6, v2
.LBB13_1068:
	s_or_b64 exec, exec, s[6:7]
	v_lshrrev_b32_e32 v6, 8, v3
	s_movk_i32 s4, 0x7f
	v_cmp_gt_i16_sdwa s[6:7], v6, s4 src0_sel:BYTE_0 src1_sel:DWORD
	s_mov_b64 s[4:5], 0
                                        ; implicit-def: $sgpr10
	s_and_saveexec_b64 s[8:9], s[6:7]
	s_xor_b64 s[6:7], exec, s[8:9]
	s_cbranch_execnz .LBB13_3117
; %bb.1069:
	s_or_saveexec_b64 s[6:7], s[6:7]
	v_mov_b32_e32 v12, s10
	s_xor_b64 exec, exec, s[6:7]
	s_cbranch_execnz .LBB13_3120
.LBB13_1070:
	s_or_b64 exec, exec, s[6:7]
	s_and_saveexec_b64 s[6:7], s[4:5]
	s_cbranch_execz .LBB13_1072
.LBB13_1071:
	v_bfe_u32 v12, v3, 8, 3
	v_ffbh_u32_e32 v14, v12
	v_min_u32_e32 v14, 32, v14
	v_lshrrev_b16_e32 v13, 3, v6
	v_subrev_u32_e32 v15, 28, v14
	v_and_b32_e32 v13, 15, v13
	v_lshlrev_b32_e32 v6, v15, v6
	v_sub_u32_e32 v14, 29, v14
	v_and_b32_e32 v6, 7, v6
	v_cmp_eq_u16_e32 vcc, 0, v13
	v_cndmask_b32_e32 v6, v12, v6, vcc
	v_cndmask_b32_e32 v12, v13, v14, vcc
	v_lshlrev_b32_e32 v13, 16, v3
	v_mov_b32_e32 v14, 0x3b800000
	v_lshlrev_b32_e32 v6, 20, v6
	v_and_b32_e32 v13, 0x80000000, v13
	v_lshl_add_u32 v12, v12, 23, v14
	v_or3_b32 v12, v13, v12, v6
.LBB13_1072:
	s_or_b64 exec, exec, s[6:7]
	s_nop 0
	v_mfma_f32_16x16x4f32 a[0:3], v2, v12, a[0:3]
	s_movk_i32 s4, 0xff
	v_and_b32_sdwa v6, v7, s4 dst_sel:DWORD dst_unused:UNUSED_PAD src0_sel:WORD_1 src1_sel:DWORD
	s_movk_i32 s4, 0x7f
	v_cmp_lt_i16_e32 vcc, s4, v6
	s_mov_b64 s[4:5], 0
                                        ; implicit-def: $sgpr10
	s_and_saveexec_b64 s[6:7], vcc
	s_xor_b64 s[6:7], exec, s[6:7]
	s_cbranch_execnz .LBB13_3121
; %bb.1073:
	s_or_saveexec_b64 s[6:7], s[6:7]
	v_mov_b32_e32 v2, s10
	s_xor_b64 exec, exec, s[6:7]
	s_cbranch_execnz .LBB13_3124
.LBB13_1074:
	s_or_b64 exec, exec, s[6:7]
	s_and_saveexec_b64 s[6:7], s[4:5]
	s_cbranch_execz .LBB13_1076
.LBB13_1075:
	v_bfe_u32 v2, v7, 16, 3
	v_ffbh_u32_e32 v13, v2
	v_min_u32_e32 v13, 32, v13
	v_lshrrev_b32_e32 v6, 19, v7
	v_subrev_u32_e32 v14, 28, v13
	v_and_b32_e32 v6, 15, v6
	v_lshlrev_b32_sdwa v14, v14, v7 dst_sel:DWORD dst_unused:UNUSED_PAD src0_sel:DWORD src1_sel:WORD_1
	v_bfe_u32 v12, v7, 19, 4
	v_sub_u32_e32 v13, 29, v13
	v_and_b32_e32 v14, 7, v14
	v_cmp_eq_u16_e32 vcc, 0, v6
	v_cndmask_b32_e32 v2, v2, v14, vcc
	v_cndmask_b32_e32 v6, v12, v13, vcc
	v_lshlrev_b32_e32 v12, 8, v7
	v_mov_b32_e32 v13, 0x3b800000
	v_lshlrev_b32_e32 v2, 20, v2
	v_and_b32_e32 v12, 0x80000000, v12
	v_lshl_add_u32 v6, v6, 23, v13
	v_or3_b32 v2, v12, v6, v2
.LBB13_1076:
	s_or_b64 exec, exec, s[6:7]
	s_movk_i32 s4, 0xff
	v_and_b32_sdwa v6, v3, s4 dst_sel:DWORD dst_unused:UNUSED_PAD src0_sel:WORD_1 src1_sel:DWORD
	s_movk_i32 s4, 0x7f
	v_cmp_lt_i16_e32 vcc, s4, v6
	s_mov_b64 s[4:5], 0
                                        ; implicit-def: $sgpr10
	s_and_saveexec_b64 s[6:7], vcc
	s_xor_b64 s[6:7], exec, s[6:7]
	s_cbranch_execnz .LBB13_3125
; %bb.1077:
	s_or_saveexec_b64 s[6:7], s[6:7]
	v_mov_b32_e32 v12, s10
	s_xor_b64 exec, exec, s[6:7]
	s_cbranch_execnz .LBB13_3128
.LBB13_1078:
	s_or_b64 exec, exec, s[6:7]
	s_and_saveexec_b64 s[6:7], s[4:5]
	s_cbranch_execz .LBB13_1080
.LBB13_1079:
	v_bfe_u32 v6, v3, 16, 3
	v_ffbh_u32_e32 v14, v6
	v_min_u32_e32 v14, 32, v14
	v_lshrrev_b32_e32 v12, 19, v3
	v_subrev_u32_e32 v15, 28, v14
	v_and_b32_e32 v12, 15, v12
	v_lshlrev_b32_sdwa v15, v15, v3 dst_sel:DWORD dst_unused:UNUSED_PAD src0_sel:DWORD src1_sel:WORD_1
	v_bfe_u32 v13, v3, 19, 4
	v_sub_u32_e32 v14, 29, v14
	v_and_b32_e32 v15, 7, v15
	v_cmp_eq_u16_e32 vcc, 0, v12
	v_cndmask_b32_e32 v6, v6, v15, vcc
	v_cndmask_b32_e32 v12, v13, v14, vcc
	v_lshlrev_b32_e32 v13, 8, v3
	v_mov_b32_e32 v14, 0x3b800000
	v_lshlrev_b32_e32 v6, 20, v6
	v_and_b32_e32 v13, 0x80000000, v13
	v_lshl_add_u32 v12, v12, 23, v14
	v_or3_b32 v12, v13, v12, v6
.LBB13_1080:
	s_or_b64 exec, exec, s[6:7]
	s_nop 0
	v_mfma_f32_16x16x4f32 a[0:3], v2, v12, a[0:3]
	s_movk_i32 s4, 0x7f
	v_cmp_gt_i16_sdwa s[6:7], v7, s4 src0_sel:BYTE_3 src1_sel:DWORD
	s_mov_b64 s[4:5], 0
                                        ; implicit-def: $sgpr10
	s_and_saveexec_b64 s[8:9], s[6:7]
	s_xor_b64 s[6:7], exec, s[8:9]
	s_cbranch_execnz .LBB13_3129
; %bb.1081:
	s_or_saveexec_b64 s[6:7], s[6:7]
	v_mov_b32_e32 v2, s10
	s_xor_b64 exec, exec, s[6:7]
	s_cbranch_execnz .LBB13_3132
.LBB13_1082:
	s_or_b64 exec, exec, s[6:7]
	s_and_saveexec_b64 s[6:7], s[4:5]
	s_cbranch_execz .LBB13_1084
.LBB13_1083:
	v_bfe_u32 v2, v7, 24, 3
	v_ffbh_u32_e32 v14, v2
	v_min_u32_e32 v14, 32, v14
	v_lshrrev_b32_e32 v12, 27, v7
	v_subrev_u32_e32 v15, 28, v14
	v_and_b32_e32 v6, 0x80000000, v7
	v_and_b32_e32 v12, 15, v12
	v_bfe_u32 v13, v7, 27, 4
	v_lshlrev_b32_sdwa v7, v15, v7 dst_sel:DWORD dst_unused:UNUSED_PAD src0_sel:DWORD src1_sel:BYTE_3
	v_sub_u32_e32 v14, 29, v14
	v_and_b32_e32 v7, 7, v7
	v_cmp_eq_u16_e32 vcc, 0, v12
	v_cndmask_b32_e32 v2, v2, v7, vcc
	v_cndmask_b32_e32 v7, v13, v14, vcc
	v_mov_b32_e32 v12, 0x3b800000
	v_lshlrev_b32_e32 v2, 20, v2
	v_lshl_add_u32 v7, v7, 23, v12
	v_or3_b32 v2, v6, v7, v2
.LBB13_1084:
	s_or_b64 exec, exec, s[6:7]
	s_movk_i32 s4, 0x7f
	v_cmp_gt_i16_sdwa s[6:7], v3, s4 src0_sel:BYTE_3 src1_sel:DWORD
	s_mov_b64 s[4:5], 0
                                        ; implicit-def: $sgpr10
	s_and_saveexec_b64 s[8:9], s[6:7]
	s_xor_b64 s[6:7], exec, s[8:9]
	s_cbranch_execnz .LBB13_3133
; %bb.1085:
	s_or_saveexec_b64 s[6:7], s[6:7]
	v_mov_b32_e32 v6, s10
	s_xor_b64 exec, exec, s[6:7]
	s_cbranch_execnz .LBB13_3136
.LBB13_1086:
	s_or_b64 exec, exec, s[6:7]
	s_and_saveexec_b64 s[6:7], s[4:5]
	s_cbranch_execz .LBB13_1088
.LBB13_1087:
	v_bfe_u32 v6, v3, 24, 3
	v_ffbh_u32_e32 v14, v6
	v_min_u32_e32 v14, 32, v14
	v_lshrrev_b32_e32 v12, 27, v3
	v_subrev_u32_e32 v15, 28, v14
	v_and_b32_e32 v7, 0x80000000, v3
	v_and_b32_e32 v12, 15, v12
	v_bfe_u32 v13, v3, 27, 4
	v_lshlrev_b32_sdwa v3, v15, v3 dst_sel:DWORD dst_unused:UNUSED_PAD src0_sel:DWORD src1_sel:BYTE_3
	v_sub_u32_e32 v14, 29, v14
	v_and_b32_e32 v3, 7, v3
	v_cmp_eq_u16_e32 vcc, 0, v12
	v_cndmask_b32_e32 v3, v6, v3, vcc
	v_cndmask_b32_e32 v6, v13, v14, vcc
	v_mov_b32_e32 v12, 0x3b800000
	v_lshlrev_b32_e32 v3, 20, v3
	v_lshl_add_u32 v6, v6, 23, v12
	v_or3_b32 v6, v7, v6, v3
.LBB13_1088:
	s_or_b64 exec, exec, s[6:7]
	s_nop 0
	v_mfma_f32_16x16x4f32 a[0:3], v2, v6, a[0:3]
	s_movk_i32 s4, 0x7f
	v_cmp_gt_i16_sdwa s[6:7], v8, s4 src0_sel:BYTE_0 src1_sel:DWORD
	s_mov_b64 s[4:5], 0
                                        ; implicit-def: $sgpr10
	s_and_saveexec_b64 s[8:9], s[6:7]
	s_xor_b64 s[6:7], exec, s[8:9]
	s_cbranch_execnz .LBB13_3137
; %bb.1089:
	s_or_saveexec_b64 s[6:7], s[6:7]
	v_mov_b32_e32 v2, s10
	s_xor_b64 exec, exec, s[6:7]
	s_cbranch_execnz .LBB13_3140
.LBB13_1090:
	s_or_b64 exec, exec, s[6:7]
	s_and_saveexec_b64 s[6:7], s[4:5]
	s_cbranch_execz .LBB13_1092
.LBB13_1091:
	v_and_b32_e32 v2, 7, v8
	v_ffbh_u32_e32 v6, v2
	v_min_u32_e32 v6, 32, v6
	v_lshrrev_b16_e32 v3, 3, v8
	v_subrev_u32_e32 v7, 28, v6
	v_and_b32_e32 v3, 15, v3
	v_lshlrev_b32_e32 v7, v7, v8
	v_sub_u32_e32 v6, 29, v6
	v_and_b32_e32 v7, 7, v7
	v_cmp_eq_u16_e32 vcc, 0, v3
	v_cndmask_b32_e32 v2, v2, v7, vcc
	v_cndmask_b32_e32 v3, v3, v6, vcc
	v_lshlrev_b32_e32 v6, 24, v8
	v_mov_b32_e32 v7, 0x3b800000
	v_lshlrev_b32_e32 v2, 20, v2
	v_and_b32_e32 v6, 0x80000000, v6
	v_lshl_add_u32 v3, v3, 23, v7
	v_or3_b32 v2, v6, v3, v2
.LBB13_1092:
	s_or_b64 exec, exec, s[6:7]
	s_movk_i32 s4, 0x7f
	v_cmp_gt_i16_sdwa s[6:7], v4, s4 src0_sel:BYTE_0 src1_sel:DWORD
	s_mov_b64 s[4:5], 0
                                        ; implicit-def: $sgpr10
	s_and_saveexec_b64 s[8:9], s[6:7]
	s_xor_b64 s[6:7], exec, s[8:9]
	s_cbranch_execnz .LBB13_3141
; %bb.1093:
	s_or_saveexec_b64 s[6:7], s[6:7]
	v_mov_b32_e32 v3, s10
	s_xor_b64 exec, exec, s[6:7]
	s_cbranch_execnz .LBB13_3144
.LBB13_1094:
	s_or_b64 exec, exec, s[6:7]
	s_and_saveexec_b64 s[6:7], s[4:5]
	s_cbranch_execz .LBB13_1096
.LBB13_1095:
	v_and_b32_e32 v3, 7, v4
	v_ffbh_u32_e32 v7, v3
	v_min_u32_e32 v7, 32, v7
	v_lshrrev_b16_e32 v6, 3, v4
	v_subrev_u32_e32 v12, 28, v7
	v_and_b32_e32 v6, 15, v6
	v_lshlrev_b32_e32 v12, v12, v4
	v_sub_u32_e32 v7, 29, v7
	v_and_b32_e32 v12, 7, v12
	v_cmp_eq_u16_e32 vcc, 0, v6
	v_cndmask_b32_e32 v3, v3, v12, vcc
	v_cndmask_b32_e32 v6, v6, v7, vcc
	v_lshlrev_b32_e32 v7, 24, v4
	v_mov_b32_e32 v12, 0x3b800000
	v_lshlrev_b32_e32 v3, 20, v3
	v_and_b32_e32 v7, 0x80000000, v7
	v_lshl_add_u32 v6, v6, 23, v12
	v_or3_b32 v3, v7, v6, v3
.LBB13_1096:
	s_or_b64 exec, exec, s[6:7]
	s_nop 0
	v_mfma_f32_16x16x4f32 a[0:3], v2, v3, a[0:3]
	v_lshrrev_b32_e32 v3, 8, v8
	s_movk_i32 s4, 0x7f
	v_cmp_gt_i16_sdwa s[6:7], v3, s4 src0_sel:BYTE_0 src1_sel:DWORD
	s_mov_b64 s[4:5], 0
                                        ; implicit-def: $sgpr10
	s_and_saveexec_b64 s[8:9], s[6:7]
	s_xor_b64 s[6:7], exec, s[8:9]
	s_cbranch_execnz .LBB13_3145
; %bb.1097:
	s_or_saveexec_b64 s[6:7], s[6:7]
	v_mov_b32_e32 v2, s10
	s_xor_b64 exec, exec, s[6:7]
	s_cbranch_execnz .LBB13_3148
.LBB13_1098:
	s_or_b64 exec, exec, s[6:7]
	s_and_saveexec_b64 s[6:7], s[4:5]
	s_cbranch_execz .LBB13_1100
.LBB13_1099:
	v_bfe_u32 v2, v8, 8, 3
	v_ffbh_u32_e32 v7, v2
	v_min_u32_e32 v7, 32, v7
	v_lshrrev_b16_e32 v6, 3, v3
	v_subrev_u32_e32 v12, 28, v7
	v_and_b32_e32 v6, 15, v6
	v_lshlrev_b32_e32 v3, v12, v3
	v_sub_u32_e32 v7, 29, v7
	v_and_b32_e32 v3, 7, v3
	v_cmp_eq_u16_e32 vcc, 0, v6
	v_cndmask_b32_e32 v2, v2, v3, vcc
	v_cndmask_b32_e32 v3, v6, v7, vcc
	v_lshlrev_b32_e32 v6, 16, v8
	v_mov_b32_e32 v7, 0x3b800000
	v_lshlrev_b32_e32 v2, 20, v2
	v_and_b32_e32 v6, 0x80000000, v6
	v_lshl_add_u32 v3, v3, 23, v7
	v_or3_b32 v2, v6, v3, v2
.LBB13_1100:
	s_or_b64 exec, exec, s[6:7]
	v_lshrrev_b32_e32 v3, 8, v4
	s_movk_i32 s4, 0x7f
	v_cmp_gt_i16_sdwa s[6:7], v3, s4 src0_sel:BYTE_0 src1_sel:DWORD
	s_mov_b64 s[4:5], 0
                                        ; implicit-def: $sgpr10
	s_and_saveexec_b64 s[8:9], s[6:7]
	s_xor_b64 s[6:7], exec, s[8:9]
	s_cbranch_execnz .LBB13_3149
; %bb.1101:
	s_or_saveexec_b64 s[6:7], s[6:7]
	v_mov_b32_e32 v6, s10
	s_xor_b64 exec, exec, s[6:7]
	s_cbranch_execnz .LBB13_3152
.LBB13_1102:
	s_or_b64 exec, exec, s[6:7]
	s_and_saveexec_b64 s[6:7], s[4:5]
	s_cbranch_execz .LBB13_1104
.LBB13_1103:
	v_bfe_u32 v6, v4, 8, 3
	v_ffbh_u32_e32 v12, v6
	v_min_u32_e32 v12, 32, v12
	v_lshrrev_b16_e32 v7, 3, v3
	v_subrev_u32_e32 v13, 28, v12
	v_and_b32_e32 v7, 15, v7
	v_lshlrev_b32_e32 v3, v13, v3
	v_sub_u32_e32 v12, 29, v12
	v_and_b32_e32 v3, 7, v3
	v_cmp_eq_u16_e32 vcc, 0, v7
	v_cndmask_b32_e32 v3, v6, v3, vcc
	v_cndmask_b32_e32 v6, v7, v12, vcc
	v_lshlrev_b32_e32 v7, 16, v4
	v_mov_b32_e32 v12, 0x3b800000
	v_lshlrev_b32_e32 v3, 20, v3
	v_and_b32_e32 v7, 0x80000000, v7
	v_lshl_add_u32 v6, v6, 23, v12
	v_or3_b32 v6, v7, v6, v3
.LBB13_1104:
	s_or_b64 exec, exec, s[6:7]
	s_nop 0
	v_mfma_f32_16x16x4f32 a[0:3], v2, v6, a[0:3]
	s_movk_i32 s4, 0xff
	v_and_b32_sdwa v3, v8, s4 dst_sel:DWORD dst_unused:UNUSED_PAD src0_sel:WORD_1 src1_sel:DWORD
	s_movk_i32 s4, 0x7f
	v_cmp_lt_i16_e32 vcc, s4, v3
	s_mov_b64 s[4:5], 0
                                        ; implicit-def: $sgpr10
	s_and_saveexec_b64 s[6:7], vcc
	s_xor_b64 s[6:7], exec, s[6:7]
	s_cbranch_execnz .LBB13_3153
; %bb.1105:
	s_or_saveexec_b64 s[6:7], s[6:7]
	v_mov_b32_e32 v2, s10
	s_xor_b64 exec, exec, s[6:7]
	s_cbranch_execnz .LBB13_3156
.LBB13_1106:
	s_or_b64 exec, exec, s[6:7]
	s_and_saveexec_b64 s[6:7], s[4:5]
	s_cbranch_execz .LBB13_1108
.LBB13_1107:
	v_bfe_u32 v2, v8, 16, 3
	v_ffbh_u32_e32 v7, v2
	v_min_u32_e32 v7, 32, v7
	v_lshrrev_b32_e32 v3, 19, v8
	v_subrev_u32_e32 v12, 28, v7
	v_and_b32_e32 v3, 15, v3
	v_lshlrev_b32_sdwa v12, v12, v8 dst_sel:DWORD dst_unused:UNUSED_PAD src0_sel:DWORD src1_sel:WORD_1
	v_bfe_u32 v6, v8, 19, 4
	v_sub_u32_e32 v7, 29, v7
	v_and_b32_e32 v12, 7, v12
	v_cmp_eq_u16_e32 vcc, 0, v3
	v_cndmask_b32_e32 v2, v2, v12, vcc
	v_cndmask_b32_e32 v3, v6, v7, vcc
	v_lshlrev_b32_e32 v6, 8, v8
	v_mov_b32_e32 v7, 0x3b800000
	v_lshlrev_b32_e32 v2, 20, v2
	v_and_b32_e32 v6, 0x80000000, v6
	v_lshl_add_u32 v3, v3, 23, v7
	v_or3_b32 v2, v6, v3, v2
.LBB13_1108:
	s_or_b64 exec, exec, s[6:7]
	s_movk_i32 s4, 0xff
	v_and_b32_sdwa v3, v4, s4 dst_sel:DWORD dst_unused:UNUSED_PAD src0_sel:WORD_1 src1_sel:DWORD
	s_movk_i32 s4, 0x7f
	v_cmp_lt_i16_e32 vcc, s4, v3
	s_mov_b64 s[4:5], 0
                                        ; implicit-def: $sgpr10
	s_and_saveexec_b64 s[6:7], vcc
	s_xor_b64 s[6:7], exec, s[6:7]
	s_cbranch_execnz .LBB13_3157
; %bb.1109:
	s_or_saveexec_b64 s[6:7], s[6:7]
	v_mov_b32_e32 v6, s10
	s_xor_b64 exec, exec, s[6:7]
	s_cbranch_execnz .LBB13_3160
.LBB13_1110:
	s_or_b64 exec, exec, s[6:7]
	s_and_saveexec_b64 s[6:7], s[4:5]
	s_cbranch_execz .LBB13_1112
.LBB13_1111:
	v_bfe_u32 v3, v4, 16, 3
	v_ffbh_u32_e32 v12, v3
	v_min_u32_e32 v12, 32, v12
	v_lshrrev_b32_e32 v6, 19, v4
	v_subrev_u32_e32 v13, 28, v12
	v_and_b32_e32 v6, 15, v6
	v_lshlrev_b32_sdwa v13, v13, v4 dst_sel:DWORD dst_unused:UNUSED_PAD src0_sel:DWORD src1_sel:WORD_1
	v_bfe_u32 v7, v4, 19, 4
	v_sub_u32_e32 v12, 29, v12
	v_and_b32_e32 v13, 7, v13
	v_cmp_eq_u16_e32 vcc, 0, v6
	v_cndmask_b32_e32 v3, v3, v13, vcc
	v_cndmask_b32_e32 v6, v7, v12, vcc
	v_lshlrev_b32_e32 v7, 8, v4
	v_mov_b32_e32 v12, 0x3b800000
	v_lshlrev_b32_e32 v3, 20, v3
	v_and_b32_e32 v7, 0x80000000, v7
	v_lshl_add_u32 v6, v6, 23, v12
	v_or3_b32 v6, v7, v6, v3
.LBB13_1112:
	s_or_b64 exec, exec, s[6:7]
	s_nop 0
	v_mfma_f32_16x16x4f32 a[0:3], v2, v6, a[0:3]
	s_movk_i32 s4, 0x7f
	v_cmp_gt_i16_sdwa s[6:7], v8, s4 src0_sel:BYTE_3 src1_sel:DWORD
	s_mov_b64 s[4:5], 0
                                        ; implicit-def: $sgpr10
	s_and_saveexec_b64 s[8:9], s[6:7]
	s_xor_b64 s[6:7], exec, s[8:9]
	s_cbranch_execnz .LBB13_3161
; %bb.1113:
	s_or_saveexec_b64 s[6:7], s[6:7]
	v_mov_b32_e32 v2, s10
	s_xor_b64 exec, exec, s[6:7]
	s_cbranch_execnz .LBB13_3164
.LBB13_1114:
	s_or_b64 exec, exec, s[6:7]
	s_and_saveexec_b64 s[6:7], s[4:5]
	s_cbranch_execz .LBB13_1116
.LBB13_1115:
	v_bfe_u32 v2, v8, 24, 3
	v_ffbh_u32_e32 v12, v2
	v_min_u32_e32 v12, 32, v12
	v_lshrrev_b32_e32 v6, 27, v8
	v_subrev_u32_e32 v13, 28, v12
	v_and_b32_e32 v3, 0x80000000, v8
	v_and_b32_e32 v6, 15, v6
	v_bfe_u32 v7, v8, 27, 4
	v_lshlrev_b32_sdwa v8, v13, v8 dst_sel:DWORD dst_unused:UNUSED_PAD src0_sel:DWORD src1_sel:BYTE_3
	v_sub_u32_e32 v12, 29, v12
	v_and_b32_e32 v8, 7, v8
	v_cmp_eq_u16_e32 vcc, 0, v6
	v_cndmask_b32_e32 v2, v2, v8, vcc
	v_cndmask_b32_e32 v6, v7, v12, vcc
	v_mov_b32_e32 v7, 0x3b800000
	v_lshlrev_b32_e32 v2, 20, v2
	v_lshl_add_u32 v6, v6, 23, v7
	v_or3_b32 v2, v3, v6, v2
.LBB13_1116:
	s_or_b64 exec, exec, s[6:7]
	s_movk_i32 s4, 0x7f
	v_cmp_gt_i16_sdwa s[6:7], v4, s4 src0_sel:BYTE_3 src1_sel:DWORD
	s_mov_b64 s[4:5], 0
                                        ; implicit-def: $sgpr10
	s_and_saveexec_b64 s[8:9], s[6:7]
	s_xor_b64 s[6:7], exec, s[8:9]
	s_cbranch_execnz .LBB13_3165
; %bb.1117:
	s_or_saveexec_b64 s[6:7], s[6:7]
	v_mov_b32_e32 v3, s10
	s_xor_b64 exec, exec, s[6:7]
	s_cbranch_execnz .LBB13_3168
.LBB13_1118:
	s_or_b64 exec, exec, s[6:7]
	s_and_saveexec_b64 s[6:7], s[4:5]
	s_cbranch_execz .LBB13_1120
.LBB13_1119:
	v_bfe_u32 v3, v4, 24, 3
	v_ffbh_u32_e32 v12, v3
	v_min_u32_e32 v12, 32, v12
	v_lshrrev_b32_e32 v7, 27, v4
	v_subrev_u32_e32 v13, 28, v12
	v_and_b32_e32 v6, 0x80000000, v4
	v_and_b32_e32 v7, 15, v7
	v_bfe_u32 v8, v4, 27, 4
	v_lshlrev_b32_sdwa v4, v13, v4 dst_sel:DWORD dst_unused:UNUSED_PAD src0_sel:DWORD src1_sel:BYTE_3
	v_sub_u32_e32 v12, 29, v12
	v_and_b32_e32 v4, 7, v4
	v_cmp_eq_u16_e32 vcc, 0, v7
	v_cndmask_b32_e32 v3, v3, v4, vcc
	v_cndmask_b32_e32 v4, v8, v12, vcc
	v_mov_b32_e32 v7, 0x3b800000
	v_lshlrev_b32_e32 v3, 20, v3
	v_lshl_add_u32 v4, v4, 23, v7
	v_or3_b32 v3, v6, v4, v3
.LBB13_1120:
	s_or_b64 exec, exec, s[6:7]
	s_nop 0
	v_mfma_f32_16x16x4f32 a[0:3], v2, v3, a[0:3]
	s_movk_i32 s4, 0x7f
	v_cmp_gt_i16_sdwa s[6:7], v9, s4 src0_sel:BYTE_0 src1_sel:DWORD
	s_mov_b64 s[4:5], 0
                                        ; implicit-def: $sgpr10
	s_and_saveexec_b64 s[8:9], s[6:7]
	s_xor_b64 s[6:7], exec, s[8:9]
	s_cbranch_execnz .LBB13_3169
; %bb.1121:
	s_or_saveexec_b64 s[6:7], s[6:7]
	v_mov_b32_e32 v2, s10
	s_xor_b64 exec, exec, s[6:7]
	s_cbranch_execnz .LBB13_3172
.LBB13_1122:
	s_or_b64 exec, exec, s[6:7]
	s_and_saveexec_b64 s[6:7], s[4:5]
	s_cbranch_execz .LBB13_1124
.LBB13_1123:
	v_mov_b32_e32 v2, 8
	v_and_b32_e32 v3, 7, v9
	v_lshrrev_b32_sdwa v2, v2, v9 dst_sel:BYTE_1 dst_unused:UNUSED_PAD src0_sel:DWORD src1_sel:DWORD
	v_ffbh_u32_e32 v4, v3
	v_or_b32_sdwa v2, v9, v2 dst_sel:DWORD dst_unused:UNUSED_PAD src0_sel:BYTE_0 src1_sel:DWORD
	v_min_u32_e32 v4, 32, v4
	v_lshrrev_b16_e32 v2, 3, v2
	v_subrev_u32_e32 v6, 28, v4
	v_and_b32_e32 v2, 15, v2
	v_lshlrev_b32_e32 v6, v6, v9
	v_sub_u32_e32 v4, 29, v4
	v_and_b32_e32 v6, 7, v6
	v_cmp_eq_u16_e32 vcc, 0, v2
	v_cndmask_b32_e32 v3, v3, v6, vcc
	v_cndmask_b32_e32 v2, v2, v4, vcc
	v_lshlrev_b32_e32 v4, 24, v9
	v_mov_b32_e32 v6, 0x3b800000
	v_lshlrev_b32_e32 v3, 20, v3
	v_and_b32_e32 v4, 0x80000000, v4
	v_lshl_add_u32 v2, v2, 23, v6
	v_or3_b32 v2, v4, v2, v3
.LBB13_1124:
	s_or_b64 exec, exec, s[6:7]
	s_movk_i32 s4, 0x7f
	v_cmp_gt_i16_sdwa s[6:7], v5, s4 src0_sel:BYTE_0 src1_sel:DWORD
	s_mov_b64 s[4:5], 0
                                        ; implicit-def: $sgpr10
	s_and_saveexec_b64 s[8:9], s[6:7]
	s_xor_b64 s[6:7], exec, s[8:9]
	s_cbranch_execnz .LBB13_3173
; %bb.1125:
	s_or_saveexec_b64 s[6:7], s[6:7]
	v_mov_b32_e32 v3, s10
	s_xor_b64 exec, exec, s[6:7]
	s_cbranch_execnz .LBB13_3176
.LBB13_1126:
	s_or_b64 exec, exec, s[6:7]
	s_and_saveexec_b64 s[6:7], s[4:5]
	s_cbranch_execz .LBB13_1128
.LBB13_1127:
	v_mov_b32_e32 v3, 8
	v_and_b32_e32 v4, 7, v5
	v_lshrrev_b32_sdwa v3, v3, v5 dst_sel:BYTE_1 dst_unused:UNUSED_PAD src0_sel:DWORD src1_sel:DWORD
	v_ffbh_u32_e32 v6, v4
	v_or_b32_sdwa v3, v5, v3 dst_sel:DWORD dst_unused:UNUSED_PAD src0_sel:BYTE_0 src1_sel:DWORD
	v_min_u32_e32 v6, 32, v6
	v_lshrrev_b16_e32 v3, 3, v3
	v_subrev_u32_e32 v7, 28, v6
	v_and_b32_e32 v3, 15, v3
	v_lshlrev_b32_e32 v7, v7, v5
	v_sub_u32_e32 v6, 29, v6
	v_and_b32_e32 v7, 7, v7
	v_cmp_eq_u16_e32 vcc, 0, v3
	v_cndmask_b32_e32 v4, v4, v7, vcc
	v_cndmask_b32_e32 v3, v3, v6, vcc
	v_lshlrev_b32_e32 v6, 24, v5
	v_mov_b32_e32 v7, 0x3b800000
	v_lshlrev_b32_e32 v4, 20, v4
	v_and_b32_e32 v6, 0x80000000, v6
	v_lshl_add_u32 v3, v3, 23, v7
	v_or3_b32 v3, v6, v3, v4
.LBB13_1128:
	s_or_b64 exec, exec, s[6:7]
	s_nop 0
	v_mfma_f32_16x16x4f32 a[0:3], v2, v3, a[0:3]
	v_lshrrev_b32_e32 v3, 8, v9
	s_movk_i32 s4, 0x7f
	v_cmp_gt_i16_sdwa s[6:7], v3, s4 src0_sel:BYTE_0 src1_sel:DWORD
	s_mov_b64 s[4:5], 0
                                        ; implicit-def: $sgpr10
	s_and_saveexec_b64 s[8:9], s[6:7]
	s_xor_b64 s[6:7], exec, s[8:9]
	s_cbranch_execnz .LBB13_3177
; %bb.1129:
	s_or_saveexec_b64 s[6:7], s[6:7]
	v_mov_b32_e32 v2, s10
	s_xor_b64 exec, exec, s[6:7]
	s_cbranch_execnz .LBB13_3180
.LBB13_1130:
	s_or_b64 exec, exec, s[6:7]
	s_and_saveexec_b64 s[6:7], s[4:5]
	s_cbranch_execz .LBB13_1132
.LBB13_1131:
	v_bfe_u32 v2, v9, 8, 3
	v_ffbh_u32_e32 v6, v2
	v_min_u32_e32 v6, 32, v6
	v_lshrrev_b16_e32 v4, 3, v3
	v_subrev_u32_e32 v7, 28, v6
	v_and_b32_e32 v4, 15, v4
	v_lshlrev_b32_e32 v3, v7, v3
	v_sub_u32_e32 v6, 29, v6
	v_and_b32_e32 v3, 7, v3
	v_cmp_eq_u16_e32 vcc, 0, v4
	v_cndmask_b32_e32 v2, v2, v3, vcc
	v_cndmask_b32_e32 v3, v4, v6, vcc
	v_lshlrev_b32_e32 v4, 16, v9
	v_mov_b32_e32 v6, 0x3b800000
	v_lshlrev_b32_e32 v2, 20, v2
	v_and_b32_e32 v4, 0x80000000, v4
	v_lshl_add_u32 v3, v3, 23, v6
	v_or3_b32 v2, v4, v3, v2
.LBB13_1132:
	s_or_b64 exec, exec, s[6:7]
	v_lshrrev_b32_e32 v3, 8, v5
	s_movk_i32 s4, 0x7f
	v_cmp_gt_i16_sdwa s[6:7], v3, s4 src0_sel:BYTE_0 src1_sel:DWORD
	s_mov_b64 s[4:5], 0
                                        ; implicit-def: $sgpr10
	s_and_saveexec_b64 s[8:9], s[6:7]
	s_xor_b64 s[6:7], exec, s[8:9]
	s_cbranch_execnz .LBB13_3181
; %bb.1133:
	s_or_saveexec_b64 s[6:7], s[6:7]
	v_mov_b32_e32 v4, s10
	s_xor_b64 exec, exec, s[6:7]
	s_cbranch_execnz .LBB13_3184
.LBB13_1134:
	s_or_b64 exec, exec, s[6:7]
	s_and_saveexec_b64 s[6:7], s[4:5]
	s_cbranch_execz .LBB13_1136
.LBB13_1135:
	v_bfe_u32 v4, v5, 8, 3
	v_ffbh_u32_e32 v7, v4
	v_min_u32_e32 v7, 32, v7
	v_lshrrev_b16_e32 v6, 3, v3
	v_subrev_u32_e32 v8, 28, v7
	v_and_b32_e32 v6, 15, v6
	v_lshlrev_b32_e32 v3, v8, v3
	v_sub_u32_e32 v7, 29, v7
	v_and_b32_e32 v3, 7, v3
	v_cmp_eq_u16_e32 vcc, 0, v6
	v_cndmask_b32_e32 v3, v4, v3, vcc
	v_cndmask_b32_e32 v4, v6, v7, vcc
	v_lshlrev_b32_e32 v6, 16, v5
	v_mov_b32_e32 v7, 0x3b800000
	v_lshlrev_b32_e32 v3, 20, v3
	v_and_b32_e32 v6, 0x80000000, v6
	v_lshl_add_u32 v4, v4, 23, v7
	v_or3_b32 v4, v6, v4, v3
.LBB13_1136:
	s_or_b64 exec, exec, s[6:7]
	s_nop 0
	v_mfma_f32_16x16x4f32 a[0:3], v2, v4, a[0:3]
	s_movk_i32 s4, 0xff
	v_and_b32_sdwa v3, v9, s4 dst_sel:DWORD dst_unused:UNUSED_PAD src0_sel:WORD_1 src1_sel:DWORD
	s_movk_i32 s4, 0x7f
	v_cmp_lt_i16_e32 vcc, s4, v3
	s_mov_b64 s[4:5], 0
                                        ; implicit-def: $sgpr10
	s_and_saveexec_b64 s[6:7], vcc
	s_xor_b64 s[6:7], exec, s[6:7]
	s_cbranch_execnz .LBB13_3185
; %bb.1137:
	s_or_saveexec_b64 s[6:7], s[6:7]
	v_mov_b32_e32 v2, s10
	s_xor_b64 exec, exec, s[6:7]
	s_cbranch_execnz .LBB13_3188
.LBB13_1138:
	s_or_b64 exec, exec, s[6:7]
	s_and_saveexec_b64 s[6:7], s[4:5]
	s_cbranch_execz .LBB13_1140
.LBB13_1139:
	v_bfe_u32 v2, v9, 16, 3
	v_ffbh_u32_e32 v6, v2
	v_min_u32_e32 v6, 32, v6
	v_lshrrev_b32_e32 v3, 19, v9
	v_subrev_u32_e32 v7, 28, v6
	v_and_b32_e32 v3, 15, v3
	v_lshlrev_b32_sdwa v7, v7, v9 dst_sel:DWORD dst_unused:UNUSED_PAD src0_sel:DWORD src1_sel:WORD_1
	v_bfe_u32 v4, v9, 19, 4
	v_sub_u32_e32 v6, 29, v6
	v_and_b32_e32 v7, 7, v7
	v_cmp_eq_u16_e32 vcc, 0, v3
	v_cndmask_b32_e32 v2, v2, v7, vcc
	v_cndmask_b32_e32 v3, v4, v6, vcc
	v_lshlrev_b32_e32 v4, 8, v9
	v_mov_b32_e32 v6, 0x3b800000
	v_lshlrev_b32_e32 v2, 20, v2
	v_and_b32_e32 v4, 0x80000000, v4
	v_lshl_add_u32 v3, v3, 23, v6
	v_or3_b32 v2, v4, v3, v2
.LBB13_1140:
	s_or_b64 exec, exec, s[6:7]
	s_movk_i32 s4, 0xff
	v_and_b32_sdwa v3, v5, s4 dst_sel:DWORD dst_unused:UNUSED_PAD src0_sel:WORD_1 src1_sel:DWORD
	s_movk_i32 s4, 0x7f
	v_cmp_lt_i16_e32 vcc, s4, v3
	s_mov_b64 s[4:5], 0
                                        ; implicit-def: $sgpr10
	s_and_saveexec_b64 s[6:7], vcc
	s_xor_b64 s[6:7], exec, s[6:7]
	s_cbranch_execnz .LBB13_3189
; %bb.1141:
	s_or_saveexec_b64 s[6:7], s[6:7]
	v_mov_b32_e32 v4, s10
	s_xor_b64 exec, exec, s[6:7]
	s_cbranch_execnz .LBB13_3192
.LBB13_1142:
	s_or_b64 exec, exec, s[6:7]
	s_and_saveexec_b64 s[6:7], s[4:5]
	s_cbranch_execz .LBB13_1144
.LBB13_1143:
	v_bfe_u32 v3, v5, 16, 3
	v_ffbh_u32_e32 v7, v3
	v_min_u32_e32 v7, 32, v7
	v_lshrrev_b32_e32 v4, 19, v5
	v_subrev_u32_e32 v8, 28, v7
	v_and_b32_e32 v4, 15, v4
	v_lshlrev_b32_sdwa v8, v8, v5 dst_sel:DWORD dst_unused:UNUSED_PAD src0_sel:DWORD src1_sel:WORD_1
	v_bfe_u32 v6, v5, 19, 4
	v_sub_u32_e32 v7, 29, v7
	v_and_b32_e32 v8, 7, v8
	v_cmp_eq_u16_e32 vcc, 0, v4
	v_cndmask_b32_e32 v3, v3, v8, vcc
	v_cndmask_b32_e32 v4, v6, v7, vcc
	v_lshlrev_b32_e32 v6, 8, v5
	v_mov_b32_e32 v7, 0x3b800000
	v_lshlrev_b32_e32 v3, 20, v3
	v_and_b32_e32 v6, 0x80000000, v6
	v_lshl_add_u32 v4, v4, 23, v7
	v_or3_b32 v4, v6, v4, v3
.LBB13_1144:
	s_or_b64 exec, exec, s[6:7]
	s_nop 0
	v_mfma_f32_16x16x4f32 a[0:3], v2, v4, a[0:3]
	s_movk_i32 s4, 0x7f
	v_cmp_gt_i16_sdwa s[6:7], v9, s4 src0_sel:BYTE_3 src1_sel:DWORD
	s_mov_b64 s[4:5], 0
                                        ; implicit-def: $sgpr10
	s_and_saveexec_b64 s[8:9], s[6:7]
	s_xor_b64 s[6:7], exec, s[8:9]
	s_cbranch_execnz .LBB13_3193
; %bb.1145:
	s_or_saveexec_b64 s[6:7], s[6:7]
	v_mov_b32_e32 v2, s10
	s_xor_b64 exec, exec, s[6:7]
	s_cbranch_execnz .LBB13_3196
.LBB13_1146:
	s_or_b64 exec, exec, s[6:7]
	s_and_saveexec_b64 s[6:7], s[4:5]
	s_cbranch_execz .LBB13_1148
.LBB13_1147:
	v_bfe_u32 v2, v9, 24, 3
	v_ffbh_u32_e32 v7, v2
	v_min_u32_e32 v7, 32, v7
	v_lshrrev_b32_e32 v4, 27, v9
	v_subrev_u32_e32 v8, 28, v7
	v_and_b32_e32 v4, 15, v4
	v_lshlrev_b32_sdwa v8, v8, v9 dst_sel:DWORD dst_unused:UNUSED_PAD src0_sel:DWORD src1_sel:BYTE_3
	v_bfe_u32 v6, v9, 27, 4
	v_sub_u32_e32 v7, 29, v7
	v_and_b32_e32 v8, 7, v8
	v_cmp_eq_u16_e32 vcc, 0, v4
	v_cndmask_b32_e32 v2, v2, v8, vcc
	v_cndmask_b32_e32 v4, v6, v7, vcc
	v_mov_b32_e32 v6, 0x3b800000
	v_and_b32_e32 v3, 0x80000000, v9
	v_lshlrev_b32_e32 v2, 20, v2
	v_lshl_add_u32 v4, v4, 23, v6
	v_or3_b32 v2, v3, v4, v2
.LBB13_1148:
	s_or_b64 exec, exec, s[6:7]
	s_movk_i32 s4, 0x7f
	v_cmp_gt_i16_sdwa s[6:7], v5, s4 src0_sel:BYTE_3 src1_sel:DWORD
	s_mov_b64 s[4:5], 0
                                        ; implicit-def: $sgpr10
	s_and_saveexec_b64 s[8:9], s[6:7]
	s_xor_b64 s[6:7], exec, s[8:9]
	s_cbranch_execnz .LBB13_3197
; %bb.1149:
	s_or_saveexec_b64 s[6:7], s[6:7]
	v_mov_b32_e32 v3, s10
	s_xor_b64 exec, exec, s[6:7]
	s_cbranch_execnz .LBB13_3200
.LBB13_1150:
	s_or_b64 exec, exec, s[6:7]
	s_and_saveexec_b64 s[6:7], s[4:5]
	s_cbranch_execz .LBB13_1152
.LBB13_1151:
	v_bfe_u32 v3, v5, 24, 3
	v_ffbh_u32_e32 v8, v3
	v_min_u32_e32 v8, 32, v8
	v_lshrrev_b32_e32 v6, 27, v5
	v_subrev_u32_e32 v9, 28, v8
	v_and_b32_e32 v4, 0x80000000, v5
	v_and_b32_e32 v6, 15, v6
	v_bfe_u32 v7, v5, 27, 4
	v_lshlrev_b32_sdwa v5, v9, v5 dst_sel:DWORD dst_unused:UNUSED_PAD src0_sel:DWORD src1_sel:BYTE_3
	v_sub_u32_e32 v8, 29, v8
	v_and_b32_e32 v5, 7, v5
	v_cmp_eq_u16_e32 vcc, 0, v6
	v_cndmask_b32_e32 v3, v3, v5, vcc
	v_cndmask_b32_e32 v5, v7, v8, vcc
	v_mov_b32_e32 v6, 0x3b800000
	v_lshlrev_b32_e32 v3, 20, v3
	v_lshl_add_u32 v5, v5, 23, v6
	v_or3_b32 v3, v4, v5, v3
.LBB13_1152:
	s_or_b64 exec, exec, s[6:7]
	s_nop 0
	v_mfma_f32_16x16x4f32 a[0:3], v2, v3, a[0:3]
	s_movk_i32 s4, 0x7f
                                        ; implicit-def: $sgpr10
	s_nop 7
	s_nop 1
	flat_store_dwordx4 v[10:11], a[0:3] offset:128
	flat_load_dwordx4 v[12:15], v[0:1] offset:8
	s_nop 0
	flat_load_dwordx2 v[10:11], v[0:1] offset:32
	s_waitcnt vmcnt(0) lgkmcnt(0)
	flat_load_dwordx4 v[6:9], v[12:13] offset:80
	flat_load_dwordx4 v[2:5], v[14:15] offset:48
	s_waitcnt vmcnt(0) lgkmcnt(0)
	v_cmp_gt_i16_sdwa s[6:7], v6, s4 src0_sel:BYTE_0 src1_sel:DWORD
	s_mov_b64 s[4:5], 0
	s_and_saveexec_b64 s[8:9], s[6:7]
	s_xor_b64 s[6:7], exec, s[8:9]
	s_cbranch_execnz .LBB13_3201
; %bb.1153:
	s_or_saveexec_b64 s[6:7], s[6:7]
	v_mov_b32_e32 v12, s10
	s_xor_b64 exec, exec, s[6:7]
	s_cbranch_execnz .LBB13_3204
.LBB13_1154:
	s_or_b64 exec, exec, s[6:7]
	s_and_saveexec_b64 s[6:7], s[4:5]
	s_cbranch_execz .LBB13_1156
.LBB13_1155:
	v_and_b32_e32 v12, 7, v6
	v_ffbh_u32_e32 v14, v12
	v_min_u32_e32 v14, 32, v14
	v_lshrrev_b16_e32 v13, 3, v6
	v_subrev_u32_e32 v15, 28, v14
	v_and_b32_e32 v13, 15, v13
	v_lshlrev_b32_e32 v15, v15, v6
	v_sub_u32_e32 v14, 29, v14
	v_and_b32_e32 v15, 7, v15
	v_cmp_eq_u16_e32 vcc, 0, v13
	v_cndmask_b32_e32 v12, v12, v15, vcc
	v_cndmask_b32_e32 v13, v13, v14, vcc
	v_lshlrev_b32_e32 v14, 24, v6
	v_mov_b32_e32 v15, 0x3b800000
	v_lshlrev_b32_e32 v12, 20, v12
	v_and_b32_e32 v14, 0x80000000, v14
	v_lshl_add_u32 v13, v13, 23, v15
	v_or3_b32 v12, v14, v13, v12
.LBB13_1156:
	s_or_b64 exec, exec, s[6:7]
	s_movk_i32 s4, 0x7f
	v_cmp_gt_i16_sdwa s[6:7], v2, s4 src0_sel:BYTE_0 src1_sel:DWORD
	s_mov_b64 s[4:5], 0
                                        ; implicit-def: $sgpr10
	s_and_saveexec_b64 s[8:9], s[6:7]
	s_xor_b64 s[6:7], exec, s[8:9]
	s_cbranch_execnz .LBB13_3205
; %bb.1157:
	s_or_saveexec_b64 s[6:7], s[6:7]
	v_mov_b32_e32 v13, s10
	s_xor_b64 exec, exec, s[6:7]
	s_cbranch_execnz .LBB13_3208
.LBB13_1158:
	s_or_b64 exec, exec, s[6:7]
	s_and_saveexec_b64 s[6:7], s[4:5]
	s_cbranch_execz .LBB13_1160
.LBB13_1159:
	v_and_b32_e32 v13, 7, v2
	v_ffbh_u32_e32 v15, v13
	v_min_u32_e32 v15, 32, v15
	v_lshrrev_b16_e32 v14, 3, v2
	v_subrev_u32_e32 v16, 28, v15
	v_and_b32_e32 v14, 15, v14
	v_lshlrev_b32_e32 v16, v16, v2
	v_sub_u32_e32 v15, 29, v15
	v_and_b32_e32 v16, 7, v16
	v_cmp_eq_u16_e32 vcc, 0, v14
	v_cndmask_b32_e32 v13, v13, v16, vcc
	v_cndmask_b32_e32 v14, v14, v15, vcc
	v_lshlrev_b32_e32 v15, 24, v2
	v_mov_b32_e32 v16, 0x3b800000
	v_lshlrev_b32_e32 v13, 20, v13
	v_and_b32_e32 v15, 0x80000000, v15
	v_lshl_add_u32 v14, v14, 23, v16
	v_or3_b32 v13, v15, v14, v13
.LBB13_1160:
	s_or_b64 exec, exec, s[6:7]
	flat_load_dwordx4 a[0:3], v[10:11] offset:144
	s_movk_i32 s4, 0x7f
                                        ; implicit-def: $sgpr10
	s_waitcnt vmcnt(0) lgkmcnt(0)
	v_mfma_f32_16x16x4f32 a[0:3], v12, v13, a[0:3]
	v_lshrrev_b32_e32 v13, 8, v6
	v_cmp_gt_i16_sdwa s[6:7], v13, s4 src0_sel:BYTE_0 src1_sel:DWORD
	s_mov_b64 s[4:5], 0
	s_and_saveexec_b64 s[8:9], s[6:7]
	s_xor_b64 s[6:7], exec, s[8:9]
	s_cbranch_execnz .LBB13_3209
; %bb.1161:
	s_or_saveexec_b64 s[6:7], s[6:7]
	v_mov_b32_e32 v12, s10
	s_xor_b64 exec, exec, s[6:7]
	s_cbranch_execnz .LBB13_3212
.LBB13_1162:
	s_or_b64 exec, exec, s[6:7]
	s_and_saveexec_b64 s[6:7], s[4:5]
	s_cbranch_execz .LBB13_1164
.LBB13_1163:
	v_bfe_u32 v12, v6, 8, 3
	v_ffbh_u32_e32 v15, v12
	v_min_u32_e32 v15, 32, v15
	v_lshrrev_b16_e32 v14, 3, v13
	v_subrev_u32_e32 v16, 28, v15
	v_and_b32_e32 v14, 15, v14
	v_lshlrev_b32_e32 v13, v16, v13
	v_sub_u32_e32 v15, 29, v15
	v_and_b32_e32 v13, 7, v13
	v_cmp_eq_u16_e32 vcc, 0, v14
	v_cndmask_b32_e32 v12, v12, v13, vcc
	v_cndmask_b32_e32 v13, v14, v15, vcc
	v_lshlrev_b32_e32 v14, 16, v6
	v_mov_b32_e32 v15, 0x3b800000
	v_lshlrev_b32_e32 v12, 20, v12
	v_and_b32_e32 v14, 0x80000000, v14
	v_lshl_add_u32 v13, v13, 23, v15
	v_or3_b32 v12, v14, v13, v12
.LBB13_1164:
	s_or_b64 exec, exec, s[6:7]
	v_lshrrev_b32_e32 v13, 8, v2
	s_movk_i32 s4, 0x7f
	v_cmp_gt_i16_sdwa s[6:7], v13, s4 src0_sel:BYTE_0 src1_sel:DWORD
	s_mov_b64 s[4:5], 0
                                        ; implicit-def: $sgpr10
	s_and_saveexec_b64 s[8:9], s[6:7]
	s_xor_b64 s[6:7], exec, s[8:9]
	s_cbranch_execnz .LBB13_3213
; %bb.1165:
	s_or_saveexec_b64 s[6:7], s[6:7]
	v_mov_b32_e32 v14, s10
	s_xor_b64 exec, exec, s[6:7]
	s_cbranch_execnz .LBB13_3216
.LBB13_1166:
	s_or_b64 exec, exec, s[6:7]
	s_and_saveexec_b64 s[6:7], s[4:5]
	s_cbranch_execz .LBB13_1168
.LBB13_1167:
	v_bfe_u32 v14, v2, 8, 3
	v_ffbh_u32_e32 v16, v14
	v_min_u32_e32 v16, 32, v16
	v_lshrrev_b16_e32 v15, 3, v13
	v_subrev_u32_e32 v17, 28, v16
	v_and_b32_e32 v15, 15, v15
	v_lshlrev_b32_e32 v13, v17, v13
	v_sub_u32_e32 v16, 29, v16
	v_and_b32_e32 v13, 7, v13
	v_cmp_eq_u16_e32 vcc, 0, v15
	v_cndmask_b32_e32 v13, v14, v13, vcc
	v_cndmask_b32_e32 v14, v15, v16, vcc
	v_lshlrev_b32_e32 v15, 16, v2
	v_mov_b32_e32 v16, 0x3b800000
	v_lshlrev_b32_e32 v13, 20, v13
	v_and_b32_e32 v15, 0x80000000, v15
	v_lshl_add_u32 v14, v14, 23, v16
	v_or3_b32 v14, v15, v14, v13
.LBB13_1168:
	s_or_b64 exec, exec, s[6:7]
	s_nop 0
	v_mfma_f32_16x16x4f32 a[0:3], v12, v14, a[0:3]
	s_movk_i32 s4, 0xff
	v_and_b32_sdwa v13, v6, s4 dst_sel:DWORD dst_unused:UNUSED_PAD src0_sel:WORD_1 src1_sel:DWORD
	s_movk_i32 s4, 0x7f
	v_cmp_lt_i16_e32 vcc, s4, v13
	s_mov_b64 s[4:5], 0
                                        ; implicit-def: $sgpr10
	s_and_saveexec_b64 s[6:7], vcc
	s_xor_b64 s[6:7], exec, s[6:7]
	s_cbranch_execnz .LBB13_3217
; %bb.1169:
	s_or_saveexec_b64 s[6:7], s[6:7]
	v_mov_b32_e32 v12, s10
	s_xor_b64 exec, exec, s[6:7]
	s_cbranch_execnz .LBB13_3220
.LBB13_1170:
	s_or_b64 exec, exec, s[6:7]
	s_and_saveexec_b64 s[6:7], s[4:5]
	s_cbranch_execz .LBB13_1172
.LBB13_1171:
	v_bfe_u32 v12, v6, 16, 3
	v_ffbh_u32_e32 v15, v12
	v_min_u32_e32 v15, 32, v15
	v_lshrrev_b32_e32 v13, 19, v6
	v_subrev_u32_e32 v16, 28, v15
	v_and_b32_e32 v13, 15, v13
	v_lshlrev_b32_sdwa v16, v16, v6 dst_sel:DWORD dst_unused:UNUSED_PAD src0_sel:DWORD src1_sel:WORD_1
	v_bfe_u32 v14, v6, 19, 4
	v_sub_u32_e32 v15, 29, v15
	v_and_b32_e32 v16, 7, v16
	v_cmp_eq_u16_e32 vcc, 0, v13
	v_cndmask_b32_e32 v12, v12, v16, vcc
	v_cndmask_b32_e32 v13, v14, v15, vcc
	v_lshlrev_b32_e32 v14, 8, v6
	v_mov_b32_e32 v15, 0x3b800000
	v_lshlrev_b32_e32 v12, 20, v12
	v_and_b32_e32 v14, 0x80000000, v14
	v_lshl_add_u32 v13, v13, 23, v15
	v_or3_b32 v12, v14, v13, v12
.LBB13_1172:
	s_or_b64 exec, exec, s[6:7]
	s_movk_i32 s4, 0xff
	v_and_b32_sdwa v13, v2, s4 dst_sel:DWORD dst_unused:UNUSED_PAD src0_sel:WORD_1 src1_sel:DWORD
	s_movk_i32 s4, 0x7f
	v_cmp_lt_i16_e32 vcc, s4, v13
	s_mov_b64 s[4:5], 0
                                        ; implicit-def: $sgpr10
	s_and_saveexec_b64 s[6:7], vcc
	s_xor_b64 s[6:7], exec, s[6:7]
	s_cbranch_execnz .LBB13_3221
; %bb.1173:
	s_or_saveexec_b64 s[6:7], s[6:7]
	v_mov_b32_e32 v14, s10
	s_xor_b64 exec, exec, s[6:7]
	s_cbranch_execnz .LBB13_3224
.LBB13_1174:
	s_or_b64 exec, exec, s[6:7]
	s_and_saveexec_b64 s[6:7], s[4:5]
	s_cbranch_execz .LBB13_1176
.LBB13_1175:
	v_bfe_u32 v13, v2, 16, 3
	v_ffbh_u32_e32 v16, v13
	v_min_u32_e32 v16, 32, v16
	v_lshrrev_b32_e32 v14, 19, v2
	v_subrev_u32_e32 v17, 28, v16
	v_and_b32_e32 v14, 15, v14
	v_lshlrev_b32_sdwa v17, v17, v2 dst_sel:DWORD dst_unused:UNUSED_PAD src0_sel:DWORD src1_sel:WORD_1
	v_bfe_u32 v15, v2, 19, 4
	v_sub_u32_e32 v16, 29, v16
	v_and_b32_e32 v17, 7, v17
	v_cmp_eq_u16_e32 vcc, 0, v14
	v_cndmask_b32_e32 v13, v13, v17, vcc
	v_cndmask_b32_e32 v14, v15, v16, vcc
	v_lshlrev_b32_e32 v15, 8, v2
	v_mov_b32_e32 v16, 0x3b800000
	v_lshlrev_b32_e32 v13, 20, v13
	v_and_b32_e32 v15, 0x80000000, v15
	v_lshl_add_u32 v14, v14, 23, v16
	v_or3_b32 v14, v15, v14, v13
.LBB13_1176:
	s_or_b64 exec, exec, s[6:7]
	s_nop 0
	v_mfma_f32_16x16x4f32 a[0:3], v12, v14, a[0:3]
	s_movk_i32 s4, 0x7f
	v_cmp_gt_i16_sdwa s[6:7], v6, s4 src0_sel:BYTE_3 src1_sel:DWORD
	s_mov_b64 s[4:5], 0
                                        ; implicit-def: $sgpr10
	s_and_saveexec_b64 s[8:9], s[6:7]
	s_xor_b64 s[6:7], exec, s[8:9]
	s_cbranch_execnz .LBB13_3225
; %bb.1177:
	s_or_saveexec_b64 s[6:7], s[6:7]
	v_mov_b32_e32 v12, s10
	s_xor_b64 exec, exec, s[6:7]
	s_cbranch_execnz .LBB13_3228
.LBB13_1178:
	s_or_b64 exec, exec, s[6:7]
	s_and_saveexec_b64 s[6:7], s[4:5]
	s_cbranch_execz .LBB13_1180
.LBB13_1179:
	v_bfe_u32 v12, v6, 24, 3
	v_ffbh_u32_e32 v16, v12
	v_min_u32_e32 v16, 32, v16
	v_lshrrev_b32_e32 v14, 27, v6
	v_subrev_u32_e32 v17, 28, v16
	v_and_b32_e32 v13, 0x80000000, v6
	v_and_b32_e32 v14, 15, v14
	v_bfe_u32 v15, v6, 27, 4
	v_lshlrev_b32_sdwa v6, v17, v6 dst_sel:DWORD dst_unused:UNUSED_PAD src0_sel:DWORD src1_sel:BYTE_3
	v_sub_u32_e32 v16, 29, v16
	v_and_b32_e32 v6, 7, v6
	v_cmp_eq_u16_e32 vcc, 0, v14
	v_cndmask_b32_e32 v6, v12, v6, vcc
	v_cndmask_b32_e32 v12, v15, v16, vcc
	v_mov_b32_e32 v14, 0x3b800000
	v_lshlrev_b32_e32 v6, 20, v6
	v_lshl_add_u32 v12, v12, 23, v14
	v_or3_b32 v12, v13, v12, v6
.LBB13_1180:
	s_or_b64 exec, exec, s[6:7]
	s_movk_i32 s4, 0x7f
	v_cmp_gt_i16_sdwa s[6:7], v2, s4 src0_sel:BYTE_3 src1_sel:DWORD
	s_mov_b64 s[4:5], 0
                                        ; implicit-def: $sgpr10
	s_and_saveexec_b64 s[8:9], s[6:7]
	s_xor_b64 s[6:7], exec, s[8:9]
	s_cbranch_execnz .LBB13_3229
; %bb.1181:
	s_or_saveexec_b64 s[6:7], s[6:7]
	v_mov_b32_e32 v6, s10
	s_xor_b64 exec, exec, s[6:7]
	s_cbranch_execnz .LBB13_3232
.LBB13_1182:
	s_or_b64 exec, exec, s[6:7]
	s_and_saveexec_b64 s[6:7], s[4:5]
	s_cbranch_execz .LBB13_1184
.LBB13_1183:
	v_bfe_u32 v6, v2, 24, 3
	v_ffbh_u32_e32 v16, v6
	v_min_u32_e32 v16, 32, v16
	v_lshrrev_b32_e32 v14, 27, v2
	v_subrev_u32_e32 v17, 28, v16
	v_and_b32_e32 v13, 0x80000000, v2
	v_and_b32_e32 v14, 15, v14
	v_bfe_u32 v15, v2, 27, 4
	v_lshlrev_b32_sdwa v2, v17, v2 dst_sel:DWORD dst_unused:UNUSED_PAD src0_sel:DWORD src1_sel:BYTE_3
	v_sub_u32_e32 v16, 29, v16
	v_and_b32_e32 v2, 7, v2
	v_cmp_eq_u16_e32 vcc, 0, v14
	v_cndmask_b32_e32 v2, v6, v2, vcc
	v_cndmask_b32_e32 v6, v15, v16, vcc
	v_mov_b32_e32 v14, 0x3b800000
	v_lshlrev_b32_e32 v2, 20, v2
	v_lshl_add_u32 v6, v6, 23, v14
	v_or3_b32 v6, v13, v6, v2
.LBB13_1184:
	s_or_b64 exec, exec, s[6:7]
	s_nop 0
	v_mfma_f32_16x16x4f32 a[0:3], v12, v6, a[0:3]
	s_movk_i32 s4, 0x7f
	v_cmp_gt_i16_sdwa s[6:7], v7, s4 src0_sel:BYTE_0 src1_sel:DWORD
	s_mov_b64 s[4:5], 0
                                        ; implicit-def: $sgpr10
	s_and_saveexec_b64 s[8:9], s[6:7]
	s_xor_b64 s[6:7], exec, s[8:9]
	s_cbranch_execnz .LBB13_3233
; %bb.1185:
	s_or_saveexec_b64 s[6:7], s[6:7]
	v_mov_b32_e32 v2, s10
	s_xor_b64 exec, exec, s[6:7]
	s_cbranch_execnz .LBB13_3236
.LBB13_1186:
	s_or_b64 exec, exec, s[6:7]
	s_and_saveexec_b64 s[6:7], s[4:5]
	s_cbranch_execz .LBB13_1188
.LBB13_1187:
	v_and_b32_e32 v2, 7, v7
	v_ffbh_u32_e32 v12, v2
	v_min_u32_e32 v12, 32, v12
	v_lshrrev_b16_e32 v6, 3, v7
	v_subrev_u32_e32 v13, 28, v12
	v_and_b32_e32 v6, 15, v6
	v_lshlrev_b32_e32 v13, v13, v7
	v_sub_u32_e32 v12, 29, v12
	v_and_b32_e32 v13, 7, v13
	v_cmp_eq_u16_e32 vcc, 0, v6
	v_cndmask_b32_e32 v2, v2, v13, vcc
	v_cndmask_b32_e32 v6, v6, v12, vcc
	v_lshlrev_b32_e32 v12, 24, v7
	v_mov_b32_e32 v13, 0x3b800000
	v_lshlrev_b32_e32 v2, 20, v2
	v_and_b32_e32 v12, 0x80000000, v12
	v_lshl_add_u32 v6, v6, 23, v13
	v_or3_b32 v2, v12, v6, v2
.LBB13_1188:
	s_or_b64 exec, exec, s[6:7]
	s_movk_i32 s4, 0x7f
	v_cmp_gt_i16_sdwa s[6:7], v3, s4 src0_sel:BYTE_0 src1_sel:DWORD
	s_mov_b64 s[4:5], 0
                                        ; implicit-def: $sgpr10
	s_and_saveexec_b64 s[8:9], s[6:7]
	s_xor_b64 s[6:7], exec, s[8:9]
	s_cbranch_execnz .LBB13_3237
; %bb.1189:
	s_or_saveexec_b64 s[6:7], s[6:7]
	v_mov_b32_e32 v6, s10
	s_xor_b64 exec, exec, s[6:7]
	s_cbranch_execnz .LBB13_3240
.LBB13_1190:
	s_or_b64 exec, exec, s[6:7]
	s_and_saveexec_b64 s[6:7], s[4:5]
	s_cbranch_execz .LBB13_1192
.LBB13_1191:
	v_and_b32_e32 v6, 7, v3
	v_ffbh_u32_e32 v13, v6
	v_min_u32_e32 v13, 32, v13
	v_lshrrev_b16_e32 v12, 3, v3
	v_subrev_u32_e32 v14, 28, v13
	v_and_b32_e32 v12, 15, v12
	v_lshlrev_b32_e32 v14, v14, v3
	v_sub_u32_e32 v13, 29, v13
	v_and_b32_e32 v14, 7, v14
	v_cmp_eq_u16_e32 vcc, 0, v12
	v_cndmask_b32_e32 v6, v6, v14, vcc
	v_cndmask_b32_e32 v12, v12, v13, vcc
	v_lshlrev_b32_e32 v13, 24, v3
	v_mov_b32_e32 v14, 0x3b800000
	v_lshlrev_b32_e32 v6, 20, v6
	v_and_b32_e32 v13, 0x80000000, v13
	v_lshl_add_u32 v12, v12, 23, v14
	v_or3_b32 v6, v13, v12, v6
.LBB13_1192:
	s_or_b64 exec, exec, s[6:7]
	s_nop 0
	v_mfma_f32_16x16x4f32 a[0:3], v2, v6, a[0:3]
	v_lshrrev_b32_e32 v6, 8, v7
	s_movk_i32 s4, 0x7f
	v_cmp_gt_i16_sdwa s[6:7], v6, s4 src0_sel:BYTE_0 src1_sel:DWORD
	s_mov_b64 s[4:5], 0
                                        ; implicit-def: $sgpr10
	s_and_saveexec_b64 s[8:9], s[6:7]
	s_xor_b64 s[6:7], exec, s[8:9]
	s_cbranch_execnz .LBB13_3241
; %bb.1193:
	s_or_saveexec_b64 s[6:7], s[6:7]
	v_mov_b32_e32 v2, s10
	s_xor_b64 exec, exec, s[6:7]
	s_cbranch_execnz .LBB13_3244
.LBB13_1194:
	s_or_b64 exec, exec, s[6:7]
	s_and_saveexec_b64 s[6:7], s[4:5]
	s_cbranch_execz .LBB13_1196
.LBB13_1195:
	v_bfe_u32 v2, v7, 8, 3
	v_ffbh_u32_e32 v13, v2
	v_min_u32_e32 v13, 32, v13
	v_lshrrev_b16_e32 v12, 3, v6
	v_subrev_u32_e32 v14, 28, v13
	v_and_b32_e32 v12, 15, v12
	v_lshlrev_b32_e32 v6, v14, v6
	v_sub_u32_e32 v13, 29, v13
	v_and_b32_e32 v6, 7, v6
	v_cmp_eq_u16_e32 vcc, 0, v12
	v_cndmask_b32_e32 v2, v2, v6, vcc
	v_cndmask_b32_e32 v6, v12, v13, vcc
	v_lshlrev_b32_e32 v12, 16, v7
	v_mov_b32_e32 v13, 0x3b800000
	v_lshlrev_b32_e32 v2, 20, v2
	v_and_b32_e32 v12, 0x80000000, v12
	v_lshl_add_u32 v6, v6, 23, v13
	v_or3_b32 v2, v12, v6, v2
.LBB13_1196:
	s_or_b64 exec, exec, s[6:7]
	v_lshrrev_b32_e32 v6, 8, v3
	s_movk_i32 s4, 0x7f
	v_cmp_gt_i16_sdwa s[6:7], v6, s4 src0_sel:BYTE_0 src1_sel:DWORD
	s_mov_b64 s[4:5], 0
                                        ; implicit-def: $sgpr10
	s_and_saveexec_b64 s[8:9], s[6:7]
	s_xor_b64 s[6:7], exec, s[8:9]
	s_cbranch_execnz .LBB13_3245
; %bb.1197:
	s_or_saveexec_b64 s[6:7], s[6:7]
	v_mov_b32_e32 v12, s10
	s_xor_b64 exec, exec, s[6:7]
	s_cbranch_execnz .LBB13_3248
.LBB13_1198:
	s_or_b64 exec, exec, s[6:7]
	s_and_saveexec_b64 s[6:7], s[4:5]
	s_cbranch_execz .LBB13_1200
.LBB13_1199:
	v_bfe_u32 v12, v3, 8, 3
	v_ffbh_u32_e32 v14, v12
	v_min_u32_e32 v14, 32, v14
	v_lshrrev_b16_e32 v13, 3, v6
	v_subrev_u32_e32 v15, 28, v14
	v_and_b32_e32 v13, 15, v13
	v_lshlrev_b32_e32 v6, v15, v6
	v_sub_u32_e32 v14, 29, v14
	v_and_b32_e32 v6, 7, v6
	v_cmp_eq_u16_e32 vcc, 0, v13
	v_cndmask_b32_e32 v6, v12, v6, vcc
	v_cndmask_b32_e32 v12, v13, v14, vcc
	v_lshlrev_b32_e32 v13, 16, v3
	v_mov_b32_e32 v14, 0x3b800000
	v_lshlrev_b32_e32 v6, 20, v6
	v_and_b32_e32 v13, 0x80000000, v13
	v_lshl_add_u32 v12, v12, 23, v14
	v_or3_b32 v12, v13, v12, v6
.LBB13_1200:
	s_or_b64 exec, exec, s[6:7]
	s_nop 0
	v_mfma_f32_16x16x4f32 a[0:3], v2, v12, a[0:3]
	s_movk_i32 s4, 0xff
	v_and_b32_sdwa v6, v7, s4 dst_sel:DWORD dst_unused:UNUSED_PAD src0_sel:WORD_1 src1_sel:DWORD
	s_movk_i32 s4, 0x7f
	v_cmp_lt_i16_e32 vcc, s4, v6
	s_mov_b64 s[4:5], 0
                                        ; implicit-def: $sgpr10
	s_and_saveexec_b64 s[6:7], vcc
	s_xor_b64 s[6:7], exec, s[6:7]
	s_cbranch_execnz .LBB13_3249
; %bb.1201:
	s_or_saveexec_b64 s[6:7], s[6:7]
	v_mov_b32_e32 v2, s10
	s_xor_b64 exec, exec, s[6:7]
	s_cbranch_execnz .LBB13_3252
.LBB13_1202:
	s_or_b64 exec, exec, s[6:7]
	s_and_saveexec_b64 s[6:7], s[4:5]
	s_cbranch_execz .LBB13_1204
.LBB13_1203:
	v_bfe_u32 v2, v7, 16, 3
	v_ffbh_u32_e32 v13, v2
	v_min_u32_e32 v13, 32, v13
	v_lshrrev_b32_e32 v6, 19, v7
	v_subrev_u32_e32 v14, 28, v13
	v_and_b32_e32 v6, 15, v6
	v_lshlrev_b32_sdwa v14, v14, v7 dst_sel:DWORD dst_unused:UNUSED_PAD src0_sel:DWORD src1_sel:WORD_1
	v_bfe_u32 v12, v7, 19, 4
	v_sub_u32_e32 v13, 29, v13
	v_and_b32_e32 v14, 7, v14
	v_cmp_eq_u16_e32 vcc, 0, v6
	v_cndmask_b32_e32 v2, v2, v14, vcc
	v_cndmask_b32_e32 v6, v12, v13, vcc
	v_lshlrev_b32_e32 v12, 8, v7
	v_mov_b32_e32 v13, 0x3b800000
	v_lshlrev_b32_e32 v2, 20, v2
	v_and_b32_e32 v12, 0x80000000, v12
	v_lshl_add_u32 v6, v6, 23, v13
	v_or3_b32 v2, v12, v6, v2
.LBB13_1204:
	s_or_b64 exec, exec, s[6:7]
	s_movk_i32 s4, 0xff
	v_and_b32_sdwa v6, v3, s4 dst_sel:DWORD dst_unused:UNUSED_PAD src0_sel:WORD_1 src1_sel:DWORD
	s_movk_i32 s4, 0x7f
	v_cmp_lt_i16_e32 vcc, s4, v6
	s_mov_b64 s[4:5], 0
                                        ; implicit-def: $sgpr10
	s_and_saveexec_b64 s[6:7], vcc
	s_xor_b64 s[6:7], exec, s[6:7]
	s_cbranch_execnz .LBB13_3253
; %bb.1205:
	s_or_saveexec_b64 s[6:7], s[6:7]
	v_mov_b32_e32 v12, s10
	s_xor_b64 exec, exec, s[6:7]
	s_cbranch_execnz .LBB13_3256
.LBB13_1206:
	s_or_b64 exec, exec, s[6:7]
	s_and_saveexec_b64 s[6:7], s[4:5]
	s_cbranch_execz .LBB13_1208
.LBB13_1207:
	v_bfe_u32 v6, v3, 16, 3
	v_ffbh_u32_e32 v14, v6
	v_min_u32_e32 v14, 32, v14
	v_lshrrev_b32_e32 v12, 19, v3
	v_subrev_u32_e32 v15, 28, v14
	v_and_b32_e32 v12, 15, v12
	v_lshlrev_b32_sdwa v15, v15, v3 dst_sel:DWORD dst_unused:UNUSED_PAD src0_sel:DWORD src1_sel:WORD_1
	v_bfe_u32 v13, v3, 19, 4
	v_sub_u32_e32 v14, 29, v14
	v_and_b32_e32 v15, 7, v15
	v_cmp_eq_u16_e32 vcc, 0, v12
	v_cndmask_b32_e32 v6, v6, v15, vcc
	v_cndmask_b32_e32 v12, v13, v14, vcc
	v_lshlrev_b32_e32 v13, 8, v3
	v_mov_b32_e32 v14, 0x3b800000
	v_lshlrev_b32_e32 v6, 20, v6
	v_and_b32_e32 v13, 0x80000000, v13
	v_lshl_add_u32 v12, v12, 23, v14
	v_or3_b32 v12, v13, v12, v6
.LBB13_1208:
	s_or_b64 exec, exec, s[6:7]
	s_nop 0
	v_mfma_f32_16x16x4f32 a[0:3], v2, v12, a[0:3]
	s_movk_i32 s4, 0x7f
	v_cmp_gt_i16_sdwa s[6:7], v7, s4 src0_sel:BYTE_3 src1_sel:DWORD
	s_mov_b64 s[4:5], 0
                                        ; implicit-def: $sgpr10
	s_and_saveexec_b64 s[8:9], s[6:7]
	s_xor_b64 s[6:7], exec, s[8:9]
	s_cbranch_execnz .LBB13_3257
; %bb.1209:
	s_or_saveexec_b64 s[6:7], s[6:7]
	v_mov_b32_e32 v2, s10
	s_xor_b64 exec, exec, s[6:7]
	s_cbranch_execnz .LBB13_3260
.LBB13_1210:
	s_or_b64 exec, exec, s[6:7]
	s_and_saveexec_b64 s[6:7], s[4:5]
	s_cbranch_execz .LBB13_1212
.LBB13_1211:
	v_bfe_u32 v2, v7, 24, 3
	v_ffbh_u32_e32 v14, v2
	v_min_u32_e32 v14, 32, v14
	v_lshrrev_b32_e32 v12, 27, v7
	v_subrev_u32_e32 v15, 28, v14
	v_and_b32_e32 v6, 0x80000000, v7
	v_and_b32_e32 v12, 15, v12
	v_bfe_u32 v13, v7, 27, 4
	v_lshlrev_b32_sdwa v7, v15, v7 dst_sel:DWORD dst_unused:UNUSED_PAD src0_sel:DWORD src1_sel:BYTE_3
	v_sub_u32_e32 v14, 29, v14
	v_and_b32_e32 v7, 7, v7
	v_cmp_eq_u16_e32 vcc, 0, v12
	v_cndmask_b32_e32 v2, v2, v7, vcc
	v_cndmask_b32_e32 v7, v13, v14, vcc
	v_mov_b32_e32 v12, 0x3b800000
	v_lshlrev_b32_e32 v2, 20, v2
	v_lshl_add_u32 v7, v7, 23, v12
	v_or3_b32 v2, v6, v7, v2
.LBB13_1212:
	s_or_b64 exec, exec, s[6:7]
	s_movk_i32 s4, 0x7f
	v_cmp_gt_i16_sdwa s[6:7], v3, s4 src0_sel:BYTE_3 src1_sel:DWORD
	s_mov_b64 s[4:5], 0
                                        ; implicit-def: $sgpr10
	s_and_saveexec_b64 s[8:9], s[6:7]
	s_xor_b64 s[6:7], exec, s[8:9]
	s_cbranch_execnz .LBB13_3261
; %bb.1213:
	s_or_saveexec_b64 s[6:7], s[6:7]
	v_mov_b32_e32 v6, s10
	s_xor_b64 exec, exec, s[6:7]
	s_cbranch_execnz .LBB13_3264
.LBB13_1214:
	s_or_b64 exec, exec, s[6:7]
	s_and_saveexec_b64 s[6:7], s[4:5]
	s_cbranch_execz .LBB13_1216
.LBB13_1215:
	v_bfe_u32 v6, v3, 24, 3
	v_ffbh_u32_e32 v14, v6
	v_min_u32_e32 v14, 32, v14
	v_lshrrev_b32_e32 v12, 27, v3
	v_subrev_u32_e32 v15, 28, v14
	v_and_b32_e32 v7, 0x80000000, v3
	v_and_b32_e32 v12, 15, v12
	v_bfe_u32 v13, v3, 27, 4
	v_lshlrev_b32_sdwa v3, v15, v3 dst_sel:DWORD dst_unused:UNUSED_PAD src0_sel:DWORD src1_sel:BYTE_3
	v_sub_u32_e32 v14, 29, v14
	v_and_b32_e32 v3, 7, v3
	v_cmp_eq_u16_e32 vcc, 0, v12
	v_cndmask_b32_e32 v3, v6, v3, vcc
	v_cndmask_b32_e32 v6, v13, v14, vcc
	v_mov_b32_e32 v12, 0x3b800000
	v_lshlrev_b32_e32 v3, 20, v3
	v_lshl_add_u32 v6, v6, 23, v12
	v_or3_b32 v6, v7, v6, v3
.LBB13_1216:
	s_or_b64 exec, exec, s[6:7]
	s_nop 0
	v_mfma_f32_16x16x4f32 a[0:3], v2, v6, a[0:3]
	s_movk_i32 s4, 0x7f
	v_cmp_gt_i16_sdwa s[6:7], v8, s4 src0_sel:BYTE_0 src1_sel:DWORD
	s_mov_b64 s[4:5], 0
                                        ; implicit-def: $sgpr10
	s_and_saveexec_b64 s[8:9], s[6:7]
	s_xor_b64 s[6:7], exec, s[8:9]
	s_cbranch_execnz .LBB13_3265
; %bb.1217:
	s_or_saveexec_b64 s[6:7], s[6:7]
	v_mov_b32_e32 v2, s10
	s_xor_b64 exec, exec, s[6:7]
	s_cbranch_execnz .LBB13_3268
.LBB13_1218:
	s_or_b64 exec, exec, s[6:7]
	s_and_saveexec_b64 s[6:7], s[4:5]
	s_cbranch_execz .LBB13_1220
.LBB13_1219:
	v_and_b32_e32 v2, 7, v8
	v_ffbh_u32_e32 v6, v2
	v_min_u32_e32 v6, 32, v6
	v_lshrrev_b16_e32 v3, 3, v8
	v_subrev_u32_e32 v7, 28, v6
	v_and_b32_e32 v3, 15, v3
	v_lshlrev_b32_e32 v7, v7, v8
	v_sub_u32_e32 v6, 29, v6
	v_and_b32_e32 v7, 7, v7
	v_cmp_eq_u16_e32 vcc, 0, v3
	v_cndmask_b32_e32 v2, v2, v7, vcc
	v_cndmask_b32_e32 v3, v3, v6, vcc
	v_lshlrev_b32_e32 v6, 24, v8
	v_mov_b32_e32 v7, 0x3b800000
	v_lshlrev_b32_e32 v2, 20, v2
	v_and_b32_e32 v6, 0x80000000, v6
	v_lshl_add_u32 v3, v3, 23, v7
	v_or3_b32 v2, v6, v3, v2
.LBB13_1220:
	s_or_b64 exec, exec, s[6:7]
	s_movk_i32 s4, 0x7f
	v_cmp_gt_i16_sdwa s[6:7], v4, s4 src0_sel:BYTE_0 src1_sel:DWORD
	s_mov_b64 s[4:5], 0
                                        ; implicit-def: $sgpr10
	s_and_saveexec_b64 s[8:9], s[6:7]
	s_xor_b64 s[6:7], exec, s[8:9]
	s_cbranch_execnz .LBB13_3269
; %bb.1221:
	s_or_saveexec_b64 s[6:7], s[6:7]
	v_mov_b32_e32 v3, s10
	s_xor_b64 exec, exec, s[6:7]
	s_cbranch_execnz .LBB13_3272
.LBB13_1222:
	s_or_b64 exec, exec, s[6:7]
	s_and_saveexec_b64 s[6:7], s[4:5]
	s_cbranch_execz .LBB13_1224
.LBB13_1223:
	v_and_b32_e32 v3, 7, v4
	v_ffbh_u32_e32 v7, v3
	v_min_u32_e32 v7, 32, v7
	v_lshrrev_b16_e32 v6, 3, v4
	v_subrev_u32_e32 v12, 28, v7
	v_and_b32_e32 v6, 15, v6
	v_lshlrev_b32_e32 v12, v12, v4
	v_sub_u32_e32 v7, 29, v7
	v_and_b32_e32 v12, 7, v12
	v_cmp_eq_u16_e32 vcc, 0, v6
	v_cndmask_b32_e32 v3, v3, v12, vcc
	v_cndmask_b32_e32 v6, v6, v7, vcc
	v_lshlrev_b32_e32 v7, 24, v4
	v_mov_b32_e32 v12, 0x3b800000
	v_lshlrev_b32_e32 v3, 20, v3
	v_and_b32_e32 v7, 0x80000000, v7
	v_lshl_add_u32 v6, v6, 23, v12
	v_or3_b32 v3, v7, v6, v3
.LBB13_1224:
	s_or_b64 exec, exec, s[6:7]
	s_nop 0
	v_mfma_f32_16x16x4f32 a[0:3], v2, v3, a[0:3]
	v_lshrrev_b32_e32 v3, 8, v8
	s_movk_i32 s4, 0x7f
	v_cmp_gt_i16_sdwa s[6:7], v3, s4 src0_sel:BYTE_0 src1_sel:DWORD
	s_mov_b64 s[4:5], 0
                                        ; implicit-def: $sgpr10
	s_and_saveexec_b64 s[8:9], s[6:7]
	s_xor_b64 s[6:7], exec, s[8:9]
	s_cbranch_execnz .LBB13_3273
; %bb.1225:
	s_or_saveexec_b64 s[6:7], s[6:7]
	v_mov_b32_e32 v2, s10
	s_xor_b64 exec, exec, s[6:7]
	s_cbranch_execnz .LBB13_3276
.LBB13_1226:
	s_or_b64 exec, exec, s[6:7]
	s_and_saveexec_b64 s[6:7], s[4:5]
	s_cbranch_execz .LBB13_1228
.LBB13_1227:
	v_bfe_u32 v2, v8, 8, 3
	v_ffbh_u32_e32 v7, v2
	v_min_u32_e32 v7, 32, v7
	v_lshrrev_b16_e32 v6, 3, v3
	v_subrev_u32_e32 v12, 28, v7
	v_and_b32_e32 v6, 15, v6
	v_lshlrev_b32_e32 v3, v12, v3
	v_sub_u32_e32 v7, 29, v7
	v_and_b32_e32 v3, 7, v3
	v_cmp_eq_u16_e32 vcc, 0, v6
	v_cndmask_b32_e32 v2, v2, v3, vcc
	v_cndmask_b32_e32 v3, v6, v7, vcc
	v_lshlrev_b32_e32 v6, 16, v8
	v_mov_b32_e32 v7, 0x3b800000
	v_lshlrev_b32_e32 v2, 20, v2
	v_and_b32_e32 v6, 0x80000000, v6
	v_lshl_add_u32 v3, v3, 23, v7
	v_or3_b32 v2, v6, v3, v2
.LBB13_1228:
	s_or_b64 exec, exec, s[6:7]
	v_lshrrev_b32_e32 v3, 8, v4
	s_movk_i32 s4, 0x7f
	v_cmp_gt_i16_sdwa s[6:7], v3, s4 src0_sel:BYTE_0 src1_sel:DWORD
	s_mov_b64 s[4:5], 0
                                        ; implicit-def: $sgpr10
	s_and_saveexec_b64 s[8:9], s[6:7]
	s_xor_b64 s[6:7], exec, s[8:9]
	s_cbranch_execnz .LBB13_3277
; %bb.1229:
	s_or_saveexec_b64 s[6:7], s[6:7]
	v_mov_b32_e32 v6, s10
	s_xor_b64 exec, exec, s[6:7]
	s_cbranch_execnz .LBB13_3280
.LBB13_1230:
	s_or_b64 exec, exec, s[6:7]
	s_and_saveexec_b64 s[6:7], s[4:5]
	s_cbranch_execz .LBB13_1232
.LBB13_1231:
	v_bfe_u32 v6, v4, 8, 3
	v_ffbh_u32_e32 v12, v6
	v_min_u32_e32 v12, 32, v12
	v_lshrrev_b16_e32 v7, 3, v3
	v_subrev_u32_e32 v13, 28, v12
	v_and_b32_e32 v7, 15, v7
	v_lshlrev_b32_e32 v3, v13, v3
	v_sub_u32_e32 v12, 29, v12
	v_and_b32_e32 v3, 7, v3
	v_cmp_eq_u16_e32 vcc, 0, v7
	v_cndmask_b32_e32 v3, v6, v3, vcc
	v_cndmask_b32_e32 v6, v7, v12, vcc
	v_lshlrev_b32_e32 v7, 16, v4
	v_mov_b32_e32 v12, 0x3b800000
	v_lshlrev_b32_e32 v3, 20, v3
	v_and_b32_e32 v7, 0x80000000, v7
	v_lshl_add_u32 v6, v6, 23, v12
	v_or3_b32 v6, v7, v6, v3
.LBB13_1232:
	s_or_b64 exec, exec, s[6:7]
	s_nop 0
	v_mfma_f32_16x16x4f32 a[0:3], v2, v6, a[0:3]
	s_movk_i32 s4, 0xff
	v_and_b32_sdwa v3, v8, s4 dst_sel:DWORD dst_unused:UNUSED_PAD src0_sel:WORD_1 src1_sel:DWORD
	s_movk_i32 s4, 0x7f
	v_cmp_lt_i16_e32 vcc, s4, v3
	s_mov_b64 s[4:5], 0
                                        ; implicit-def: $sgpr10
	s_and_saveexec_b64 s[6:7], vcc
	s_xor_b64 s[6:7], exec, s[6:7]
	s_cbranch_execnz .LBB13_3281
; %bb.1233:
	s_or_saveexec_b64 s[6:7], s[6:7]
	v_mov_b32_e32 v2, s10
	s_xor_b64 exec, exec, s[6:7]
	s_cbranch_execnz .LBB13_3284
.LBB13_1234:
	s_or_b64 exec, exec, s[6:7]
	s_and_saveexec_b64 s[6:7], s[4:5]
	s_cbranch_execz .LBB13_1236
.LBB13_1235:
	v_bfe_u32 v2, v8, 16, 3
	v_ffbh_u32_e32 v7, v2
	v_min_u32_e32 v7, 32, v7
	v_lshrrev_b32_e32 v3, 19, v8
	v_subrev_u32_e32 v12, 28, v7
	v_and_b32_e32 v3, 15, v3
	v_lshlrev_b32_sdwa v12, v12, v8 dst_sel:DWORD dst_unused:UNUSED_PAD src0_sel:DWORD src1_sel:WORD_1
	v_bfe_u32 v6, v8, 19, 4
	v_sub_u32_e32 v7, 29, v7
	v_and_b32_e32 v12, 7, v12
	v_cmp_eq_u16_e32 vcc, 0, v3
	v_cndmask_b32_e32 v2, v2, v12, vcc
	v_cndmask_b32_e32 v3, v6, v7, vcc
	v_lshlrev_b32_e32 v6, 8, v8
	v_mov_b32_e32 v7, 0x3b800000
	v_lshlrev_b32_e32 v2, 20, v2
	v_and_b32_e32 v6, 0x80000000, v6
	v_lshl_add_u32 v3, v3, 23, v7
	v_or3_b32 v2, v6, v3, v2
.LBB13_1236:
	s_or_b64 exec, exec, s[6:7]
	s_movk_i32 s4, 0xff
	v_and_b32_sdwa v3, v4, s4 dst_sel:DWORD dst_unused:UNUSED_PAD src0_sel:WORD_1 src1_sel:DWORD
	s_movk_i32 s4, 0x7f
	v_cmp_lt_i16_e32 vcc, s4, v3
	s_mov_b64 s[4:5], 0
                                        ; implicit-def: $sgpr10
	s_and_saveexec_b64 s[6:7], vcc
	s_xor_b64 s[6:7], exec, s[6:7]
	s_cbranch_execnz .LBB13_3285
; %bb.1237:
	s_or_saveexec_b64 s[6:7], s[6:7]
	v_mov_b32_e32 v6, s10
	s_xor_b64 exec, exec, s[6:7]
	s_cbranch_execnz .LBB13_3288
.LBB13_1238:
	s_or_b64 exec, exec, s[6:7]
	s_and_saveexec_b64 s[6:7], s[4:5]
	s_cbranch_execz .LBB13_1240
.LBB13_1239:
	v_bfe_u32 v3, v4, 16, 3
	v_ffbh_u32_e32 v12, v3
	v_min_u32_e32 v12, 32, v12
	v_lshrrev_b32_e32 v6, 19, v4
	v_subrev_u32_e32 v13, 28, v12
	v_and_b32_e32 v6, 15, v6
	v_lshlrev_b32_sdwa v13, v13, v4 dst_sel:DWORD dst_unused:UNUSED_PAD src0_sel:DWORD src1_sel:WORD_1
	v_bfe_u32 v7, v4, 19, 4
	v_sub_u32_e32 v12, 29, v12
	v_and_b32_e32 v13, 7, v13
	v_cmp_eq_u16_e32 vcc, 0, v6
	v_cndmask_b32_e32 v3, v3, v13, vcc
	v_cndmask_b32_e32 v6, v7, v12, vcc
	v_lshlrev_b32_e32 v7, 8, v4
	v_mov_b32_e32 v12, 0x3b800000
	v_lshlrev_b32_e32 v3, 20, v3
	v_and_b32_e32 v7, 0x80000000, v7
	v_lshl_add_u32 v6, v6, 23, v12
	v_or3_b32 v6, v7, v6, v3
.LBB13_1240:
	s_or_b64 exec, exec, s[6:7]
	s_nop 0
	v_mfma_f32_16x16x4f32 a[0:3], v2, v6, a[0:3]
	s_movk_i32 s4, 0x7f
	v_cmp_gt_i16_sdwa s[6:7], v8, s4 src0_sel:BYTE_3 src1_sel:DWORD
	s_mov_b64 s[4:5], 0
                                        ; implicit-def: $sgpr10
	s_and_saveexec_b64 s[8:9], s[6:7]
	s_xor_b64 s[6:7], exec, s[8:9]
	s_cbranch_execnz .LBB13_3289
; %bb.1241:
	s_or_saveexec_b64 s[6:7], s[6:7]
	v_mov_b32_e32 v2, s10
	s_xor_b64 exec, exec, s[6:7]
	s_cbranch_execnz .LBB13_3292
.LBB13_1242:
	s_or_b64 exec, exec, s[6:7]
	s_and_saveexec_b64 s[6:7], s[4:5]
	s_cbranch_execz .LBB13_1244
.LBB13_1243:
	v_bfe_u32 v2, v8, 24, 3
	v_ffbh_u32_e32 v12, v2
	v_min_u32_e32 v12, 32, v12
	v_lshrrev_b32_e32 v6, 27, v8
	v_subrev_u32_e32 v13, 28, v12
	v_and_b32_e32 v3, 0x80000000, v8
	v_and_b32_e32 v6, 15, v6
	v_bfe_u32 v7, v8, 27, 4
	v_lshlrev_b32_sdwa v8, v13, v8 dst_sel:DWORD dst_unused:UNUSED_PAD src0_sel:DWORD src1_sel:BYTE_3
	v_sub_u32_e32 v12, 29, v12
	v_and_b32_e32 v8, 7, v8
	v_cmp_eq_u16_e32 vcc, 0, v6
	v_cndmask_b32_e32 v2, v2, v8, vcc
	v_cndmask_b32_e32 v6, v7, v12, vcc
	v_mov_b32_e32 v7, 0x3b800000
	v_lshlrev_b32_e32 v2, 20, v2
	v_lshl_add_u32 v6, v6, 23, v7
	v_or3_b32 v2, v3, v6, v2
.LBB13_1244:
	s_or_b64 exec, exec, s[6:7]
	s_movk_i32 s4, 0x7f
	v_cmp_gt_i16_sdwa s[6:7], v4, s4 src0_sel:BYTE_3 src1_sel:DWORD
	s_mov_b64 s[4:5], 0
                                        ; implicit-def: $sgpr10
	s_and_saveexec_b64 s[8:9], s[6:7]
	s_xor_b64 s[6:7], exec, s[8:9]
	s_cbranch_execnz .LBB13_3293
; %bb.1245:
	s_or_saveexec_b64 s[6:7], s[6:7]
	v_mov_b32_e32 v3, s10
	s_xor_b64 exec, exec, s[6:7]
	s_cbranch_execnz .LBB13_3296
.LBB13_1246:
	s_or_b64 exec, exec, s[6:7]
	s_and_saveexec_b64 s[6:7], s[4:5]
	s_cbranch_execz .LBB13_1248
.LBB13_1247:
	v_bfe_u32 v3, v4, 24, 3
	v_ffbh_u32_e32 v12, v3
	v_min_u32_e32 v12, 32, v12
	v_lshrrev_b32_e32 v7, 27, v4
	v_subrev_u32_e32 v13, 28, v12
	v_and_b32_e32 v6, 0x80000000, v4
	v_and_b32_e32 v7, 15, v7
	v_bfe_u32 v8, v4, 27, 4
	v_lshlrev_b32_sdwa v4, v13, v4 dst_sel:DWORD dst_unused:UNUSED_PAD src0_sel:DWORD src1_sel:BYTE_3
	v_sub_u32_e32 v12, 29, v12
	v_and_b32_e32 v4, 7, v4
	v_cmp_eq_u16_e32 vcc, 0, v7
	v_cndmask_b32_e32 v3, v3, v4, vcc
	v_cndmask_b32_e32 v4, v8, v12, vcc
	v_mov_b32_e32 v7, 0x3b800000
	v_lshlrev_b32_e32 v3, 20, v3
	v_lshl_add_u32 v4, v4, 23, v7
	v_or3_b32 v3, v6, v4, v3
.LBB13_1248:
	s_or_b64 exec, exec, s[6:7]
	s_nop 0
	v_mfma_f32_16x16x4f32 a[0:3], v2, v3, a[0:3]
	s_movk_i32 s4, 0x7f
	v_cmp_gt_i16_sdwa s[6:7], v9, s4 src0_sel:BYTE_0 src1_sel:DWORD
	s_mov_b64 s[4:5], 0
                                        ; implicit-def: $sgpr10
	s_and_saveexec_b64 s[8:9], s[6:7]
	s_xor_b64 s[6:7], exec, s[8:9]
	s_cbranch_execnz .LBB13_3297
; %bb.1249:
	s_or_saveexec_b64 s[6:7], s[6:7]
	v_mov_b32_e32 v2, s10
	s_xor_b64 exec, exec, s[6:7]
	s_cbranch_execnz .LBB13_3300
.LBB13_1250:
	s_or_b64 exec, exec, s[6:7]
	s_and_saveexec_b64 s[6:7], s[4:5]
	s_cbranch_execz .LBB13_1252
.LBB13_1251:
	v_mov_b32_e32 v2, 8
	v_and_b32_e32 v3, 7, v9
	v_lshrrev_b32_sdwa v2, v2, v9 dst_sel:BYTE_1 dst_unused:UNUSED_PAD src0_sel:DWORD src1_sel:DWORD
	v_ffbh_u32_e32 v4, v3
	v_or_b32_sdwa v2, v9, v2 dst_sel:DWORD dst_unused:UNUSED_PAD src0_sel:BYTE_0 src1_sel:DWORD
	v_min_u32_e32 v4, 32, v4
	v_lshrrev_b16_e32 v2, 3, v2
	v_subrev_u32_e32 v6, 28, v4
	v_and_b32_e32 v2, 15, v2
	v_lshlrev_b32_e32 v6, v6, v9
	v_sub_u32_e32 v4, 29, v4
	v_and_b32_e32 v6, 7, v6
	v_cmp_eq_u16_e32 vcc, 0, v2
	v_cndmask_b32_e32 v3, v3, v6, vcc
	v_cndmask_b32_e32 v2, v2, v4, vcc
	v_lshlrev_b32_e32 v4, 24, v9
	v_mov_b32_e32 v6, 0x3b800000
	v_lshlrev_b32_e32 v3, 20, v3
	v_and_b32_e32 v4, 0x80000000, v4
	v_lshl_add_u32 v2, v2, 23, v6
	v_or3_b32 v2, v4, v2, v3
.LBB13_1252:
	s_or_b64 exec, exec, s[6:7]
	s_movk_i32 s4, 0x7f
	v_cmp_gt_i16_sdwa s[6:7], v5, s4 src0_sel:BYTE_0 src1_sel:DWORD
	s_mov_b64 s[4:5], 0
                                        ; implicit-def: $sgpr10
	s_and_saveexec_b64 s[8:9], s[6:7]
	s_xor_b64 s[6:7], exec, s[8:9]
	s_cbranch_execnz .LBB13_3301
; %bb.1253:
	s_or_saveexec_b64 s[6:7], s[6:7]
	v_mov_b32_e32 v3, s10
	s_xor_b64 exec, exec, s[6:7]
	s_cbranch_execnz .LBB13_3304
.LBB13_1254:
	s_or_b64 exec, exec, s[6:7]
	s_and_saveexec_b64 s[6:7], s[4:5]
	s_cbranch_execz .LBB13_1256
.LBB13_1255:
	v_mov_b32_e32 v3, 8
	v_and_b32_e32 v4, 7, v5
	v_lshrrev_b32_sdwa v3, v3, v5 dst_sel:BYTE_1 dst_unused:UNUSED_PAD src0_sel:DWORD src1_sel:DWORD
	v_ffbh_u32_e32 v6, v4
	v_or_b32_sdwa v3, v5, v3 dst_sel:DWORD dst_unused:UNUSED_PAD src0_sel:BYTE_0 src1_sel:DWORD
	v_min_u32_e32 v6, 32, v6
	v_lshrrev_b16_e32 v3, 3, v3
	v_subrev_u32_e32 v7, 28, v6
	v_and_b32_e32 v3, 15, v3
	v_lshlrev_b32_e32 v7, v7, v5
	v_sub_u32_e32 v6, 29, v6
	v_and_b32_e32 v7, 7, v7
	v_cmp_eq_u16_e32 vcc, 0, v3
	v_cndmask_b32_e32 v4, v4, v7, vcc
	v_cndmask_b32_e32 v3, v3, v6, vcc
	v_lshlrev_b32_e32 v6, 24, v5
	v_mov_b32_e32 v7, 0x3b800000
	v_lshlrev_b32_e32 v4, 20, v4
	v_and_b32_e32 v6, 0x80000000, v6
	v_lshl_add_u32 v3, v3, 23, v7
	v_or3_b32 v3, v6, v3, v4
.LBB13_1256:
	s_or_b64 exec, exec, s[6:7]
	s_nop 0
	v_mfma_f32_16x16x4f32 a[0:3], v2, v3, a[0:3]
	v_lshrrev_b32_e32 v3, 8, v9
	s_movk_i32 s4, 0x7f
	v_cmp_gt_i16_sdwa s[6:7], v3, s4 src0_sel:BYTE_0 src1_sel:DWORD
	s_mov_b64 s[4:5], 0
                                        ; implicit-def: $sgpr10
	s_and_saveexec_b64 s[8:9], s[6:7]
	s_xor_b64 s[6:7], exec, s[8:9]
	s_cbranch_execnz .LBB13_3305
; %bb.1257:
	s_or_saveexec_b64 s[6:7], s[6:7]
	v_mov_b32_e32 v2, s10
	s_xor_b64 exec, exec, s[6:7]
	s_cbranch_execnz .LBB13_3308
.LBB13_1258:
	s_or_b64 exec, exec, s[6:7]
	s_and_saveexec_b64 s[6:7], s[4:5]
	s_cbranch_execz .LBB13_1260
.LBB13_1259:
	v_bfe_u32 v2, v9, 8, 3
	v_ffbh_u32_e32 v6, v2
	v_min_u32_e32 v6, 32, v6
	v_lshrrev_b16_e32 v4, 3, v3
	v_subrev_u32_e32 v7, 28, v6
	v_and_b32_e32 v4, 15, v4
	v_lshlrev_b32_e32 v3, v7, v3
	v_sub_u32_e32 v6, 29, v6
	v_and_b32_e32 v3, 7, v3
	v_cmp_eq_u16_e32 vcc, 0, v4
	v_cndmask_b32_e32 v2, v2, v3, vcc
	v_cndmask_b32_e32 v3, v4, v6, vcc
	v_lshlrev_b32_e32 v4, 16, v9
	v_mov_b32_e32 v6, 0x3b800000
	v_lshlrev_b32_e32 v2, 20, v2
	v_and_b32_e32 v4, 0x80000000, v4
	v_lshl_add_u32 v3, v3, 23, v6
	v_or3_b32 v2, v4, v3, v2
.LBB13_1260:
	s_or_b64 exec, exec, s[6:7]
	v_lshrrev_b32_e32 v3, 8, v5
	s_movk_i32 s4, 0x7f
	v_cmp_gt_i16_sdwa s[6:7], v3, s4 src0_sel:BYTE_0 src1_sel:DWORD
	s_mov_b64 s[4:5], 0
                                        ; implicit-def: $sgpr10
	s_and_saveexec_b64 s[8:9], s[6:7]
	s_xor_b64 s[6:7], exec, s[8:9]
	s_cbranch_execnz .LBB13_3309
; %bb.1261:
	s_or_saveexec_b64 s[6:7], s[6:7]
	v_mov_b32_e32 v4, s10
	s_xor_b64 exec, exec, s[6:7]
	s_cbranch_execnz .LBB13_3312
.LBB13_1262:
	s_or_b64 exec, exec, s[6:7]
	s_and_saveexec_b64 s[6:7], s[4:5]
	s_cbranch_execz .LBB13_1264
.LBB13_1263:
	v_bfe_u32 v4, v5, 8, 3
	v_ffbh_u32_e32 v7, v4
	v_min_u32_e32 v7, 32, v7
	v_lshrrev_b16_e32 v6, 3, v3
	v_subrev_u32_e32 v8, 28, v7
	v_and_b32_e32 v6, 15, v6
	v_lshlrev_b32_e32 v3, v8, v3
	v_sub_u32_e32 v7, 29, v7
	v_and_b32_e32 v3, 7, v3
	v_cmp_eq_u16_e32 vcc, 0, v6
	v_cndmask_b32_e32 v3, v4, v3, vcc
	v_cndmask_b32_e32 v4, v6, v7, vcc
	v_lshlrev_b32_e32 v6, 16, v5
	v_mov_b32_e32 v7, 0x3b800000
	v_lshlrev_b32_e32 v3, 20, v3
	v_and_b32_e32 v6, 0x80000000, v6
	v_lshl_add_u32 v4, v4, 23, v7
	v_or3_b32 v4, v6, v4, v3
.LBB13_1264:
	s_or_b64 exec, exec, s[6:7]
	s_nop 0
	v_mfma_f32_16x16x4f32 a[0:3], v2, v4, a[0:3]
	s_movk_i32 s4, 0xff
	v_and_b32_sdwa v3, v9, s4 dst_sel:DWORD dst_unused:UNUSED_PAD src0_sel:WORD_1 src1_sel:DWORD
	s_movk_i32 s4, 0x7f
	v_cmp_lt_i16_e32 vcc, s4, v3
	s_mov_b64 s[4:5], 0
                                        ; implicit-def: $sgpr10
	s_and_saveexec_b64 s[6:7], vcc
	s_xor_b64 s[6:7], exec, s[6:7]
	s_cbranch_execnz .LBB13_3313
; %bb.1265:
	s_or_saveexec_b64 s[6:7], s[6:7]
	v_mov_b32_e32 v2, s10
	s_xor_b64 exec, exec, s[6:7]
	s_cbranch_execnz .LBB13_3316
.LBB13_1266:
	s_or_b64 exec, exec, s[6:7]
	s_and_saveexec_b64 s[6:7], s[4:5]
	s_cbranch_execz .LBB13_1268
.LBB13_1267:
	v_bfe_u32 v2, v9, 16, 3
	v_ffbh_u32_e32 v6, v2
	v_min_u32_e32 v6, 32, v6
	v_lshrrev_b32_e32 v3, 19, v9
	v_subrev_u32_e32 v7, 28, v6
	v_and_b32_e32 v3, 15, v3
	v_lshlrev_b32_sdwa v7, v7, v9 dst_sel:DWORD dst_unused:UNUSED_PAD src0_sel:DWORD src1_sel:WORD_1
	v_bfe_u32 v4, v9, 19, 4
	v_sub_u32_e32 v6, 29, v6
	v_and_b32_e32 v7, 7, v7
	v_cmp_eq_u16_e32 vcc, 0, v3
	v_cndmask_b32_e32 v2, v2, v7, vcc
	v_cndmask_b32_e32 v3, v4, v6, vcc
	v_lshlrev_b32_e32 v4, 8, v9
	v_mov_b32_e32 v6, 0x3b800000
	v_lshlrev_b32_e32 v2, 20, v2
	v_and_b32_e32 v4, 0x80000000, v4
	v_lshl_add_u32 v3, v3, 23, v6
	v_or3_b32 v2, v4, v3, v2
.LBB13_1268:
	s_or_b64 exec, exec, s[6:7]
	s_movk_i32 s4, 0xff
	v_and_b32_sdwa v3, v5, s4 dst_sel:DWORD dst_unused:UNUSED_PAD src0_sel:WORD_1 src1_sel:DWORD
	s_movk_i32 s4, 0x7f
	v_cmp_lt_i16_e32 vcc, s4, v3
	s_mov_b64 s[4:5], 0
                                        ; implicit-def: $sgpr10
	s_and_saveexec_b64 s[6:7], vcc
	s_xor_b64 s[6:7], exec, s[6:7]
	s_cbranch_execnz .LBB13_3317
; %bb.1269:
	s_or_saveexec_b64 s[6:7], s[6:7]
	v_mov_b32_e32 v4, s10
	s_xor_b64 exec, exec, s[6:7]
	s_cbranch_execnz .LBB13_3320
.LBB13_1270:
	s_or_b64 exec, exec, s[6:7]
	s_and_saveexec_b64 s[6:7], s[4:5]
	s_cbranch_execz .LBB13_1272
.LBB13_1271:
	v_bfe_u32 v3, v5, 16, 3
	v_ffbh_u32_e32 v7, v3
	v_min_u32_e32 v7, 32, v7
	v_lshrrev_b32_e32 v4, 19, v5
	v_subrev_u32_e32 v8, 28, v7
	v_and_b32_e32 v4, 15, v4
	v_lshlrev_b32_sdwa v8, v8, v5 dst_sel:DWORD dst_unused:UNUSED_PAD src0_sel:DWORD src1_sel:WORD_1
	v_bfe_u32 v6, v5, 19, 4
	v_sub_u32_e32 v7, 29, v7
	v_and_b32_e32 v8, 7, v8
	v_cmp_eq_u16_e32 vcc, 0, v4
	v_cndmask_b32_e32 v3, v3, v8, vcc
	v_cndmask_b32_e32 v4, v6, v7, vcc
	v_lshlrev_b32_e32 v6, 8, v5
	v_mov_b32_e32 v7, 0x3b800000
	v_lshlrev_b32_e32 v3, 20, v3
	v_and_b32_e32 v6, 0x80000000, v6
	v_lshl_add_u32 v4, v4, 23, v7
	v_or3_b32 v4, v6, v4, v3
.LBB13_1272:
	s_or_b64 exec, exec, s[6:7]
	s_nop 0
	v_mfma_f32_16x16x4f32 a[0:3], v2, v4, a[0:3]
	s_movk_i32 s4, 0x7f
	v_cmp_gt_i16_sdwa s[6:7], v9, s4 src0_sel:BYTE_3 src1_sel:DWORD
	s_mov_b64 s[4:5], 0
                                        ; implicit-def: $sgpr10
	s_and_saveexec_b64 s[8:9], s[6:7]
	s_xor_b64 s[6:7], exec, s[8:9]
	s_cbranch_execnz .LBB13_3321
; %bb.1273:
	s_or_saveexec_b64 s[6:7], s[6:7]
	v_mov_b32_e32 v2, s10
	s_xor_b64 exec, exec, s[6:7]
	s_cbranch_execnz .LBB13_3324
.LBB13_1274:
	s_or_b64 exec, exec, s[6:7]
	s_and_saveexec_b64 s[6:7], s[4:5]
	s_cbranch_execz .LBB13_1276
.LBB13_1275:
	v_bfe_u32 v2, v9, 24, 3
	v_ffbh_u32_e32 v7, v2
	v_min_u32_e32 v7, 32, v7
	v_lshrrev_b32_e32 v4, 27, v9
	v_subrev_u32_e32 v8, 28, v7
	v_and_b32_e32 v4, 15, v4
	v_lshlrev_b32_sdwa v8, v8, v9 dst_sel:DWORD dst_unused:UNUSED_PAD src0_sel:DWORD src1_sel:BYTE_3
	v_bfe_u32 v6, v9, 27, 4
	v_sub_u32_e32 v7, 29, v7
	v_and_b32_e32 v8, 7, v8
	v_cmp_eq_u16_e32 vcc, 0, v4
	v_cndmask_b32_e32 v2, v2, v8, vcc
	v_cndmask_b32_e32 v4, v6, v7, vcc
	v_mov_b32_e32 v6, 0x3b800000
	v_and_b32_e32 v3, 0x80000000, v9
	v_lshlrev_b32_e32 v2, 20, v2
	v_lshl_add_u32 v4, v4, 23, v6
	v_or3_b32 v2, v3, v4, v2
.LBB13_1276:
	s_or_b64 exec, exec, s[6:7]
	s_movk_i32 s4, 0x7f
	v_cmp_gt_i16_sdwa s[6:7], v5, s4 src0_sel:BYTE_3 src1_sel:DWORD
	s_mov_b64 s[4:5], 0
                                        ; implicit-def: $sgpr10
	s_and_saveexec_b64 s[8:9], s[6:7]
	s_xor_b64 s[6:7], exec, s[8:9]
	s_cbranch_execnz .LBB13_3325
; %bb.1277:
	s_or_saveexec_b64 s[6:7], s[6:7]
	v_mov_b32_e32 v3, s10
	s_xor_b64 exec, exec, s[6:7]
	s_cbranch_execnz .LBB13_3328
.LBB13_1278:
	s_or_b64 exec, exec, s[6:7]
	s_and_saveexec_b64 s[6:7], s[4:5]
	s_cbranch_execz .LBB13_1280
.LBB13_1279:
	v_bfe_u32 v3, v5, 24, 3
	v_ffbh_u32_e32 v8, v3
	v_min_u32_e32 v8, 32, v8
	v_lshrrev_b32_e32 v6, 27, v5
	v_subrev_u32_e32 v9, 28, v8
	v_and_b32_e32 v4, 0x80000000, v5
	v_and_b32_e32 v6, 15, v6
	v_bfe_u32 v7, v5, 27, 4
	v_lshlrev_b32_sdwa v5, v9, v5 dst_sel:DWORD dst_unused:UNUSED_PAD src0_sel:DWORD src1_sel:BYTE_3
	v_sub_u32_e32 v8, 29, v8
	v_and_b32_e32 v5, 7, v5
	v_cmp_eq_u16_e32 vcc, 0, v6
	v_cndmask_b32_e32 v3, v3, v5, vcc
	v_cndmask_b32_e32 v5, v7, v8, vcc
	v_mov_b32_e32 v6, 0x3b800000
	v_lshlrev_b32_e32 v3, 20, v3
	v_lshl_add_u32 v5, v5, 23, v6
	v_or3_b32 v3, v4, v5, v3
.LBB13_1280:
	s_or_b64 exec, exec, s[6:7]
	s_nop 0
	v_mfma_f32_16x16x4f32 a[0:3], v2, v3, a[0:3]
	s_movk_i32 s4, 0x7f
                                        ; implicit-def: $sgpr10
	s_nop 7
	s_nop 1
	flat_store_dwordx4 v[10:11], a[0:3] offset:144
	flat_load_dwordx4 v[12:15], v[0:1] offset:8
	s_nop 0
	flat_load_dwordx2 v[10:11], v[0:1] offset:32
	s_waitcnt vmcnt(0) lgkmcnt(0)
	flat_load_dwordx4 v[6:9], v[12:13] offset:80
	flat_load_dwordx4 v[2:5], v[14:15] offset:80
	s_waitcnt vmcnt(0) lgkmcnt(0)
	v_cmp_gt_i16_sdwa s[6:7], v6, s4 src0_sel:BYTE_0 src1_sel:DWORD
	s_mov_b64 s[4:5], 0
	s_and_saveexec_b64 s[8:9], s[6:7]
	s_xor_b64 s[6:7], exec, s[8:9]
	s_cbranch_execnz .LBB13_3329
; %bb.1281:
	s_or_saveexec_b64 s[6:7], s[6:7]
	v_mov_b32_e32 v12, s10
	s_xor_b64 exec, exec, s[6:7]
	s_cbranch_execnz .LBB13_3332
.LBB13_1282:
	s_or_b64 exec, exec, s[6:7]
	s_and_saveexec_b64 s[6:7], s[4:5]
	s_cbranch_execz .LBB13_1284
.LBB13_1283:
	v_and_b32_e32 v12, 7, v6
	v_ffbh_u32_e32 v14, v12
	v_min_u32_e32 v14, 32, v14
	v_lshrrev_b16_e32 v13, 3, v6
	v_subrev_u32_e32 v15, 28, v14
	v_and_b32_e32 v13, 15, v13
	v_lshlrev_b32_e32 v15, v15, v6
	v_sub_u32_e32 v14, 29, v14
	v_and_b32_e32 v15, 7, v15
	v_cmp_eq_u16_e32 vcc, 0, v13
	v_cndmask_b32_e32 v12, v12, v15, vcc
	v_cndmask_b32_e32 v13, v13, v14, vcc
	v_lshlrev_b32_e32 v14, 24, v6
	v_mov_b32_e32 v15, 0x3b800000
	v_lshlrev_b32_e32 v12, 20, v12
	v_and_b32_e32 v14, 0x80000000, v14
	v_lshl_add_u32 v13, v13, 23, v15
	v_or3_b32 v12, v14, v13, v12
.LBB13_1284:
	s_or_b64 exec, exec, s[6:7]
	s_movk_i32 s4, 0x7f
	v_cmp_gt_i16_sdwa s[6:7], v2, s4 src0_sel:BYTE_0 src1_sel:DWORD
	s_mov_b64 s[4:5], 0
                                        ; implicit-def: $sgpr10
	s_and_saveexec_b64 s[8:9], s[6:7]
	s_xor_b64 s[6:7], exec, s[8:9]
	s_cbranch_execnz .LBB13_3333
; %bb.1285:
	s_or_saveexec_b64 s[6:7], s[6:7]
	v_mov_b32_e32 v13, s10
	s_xor_b64 exec, exec, s[6:7]
	s_cbranch_execnz .LBB13_3336
.LBB13_1286:
	s_or_b64 exec, exec, s[6:7]
	s_and_saveexec_b64 s[6:7], s[4:5]
	s_cbranch_execz .LBB13_1288
.LBB13_1287:
	v_and_b32_e32 v13, 7, v2
	v_ffbh_u32_e32 v15, v13
	v_min_u32_e32 v15, 32, v15
	v_lshrrev_b16_e32 v14, 3, v2
	v_subrev_u32_e32 v16, 28, v15
	v_and_b32_e32 v14, 15, v14
	v_lshlrev_b32_e32 v16, v16, v2
	v_sub_u32_e32 v15, 29, v15
	v_and_b32_e32 v16, 7, v16
	v_cmp_eq_u16_e32 vcc, 0, v14
	v_cndmask_b32_e32 v13, v13, v16, vcc
	v_cndmask_b32_e32 v14, v14, v15, vcc
	v_lshlrev_b32_e32 v15, 24, v2
	v_mov_b32_e32 v16, 0x3b800000
	v_lshlrev_b32_e32 v13, 20, v13
	v_and_b32_e32 v15, 0x80000000, v15
	v_lshl_add_u32 v14, v14, 23, v16
	v_or3_b32 v13, v15, v14, v13
.LBB13_1288:
	s_or_b64 exec, exec, s[6:7]
	flat_load_dwordx4 a[0:3], v[10:11] offset:160
	s_movk_i32 s4, 0x7f
                                        ; implicit-def: $sgpr10
	s_waitcnt vmcnt(0) lgkmcnt(0)
	v_mfma_f32_16x16x4f32 a[0:3], v12, v13, a[0:3]
	v_lshrrev_b32_e32 v13, 8, v6
	v_cmp_gt_i16_sdwa s[6:7], v13, s4 src0_sel:BYTE_0 src1_sel:DWORD
	s_mov_b64 s[4:5], 0
	s_and_saveexec_b64 s[8:9], s[6:7]
	s_xor_b64 s[6:7], exec, s[8:9]
	s_cbranch_execnz .LBB13_3337
; %bb.1289:
	s_or_saveexec_b64 s[6:7], s[6:7]
	v_mov_b32_e32 v12, s10
	s_xor_b64 exec, exec, s[6:7]
	s_cbranch_execnz .LBB13_3340
.LBB13_1290:
	s_or_b64 exec, exec, s[6:7]
	s_and_saveexec_b64 s[6:7], s[4:5]
	s_cbranch_execz .LBB13_1292
.LBB13_1291:
	v_bfe_u32 v12, v6, 8, 3
	v_ffbh_u32_e32 v15, v12
	v_min_u32_e32 v15, 32, v15
	v_lshrrev_b16_e32 v14, 3, v13
	v_subrev_u32_e32 v16, 28, v15
	v_and_b32_e32 v14, 15, v14
	v_lshlrev_b32_e32 v13, v16, v13
	v_sub_u32_e32 v15, 29, v15
	v_and_b32_e32 v13, 7, v13
	v_cmp_eq_u16_e32 vcc, 0, v14
	v_cndmask_b32_e32 v12, v12, v13, vcc
	v_cndmask_b32_e32 v13, v14, v15, vcc
	v_lshlrev_b32_e32 v14, 16, v6
	v_mov_b32_e32 v15, 0x3b800000
	v_lshlrev_b32_e32 v12, 20, v12
	v_and_b32_e32 v14, 0x80000000, v14
	v_lshl_add_u32 v13, v13, 23, v15
	v_or3_b32 v12, v14, v13, v12
.LBB13_1292:
	s_or_b64 exec, exec, s[6:7]
	v_lshrrev_b32_e32 v13, 8, v2
	s_movk_i32 s4, 0x7f
	v_cmp_gt_i16_sdwa s[6:7], v13, s4 src0_sel:BYTE_0 src1_sel:DWORD
	s_mov_b64 s[4:5], 0
                                        ; implicit-def: $sgpr10
	s_and_saveexec_b64 s[8:9], s[6:7]
	s_xor_b64 s[6:7], exec, s[8:9]
	s_cbranch_execnz .LBB13_3341
; %bb.1293:
	s_or_saveexec_b64 s[6:7], s[6:7]
	v_mov_b32_e32 v14, s10
	s_xor_b64 exec, exec, s[6:7]
	s_cbranch_execnz .LBB13_3344
.LBB13_1294:
	s_or_b64 exec, exec, s[6:7]
	s_and_saveexec_b64 s[6:7], s[4:5]
	s_cbranch_execz .LBB13_1296
.LBB13_1295:
	v_bfe_u32 v14, v2, 8, 3
	v_ffbh_u32_e32 v16, v14
	v_min_u32_e32 v16, 32, v16
	v_lshrrev_b16_e32 v15, 3, v13
	v_subrev_u32_e32 v17, 28, v16
	v_and_b32_e32 v15, 15, v15
	v_lshlrev_b32_e32 v13, v17, v13
	v_sub_u32_e32 v16, 29, v16
	v_and_b32_e32 v13, 7, v13
	v_cmp_eq_u16_e32 vcc, 0, v15
	v_cndmask_b32_e32 v13, v14, v13, vcc
	v_cndmask_b32_e32 v14, v15, v16, vcc
	v_lshlrev_b32_e32 v15, 16, v2
	v_mov_b32_e32 v16, 0x3b800000
	v_lshlrev_b32_e32 v13, 20, v13
	v_and_b32_e32 v15, 0x80000000, v15
	v_lshl_add_u32 v14, v14, 23, v16
	v_or3_b32 v14, v15, v14, v13
.LBB13_1296:
	s_or_b64 exec, exec, s[6:7]
	s_nop 0
	v_mfma_f32_16x16x4f32 a[0:3], v12, v14, a[0:3]
	s_movk_i32 s4, 0xff
	v_and_b32_sdwa v13, v6, s4 dst_sel:DWORD dst_unused:UNUSED_PAD src0_sel:WORD_1 src1_sel:DWORD
	s_movk_i32 s4, 0x7f
	v_cmp_lt_i16_e32 vcc, s4, v13
	s_mov_b64 s[4:5], 0
                                        ; implicit-def: $sgpr10
	s_and_saveexec_b64 s[6:7], vcc
	s_xor_b64 s[6:7], exec, s[6:7]
	s_cbranch_execnz .LBB13_3345
; %bb.1297:
	s_or_saveexec_b64 s[6:7], s[6:7]
	v_mov_b32_e32 v12, s10
	s_xor_b64 exec, exec, s[6:7]
	s_cbranch_execnz .LBB13_3348
.LBB13_1298:
	s_or_b64 exec, exec, s[6:7]
	s_and_saveexec_b64 s[6:7], s[4:5]
	s_cbranch_execz .LBB13_1300
.LBB13_1299:
	v_bfe_u32 v12, v6, 16, 3
	v_ffbh_u32_e32 v15, v12
	v_min_u32_e32 v15, 32, v15
	v_lshrrev_b32_e32 v13, 19, v6
	v_subrev_u32_e32 v16, 28, v15
	v_and_b32_e32 v13, 15, v13
	v_lshlrev_b32_sdwa v16, v16, v6 dst_sel:DWORD dst_unused:UNUSED_PAD src0_sel:DWORD src1_sel:WORD_1
	v_bfe_u32 v14, v6, 19, 4
	v_sub_u32_e32 v15, 29, v15
	v_and_b32_e32 v16, 7, v16
	v_cmp_eq_u16_e32 vcc, 0, v13
	v_cndmask_b32_e32 v12, v12, v16, vcc
	v_cndmask_b32_e32 v13, v14, v15, vcc
	v_lshlrev_b32_e32 v14, 8, v6
	v_mov_b32_e32 v15, 0x3b800000
	v_lshlrev_b32_e32 v12, 20, v12
	v_and_b32_e32 v14, 0x80000000, v14
	v_lshl_add_u32 v13, v13, 23, v15
	v_or3_b32 v12, v14, v13, v12
.LBB13_1300:
	s_or_b64 exec, exec, s[6:7]
	s_movk_i32 s4, 0xff
	v_and_b32_sdwa v13, v2, s4 dst_sel:DWORD dst_unused:UNUSED_PAD src0_sel:WORD_1 src1_sel:DWORD
	s_movk_i32 s4, 0x7f
	v_cmp_lt_i16_e32 vcc, s4, v13
	s_mov_b64 s[4:5], 0
                                        ; implicit-def: $sgpr10
	s_and_saveexec_b64 s[6:7], vcc
	s_xor_b64 s[6:7], exec, s[6:7]
	s_cbranch_execnz .LBB13_3349
; %bb.1301:
	s_or_saveexec_b64 s[6:7], s[6:7]
	v_mov_b32_e32 v14, s10
	s_xor_b64 exec, exec, s[6:7]
	s_cbranch_execnz .LBB13_3352
.LBB13_1302:
	s_or_b64 exec, exec, s[6:7]
	s_and_saveexec_b64 s[6:7], s[4:5]
	s_cbranch_execz .LBB13_1304
.LBB13_1303:
	v_bfe_u32 v13, v2, 16, 3
	v_ffbh_u32_e32 v16, v13
	v_min_u32_e32 v16, 32, v16
	v_lshrrev_b32_e32 v14, 19, v2
	v_subrev_u32_e32 v17, 28, v16
	v_and_b32_e32 v14, 15, v14
	v_lshlrev_b32_sdwa v17, v17, v2 dst_sel:DWORD dst_unused:UNUSED_PAD src0_sel:DWORD src1_sel:WORD_1
	v_bfe_u32 v15, v2, 19, 4
	v_sub_u32_e32 v16, 29, v16
	v_and_b32_e32 v17, 7, v17
	v_cmp_eq_u16_e32 vcc, 0, v14
	v_cndmask_b32_e32 v13, v13, v17, vcc
	v_cndmask_b32_e32 v14, v15, v16, vcc
	v_lshlrev_b32_e32 v15, 8, v2
	v_mov_b32_e32 v16, 0x3b800000
	v_lshlrev_b32_e32 v13, 20, v13
	v_and_b32_e32 v15, 0x80000000, v15
	v_lshl_add_u32 v14, v14, 23, v16
	v_or3_b32 v14, v15, v14, v13
.LBB13_1304:
	s_or_b64 exec, exec, s[6:7]
	s_nop 0
	v_mfma_f32_16x16x4f32 a[0:3], v12, v14, a[0:3]
	s_movk_i32 s4, 0x7f
	v_cmp_gt_i16_sdwa s[6:7], v6, s4 src0_sel:BYTE_3 src1_sel:DWORD
	s_mov_b64 s[4:5], 0
                                        ; implicit-def: $sgpr10
	s_and_saveexec_b64 s[8:9], s[6:7]
	s_xor_b64 s[6:7], exec, s[8:9]
	s_cbranch_execnz .LBB13_3353
; %bb.1305:
	s_or_saveexec_b64 s[6:7], s[6:7]
	v_mov_b32_e32 v12, s10
	s_xor_b64 exec, exec, s[6:7]
	s_cbranch_execnz .LBB13_3356
.LBB13_1306:
	s_or_b64 exec, exec, s[6:7]
	s_and_saveexec_b64 s[6:7], s[4:5]
	s_cbranch_execz .LBB13_1308
.LBB13_1307:
	v_bfe_u32 v12, v6, 24, 3
	v_ffbh_u32_e32 v16, v12
	v_min_u32_e32 v16, 32, v16
	v_lshrrev_b32_e32 v14, 27, v6
	v_subrev_u32_e32 v17, 28, v16
	v_and_b32_e32 v13, 0x80000000, v6
	v_and_b32_e32 v14, 15, v14
	v_bfe_u32 v15, v6, 27, 4
	v_lshlrev_b32_sdwa v6, v17, v6 dst_sel:DWORD dst_unused:UNUSED_PAD src0_sel:DWORD src1_sel:BYTE_3
	v_sub_u32_e32 v16, 29, v16
	v_and_b32_e32 v6, 7, v6
	v_cmp_eq_u16_e32 vcc, 0, v14
	v_cndmask_b32_e32 v6, v12, v6, vcc
	v_cndmask_b32_e32 v12, v15, v16, vcc
	v_mov_b32_e32 v14, 0x3b800000
	v_lshlrev_b32_e32 v6, 20, v6
	v_lshl_add_u32 v12, v12, 23, v14
	v_or3_b32 v12, v13, v12, v6
.LBB13_1308:
	s_or_b64 exec, exec, s[6:7]
	s_movk_i32 s4, 0x7f
	v_cmp_gt_i16_sdwa s[6:7], v2, s4 src0_sel:BYTE_3 src1_sel:DWORD
	s_mov_b64 s[4:5], 0
                                        ; implicit-def: $sgpr10
	s_and_saveexec_b64 s[8:9], s[6:7]
	s_xor_b64 s[6:7], exec, s[8:9]
	s_cbranch_execnz .LBB13_3357
; %bb.1309:
	s_or_saveexec_b64 s[6:7], s[6:7]
	v_mov_b32_e32 v6, s10
	s_xor_b64 exec, exec, s[6:7]
	s_cbranch_execnz .LBB13_3360
.LBB13_1310:
	s_or_b64 exec, exec, s[6:7]
	s_and_saveexec_b64 s[6:7], s[4:5]
	s_cbranch_execz .LBB13_1312
.LBB13_1311:
	v_bfe_u32 v6, v2, 24, 3
	v_ffbh_u32_e32 v16, v6
	v_min_u32_e32 v16, 32, v16
	v_lshrrev_b32_e32 v14, 27, v2
	v_subrev_u32_e32 v17, 28, v16
	v_and_b32_e32 v13, 0x80000000, v2
	v_and_b32_e32 v14, 15, v14
	v_bfe_u32 v15, v2, 27, 4
	v_lshlrev_b32_sdwa v2, v17, v2 dst_sel:DWORD dst_unused:UNUSED_PAD src0_sel:DWORD src1_sel:BYTE_3
	v_sub_u32_e32 v16, 29, v16
	v_and_b32_e32 v2, 7, v2
	v_cmp_eq_u16_e32 vcc, 0, v14
	v_cndmask_b32_e32 v2, v6, v2, vcc
	v_cndmask_b32_e32 v6, v15, v16, vcc
	v_mov_b32_e32 v14, 0x3b800000
	v_lshlrev_b32_e32 v2, 20, v2
	v_lshl_add_u32 v6, v6, 23, v14
	v_or3_b32 v6, v13, v6, v2
.LBB13_1312:
	s_or_b64 exec, exec, s[6:7]
	s_nop 0
	v_mfma_f32_16x16x4f32 a[0:3], v12, v6, a[0:3]
	s_movk_i32 s4, 0x7f
	v_cmp_gt_i16_sdwa s[6:7], v7, s4 src0_sel:BYTE_0 src1_sel:DWORD
	s_mov_b64 s[4:5], 0
                                        ; implicit-def: $sgpr10
	s_and_saveexec_b64 s[8:9], s[6:7]
	s_xor_b64 s[6:7], exec, s[8:9]
	s_cbranch_execnz .LBB13_3361
; %bb.1313:
	s_or_saveexec_b64 s[6:7], s[6:7]
	v_mov_b32_e32 v2, s10
	s_xor_b64 exec, exec, s[6:7]
	s_cbranch_execnz .LBB13_3364
.LBB13_1314:
	s_or_b64 exec, exec, s[6:7]
	s_and_saveexec_b64 s[6:7], s[4:5]
	s_cbranch_execz .LBB13_1316
.LBB13_1315:
	v_and_b32_e32 v2, 7, v7
	v_ffbh_u32_e32 v12, v2
	v_min_u32_e32 v12, 32, v12
	v_lshrrev_b16_e32 v6, 3, v7
	v_subrev_u32_e32 v13, 28, v12
	v_and_b32_e32 v6, 15, v6
	v_lshlrev_b32_e32 v13, v13, v7
	v_sub_u32_e32 v12, 29, v12
	v_and_b32_e32 v13, 7, v13
	v_cmp_eq_u16_e32 vcc, 0, v6
	v_cndmask_b32_e32 v2, v2, v13, vcc
	v_cndmask_b32_e32 v6, v6, v12, vcc
	v_lshlrev_b32_e32 v12, 24, v7
	v_mov_b32_e32 v13, 0x3b800000
	v_lshlrev_b32_e32 v2, 20, v2
	v_and_b32_e32 v12, 0x80000000, v12
	v_lshl_add_u32 v6, v6, 23, v13
	v_or3_b32 v2, v12, v6, v2
.LBB13_1316:
	s_or_b64 exec, exec, s[6:7]
	s_movk_i32 s4, 0x7f
	v_cmp_gt_i16_sdwa s[6:7], v3, s4 src0_sel:BYTE_0 src1_sel:DWORD
	s_mov_b64 s[4:5], 0
                                        ; implicit-def: $sgpr10
	s_and_saveexec_b64 s[8:9], s[6:7]
	s_xor_b64 s[6:7], exec, s[8:9]
	s_cbranch_execnz .LBB13_3365
; %bb.1317:
	s_or_saveexec_b64 s[6:7], s[6:7]
	v_mov_b32_e32 v6, s10
	s_xor_b64 exec, exec, s[6:7]
	s_cbranch_execnz .LBB13_3368
.LBB13_1318:
	s_or_b64 exec, exec, s[6:7]
	s_and_saveexec_b64 s[6:7], s[4:5]
	s_cbranch_execz .LBB13_1320
.LBB13_1319:
	v_and_b32_e32 v6, 7, v3
	v_ffbh_u32_e32 v13, v6
	v_min_u32_e32 v13, 32, v13
	v_lshrrev_b16_e32 v12, 3, v3
	v_subrev_u32_e32 v14, 28, v13
	v_and_b32_e32 v12, 15, v12
	v_lshlrev_b32_e32 v14, v14, v3
	v_sub_u32_e32 v13, 29, v13
	v_and_b32_e32 v14, 7, v14
	v_cmp_eq_u16_e32 vcc, 0, v12
	v_cndmask_b32_e32 v6, v6, v14, vcc
	v_cndmask_b32_e32 v12, v12, v13, vcc
	v_lshlrev_b32_e32 v13, 24, v3
	v_mov_b32_e32 v14, 0x3b800000
	v_lshlrev_b32_e32 v6, 20, v6
	v_and_b32_e32 v13, 0x80000000, v13
	v_lshl_add_u32 v12, v12, 23, v14
	v_or3_b32 v6, v13, v12, v6
.LBB13_1320:
	s_or_b64 exec, exec, s[6:7]
	s_nop 0
	v_mfma_f32_16x16x4f32 a[0:3], v2, v6, a[0:3]
	v_lshrrev_b32_e32 v6, 8, v7
	s_movk_i32 s4, 0x7f
	v_cmp_gt_i16_sdwa s[6:7], v6, s4 src0_sel:BYTE_0 src1_sel:DWORD
	s_mov_b64 s[4:5], 0
                                        ; implicit-def: $sgpr10
	s_and_saveexec_b64 s[8:9], s[6:7]
	s_xor_b64 s[6:7], exec, s[8:9]
	s_cbranch_execnz .LBB13_3369
; %bb.1321:
	s_or_saveexec_b64 s[6:7], s[6:7]
	v_mov_b32_e32 v2, s10
	s_xor_b64 exec, exec, s[6:7]
	s_cbranch_execnz .LBB13_3372
.LBB13_1322:
	s_or_b64 exec, exec, s[6:7]
	s_and_saveexec_b64 s[6:7], s[4:5]
	s_cbranch_execz .LBB13_1324
.LBB13_1323:
	v_bfe_u32 v2, v7, 8, 3
	v_ffbh_u32_e32 v13, v2
	v_min_u32_e32 v13, 32, v13
	v_lshrrev_b16_e32 v12, 3, v6
	v_subrev_u32_e32 v14, 28, v13
	v_and_b32_e32 v12, 15, v12
	v_lshlrev_b32_e32 v6, v14, v6
	v_sub_u32_e32 v13, 29, v13
	v_and_b32_e32 v6, 7, v6
	v_cmp_eq_u16_e32 vcc, 0, v12
	v_cndmask_b32_e32 v2, v2, v6, vcc
	v_cndmask_b32_e32 v6, v12, v13, vcc
	v_lshlrev_b32_e32 v12, 16, v7
	v_mov_b32_e32 v13, 0x3b800000
	v_lshlrev_b32_e32 v2, 20, v2
	v_and_b32_e32 v12, 0x80000000, v12
	v_lshl_add_u32 v6, v6, 23, v13
	v_or3_b32 v2, v12, v6, v2
.LBB13_1324:
	s_or_b64 exec, exec, s[6:7]
	v_lshrrev_b32_e32 v6, 8, v3
	s_movk_i32 s4, 0x7f
	v_cmp_gt_i16_sdwa s[6:7], v6, s4 src0_sel:BYTE_0 src1_sel:DWORD
	s_mov_b64 s[4:5], 0
                                        ; implicit-def: $sgpr10
	s_and_saveexec_b64 s[8:9], s[6:7]
	s_xor_b64 s[6:7], exec, s[8:9]
	s_cbranch_execnz .LBB13_3373
; %bb.1325:
	s_or_saveexec_b64 s[6:7], s[6:7]
	v_mov_b32_e32 v12, s10
	s_xor_b64 exec, exec, s[6:7]
	s_cbranch_execnz .LBB13_3376
.LBB13_1326:
	s_or_b64 exec, exec, s[6:7]
	s_and_saveexec_b64 s[6:7], s[4:5]
	s_cbranch_execz .LBB13_1328
.LBB13_1327:
	v_bfe_u32 v12, v3, 8, 3
	v_ffbh_u32_e32 v14, v12
	v_min_u32_e32 v14, 32, v14
	v_lshrrev_b16_e32 v13, 3, v6
	v_subrev_u32_e32 v15, 28, v14
	v_and_b32_e32 v13, 15, v13
	v_lshlrev_b32_e32 v6, v15, v6
	v_sub_u32_e32 v14, 29, v14
	v_and_b32_e32 v6, 7, v6
	v_cmp_eq_u16_e32 vcc, 0, v13
	v_cndmask_b32_e32 v6, v12, v6, vcc
	v_cndmask_b32_e32 v12, v13, v14, vcc
	v_lshlrev_b32_e32 v13, 16, v3
	v_mov_b32_e32 v14, 0x3b800000
	v_lshlrev_b32_e32 v6, 20, v6
	v_and_b32_e32 v13, 0x80000000, v13
	v_lshl_add_u32 v12, v12, 23, v14
	v_or3_b32 v12, v13, v12, v6
.LBB13_1328:
	s_or_b64 exec, exec, s[6:7]
	s_nop 0
	v_mfma_f32_16x16x4f32 a[0:3], v2, v12, a[0:3]
	s_movk_i32 s4, 0xff
	v_and_b32_sdwa v6, v7, s4 dst_sel:DWORD dst_unused:UNUSED_PAD src0_sel:WORD_1 src1_sel:DWORD
	s_movk_i32 s4, 0x7f
	v_cmp_lt_i16_e32 vcc, s4, v6
	s_mov_b64 s[4:5], 0
                                        ; implicit-def: $sgpr10
	s_and_saveexec_b64 s[6:7], vcc
	s_xor_b64 s[6:7], exec, s[6:7]
	s_cbranch_execnz .LBB13_3377
; %bb.1329:
	s_or_saveexec_b64 s[6:7], s[6:7]
	v_mov_b32_e32 v2, s10
	s_xor_b64 exec, exec, s[6:7]
	s_cbranch_execnz .LBB13_3380
.LBB13_1330:
	s_or_b64 exec, exec, s[6:7]
	s_and_saveexec_b64 s[6:7], s[4:5]
	s_cbranch_execz .LBB13_1332
.LBB13_1331:
	v_bfe_u32 v2, v7, 16, 3
	v_ffbh_u32_e32 v13, v2
	v_min_u32_e32 v13, 32, v13
	v_lshrrev_b32_e32 v6, 19, v7
	v_subrev_u32_e32 v14, 28, v13
	v_and_b32_e32 v6, 15, v6
	v_lshlrev_b32_sdwa v14, v14, v7 dst_sel:DWORD dst_unused:UNUSED_PAD src0_sel:DWORD src1_sel:WORD_1
	v_bfe_u32 v12, v7, 19, 4
	v_sub_u32_e32 v13, 29, v13
	v_and_b32_e32 v14, 7, v14
	v_cmp_eq_u16_e32 vcc, 0, v6
	v_cndmask_b32_e32 v2, v2, v14, vcc
	v_cndmask_b32_e32 v6, v12, v13, vcc
	v_lshlrev_b32_e32 v12, 8, v7
	v_mov_b32_e32 v13, 0x3b800000
	v_lshlrev_b32_e32 v2, 20, v2
	v_and_b32_e32 v12, 0x80000000, v12
	v_lshl_add_u32 v6, v6, 23, v13
	v_or3_b32 v2, v12, v6, v2
.LBB13_1332:
	s_or_b64 exec, exec, s[6:7]
	s_movk_i32 s4, 0xff
	v_and_b32_sdwa v6, v3, s4 dst_sel:DWORD dst_unused:UNUSED_PAD src0_sel:WORD_1 src1_sel:DWORD
	s_movk_i32 s4, 0x7f
	v_cmp_lt_i16_e32 vcc, s4, v6
	s_mov_b64 s[4:5], 0
                                        ; implicit-def: $sgpr10
	s_and_saveexec_b64 s[6:7], vcc
	s_xor_b64 s[6:7], exec, s[6:7]
	s_cbranch_execnz .LBB13_3381
; %bb.1333:
	s_or_saveexec_b64 s[6:7], s[6:7]
	v_mov_b32_e32 v12, s10
	s_xor_b64 exec, exec, s[6:7]
	s_cbranch_execnz .LBB13_3384
.LBB13_1334:
	s_or_b64 exec, exec, s[6:7]
	s_and_saveexec_b64 s[6:7], s[4:5]
	s_cbranch_execz .LBB13_1336
.LBB13_1335:
	v_bfe_u32 v6, v3, 16, 3
	v_ffbh_u32_e32 v14, v6
	v_min_u32_e32 v14, 32, v14
	v_lshrrev_b32_e32 v12, 19, v3
	v_subrev_u32_e32 v15, 28, v14
	v_and_b32_e32 v12, 15, v12
	v_lshlrev_b32_sdwa v15, v15, v3 dst_sel:DWORD dst_unused:UNUSED_PAD src0_sel:DWORD src1_sel:WORD_1
	v_bfe_u32 v13, v3, 19, 4
	v_sub_u32_e32 v14, 29, v14
	v_and_b32_e32 v15, 7, v15
	v_cmp_eq_u16_e32 vcc, 0, v12
	v_cndmask_b32_e32 v6, v6, v15, vcc
	v_cndmask_b32_e32 v12, v13, v14, vcc
	v_lshlrev_b32_e32 v13, 8, v3
	v_mov_b32_e32 v14, 0x3b800000
	v_lshlrev_b32_e32 v6, 20, v6
	v_and_b32_e32 v13, 0x80000000, v13
	v_lshl_add_u32 v12, v12, 23, v14
	v_or3_b32 v12, v13, v12, v6
.LBB13_1336:
	s_or_b64 exec, exec, s[6:7]
	s_nop 0
	v_mfma_f32_16x16x4f32 a[0:3], v2, v12, a[0:3]
	s_movk_i32 s4, 0x7f
	v_cmp_gt_i16_sdwa s[6:7], v7, s4 src0_sel:BYTE_3 src1_sel:DWORD
	s_mov_b64 s[4:5], 0
                                        ; implicit-def: $sgpr10
	s_and_saveexec_b64 s[8:9], s[6:7]
	s_xor_b64 s[6:7], exec, s[8:9]
	s_cbranch_execnz .LBB13_3385
; %bb.1337:
	s_or_saveexec_b64 s[6:7], s[6:7]
	v_mov_b32_e32 v2, s10
	s_xor_b64 exec, exec, s[6:7]
	s_cbranch_execnz .LBB13_3388
.LBB13_1338:
	s_or_b64 exec, exec, s[6:7]
	s_and_saveexec_b64 s[6:7], s[4:5]
	s_cbranch_execz .LBB13_1340
.LBB13_1339:
	v_bfe_u32 v2, v7, 24, 3
	v_ffbh_u32_e32 v14, v2
	v_min_u32_e32 v14, 32, v14
	v_lshrrev_b32_e32 v12, 27, v7
	v_subrev_u32_e32 v15, 28, v14
	v_and_b32_e32 v6, 0x80000000, v7
	v_and_b32_e32 v12, 15, v12
	v_bfe_u32 v13, v7, 27, 4
	v_lshlrev_b32_sdwa v7, v15, v7 dst_sel:DWORD dst_unused:UNUSED_PAD src0_sel:DWORD src1_sel:BYTE_3
	v_sub_u32_e32 v14, 29, v14
	v_and_b32_e32 v7, 7, v7
	v_cmp_eq_u16_e32 vcc, 0, v12
	v_cndmask_b32_e32 v2, v2, v7, vcc
	v_cndmask_b32_e32 v7, v13, v14, vcc
	v_mov_b32_e32 v12, 0x3b800000
	v_lshlrev_b32_e32 v2, 20, v2
	v_lshl_add_u32 v7, v7, 23, v12
	v_or3_b32 v2, v6, v7, v2
.LBB13_1340:
	s_or_b64 exec, exec, s[6:7]
	s_movk_i32 s4, 0x7f
	v_cmp_gt_i16_sdwa s[6:7], v3, s4 src0_sel:BYTE_3 src1_sel:DWORD
	s_mov_b64 s[4:5], 0
                                        ; implicit-def: $sgpr10
	s_and_saveexec_b64 s[8:9], s[6:7]
	s_xor_b64 s[6:7], exec, s[8:9]
	s_cbranch_execnz .LBB13_3389
; %bb.1341:
	s_or_saveexec_b64 s[6:7], s[6:7]
	v_mov_b32_e32 v6, s10
	s_xor_b64 exec, exec, s[6:7]
	s_cbranch_execnz .LBB13_3392
.LBB13_1342:
	s_or_b64 exec, exec, s[6:7]
	s_and_saveexec_b64 s[6:7], s[4:5]
	s_cbranch_execz .LBB13_1344
.LBB13_1343:
	v_bfe_u32 v6, v3, 24, 3
	v_ffbh_u32_e32 v14, v6
	v_min_u32_e32 v14, 32, v14
	v_lshrrev_b32_e32 v12, 27, v3
	v_subrev_u32_e32 v15, 28, v14
	v_and_b32_e32 v7, 0x80000000, v3
	v_and_b32_e32 v12, 15, v12
	v_bfe_u32 v13, v3, 27, 4
	v_lshlrev_b32_sdwa v3, v15, v3 dst_sel:DWORD dst_unused:UNUSED_PAD src0_sel:DWORD src1_sel:BYTE_3
	v_sub_u32_e32 v14, 29, v14
	v_and_b32_e32 v3, 7, v3
	v_cmp_eq_u16_e32 vcc, 0, v12
	v_cndmask_b32_e32 v3, v6, v3, vcc
	v_cndmask_b32_e32 v6, v13, v14, vcc
	v_mov_b32_e32 v12, 0x3b800000
	v_lshlrev_b32_e32 v3, 20, v3
	v_lshl_add_u32 v6, v6, 23, v12
	v_or3_b32 v6, v7, v6, v3
.LBB13_1344:
	s_or_b64 exec, exec, s[6:7]
	s_nop 0
	v_mfma_f32_16x16x4f32 a[0:3], v2, v6, a[0:3]
	s_movk_i32 s4, 0x7f
	v_cmp_gt_i16_sdwa s[6:7], v8, s4 src0_sel:BYTE_0 src1_sel:DWORD
	s_mov_b64 s[4:5], 0
                                        ; implicit-def: $sgpr10
	s_and_saveexec_b64 s[8:9], s[6:7]
	s_xor_b64 s[6:7], exec, s[8:9]
	s_cbranch_execnz .LBB13_3393
; %bb.1345:
	s_or_saveexec_b64 s[6:7], s[6:7]
	v_mov_b32_e32 v2, s10
	s_xor_b64 exec, exec, s[6:7]
	s_cbranch_execnz .LBB13_3396
.LBB13_1346:
	s_or_b64 exec, exec, s[6:7]
	s_and_saveexec_b64 s[6:7], s[4:5]
	s_cbranch_execz .LBB13_1348
.LBB13_1347:
	v_and_b32_e32 v2, 7, v8
	v_ffbh_u32_e32 v6, v2
	v_min_u32_e32 v6, 32, v6
	v_lshrrev_b16_e32 v3, 3, v8
	v_subrev_u32_e32 v7, 28, v6
	v_and_b32_e32 v3, 15, v3
	v_lshlrev_b32_e32 v7, v7, v8
	v_sub_u32_e32 v6, 29, v6
	v_and_b32_e32 v7, 7, v7
	v_cmp_eq_u16_e32 vcc, 0, v3
	v_cndmask_b32_e32 v2, v2, v7, vcc
	v_cndmask_b32_e32 v3, v3, v6, vcc
	v_lshlrev_b32_e32 v6, 24, v8
	v_mov_b32_e32 v7, 0x3b800000
	v_lshlrev_b32_e32 v2, 20, v2
	v_and_b32_e32 v6, 0x80000000, v6
	v_lshl_add_u32 v3, v3, 23, v7
	v_or3_b32 v2, v6, v3, v2
.LBB13_1348:
	s_or_b64 exec, exec, s[6:7]
	s_movk_i32 s4, 0x7f
	v_cmp_gt_i16_sdwa s[6:7], v4, s4 src0_sel:BYTE_0 src1_sel:DWORD
	s_mov_b64 s[4:5], 0
                                        ; implicit-def: $sgpr10
	s_and_saveexec_b64 s[8:9], s[6:7]
	s_xor_b64 s[6:7], exec, s[8:9]
	s_cbranch_execnz .LBB13_3397
; %bb.1349:
	s_or_saveexec_b64 s[6:7], s[6:7]
	v_mov_b32_e32 v3, s10
	s_xor_b64 exec, exec, s[6:7]
	s_cbranch_execnz .LBB13_3400
.LBB13_1350:
	s_or_b64 exec, exec, s[6:7]
	s_and_saveexec_b64 s[6:7], s[4:5]
	s_cbranch_execz .LBB13_1352
.LBB13_1351:
	v_and_b32_e32 v3, 7, v4
	v_ffbh_u32_e32 v7, v3
	v_min_u32_e32 v7, 32, v7
	v_lshrrev_b16_e32 v6, 3, v4
	v_subrev_u32_e32 v12, 28, v7
	v_and_b32_e32 v6, 15, v6
	v_lshlrev_b32_e32 v12, v12, v4
	v_sub_u32_e32 v7, 29, v7
	v_and_b32_e32 v12, 7, v12
	v_cmp_eq_u16_e32 vcc, 0, v6
	v_cndmask_b32_e32 v3, v3, v12, vcc
	v_cndmask_b32_e32 v6, v6, v7, vcc
	v_lshlrev_b32_e32 v7, 24, v4
	v_mov_b32_e32 v12, 0x3b800000
	v_lshlrev_b32_e32 v3, 20, v3
	v_and_b32_e32 v7, 0x80000000, v7
	v_lshl_add_u32 v6, v6, 23, v12
	v_or3_b32 v3, v7, v6, v3
.LBB13_1352:
	s_or_b64 exec, exec, s[6:7]
	s_nop 0
	v_mfma_f32_16x16x4f32 a[0:3], v2, v3, a[0:3]
	v_lshrrev_b32_e32 v3, 8, v8
	s_movk_i32 s4, 0x7f
	v_cmp_gt_i16_sdwa s[6:7], v3, s4 src0_sel:BYTE_0 src1_sel:DWORD
	s_mov_b64 s[4:5], 0
                                        ; implicit-def: $sgpr10
	s_and_saveexec_b64 s[8:9], s[6:7]
	s_xor_b64 s[6:7], exec, s[8:9]
	s_cbranch_execnz .LBB13_3401
; %bb.1353:
	s_or_saveexec_b64 s[6:7], s[6:7]
	v_mov_b32_e32 v2, s10
	s_xor_b64 exec, exec, s[6:7]
	s_cbranch_execnz .LBB13_3404
.LBB13_1354:
	s_or_b64 exec, exec, s[6:7]
	s_and_saveexec_b64 s[6:7], s[4:5]
	s_cbranch_execz .LBB13_1356
.LBB13_1355:
	v_bfe_u32 v2, v8, 8, 3
	v_ffbh_u32_e32 v7, v2
	v_min_u32_e32 v7, 32, v7
	v_lshrrev_b16_e32 v6, 3, v3
	v_subrev_u32_e32 v12, 28, v7
	v_and_b32_e32 v6, 15, v6
	v_lshlrev_b32_e32 v3, v12, v3
	v_sub_u32_e32 v7, 29, v7
	v_and_b32_e32 v3, 7, v3
	v_cmp_eq_u16_e32 vcc, 0, v6
	v_cndmask_b32_e32 v2, v2, v3, vcc
	v_cndmask_b32_e32 v3, v6, v7, vcc
	v_lshlrev_b32_e32 v6, 16, v8
	v_mov_b32_e32 v7, 0x3b800000
	v_lshlrev_b32_e32 v2, 20, v2
	v_and_b32_e32 v6, 0x80000000, v6
	v_lshl_add_u32 v3, v3, 23, v7
	v_or3_b32 v2, v6, v3, v2
.LBB13_1356:
	s_or_b64 exec, exec, s[6:7]
	v_lshrrev_b32_e32 v3, 8, v4
	s_movk_i32 s4, 0x7f
	v_cmp_gt_i16_sdwa s[6:7], v3, s4 src0_sel:BYTE_0 src1_sel:DWORD
	s_mov_b64 s[4:5], 0
                                        ; implicit-def: $sgpr10
	s_and_saveexec_b64 s[8:9], s[6:7]
	s_xor_b64 s[6:7], exec, s[8:9]
	s_cbranch_execnz .LBB13_3405
; %bb.1357:
	s_or_saveexec_b64 s[6:7], s[6:7]
	v_mov_b32_e32 v6, s10
	s_xor_b64 exec, exec, s[6:7]
	s_cbranch_execnz .LBB13_3408
.LBB13_1358:
	s_or_b64 exec, exec, s[6:7]
	s_and_saveexec_b64 s[6:7], s[4:5]
	s_cbranch_execz .LBB13_1360
.LBB13_1359:
	v_bfe_u32 v6, v4, 8, 3
	v_ffbh_u32_e32 v12, v6
	v_min_u32_e32 v12, 32, v12
	v_lshrrev_b16_e32 v7, 3, v3
	v_subrev_u32_e32 v13, 28, v12
	v_and_b32_e32 v7, 15, v7
	v_lshlrev_b32_e32 v3, v13, v3
	v_sub_u32_e32 v12, 29, v12
	v_and_b32_e32 v3, 7, v3
	v_cmp_eq_u16_e32 vcc, 0, v7
	v_cndmask_b32_e32 v3, v6, v3, vcc
	v_cndmask_b32_e32 v6, v7, v12, vcc
	v_lshlrev_b32_e32 v7, 16, v4
	v_mov_b32_e32 v12, 0x3b800000
	v_lshlrev_b32_e32 v3, 20, v3
	v_and_b32_e32 v7, 0x80000000, v7
	v_lshl_add_u32 v6, v6, 23, v12
	v_or3_b32 v6, v7, v6, v3
.LBB13_1360:
	s_or_b64 exec, exec, s[6:7]
	s_nop 0
	v_mfma_f32_16x16x4f32 a[0:3], v2, v6, a[0:3]
	s_movk_i32 s4, 0xff
	v_and_b32_sdwa v3, v8, s4 dst_sel:DWORD dst_unused:UNUSED_PAD src0_sel:WORD_1 src1_sel:DWORD
	s_movk_i32 s4, 0x7f
	v_cmp_lt_i16_e32 vcc, s4, v3
	s_mov_b64 s[4:5], 0
                                        ; implicit-def: $sgpr10
	s_and_saveexec_b64 s[6:7], vcc
	s_xor_b64 s[6:7], exec, s[6:7]
	s_cbranch_execnz .LBB13_3409
; %bb.1361:
	s_or_saveexec_b64 s[6:7], s[6:7]
	v_mov_b32_e32 v2, s10
	s_xor_b64 exec, exec, s[6:7]
	s_cbranch_execnz .LBB13_3412
.LBB13_1362:
	s_or_b64 exec, exec, s[6:7]
	s_and_saveexec_b64 s[6:7], s[4:5]
	s_cbranch_execz .LBB13_1364
.LBB13_1363:
	v_bfe_u32 v2, v8, 16, 3
	v_ffbh_u32_e32 v7, v2
	v_min_u32_e32 v7, 32, v7
	v_lshrrev_b32_e32 v3, 19, v8
	v_subrev_u32_e32 v12, 28, v7
	v_and_b32_e32 v3, 15, v3
	v_lshlrev_b32_sdwa v12, v12, v8 dst_sel:DWORD dst_unused:UNUSED_PAD src0_sel:DWORD src1_sel:WORD_1
	v_bfe_u32 v6, v8, 19, 4
	v_sub_u32_e32 v7, 29, v7
	v_and_b32_e32 v12, 7, v12
	v_cmp_eq_u16_e32 vcc, 0, v3
	v_cndmask_b32_e32 v2, v2, v12, vcc
	v_cndmask_b32_e32 v3, v6, v7, vcc
	v_lshlrev_b32_e32 v6, 8, v8
	v_mov_b32_e32 v7, 0x3b800000
	v_lshlrev_b32_e32 v2, 20, v2
	v_and_b32_e32 v6, 0x80000000, v6
	v_lshl_add_u32 v3, v3, 23, v7
	v_or3_b32 v2, v6, v3, v2
.LBB13_1364:
	s_or_b64 exec, exec, s[6:7]
	s_movk_i32 s4, 0xff
	v_and_b32_sdwa v3, v4, s4 dst_sel:DWORD dst_unused:UNUSED_PAD src0_sel:WORD_1 src1_sel:DWORD
	s_movk_i32 s4, 0x7f
	v_cmp_lt_i16_e32 vcc, s4, v3
	s_mov_b64 s[4:5], 0
                                        ; implicit-def: $sgpr10
	s_and_saveexec_b64 s[6:7], vcc
	s_xor_b64 s[6:7], exec, s[6:7]
	s_cbranch_execnz .LBB13_3413
; %bb.1365:
	s_or_saveexec_b64 s[6:7], s[6:7]
	v_mov_b32_e32 v6, s10
	s_xor_b64 exec, exec, s[6:7]
	s_cbranch_execnz .LBB13_3416
.LBB13_1366:
	s_or_b64 exec, exec, s[6:7]
	s_and_saveexec_b64 s[6:7], s[4:5]
	s_cbranch_execz .LBB13_1368
.LBB13_1367:
	v_bfe_u32 v3, v4, 16, 3
	v_ffbh_u32_e32 v12, v3
	v_min_u32_e32 v12, 32, v12
	v_lshrrev_b32_e32 v6, 19, v4
	v_subrev_u32_e32 v13, 28, v12
	v_and_b32_e32 v6, 15, v6
	v_lshlrev_b32_sdwa v13, v13, v4 dst_sel:DWORD dst_unused:UNUSED_PAD src0_sel:DWORD src1_sel:WORD_1
	v_bfe_u32 v7, v4, 19, 4
	v_sub_u32_e32 v12, 29, v12
	v_and_b32_e32 v13, 7, v13
	v_cmp_eq_u16_e32 vcc, 0, v6
	v_cndmask_b32_e32 v3, v3, v13, vcc
	v_cndmask_b32_e32 v6, v7, v12, vcc
	v_lshlrev_b32_e32 v7, 8, v4
	v_mov_b32_e32 v12, 0x3b800000
	v_lshlrev_b32_e32 v3, 20, v3
	v_and_b32_e32 v7, 0x80000000, v7
	v_lshl_add_u32 v6, v6, 23, v12
	v_or3_b32 v6, v7, v6, v3
.LBB13_1368:
	s_or_b64 exec, exec, s[6:7]
	s_nop 0
	v_mfma_f32_16x16x4f32 a[0:3], v2, v6, a[0:3]
	s_movk_i32 s4, 0x7f
	v_cmp_gt_i16_sdwa s[6:7], v8, s4 src0_sel:BYTE_3 src1_sel:DWORD
	s_mov_b64 s[4:5], 0
                                        ; implicit-def: $sgpr10
	s_and_saveexec_b64 s[8:9], s[6:7]
	s_xor_b64 s[6:7], exec, s[8:9]
	s_cbranch_execnz .LBB13_3417
; %bb.1369:
	s_or_saveexec_b64 s[6:7], s[6:7]
	v_mov_b32_e32 v2, s10
	s_xor_b64 exec, exec, s[6:7]
	s_cbranch_execnz .LBB13_3420
.LBB13_1370:
	s_or_b64 exec, exec, s[6:7]
	s_and_saveexec_b64 s[6:7], s[4:5]
	s_cbranch_execz .LBB13_1372
.LBB13_1371:
	v_bfe_u32 v2, v8, 24, 3
	v_ffbh_u32_e32 v12, v2
	v_min_u32_e32 v12, 32, v12
	v_lshrrev_b32_e32 v6, 27, v8
	v_subrev_u32_e32 v13, 28, v12
	v_and_b32_e32 v3, 0x80000000, v8
	v_and_b32_e32 v6, 15, v6
	v_bfe_u32 v7, v8, 27, 4
	v_lshlrev_b32_sdwa v8, v13, v8 dst_sel:DWORD dst_unused:UNUSED_PAD src0_sel:DWORD src1_sel:BYTE_3
	v_sub_u32_e32 v12, 29, v12
	v_and_b32_e32 v8, 7, v8
	v_cmp_eq_u16_e32 vcc, 0, v6
	v_cndmask_b32_e32 v2, v2, v8, vcc
	v_cndmask_b32_e32 v6, v7, v12, vcc
	v_mov_b32_e32 v7, 0x3b800000
	v_lshlrev_b32_e32 v2, 20, v2
	v_lshl_add_u32 v6, v6, 23, v7
	v_or3_b32 v2, v3, v6, v2
.LBB13_1372:
	s_or_b64 exec, exec, s[6:7]
	s_movk_i32 s4, 0x7f
	v_cmp_gt_i16_sdwa s[6:7], v4, s4 src0_sel:BYTE_3 src1_sel:DWORD
	s_mov_b64 s[4:5], 0
                                        ; implicit-def: $sgpr10
	s_and_saveexec_b64 s[8:9], s[6:7]
	s_xor_b64 s[6:7], exec, s[8:9]
	s_cbranch_execnz .LBB13_3421
; %bb.1373:
	s_or_saveexec_b64 s[6:7], s[6:7]
	v_mov_b32_e32 v3, s10
	s_xor_b64 exec, exec, s[6:7]
	s_cbranch_execnz .LBB13_3424
.LBB13_1374:
	s_or_b64 exec, exec, s[6:7]
	s_and_saveexec_b64 s[6:7], s[4:5]
	s_cbranch_execz .LBB13_1376
.LBB13_1375:
	v_bfe_u32 v3, v4, 24, 3
	v_ffbh_u32_e32 v12, v3
	v_min_u32_e32 v12, 32, v12
	v_lshrrev_b32_e32 v7, 27, v4
	v_subrev_u32_e32 v13, 28, v12
	v_and_b32_e32 v6, 0x80000000, v4
	v_and_b32_e32 v7, 15, v7
	v_bfe_u32 v8, v4, 27, 4
	v_lshlrev_b32_sdwa v4, v13, v4 dst_sel:DWORD dst_unused:UNUSED_PAD src0_sel:DWORD src1_sel:BYTE_3
	v_sub_u32_e32 v12, 29, v12
	v_and_b32_e32 v4, 7, v4
	v_cmp_eq_u16_e32 vcc, 0, v7
	v_cndmask_b32_e32 v3, v3, v4, vcc
	v_cndmask_b32_e32 v4, v8, v12, vcc
	v_mov_b32_e32 v7, 0x3b800000
	v_lshlrev_b32_e32 v3, 20, v3
	v_lshl_add_u32 v4, v4, 23, v7
	v_or3_b32 v3, v6, v4, v3
.LBB13_1376:
	s_or_b64 exec, exec, s[6:7]
	s_nop 0
	v_mfma_f32_16x16x4f32 a[0:3], v2, v3, a[0:3]
	s_movk_i32 s4, 0x7f
	v_cmp_gt_i16_sdwa s[6:7], v9, s4 src0_sel:BYTE_0 src1_sel:DWORD
	s_mov_b64 s[4:5], 0
                                        ; implicit-def: $sgpr10
	s_and_saveexec_b64 s[8:9], s[6:7]
	s_xor_b64 s[6:7], exec, s[8:9]
	s_cbranch_execnz .LBB13_3425
; %bb.1377:
	s_or_saveexec_b64 s[6:7], s[6:7]
	v_mov_b32_e32 v2, s10
	s_xor_b64 exec, exec, s[6:7]
	s_cbranch_execnz .LBB13_3428
.LBB13_1378:
	s_or_b64 exec, exec, s[6:7]
	s_and_saveexec_b64 s[6:7], s[4:5]
	s_cbranch_execz .LBB13_1380
.LBB13_1379:
	v_mov_b32_e32 v2, 8
	v_and_b32_e32 v3, 7, v9
	v_lshrrev_b32_sdwa v2, v2, v9 dst_sel:BYTE_1 dst_unused:UNUSED_PAD src0_sel:DWORD src1_sel:DWORD
	v_ffbh_u32_e32 v4, v3
	v_or_b32_sdwa v2, v9, v2 dst_sel:DWORD dst_unused:UNUSED_PAD src0_sel:BYTE_0 src1_sel:DWORD
	v_min_u32_e32 v4, 32, v4
	v_lshrrev_b16_e32 v2, 3, v2
	v_subrev_u32_e32 v6, 28, v4
	v_and_b32_e32 v2, 15, v2
	v_lshlrev_b32_e32 v6, v6, v9
	v_sub_u32_e32 v4, 29, v4
	v_and_b32_e32 v6, 7, v6
	v_cmp_eq_u16_e32 vcc, 0, v2
	v_cndmask_b32_e32 v3, v3, v6, vcc
	v_cndmask_b32_e32 v2, v2, v4, vcc
	v_lshlrev_b32_e32 v4, 24, v9
	v_mov_b32_e32 v6, 0x3b800000
	v_lshlrev_b32_e32 v3, 20, v3
	v_and_b32_e32 v4, 0x80000000, v4
	v_lshl_add_u32 v2, v2, 23, v6
	v_or3_b32 v2, v4, v2, v3
.LBB13_1380:
	s_or_b64 exec, exec, s[6:7]
	s_movk_i32 s4, 0x7f
	v_cmp_gt_i16_sdwa s[6:7], v5, s4 src0_sel:BYTE_0 src1_sel:DWORD
	s_mov_b64 s[4:5], 0
                                        ; implicit-def: $sgpr10
	s_and_saveexec_b64 s[8:9], s[6:7]
	s_xor_b64 s[6:7], exec, s[8:9]
	s_cbranch_execnz .LBB13_3429
; %bb.1381:
	s_or_saveexec_b64 s[6:7], s[6:7]
	v_mov_b32_e32 v3, s10
	s_xor_b64 exec, exec, s[6:7]
	s_cbranch_execnz .LBB13_3432
.LBB13_1382:
	s_or_b64 exec, exec, s[6:7]
	s_and_saveexec_b64 s[6:7], s[4:5]
	s_cbranch_execz .LBB13_1384
.LBB13_1383:
	v_mov_b32_e32 v3, 8
	v_and_b32_e32 v4, 7, v5
	v_lshrrev_b32_sdwa v3, v3, v5 dst_sel:BYTE_1 dst_unused:UNUSED_PAD src0_sel:DWORD src1_sel:DWORD
	v_ffbh_u32_e32 v6, v4
	v_or_b32_sdwa v3, v5, v3 dst_sel:DWORD dst_unused:UNUSED_PAD src0_sel:BYTE_0 src1_sel:DWORD
	v_min_u32_e32 v6, 32, v6
	v_lshrrev_b16_e32 v3, 3, v3
	v_subrev_u32_e32 v7, 28, v6
	v_and_b32_e32 v3, 15, v3
	v_lshlrev_b32_e32 v7, v7, v5
	v_sub_u32_e32 v6, 29, v6
	v_and_b32_e32 v7, 7, v7
	v_cmp_eq_u16_e32 vcc, 0, v3
	v_cndmask_b32_e32 v4, v4, v7, vcc
	v_cndmask_b32_e32 v3, v3, v6, vcc
	v_lshlrev_b32_e32 v6, 24, v5
	v_mov_b32_e32 v7, 0x3b800000
	v_lshlrev_b32_e32 v4, 20, v4
	v_and_b32_e32 v6, 0x80000000, v6
	v_lshl_add_u32 v3, v3, 23, v7
	v_or3_b32 v3, v6, v3, v4
.LBB13_1384:
	s_or_b64 exec, exec, s[6:7]
	s_nop 0
	v_mfma_f32_16x16x4f32 a[0:3], v2, v3, a[0:3]
	v_lshrrev_b32_e32 v3, 8, v9
	s_movk_i32 s4, 0x7f
	v_cmp_gt_i16_sdwa s[6:7], v3, s4 src0_sel:BYTE_0 src1_sel:DWORD
	s_mov_b64 s[4:5], 0
                                        ; implicit-def: $sgpr10
	s_and_saveexec_b64 s[8:9], s[6:7]
	s_xor_b64 s[6:7], exec, s[8:9]
	s_cbranch_execnz .LBB13_3433
; %bb.1385:
	s_or_saveexec_b64 s[6:7], s[6:7]
	v_mov_b32_e32 v2, s10
	s_xor_b64 exec, exec, s[6:7]
	s_cbranch_execnz .LBB13_3436
.LBB13_1386:
	s_or_b64 exec, exec, s[6:7]
	s_and_saveexec_b64 s[6:7], s[4:5]
	s_cbranch_execz .LBB13_1388
.LBB13_1387:
	v_bfe_u32 v2, v9, 8, 3
	v_ffbh_u32_e32 v6, v2
	v_min_u32_e32 v6, 32, v6
	v_lshrrev_b16_e32 v4, 3, v3
	v_subrev_u32_e32 v7, 28, v6
	v_and_b32_e32 v4, 15, v4
	v_lshlrev_b32_e32 v3, v7, v3
	v_sub_u32_e32 v6, 29, v6
	v_and_b32_e32 v3, 7, v3
	v_cmp_eq_u16_e32 vcc, 0, v4
	v_cndmask_b32_e32 v2, v2, v3, vcc
	v_cndmask_b32_e32 v3, v4, v6, vcc
	v_lshlrev_b32_e32 v4, 16, v9
	v_mov_b32_e32 v6, 0x3b800000
	v_lshlrev_b32_e32 v2, 20, v2
	v_and_b32_e32 v4, 0x80000000, v4
	v_lshl_add_u32 v3, v3, 23, v6
	v_or3_b32 v2, v4, v3, v2
.LBB13_1388:
	s_or_b64 exec, exec, s[6:7]
	v_lshrrev_b32_e32 v3, 8, v5
	s_movk_i32 s4, 0x7f
	v_cmp_gt_i16_sdwa s[6:7], v3, s4 src0_sel:BYTE_0 src1_sel:DWORD
	s_mov_b64 s[4:5], 0
                                        ; implicit-def: $sgpr10
	s_and_saveexec_b64 s[8:9], s[6:7]
	s_xor_b64 s[6:7], exec, s[8:9]
	s_cbranch_execnz .LBB13_3437
; %bb.1389:
	s_or_saveexec_b64 s[6:7], s[6:7]
	v_mov_b32_e32 v4, s10
	s_xor_b64 exec, exec, s[6:7]
	s_cbranch_execnz .LBB13_3440
.LBB13_1390:
	s_or_b64 exec, exec, s[6:7]
	s_and_saveexec_b64 s[6:7], s[4:5]
	s_cbranch_execz .LBB13_1392
.LBB13_1391:
	v_bfe_u32 v4, v5, 8, 3
	v_ffbh_u32_e32 v7, v4
	v_min_u32_e32 v7, 32, v7
	v_lshrrev_b16_e32 v6, 3, v3
	v_subrev_u32_e32 v8, 28, v7
	v_and_b32_e32 v6, 15, v6
	v_lshlrev_b32_e32 v3, v8, v3
	v_sub_u32_e32 v7, 29, v7
	v_and_b32_e32 v3, 7, v3
	v_cmp_eq_u16_e32 vcc, 0, v6
	v_cndmask_b32_e32 v3, v4, v3, vcc
	v_cndmask_b32_e32 v4, v6, v7, vcc
	v_lshlrev_b32_e32 v6, 16, v5
	v_mov_b32_e32 v7, 0x3b800000
	v_lshlrev_b32_e32 v3, 20, v3
	v_and_b32_e32 v6, 0x80000000, v6
	v_lshl_add_u32 v4, v4, 23, v7
	v_or3_b32 v4, v6, v4, v3
.LBB13_1392:
	s_or_b64 exec, exec, s[6:7]
	s_nop 0
	v_mfma_f32_16x16x4f32 a[0:3], v2, v4, a[0:3]
	s_movk_i32 s4, 0xff
	v_and_b32_sdwa v3, v9, s4 dst_sel:DWORD dst_unused:UNUSED_PAD src0_sel:WORD_1 src1_sel:DWORD
	s_movk_i32 s4, 0x7f
	v_cmp_lt_i16_e32 vcc, s4, v3
	s_mov_b64 s[4:5], 0
                                        ; implicit-def: $sgpr10
	s_and_saveexec_b64 s[6:7], vcc
	s_xor_b64 s[6:7], exec, s[6:7]
	s_cbranch_execnz .LBB13_3441
; %bb.1393:
	s_or_saveexec_b64 s[6:7], s[6:7]
	v_mov_b32_e32 v2, s10
	s_xor_b64 exec, exec, s[6:7]
	s_cbranch_execnz .LBB13_3444
.LBB13_1394:
	s_or_b64 exec, exec, s[6:7]
	s_and_saveexec_b64 s[6:7], s[4:5]
	s_cbranch_execz .LBB13_1396
.LBB13_1395:
	v_bfe_u32 v2, v9, 16, 3
	v_ffbh_u32_e32 v6, v2
	v_min_u32_e32 v6, 32, v6
	v_lshrrev_b32_e32 v3, 19, v9
	v_subrev_u32_e32 v7, 28, v6
	v_and_b32_e32 v3, 15, v3
	v_lshlrev_b32_sdwa v7, v7, v9 dst_sel:DWORD dst_unused:UNUSED_PAD src0_sel:DWORD src1_sel:WORD_1
	v_bfe_u32 v4, v9, 19, 4
	v_sub_u32_e32 v6, 29, v6
	v_and_b32_e32 v7, 7, v7
	v_cmp_eq_u16_e32 vcc, 0, v3
	v_cndmask_b32_e32 v2, v2, v7, vcc
	v_cndmask_b32_e32 v3, v4, v6, vcc
	v_lshlrev_b32_e32 v4, 8, v9
	v_mov_b32_e32 v6, 0x3b800000
	v_lshlrev_b32_e32 v2, 20, v2
	v_and_b32_e32 v4, 0x80000000, v4
	v_lshl_add_u32 v3, v3, 23, v6
	v_or3_b32 v2, v4, v3, v2
.LBB13_1396:
	s_or_b64 exec, exec, s[6:7]
	s_movk_i32 s4, 0xff
	v_and_b32_sdwa v3, v5, s4 dst_sel:DWORD dst_unused:UNUSED_PAD src0_sel:WORD_1 src1_sel:DWORD
	s_movk_i32 s4, 0x7f
	v_cmp_lt_i16_e32 vcc, s4, v3
	s_mov_b64 s[4:5], 0
                                        ; implicit-def: $sgpr10
	s_and_saveexec_b64 s[6:7], vcc
	s_xor_b64 s[6:7], exec, s[6:7]
	s_cbranch_execnz .LBB13_3445
; %bb.1397:
	s_or_saveexec_b64 s[6:7], s[6:7]
	v_mov_b32_e32 v4, s10
	s_xor_b64 exec, exec, s[6:7]
	s_cbranch_execnz .LBB13_3448
.LBB13_1398:
	s_or_b64 exec, exec, s[6:7]
	s_and_saveexec_b64 s[6:7], s[4:5]
	s_cbranch_execz .LBB13_1400
.LBB13_1399:
	v_bfe_u32 v3, v5, 16, 3
	v_ffbh_u32_e32 v7, v3
	v_min_u32_e32 v7, 32, v7
	v_lshrrev_b32_e32 v4, 19, v5
	v_subrev_u32_e32 v8, 28, v7
	v_and_b32_e32 v4, 15, v4
	v_lshlrev_b32_sdwa v8, v8, v5 dst_sel:DWORD dst_unused:UNUSED_PAD src0_sel:DWORD src1_sel:WORD_1
	v_bfe_u32 v6, v5, 19, 4
	v_sub_u32_e32 v7, 29, v7
	v_and_b32_e32 v8, 7, v8
	v_cmp_eq_u16_e32 vcc, 0, v4
	v_cndmask_b32_e32 v3, v3, v8, vcc
	v_cndmask_b32_e32 v4, v6, v7, vcc
	v_lshlrev_b32_e32 v6, 8, v5
	v_mov_b32_e32 v7, 0x3b800000
	v_lshlrev_b32_e32 v3, 20, v3
	v_and_b32_e32 v6, 0x80000000, v6
	v_lshl_add_u32 v4, v4, 23, v7
	v_or3_b32 v4, v6, v4, v3
.LBB13_1400:
	s_or_b64 exec, exec, s[6:7]
	s_nop 0
	v_mfma_f32_16x16x4f32 a[0:3], v2, v4, a[0:3]
	s_movk_i32 s4, 0x7f
	v_cmp_gt_i16_sdwa s[6:7], v9, s4 src0_sel:BYTE_3 src1_sel:DWORD
	s_mov_b64 s[4:5], 0
                                        ; implicit-def: $sgpr10
	s_and_saveexec_b64 s[8:9], s[6:7]
	s_xor_b64 s[6:7], exec, s[8:9]
	s_cbranch_execnz .LBB13_3449
; %bb.1401:
	s_or_saveexec_b64 s[6:7], s[6:7]
	v_mov_b32_e32 v2, s10
	s_xor_b64 exec, exec, s[6:7]
	s_cbranch_execnz .LBB13_3452
.LBB13_1402:
	s_or_b64 exec, exec, s[6:7]
	s_and_saveexec_b64 s[6:7], s[4:5]
	s_cbranch_execz .LBB13_1404
.LBB13_1403:
	v_bfe_u32 v2, v9, 24, 3
	v_ffbh_u32_e32 v7, v2
	v_min_u32_e32 v7, 32, v7
	v_lshrrev_b32_e32 v4, 27, v9
	v_subrev_u32_e32 v8, 28, v7
	v_and_b32_e32 v4, 15, v4
	v_lshlrev_b32_sdwa v8, v8, v9 dst_sel:DWORD dst_unused:UNUSED_PAD src0_sel:DWORD src1_sel:BYTE_3
	v_bfe_u32 v6, v9, 27, 4
	v_sub_u32_e32 v7, 29, v7
	v_and_b32_e32 v8, 7, v8
	v_cmp_eq_u16_e32 vcc, 0, v4
	v_cndmask_b32_e32 v2, v2, v8, vcc
	v_cndmask_b32_e32 v4, v6, v7, vcc
	v_mov_b32_e32 v6, 0x3b800000
	v_and_b32_e32 v3, 0x80000000, v9
	v_lshlrev_b32_e32 v2, 20, v2
	v_lshl_add_u32 v4, v4, 23, v6
	v_or3_b32 v2, v3, v4, v2
.LBB13_1404:
	s_or_b64 exec, exec, s[6:7]
	s_movk_i32 s4, 0x7f
	v_cmp_gt_i16_sdwa s[6:7], v5, s4 src0_sel:BYTE_3 src1_sel:DWORD
	s_mov_b64 s[4:5], 0
                                        ; implicit-def: $sgpr10
	s_and_saveexec_b64 s[8:9], s[6:7]
	s_xor_b64 s[6:7], exec, s[8:9]
	s_cbranch_execnz .LBB13_3453
; %bb.1405:
	s_or_saveexec_b64 s[6:7], s[6:7]
	v_mov_b32_e32 v3, s10
	s_xor_b64 exec, exec, s[6:7]
	s_cbranch_execnz .LBB13_3456
.LBB13_1406:
	s_or_b64 exec, exec, s[6:7]
	s_and_saveexec_b64 s[6:7], s[4:5]
	s_cbranch_execz .LBB13_1408
.LBB13_1407:
	v_bfe_u32 v3, v5, 24, 3
	v_ffbh_u32_e32 v8, v3
	v_min_u32_e32 v8, 32, v8
	v_lshrrev_b32_e32 v6, 27, v5
	v_subrev_u32_e32 v9, 28, v8
	v_and_b32_e32 v4, 0x80000000, v5
	v_and_b32_e32 v6, 15, v6
	v_bfe_u32 v7, v5, 27, 4
	v_lshlrev_b32_sdwa v5, v9, v5 dst_sel:DWORD dst_unused:UNUSED_PAD src0_sel:DWORD src1_sel:BYTE_3
	v_sub_u32_e32 v8, 29, v8
	v_and_b32_e32 v5, 7, v5
	v_cmp_eq_u16_e32 vcc, 0, v6
	v_cndmask_b32_e32 v3, v3, v5, vcc
	v_cndmask_b32_e32 v5, v7, v8, vcc
	v_mov_b32_e32 v6, 0x3b800000
	v_lshlrev_b32_e32 v3, 20, v3
	v_lshl_add_u32 v5, v5, 23, v6
	v_or3_b32 v3, v4, v5, v3
.LBB13_1408:
	s_or_b64 exec, exec, s[6:7]
	s_nop 0
	v_mfma_f32_16x16x4f32 a[0:3], v2, v3, a[0:3]
	s_movk_i32 s4, 0x7f
                                        ; implicit-def: $sgpr10
	s_nop 7
	s_nop 1
	flat_store_dwordx4 v[10:11], a[0:3] offset:160
	flat_load_dwordx4 v[12:15], v[0:1] offset:8
	s_nop 0
	flat_load_dwordx2 v[10:11], v[0:1] offset:32
	s_waitcnt vmcnt(0) lgkmcnt(0)
	flat_load_dwordx4 v[6:9], v[12:13] offset:80
	flat_load_dwordx4 v[2:5], v[14:15] offset:112
	s_waitcnt vmcnt(0) lgkmcnt(0)
	v_cmp_gt_i16_sdwa s[6:7], v6, s4 src0_sel:BYTE_0 src1_sel:DWORD
	s_mov_b64 s[4:5], 0
	s_and_saveexec_b64 s[8:9], s[6:7]
	s_xor_b64 s[6:7], exec, s[8:9]
	s_cbranch_execnz .LBB13_3457
; %bb.1409:
	s_or_saveexec_b64 s[6:7], s[6:7]
	v_mov_b32_e32 v12, s10
	s_xor_b64 exec, exec, s[6:7]
	s_cbranch_execnz .LBB13_3460
.LBB13_1410:
	s_or_b64 exec, exec, s[6:7]
	s_and_saveexec_b64 s[6:7], s[4:5]
	s_cbranch_execz .LBB13_1412
.LBB13_1411:
	v_and_b32_e32 v12, 7, v6
	v_ffbh_u32_e32 v14, v12
	v_min_u32_e32 v14, 32, v14
	v_lshrrev_b16_e32 v13, 3, v6
	v_subrev_u32_e32 v15, 28, v14
	v_and_b32_e32 v13, 15, v13
	v_lshlrev_b32_e32 v15, v15, v6
	v_sub_u32_e32 v14, 29, v14
	v_and_b32_e32 v15, 7, v15
	v_cmp_eq_u16_e32 vcc, 0, v13
	v_cndmask_b32_e32 v12, v12, v15, vcc
	v_cndmask_b32_e32 v13, v13, v14, vcc
	v_lshlrev_b32_e32 v14, 24, v6
	v_mov_b32_e32 v15, 0x3b800000
	v_lshlrev_b32_e32 v12, 20, v12
	v_and_b32_e32 v14, 0x80000000, v14
	v_lshl_add_u32 v13, v13, 23, v15
	v_or3_b32 v12, v14, v13, v12
.LBB13_1412:
	s_or_b64 exec, exec, s[6:7]
	s_movk_i32 s4, 0x7f
	v_cmp_gt_i16_sdwa s[6:7], v2, s4 src0_sel:BYTE_0 src1_sel:DWORD
	s_mov_b64 s[4:5], 0
                                        ; implicit-def: $sgpr10
	s_and_saveexec_b64 s[8:9], s[6:7]
	s_xor_b64 s[6:7], exec, s[8:9]
	s_cbranch_execnz .LBB13_3461
; %bb.1413:
	s_or_saveexec_b64 s[6:7], s[6:7]
	v_mov_b32_e32 v13, s10
	s_xor_b64 exec, exec, s[6:7]
	s_cbranch_execnz .LBB13_3464
.LBB13_1414:
	s_or_b64 exec, exec, s[6:7]
	s_and_saveexec_b64 s[6:7], s[4:5]
	s_cbranch_execz .LBB13_1416
.LBB13_1415:
	v_and_b32_e32 v13, 7, v2
	v_ffbh_u32_e32 v15, v13
	v_min_u32_e32 v15, 32, v15
	v_lshrrev_b16_e32 v14, 3, v2
	v_subrev_u32_e32 v16, 28, v15
	v_and_b32_e32 v14, 15, v14
	v_lshlrev_b32_e32 v16, v16, v2
	v_sub_u32_e32 v15, 29, v15
	v_and_b32_e32 v16, 7, v16
	v_cmp_eq_u16_e32 vcc, 0, v14
	v_cndmask_b32_e32 v13, v13, v16, vcc
	v_cndmask_b32_e32 v14, v14, v15, vcc
	v_lshlrev_b32_e32 v15, 24, v2
	v_mov_b32_e32 v16, 0x3b800000
	v_lshlrev_b32_e32 v13, 20, v13
	v_and_b32_e32 v15, 0x80000000, v15
	v_lshl_add_u32 v14, v14, 23, v16
	v_or3_b32 v13, v15, v14, v13
.LBB13_1416:
	s_or_b64 exec, exec, s[6:7]
	flat_load_dwordx4 a[0:3], v[10:11] offset:176
	s_movk_i32 s4, 0x7f
                                        ; implicit-def: $sgpr10
	s_waitcnt vmcnt(0) lgkmcnt(0)
	v_mfma_f32_16x16x4f32 a[0:3], v12, v13, a[0:3]
	v_lshrrev_b32_e32 v13, 8, v6
	v_cmp_gt_i16_sdwa s[6:7], v13, s4 src0_sel:BYTE_0 src1_sel:DWORD
	s_mov_b64 s[4:5], 0
	s_and_saveexec_b64 s[8:9], s[6:7]
	s_xor_b64 s[6:7], exec, s[8:9]
	s_cbranch_execnz .LBB13_3465
; %bb.1417:
	s_or_saveexec_b64 s[6:7], s[6:7]
	v_mov_b32_e32 v12, s10
	s_xor_b64 exec, exec, s[6:7]
	s_cbranch_execnz .LBB13_3468
.LBB13_1418:
	s_or_b64 exec, exec, s[6:7]
	s_and_saveexec_b64 s[6:7], s[4:5]
	s_cbranch_execz .LBB13_1420
.LBB13_1419:
	v_bfe_u32 v12, v6, 8, 3
	v_ffbh_u32_e32 v15, v12
	v_min_u32_e32 v15, 32, v15
	v_lshrrev_b16_e32 v14, 3, v13
	v_subrev_u32_e32 v16, 28, v15
	v_and_b32_e32 v14, 15, v14
	v_lshlrev_b32_e32 v13, v16, v13
	v_sub_u32_e32 v15, 29, v15
	v_and_b32_e32 v13, 7, v13
	v_cmp_eq_u16_e32 vcc, 0, v14
	v_cndmask_b32_e32 v12, v12, v13, vcc
	v_cndmask_b32_e32 v13, v14, v15, vcc
	v_lshlrev_b32_e32 v14, 16, v6
	v_mov_b32_e32 v15, 0x3b800000
	v_lshlrev_b32_e32 v12, 20, v12
	v_and_b32_e32 v14, 0x80000000, v14
	v_lshl_add_u32 v13, v13, 23, v15
	v_or3_b32 v12, v14, v13, v12
.LBB13_1420:
	s_or_b64 exec, exec, s[6:7]
	v_lshrrev_b32_e32 v13, 8, v2
	s_movk_i32 s4, 0x7f
	v_cmp_gt_i16_sdwa s[6:7], v13, s4 src0_sel:BYTE_0 src1_sel:DWORD
	s_mov_b64 s[4:5], 0
                                        ; implicit-def: $sgpr10
	s_and_saveexec_b64 s[8:9], s[6:7]
	s_xor_b64 s[6:7], exec, s[8:9]
	s_cbranch_execnz .LBB13_3469
; %bb.1421:
	s_or_saveexec_b64 s[6:7], s[6:7]
	v_mov_b32_e32 v14, s10
	s_xor_b64 exec, exec, s[6:7]
	s_cbranch_execnz .LBB13_3472
.LBB13_1422:
	s_or_b64 exec, exec, s[6:7]
	s_and_saveexec_b64 s[6:7], s[4:5]
	s_cbranch_execz .LBB13_1424
.LBB13_1423:
	v_bfe_u32 v14, v2, 8, 3
	v_ffbh_u32_e32 v16, v14
	v_min_u32_e32 v16, 32, v16
	v_lshrrev_b16_e32 v15, 3, v13
	v_subrev_u32_e32 v17, 28, v16
	v_and_b32_e32 v15, 15, v15
	v_lshlrev_b32_e32 v13, v17, v13
	v_sub_u32_e32 v16, 29, v16
	v_and_b32_e32 v13, 7, v13
	v_cmp_eq_u16_e32 vcc, 0, v15
	v_cndmask_b32_e32 v13, v14, v13, vcc
	v_cndmask_b32_e32 v14, v15, v16, vcc
	v_lshlrev_b32_e32 v15, 16, v2
	v_mov_b32_e32 v16, 0x3b800000
	v_lshlrev_b32_e32 v13, 20, v13
	v_and_b32_e32 v15, 0x80000000, v15
	v_lshl_add_u32 v14, v14, 23, v16
	v_or3_b32 v14, v15, v14, v13
.LBB13_1424:
	s_or_b64 exec, exec, s[6:7]
	s_nop 0
	v_mfma_f32_16x16x4f32 a[0:3], v12, v14, a[0:3]
	s_movk_i32 s4, 0xff
	v_and_b32_sdwa v13, v6, s4 dst_sel:DWORD dst_unused:UNUSED_PAD src0_sel:WORD_1 src1_sel:DWORD
	s_movk_i32 s4, 0x7f
	v_cmp_lt_i16_e32 vcc, s4, v13
	s_mov_b64 s[4:5], 0
                                        ; implicit-def: $sgpr10
	s_and_saveexec_b64 s[6:7], vcc
	s_xor_b64 s[6:7], exec, s[6:7]
	s_cbranch_execnz .LBB13_3473
; %bb.1425:
	s_or_saveexec_b64 s[6:7], s[6:7]
	v_mov_b32_e32 v12, s10
	s_xor_b64 exec, exec, s[6:7]
	s_cbranch_execnz .LBB13_3476
.LBB13_1426:
	s_or_b64 exec, exec, s[6:7]
	s_and_saveexec_b64 s[6:7], s[4:5]
	s_cbranch_execz .LBB13_1428
.LBB13_1427:
	v_bfe_u32 v12, v6, 16, 3
	v_ffbh_u32_e32 v15, v12
	v_min_u32_e32 v15, 32, v15
	v_lshrrev_b32_e32 v13, 19, v6
	v_subrev_u32_e32 v16, 28, v15
	v_and_b32_e32 v13, 15, v13
	v_lshlrev_b32_sdwa v16, v16, v6 dst_sel:DWORD dst_unused:UNUSED_PAD src0_sel:DWORD src1_sel:WORD_1
	v_bfe_u32 v14, v6, 19, 4
	v_sub_u32_e32 v15, 29, v15
	v_and_b32_e32 v16, 7, v16
	v_cmp_eq_u16_e32 vcc, 0, v13
	v_cndmask_b32_e32 v12, v12, v16, vcc
	v_cndmask_b32_e32 v13, v14, v15, vcc
	v_lshlrev_b32_e32 v14, 8, v6
	v_mov_b32_e32 v15, 0x3b800000
	v_lshlrev_b32_e32 v12, 20, v12
	v_and_b32_e32 v14, 0x80000000, v14
	v_lshl_add_u32 v13, v13, 23, v15
	v_or3_b32 v12, v14, v13, v12
.LBB13_1428:
	s_or_b64 exec, exec, s[6:7]
	s_movk_i32 s4, 0xff
	v_and_b32_sdwa v13, v2, s4 dst_sel:DWORD dst_unused:UNUSED_PAD src0_sel:WORD_1 src1_sel:DWORD
	s_movk_i32 s4, 0x7f
	v_cmp_lt_i16_e32 vcc, s4, v13
	s_mov_b64 s[4:5], 0
                                        ; implicit-def: $sgpr10
	s_and_saveexec_b64 s[6:7], vcc
	s_xor_b64 s[6:7], exec, s[6:7]
	s_cbranch_execnz .LBB13_3477
; %bb.1429:
	s_or_saveexec_b64 s[6:7], s[6:7]
	v_mov_b32_e32 v14, s10
	s_xor_b64 exec, exec, s[6:7]
	s_cbranch_execnz .LBB13_3480
.LBB13_1430:
	s_or_b64 exec, exec, s[6:7]
	s_and_saveexec_b64 s[6:7], s[4:5]
	s_cbranch_execz .LBB13_1432
.LBB13_1431:
	v_bfe_u32 v13, v2, 16, 3
	v_ffbh_u32_e32 v16, v13
	v_min_u32_e32 v16, 32, v16
	v_lshrrev_b32_e32 v14, 19, v2
	v_subrev_u32_e32 v17, 28, v16
	v_and_b32_e32 v14, 15, v14
	v_lshlrev_b32_sdwa v17, v17, v2 dst_sel:DWORD dst_unused:UNUSED_PAD src0_sel:DWORD src1_sel:WORD_1
	v_bfe_u32 v15, v2, 19, 4
	v_sub_u32_e32 v16, 29, v16
	v_and_b32_e32 v17, 7, v17
	v_cmp_eq_u16_e32 vcc, 0, v14
	v_cndmask_b32_e32 v13, v13, v17, vcc
	v_cndmask_b32_e32 v14, v15, v16, vcc
	v_lshlrev_b32_e32 v15, 8, v2
	v_mov_b32_e32 v16, 0x3b800000
	v_lshlrev_b32_e32 v13, 20, v13
	v_and_b32_e32 v15, 0x80000000, v15
	v_lshl_add_u32 v14, v14, 23, v16
	v_or3_b32 v14, v15, v14, v13
.LBB13_1432:
	s_or_b64 exec, exec, s[6:7]
	s_nop 0
	v_mfma_f32_16x16x4f32 a[0:3], v12, v14, a[0:3]
	s_movk_i32 s4, 0x7f
	v_cmp_gt_i16_sdwa s[6:7], v6, s4 src0_sel:BYTE_3 src1_sel:DWORD
	s_mov_b64 s[4:5], 0
                                        ; implicit-def: $sgpr10
	s_and_saveexec_b64 s[8:9], s[6:7]
	s_xor_b64 s[6:7], exec, s[8:9]
	s_cbranch_execnz .LBB13_3481
; %bb.1433:
	s_or_saveexec_b64 s[6:7], s[6:7]
	v_mov_b32_e32 v12, s10
	s_xor_b64 exec, exec, s[6:7]
	s_cbranch_execnz .LBB13_3484
.LBB13_1434:
	s_or_b64 exec, exec, s[6:7]
	s_and_saveexec_b64 s[6:7], s[4:5]
	s_cbranch_execz .LBB13_1436
.LBB13_1435:
	v_bfe_u32 v12, v6, 24, 3
	v_ffbh_u32_e32 v16, v12
	v_min_u32_e32 v16, 32, v16
	v_lshrrev_b32_e32 v14, 27, v6
	v_subrev_u32_e32 v17, 28, v16
	v_and_b32_e32 v13, 0x80000000, v6
	v_and_b32_e32 v14, 15, v14
	v_bfe_u32 v15, v6, 27, 4
	v_lshlrev_b32_sdwa v6, v17, v6 dst_sel:DWORD dst_unused:UNUSED_PAD src0_sel:DWORD src1_sel:BYTE_3
	v_sub_u32_e32 v16, 29, v16
	v_and_b32_e32 v6, 7, v6
	v_cmp_eq_u16_e32 vcc, 0, v14
	v_cndmask_b32_e32 v6, v12, v6, vcc
	v_cndmask_b32_e32 v12, v15, v16, vcc
	v_mov_b32_e32 v14, 0x3b800000
	v_lshlrev_b32_e32 v6, 20, v6
	v_lshl_add_u32 v12, v12, 23, v14
	v_or3_b32 v12, v13, v12, v6
.LBB13_1436:
	s_or_b64 exec, exec, s[6:7]
	s_movk_i32 s4, 0x7f
	v_cmp_gt_i16_sdwa s[6:7], v2, s4 src0_sel:BYTE_3 src1_sel:DWORD
	s_mov_b64 s[4:5], 0
                                        ; implicit-def: $sgpr10
	s_and_saveexec_b64 s[8:9], s[6:7]
	s_xor_b64 s[6:7], exec, s[8:9]
	s_cbranch_execnz .LBB13_3485
; %bb.1437:
	s_or_saveexec_b64 s[6:7], s[6:7]
	v_mov_b32_e32 v6, s10
	s_xor_b64 exec, exec, s[6:7]
	s_cbranch_execnz .LBB13_3488
.LBB13_1438:
	s_or_b64 exec, exec, s[6:7]
	s_and_saveexec_b64 s[6:7], s[4:5]
	s_cbranch_execz .LBB13_1440
.LBB13_1439:
	v_bfe_u32 v6, v2, 24, 3
	v_ffbh_u32_e32 v16, v6
	v_min_u32_e32 v16, 32, v16
	v_lshrrev_b32_e32 v14, 27, v2
	v_subrev_u32_e32 v17, 28, v16
	v_and_b32_e32 v13, 0x80000000, v2
	v_and_b32_e32 v14, 15, v14
	v_bfe_u32 v15, v2, 27, 4
	v_lshlrev_b32_sdwa v2, v17, v2 dst_sel:DWORD dst_unused:UNUSED_PAD src0_sel:DWORD src1_sel:BYTE_3
	v_sub_u32_e32 v16, 29, v16
	v_and_b32_e32 v2, 7, v2
	v_cmp_eq_u16_e32 vcc, 0, v14
	v_cndmask_b32_e32 v2, v6, v2, vcc
	v_cndmask_b32_e32 v6, v15, v16, vcc
	v_mov_b32_e32 v14, 0x3b800000
	v_lshlrev_b32_e32 v2, 20, v2
	v_lshl_add_u32 v6, v6, 23, v14
	v_or3_b32 v6, v13, v6, v2
.LBB13_1440:
	s_or_b64 exec, exec, s[6:7]
	s_nop 0
	v_mfma_f32_16x16x4f32 a[0:3], v12, v6, a[0:3]
	s_movk_i32 s4, 0x7f
	v_cmp_gt_i16_sdwa s[6:7], v7, s4 src0_sel:BYTE_0 src1_sel:DWORD
	s_mov_b64 s[4:5], 0
                                        ; implicit-def: $sgpr10
	s_and_saveexec_b64 s[8:9], s[6:7]
	s_xor_b64 s[6:7], exec, s[8:9]
	s_cbranch_execnz .LBB13_3489
; %bb.1441:
	s_or_saveexec_b64 s[6:7], s[6:7]
	v_mov_b32_e32 v2, s10
	s_xor_b64 exec, exec, s[6:7]
	s_cbranch_execnz .LBB13_3492
.LBB13_1442:
	s_or_b64 exec, exec, s[6:7]
	s_and_saveexec_b64 s[6:7], s[4:5]
	s_cbranch_execz .LBB13_1444
.LBB13_1443:
	v_and_b32_e32 v2, 7, v7
	v_ffbh_u32_e32 v12, v2
	v_min_u32_e32 v12, 32, v12
	v_lshrrev_b16_e32 v6, 3, v7
	v_subrev_u32_e32 v13, 28, v12
	v_and_b32_e32 v6, 15, v6
	v_lshlrev_b32_e32 v13, v13, v7
	v_sub_u32_e32 v12, 29, v12
	v_and_b32_e32 v13, 7, v13
	v_cmp_eq_u16_e32 vcc, 0, v6
	v_cndmask_b32_e32 v2, v2, v13, vcc
	v_cndmask_b32_e32 v6, v6, v12, vcc
	v_lshlrev_b32_e32 v12, 24, v7
	v_mov_b32_e32 v13, 0x3b800000
	v_lshlrev_b32_e32 v2, 20, v2
	v_and_b32_e32 v12, 0x80000000, v12
	v_lshl_add_u32 v6, v6, 23, v13
	v_or3_b32 v2, v12, v6, v2
.LBB13_1444:
	s_or_b64 exec, exec, s[6:7]
	s_movk_i32 s4, 0x7f
	v_cmp_gt_i16_sdwa s[6:7], v3, s4 src0_sel:BYTE_0 src1_sel:DWORD
	s_mov_b64 s[4:5], 0
                                        ; implicit-def: $sgpr10
	s_and_saveexec_b64 s[8:9], s[6:7]
	s_xor_b64 s[6:7], exec, s[8:9]
	s_cbranch_execnz .LBB13_3493
; %bb.1445:
	s_or_saveexec_b64 s[6:7], s[6:7]
	v_mov_b32_e32 v6, s10
	s_xor_b64 exec, exec, s[6:7]
	s_cbranch_execnz .LBB13_3496
.LBB13_1446:
	s_or_b64 exec, exec, s[6:7]
	s_and_saveexec_b64 s[6:7], s[4:5]
	s_cbranch_execz .LBB13_1448
.LBB13_1447:
	v_and_b32_e32 v6, 7, v3
	v_ffbh_u32_e32 v13, v6
	v_min_u32_e32 v13, 32, v13
	v_lshrrev_b16_e32 v12, 3, v3
	v_subrev_u32_e32 v14, 28, v13
	v_and_b32_e32 v12, 15, v12
	v_lshlrev_b32_e32 v14, v14, v3
	v_sub_u32_e32 v13, 29, v13
	v_and_b32_e32 v14, 7, v14
	v_cmp_eq_u16_e32 vcc, 0, v12
	v_cndmask_b32_e32 v6, v6, v14, vcc
	v_cndmask_b32_e32 v12, v12, v13, vcc
	v_lshlrev_b32_e32 v13, 24, v3
	v_mov_b32_e32 v14, 0x3b800000
	v_lshlrev_b32_e32 v6, 20, v6
	v_and_b32_e32 v13, 0x80000000, v13
	v_lshl_add_u32 v12, v12, 23, v14
	v_or3_b32 v6, v13, v12, v6
.LBB13_1448:
	s_or_b64 exec, exec, s[6:7]
	s_nop 0
	v_mfma_f32_16x16x4f32 a[0:3], v2, v6, a[0:3]
	v_lshrrev_b32_e32 v6, 8, v7
	s_movk_i32 s4, 0x7f
	v_cmp_gt_i16_sdwa s[6:7], v6, s4 src0_sel:BYTE_0 src1_sel:DWORD
	s_mov_b64 s[4:5], 0
                                        ; implicit-def: $sgpr10
	s_and_saveexec_b64 s[8:9], s[6:7]
	s_xor_b64 s[6:7], exec, s[8:9]
	s_cbranch_execnz .LBB13_3497
; %bb.1449:
	s_or_saveexec_b64 s[6:7], s[6:7]
	v_mov_b32_e32 v2, s10
	s_xor_b64 exec, exec, s[6:7]
	s_cbranch_execnz .LBB13_3500
.LBB13_1450:
	s_or_b64 exec, exec, s[6:7]
	s_and_saveexec_b64 s[6:7], s[4:5]
	s_cbranch_execz .LBB13_1452
.LBB13_1451:
	v_bfe_u32 v2, v7, 8, 3
	v_ffbh_u32_e32 v13, v2
	v_min_u32_e32 v13, 32, v13
	v_lshrrev_b16_e32 v12, 3, v6
	v_subrev_u32_e32 v14, 28, v13
	v_and_b32_e32 v12, 15, v12
	v_lshlrev_b32_e32 v6, v14, v6
	v_sub_u32_e32 v13, 29, v13
	v_and_b32_e32 v6, 7, v6
	v_cmp_eq_u16_e32 vcc, 0, v12
	v_cndmask_b32_e32 v2, v2, v6, vcc
	v_cndmask_b32_e32 v6, v12, v13, vcc
	v_lshlrev_b32_e32 v12, 16, v7
	v_mov_b32_e32 v13, 0x3b800000
	v_lshlrev_b32_e32 v2, 20, v2
	v_and_b32_e32 v12, 0x80000000, v12
	v_lshl_add_u32 v6, v6, 23, v13
	v_or3_b32 v2, v12, v6, v2
.LBB13_1452:
	s_or_b64 exec, exec, s[6:7]
	v_lshrrev_b32_e32 v6, 8, v3
	s_movk_i32 s4, 0x7f
	v_cmp_gt_i16_sdwa s[6:7], v6, s4 src0_sel:BYTE_0 src1_sel:DWORD
	s_mov_b64 s[4:5], 0
                                        ; implicit-def: $sgpr10
	s_and_saveexec_b64 s[8:9], s[6:7]
	s_xor_b64 s[6:7], exec, s[8:9]
	s_cbranch_execnz .LBB13_3501
; %bb.1453:
	s_or_saveexec_b64 s[6:7], s[6:7]
	v_mov_b32_e32 v12, s10
	s_xor_b64 exec, exec, s[6:7]
	s_cbranch_execnz .LBB13_3504
.LBB13_1454:
	s_or_b64 exec, exec, s[6:7]
	s_and_saveexec_b64 s[6:7], s[4:5]
	s_cbranch_execz .LBB13_1456
.LBB13_1455:
	v_bfe_u32 v12, v3, 8, 3
	v_ffbh_u32_e32 v14, v12
	v_min_u32_e32 v14, 32, v14
	v_lshrrev_b16_e32 v13, 3, v6
	v_subrev_u32_e32 v15, 28, v14
	v_and_b32_e32 v13, 15, v13
	v_lshlrev_b32_e32 v6, v15, v6
	v_sub_u32_e32 v14, 29, v14
	v_and_b32_e32 v6, 7, v6
	v_cmp_eq_u16_e32 vcc, 0, v13
	v_cndmask_b32_e32 v6, v12, v6, vcc
	v_cndmask_b32_e32 v12, v13, v14, vcc
	v_lshlrev_b32_e32 v13, 16, v3
	v_mov_b32_e32 v14, 0x3b800000
	v_lshlrev_b32_e32 v6, 20, v6
	v_and_b32_e32 v13, 0x80000000, v13
	v_lshl_add_u32 v12, v12, 23, v14
	v_or3_b32 v12, v13, v12, v6
.LBB13_1456:
	s_or_b64 exec, exec, s[6:7]
	s_nop 0
	v_mfma_f32_16x16x4f32 a[0:3], v2, v12, a[0:3]
	s_movk_i32 s4, 0xff
	v_and_b32_sdwa v6, v7, s4 dst_sel:DWORD dst_unused:UNUSED_PAD src0_sel:WORD_1 src1_sel:DWORD
	s_movk_i32 s4, 0x7f
	v_cmp_lt_i16_e32 vcc, s4, v6
	s_mov_b64 s[4:5], 0
                                        ; implicit-def: $sgpr10
	s_and_saveexec_b64 s[6:7], vcc
	s_xor_b64 s[6:7], exec, s[6:7]
	s_cbranch_execnz .LBB13_3505
; %bb.1457:
	s_or_saveexec_b64 s[6:7], s[6:7]
	v_mov_b32_e32 v2, s10
	s_xor_b64 exec, exec, s[6:7]
	s_cbranch_execnz .LBB13_3508
.LBB13_1458:
	s_or_b64 exec, exec, s[6:7]
	s_and_saveexec_b64 s[6:7], s[4:5]
	s_cbranch_execz .LBB13_1460
.LBB13_1459:
	v_bfe_u32 v2, v7, 16, 3
	v_ffbh_u32_e32 v13, v2
	v_min_u32_e32 v13, 32, v13
	v_lshrrev_b32_e32 v6, 19, v7
	v_subrev_u32_e32 v14, 28, v13
	v_and_b32_e32 v6, 15, v6
	v_lshlrev_b32_sdwa v14, v14, v7 dst_sel:DWORD dst_unused:UNUSED_PAD src0_sel:DWORD src1_sel:WORD_1
	v_bfe_u32 v12, v7, 19, 4
	v_sub_u32_e32 v13, 29, v13
	v_and_b32_e32 v14, 7, v14
	v_cmp_eq_u16_e32 vcc, 0, v6
	v_cndmask_b32_e32 v2, v2, v14, vcc
	v_cndmask_b32_e32 v6, v12, v13, vcc
	v_lshlrev_b32_e32 v12, 8, v7
	v_mov_b32_e32 v13, 0x3b800000
	v_lshlrev_b32_e32 v2, 20, v2
	v_and_b32_e32 v12, 0x80000000, v12
	v_lshl_add_u32 v6, v6, 23, v13
	v_or3_b32 v2, v12, v6, v2
.LBB13_1460:
	s_or_b64 exec, exec, s[6:7]
	s_movk_i32 s4, 0xff
	v_and_b32_sdwa v6, v3, s4 dst_sel:DWORD dst_unused:UNUSED_PAD src0_sel:WORD_1 src1_sel:DWORD
	s_movk_i32 s4, 0x7f
	v_cmp_lt_i16_e32 vcc, s4, v6
	s_mov_b64 s[4:5], 0
                                        ; implicit-def: $sgpr10
	s_and_saveexec_b64 s[6:7], vcc
	s_xor_b64 s[6:7], exec, s[6:7]
	s_cbranch_execnz .LBB13_3509
; %bb.1461:
	s_or_saveexec_b64 s[6:7], s[6:7]
	v_mov_b32_e32 v12, s10
	s_xor_b64 exec, exec, s[6:7]
	s_cbranch_execnz .LBB13_3512
.LBB13_1462:
	s_or_b64 exec, exec, s[6:7]
	s_and_saveexec_b64 s[6:7], s[4:5]
	s_cbranch_execz .LBB13_1464
.LBB13_1463:
	v_bfe_u32 v6, v3, 16, 3
	v_ffbh_u32_e32 v14, v6
	v_min_u32_e32 v14, 32, v14
	v_lshrrev_b32_e32 v12, 19, v3
	v_subrev_u32_e32 v15, 28, v14
	v_and_b32_e32 v12, 15, v12
	v_lshlrev_b32_sdwa v15, v15, v3 dst_sel:DWORD dst_unused:UNUSED_PAD src0_sel:DWORD src1_sel:WORD_1
	v_bfe_u32 v13, v3, 19, 4
	v_sub_u32_e32 v14, 29, v14
	v_and_b32_e32 v15, 7, v15
	v_cmp_eq_u16_e32 vcc, 0, v12
	v_cndmask_b32_e32 v6, v6, v15, vcc
	v_cndmask_b32_e32 v12, v13, v14, vcc
	v_lshlrev_b32_e32 v13, 8, v3
	v_mov_b32_e32 v14, 0x3b800000
	v_lshlrev_b32_e32 v6, 20, v6
	v_and_b32_e32 v13, 0x80000000, v13
	v_lshl_add_u32 v12, v12, 23, v14
	v_or3_b32 v12, v13, v12, v6
.LBB13_1464:
	s_or_b64 exec, exec, s[6:7]
	s_nop 0
	v_mfma_f32_16x16x4f32 a[0:3], v2, v12, a[0:3]
	s_movk_i32 s4, 0x7f
	v_cmp_gt_i16_sdwa s[6:7], v7, s4 src0_sel:BYTE_3 src1_sel:DWORD
	s_mov_b64 s[4:5], 0
                                        ; implicit-def: $sgpr10
	s_and_saveexec_b64 s[8:9], s[6:7]
	s_xor_b64 s[6:7], exec, s[8:9]
	s_cbranch_execnz .LBB13_3513
; %bb.1465:
	s_or_saveexec_b64 s[6:7], s[6:7]
	v_mov_b32_e32 v2, s10
	s_xor_b64 exec, exec, s[6:7]
	s_cbranch_execnz .LBB13_3516
.LBB13_1466:
	s_or_b64 exec, exec, s[6:7]
	s_and_saveexec_b64 s[6:7], s[4:5]
	s_cbranch_execz .LBB13_1468
.LBB13_1467:
	v_bfe_u32 v2, v7, 24, 3
	v_ffbh_u32_e32 v14, v2
	v_min_u32_e32 v14, 32, v14
	v_lshrrev_b32_e32 v12, 27, v7
	v_subrev_u32_e32 v15, 28, v14
	v_and_b32_e32 v6, 0x80000000, v7
	v_and_b32_e32 v12, 15, v12
	v_bfe_u32 v13, v7, 27, 4
	v_lshlrev_b32_sdwa v7, v15, v7 dst_sel:DWORD dst_unused:UNUSED_PAD src0_sel:DWORD src1_sel:BYTE_3
	v_sub_u32_e32 v14, 29, v14
	v_and_b32_e32 v7, 7, v7
	v_cmp_eq_u16_e32 vcc, 0, v12
	v_cndmask_b32_e32 v2, v2, v7, vcc
	v_cndmask_b32_e32 v7, v13, v14, vcc
	v_mov_b32_e32 v12, 0x3b800000
	v_lshlrev_b32_e32 v2, 20, v2
	v_lshl_add_u32 v7, v7, 23, v12
	v_or3_b32 v2, v6, v7, v2
.LBB13_1468:
	s_or_b64 exec, exec, s[6:7]
	s_movk_i32 s4, 0x7f
	v_cmp_gt_i16_sdwa s[6:7], v3, s4 src0_sel:BYTE_3 src1_sel:DWORD
	s_mov_b64 s[4:5], 0
                                        ; implicit-def: $sgpr10
	s_and_saveexec_b64 s[8:9], s[6:7]
	s_xor_b64 s[6:7], exec, s[8:9]
	s_cbranch_execnz .LBB13_3517
; %bb.1469:
	s_or_saveexec_b64 s[6:7], s[6:7]
	v_mov_b32_e32 v6, s10
	s_xor_b64 exec, exec, s[6:7]
	s_cbranch_execnz .LBB13_3520
.LBB13_1470:
	s_or_b64 exec, exec, s[6:7]
	s_and_saveexec_b64 s[6:7], s[4:5]
	s_cbranch_execz .LBB13_1472
.LBB13_1471:
	v_bfe_u32 v6, v3, 24, 3
	v_ffbh_u32_e32 v14, v6
	v_min_u32_e32 v14, 32, v14
	v_lshrrev_b32_e32 v12, 27, v3
	v_subrev_u32_e32 v15, 28, v14
	v_and_b32_e32 v7, 0x80000000, v3
	v_and_b32_e32 v12, 15, v12
	v_bfe_u32 v13, v3, 27, 4
	v_lshlrev_b32_sdwa v3, v15, v3 dst_sel:DWORD dst_unused:UNUSED_PAD src0_sel:DWORD src1_sel:BYTE_3
	v_sub_u32_e32 v14, 29, v14
	v_and_b32_e32 v3, 7, v3
	v_cmp_eq_u16_e32 vcc, 0, v12
	v_cndmask_b32_e32 v3, v6, v3, vcc
	v_cndmask_b32_e32 v6, v13, v14, vcc
	v_mov_b32_e32 v12, 0x3b800000
	v_lshlrev_b32_e32 v3, 20, v3
	v_lshl_add_u32 v6, v6, 23, v12
	v_or3_b32 v6, v7, v6, v3
.LBB13_1472:
	s_or_b64 exec, exec, s[6:7]
	s_nop 0
	v_mfma_f32_16x16x4f32 a[0:3], v2, v6, a[0:3]
	s_movk_i32 s4, 0x7f
	v_cmp_gt_i16_sdwa s[6:7], v8, s4 src0_sel:BYTE_0 src1_sel:DWORD
	s_mov_b64 s[4:5], 0
                                        ; implicit-def: $sgpr10
	s_and_saveexec_b64 s[8:9], s[6:7]
	s_xor_b64 s[6:7], exec, s[8:9]
	s_cbranch_execnz .LBB13_3521
; %bb.1473:
	s_or_saveexec_b64 s[6:7], s[6:7]
	v_mov_b32_e32 v2, s10
	s_xor_b64 exec, exec, s[6:7]
	s_cbranch_execnz .LBB13_3524
.LBB13_1474:
	s_or_b64 exec, exec, s[6:7]
	s_and_saveexec_b64 s[6:7], s[4:5]
	s_cbranch_execz .LBB13_1476
.LBB13_1475:
	v_and_b32_e32 v2, 7, v8
	v_ffbh_u32_e32 v6, v2
	v_min_u32_e32 v6, 32, v6
	v_lshrrev_b16_e32 v3, 3, v8
	v_subrev_u32_e32 v7, 28, v6
	v_and_b32_e32 v3, 15, v3
	v_lshlrev_b32_e32 v7, v7, v8
	v_sub_u32_e32 v6, 29, v6
	v_and_b32_e32 v7, 7, v7
	v_cmp_eq_u16_e32 vcc, 0, v3
	v_cndmask_b32_e32 v2, v2, v7, vcc
	v_cndmask_b32_e32 v3, v3, v6, vcc
	v_lshlrev_b32_e32 v6, 24, v8
	v_mov_b32_e32 v7, 0x3b800000
	v_lshlrev_b32_e32 v2, 20, v2
	v_and_b32_e32 v6, 0x80000000, v6
	v_lshl_add_u32 v3, v3, 23, v7
	v_or3_b32 v2, v6, v3, v2
.LBB13_1476:
	s_or_b64 exec, exec, s[6:7]
	s_movk_i32 s4, 0x7f
	v_cmp_gt_i16_sdwa s[6:7], v4, s4 src0_sel:BYTE_0 src1_sel:DWORD
	s_mov_b64 s[4:5], 0
                                        ; implicit-def: $sgpr10
	s_and_saveexec_b64 s[8:9], s[6:7]
	s_xor_b64 s[6:7], exec, s[8:9]
	s_cbranch_execnz .LBB13_3525
; %bb.1477:
	s_or_saveexec_b64 s[6:7], s[6:7]
	v_mov_b32_e32 v3, s10
	s_xor_b64 exec, exec, s[6:7]
	s_cbranch_execnz .LBB13_3528
.LBB13_1478:
	s_or_b64 exec, exec, s[6:7]
	s_and_saveexec_b64 s[6:7], s[4:5]
	s_cbranch_execz .LBB13_1480
.LBB13_1479:
	v_and_b32_e32 v3, 7, v4
	v_ffbh_u32_e32 v7, v3
	v_min_u32_e32 v7, 32, v7
	v_lshrrev_b16_e32 v6, 3, v4
	v_subrev_u32_e32 v12, 28, v7
	v_and_b32_e32 v6, 15, v6
	v_lshlrev_b32_e32 v12, v12, v4
	v_sub_u32_e32 v7, 29, v7
	v_and_b32_e32 v12, 7, v12
	v_cmp_eq_u16_e32 vcc, 0, v6
	v_cndmask_b32_e32 v3, v3, v12, vcc
	v_cndmask_b32_e32 v6, v6, v7, vcc
	v_lshlrev_b32_e32 v7, 24, v4
	v_mov_b32_e32 v12, 0x3b800000
	v_lshlrev_b32_e32 v3, 20, v3
	v_and_b32_e32 v7, 0x80000000, v7
	v_lshl_add_u32 v6, v6, 23, v12
	v_or3_b32 v3, v7, v6, v3
.LBB13_1480:
	s_or_b64 exec, exec, s[6:7]
	s_nop 0
	v_mfma_f32_16x16x4f32 a[0:3], v2, v3, a[0:3]
	v_lshrrev_b32_e32 v3, 8, v8
	s_movk_i32 s4, 0x7f
	v_cmp_gt_i16_sdwa s[6:7], v3, s4 src0_sel:BYTE_0 src1_sel:DWORD
	s_mov_b64 s[4:5], 0
                                        ; implicit-def: $sgpr10
	s_and_saveexec_b64 s[8:9], s[6:7]
	s_xor_b64 s[6:7], exec, s[8:9]
	s_cbranch_execnz .LBB13_3529
; %bb.1481:
	s_or_saveexec_b64 s[6:7], s[6:7]
	v_mov_b32_e32 v2, s10
	s_xor_b64 exec, exec, s[6:7]
	s_cbranch_execnz .LBB13_3532
.LBB13_1482:
	s_or_b64 exec, exec, s[6:7]
	s_and_saveexec_b64 s[6:7], s[4:5]
	s_cbranch_execz .LBB13_1484
.LBB13_1483:
	v_bfe_u32 v2, v8, 8, 3
	v_ffbh_u32_e32 v7, v2
	v_min_u32_e32 v7, 32, v7
	v_lshrrev_b16_e32 v6, 3, v3
	v_subrev_u32_e32 v12, 28, v7
	v_and_b32_e32 v6, 15, v6
	v_lshlrev_b32_e32 v3, v12, v3
	v_sub_u32_e32 v7, 29, v7
	v_and_b32_e32 v3, 7, v3
	v_cmp_eq_u16_e32 vcc, 0, v6
	v_cndmask_b32_e32 v2, v2, v3, vcc
	v_cndmask_b32_e32 v3, v6, v7, vcc
	v_lshlrev_b32_e32 v6, 16, v8
	v_mov_b32_e32 v7, 0x3b800000
	v_lshlrev_b32_e32 v2, 20, v2
	v_and_b32_e32 v6, 0x80000000, v6
	v_lshl_add_u32 v3, v3, 23, v7
	v_or3_b32 v2, v6, v3, v2
.LBB13_1484:
	s_or_b64 exec, exec, s[6:7]
	v_lshrrev_b32_e32 v3, 8, v4
	s_movk_i32 s4, 0x7f
	v_cmp_gt_i16_sdwa s[6:7], v3, s4 src0_sel:BYTE_0 src1_sel:DWORD
	s_mov_b64 s[4:5], 0
                                        ; implicit-def: $sgpr10
	s_and_saveexec_b64 s[8:9], s[6:7]
	s_xor_b64 s[6:7], exec, s[8:9]
	s_cbranch_execnz .LBB13_3533
; %bb.1485:
	s_or_saveexec_b64 s[6:7], s[6:7]
	v_mov_b32_e32 v6, s10
	s_xor_b64 exec, exec, s[6:7]
	s_cbranch_execnz .LBB13_3536
.LBB13_1486:
	s_or_b64 exec, exec, s[6:7]
	s_and_saveexec_b64 s[6:7], s[4:5]
	s_cbranch_execz .LBB13_1488
.LBB13_1487:
	v_bfe_u32 v6, v4, 8, 3
	v_ffbh_u32_e32 v12, v6
	v_min_u32_e32 v12, 32, v12
	v_lshrrev_b16_e32 v7, 3, v3
	v_subrev_u32_e32 v13, 28, v12
	v_and_b32_e32 v7, 15, v7
	v_lshlrev_b32_e32 v3, v13, v3
	v_sub_u32_e32 v12, 29, v12
	v_and_b32_e32 v3, 7, v3
	v_cmp_eq_u16_e32 vcc, 0, v7
	v_cndmask_b32_e32 v3, v6, v3, vcc
	v_cndmask_b32_e32 v6, v7, v12, vcc
	v_lshlrev_b32_e32 v7, 16, v4
	v_mov_b32_e32 v12, 0x3b800000
	v_lshlrev_b32_e32 v3, 20, v3
	v_and_b32_e32 v7, 0x80000000, v7
	v_lshl_add_u32 v6, v6, 23, v12
	v_or3_b32 v6, v7, v6, v3
.LBB13_1488:
	s_or_b64 exec, exec, s[6:7]
	s_nop 0
	v_mfma_f32_16x16x4f32 a[0:3], v2, v6, a[0:3]
	s_movk_i32 s4, 0xff
	v_and_b32_sdwa v3, v8, s4 dst_sel:DWORD dst_unused:UNUSED_PAD src0_sel:WORD_1 src1_sel:DWORD
	s_movk_i32 s4, 0x7f
	v_cmp_lt_i16_e32 vcc, s4, v3
	s_mov_b64 s[4:5], 0
                                        ; implicit-def: $sgpr10
	s_and_saveexec_b64 s[6:7], vcc
	s_xor_b64 s[6:7], exec, s[6:7]
	s_cbranch_execnz .LBB13_3537
; %bb.1489:
	s_or_saveexec_b64 s[6:7], s[6:7]
	v_mov_b32_e32 v2, s10
	s_xor_b64 exec, exec, s[6:7]
	s_cbranch_execnz .LBB13_3540
.LBB13_1490:
	s_or_b64 exec, exec, s[6:7]
	s_and_saveexec_b64 s[6:7], s[4:5]
	s_cbranch_execz .LBB13_1492
.LBB13_1491:
	v_bfe_u32 v2, v8, 16, 3
	v_ffbh_u32_e32 v7, v2
	v_min_u32_e32 v7, 32, v7
	v_lshrrev_b32_e32 v3, 19, v8
	v_subrev_u32_e32 v12, 28, v7
	v_and_b32_e32 v3, 15, v3
	v_lshlrev_b32_sdwa v12, v12, v8 dst_sel:DWORD dst_unused:UNUSED_PAD src0_sel:DWORD src1_sel:WORD_1
	v_bfe_u32 v6, v8, 19, 4
	v_sub_u32_e32 v7, 29, v7
	v_and_b32_e32 v12, 7, v12
	v_cmp_eq_u16_e32 vcc, 0, v3
	v_cndmask_b32_e32 v2, v2, v12, vcc
	v_cndmask_b32_e32 v3, v6, v7, vcc
	v_lshlrev_b32_e32 v6, 8, v8
	v_mov_b32_e32 v7, 0x3b800000
	v_lshlrev_b32_e32 v2, 20, v2
	v_and_b32_e32 v6, 0x80000000, v6
	v_lshl_add_u32 v3, v3, 23, v7
	v_or3_b32 v2, v6, v3, v2
.LBB13_1492:
	s_or_b64 exec, exec, s[6:7]
	s_movk_i32 s4, 0xff
	v_and_b32_sdwa v3, v4, s4 dst_sel:DWORD dst_unused:UNUSED_PAD src0_sel:WORD_1 src1_sel:DWORD
	s_movk_i32 s4, 0x7f
	v_cmp_lt_i16_e32 vcc, s4, v3
	s_mov_b64 s[4:5], 0
                                        ; implicit-def: $sgpr10
	s_and_saveexec_b64 s[6:7], vcc
	s_xor_b64 s[6:7], exec, s[6:7]
	s_cbranch_execnz .LBB13_3541
; %bb.1493:
	s_or_saveexec_b64 s[6:7], s[6:7]
	v_mov_b32_e32 v6, s10
	s_xor_b64 exec, exec, s[6:7]
	s_cbranch_execnz .LBB13_3544
.LBB13_1494:
	s_or_b64 exec, exec, s[6:7]
	s_and_saveexec_b64 s[6:7], s[4:5]
	s_cbranch_execz .LBB13_1496
.LBB13_1495:
	v_bfe_u32 v3, v4, 16, 3
	v_ffbh_u32_e32 v12, v3
	v_min_u32_e32 v12, 32, v12
	v_lshrrev_b32_e32 v6, 19, v4
	v_subrev_u32_e32 v13, 28, v12
	v_and_b32_e32 v6, 15, v6
	v_lshlrev_b32_sdwa v13, v13, v4 dst_sel:DWORD dst_unused:UNUSED_PAD src0_sel:DWORD src1_sel:WORD_1
	v_bfe_u32 v7, v4, 19, 4
	v_sub_u32_e32 v12, 29, v12
	v_and_b32_e32 v13, 7, v13
	v_cmp_eq_u16_e32 vcc, 0, v6
	v_cndmask_b32_e32 v3, v3, v13, vcc
	v_cndmask_b32_e32 v6, v7, v12, vcc
	v_lshlrev_b32_e32 v7, 8, v4
	v_mov_b32_e32 v12, 0x3b800000
	v_lshlrev_b32_e32 v3, 20, v3
	v_and_b32_e32 v7, 0x80000000, v7
	v_lshl_add_u32 v6, v6, 23, v12
	v_or3_b32 v6, v7, v6, v3
.LBB13_1496:
	s_or_b64 exec, exec, s[6:7]
	s_nop 0
	v_mfma_f32_16x16x4f32 a[0:3], v2, v6, a[0:3]
	s_movk_i32 s4, 0x7f
	v_cmp_gt_i16_sdwa s[6:7], v8, s4 src0_sel:BYTE_3 src1_sel:DWORD
	s_mov_b64 s[4:5], 0
                                        ; implicit-def: $sgpr10
	s_and_saveexec_b64 s[8:9], s[6:7]
	s_xor_b64 s[6:7], exec, s[8:9]
	s_cbranch_execnz .LBB13_3545
; %bb.1497:
	s_or_saveexec_b64 s[6:7], s[6:7]
	v_mov_b32_e32 v2, s10
	s_xor_b64 exec, exec, s[6:7]
	s_cbranch_execnz .LBB13_3548
.LBB13_1498:
	s_or_b64 exec, exec, s[6:7]
	s_and_saveexec_b64 s[6:7], s[4:5]
	s_cbranch_execz .LBB13_1500
.LBB13_1499:
	v_bfe_u32 v2, v8, 24, 3
	v_ffbh_u32_e32 v12, v2
	v_min_u32_e32 v12, 32, v12
	v_lshrrev_b32_e32 v6, 27, v8
	v_subrev_u32_e32 v13, 28, v12
	v_and_b32_e32 v3, 0x80000000, v8
	v_and_b32_e32 v6, 15, v6
	v_bfe_u32 v7, v8, 27, 4
	v_lshlrev_b32_sdwa v8, v13, v8 dst_sel:DWORD dst_unused:UNUSED_PAD src0_sel:DWORD src1_sel:BYTE_3
	v_sub_u32_e32 v12, 29, v12
	v_and_b32_e32 v8, 7, v8
	v_cmp_eq_u16_e32 vcc, 0, v6
	v_cndmask_b32_e32 v2, v2, v8, vcc
	v_cndmask_b32_e32 v6, v7, v12, vcc
	v_mov_b32_e32 v7, 0x3b800000
	v_lshlrev_b32_e32 v2, 20, v2
	v_lshl_add_u32 v6, v6, 23, v7
	v_or3_b32 v2, v3, v6, v2
.LBB13_1500:
	s_or_b64 exec, exec, s[6:7]
	s_movk_i32 s4, 0x7f
	v_cmp_gt_i16_sdwa s[6:7], v4, s4 src0_sel:BYTE_3 src1_sel:DWORD
	s_mov_b64 s[4:5], 0
                                        ; implicit-def: $sgpr10
	s_and_saveexec_b64 s[8:9], s[6:7]
	s_xor_b64 s[6:7], exec, s[8:9]
	s_cbranch_execnz .LBB13_3549
; %bb.1501:
	s_or_saveexec_b64 s[6:7], s[6:7]
	v_mov_b32_e32 v3, s10
	s_xor_b64 exec, exec, s[6:7]
	s_cbranch_execnz .LBB13_3552
.LBB13_1502:
	s_or_b64 exec, exec, s[6:7]
	s_and_saveexec_b64 s[6:7], s[4:5]
	s_cbranch_execz .LBB13_1504
.LBB13_1503:
	v_bfe_u32 v3, v4, 24, 3
	v_ffbh_u32_e32 v12, v3
	v_min_u32_e32 v12, 32, v12
	v_lshrrev_b32_e32 v7, 27, v4
	v_subrev_u32_e32 v13, 28, v12
	v_and_b32_e32 v6, 0x80000000, v4
	v_and_b32_e32 v7, 15, v7
	v_bfe_u32 v8, v4, 27, 4
	v_lshlrev_b32_sdwa v4, v13, v4 dst_sel:DWORD dst_unused:UNUSED_PAD src0_sel:DWORD src1_sel:BYTE_3
	v_sub_u32_e32 v12, 29, v12
	v_and_b32_e32 v4, 7, v4
	v_cmp_eq_u16_e32 vcc, 0, v7
	v_cndmask_b32_e32 v3, v3, v4, vcc
	v_cndmask_b32_e32 v4, v8, v12, vcc
	v_mov_b32_e32 v7, 0x3b800000
	v_lshlrev_b32_e32 v3, 20, v3
	v_lshl_add_u32 v4, v4, 23, v7
	v_or3_b32 v3, v6, v4, v3
.LBB13_1504:
	s_or_b64 exec, exec, s[6:7]
	s_nop 0
	v_mfma_f32_16x16x4f32 a[0:3], v2, v3, a[0:3]
	s_movk_i32 s4, 0x7f
	v_cmp_gt_i16_sdwa s[6:7], v9, s4 src0_sel:BYTE_0 src1_sel:DWORD
	s_mov_b64 s[4:5], 0
                                        ; implicit-def: $sgpr10
	s_and_saveexec_b64 s[8:9], s[6:7]
	s_xor_b64 s[6:7], exec, s[8:9]
	s_cbranch_execnz .LBB13_3553
; %bb.1505:
	s_or_saveexec_b64 s[6:7], s[6:7]
	v_mov_b32_e32 v2, s10
	s_xor_b64 exec, exec, s[6:7]
	s_cbranch_execnz .LBB13_3556
.LBB13_1506:
	s_or_b64 exec, exec, s[6:7]
	s_and_saveexec_b64 s[6:7], s[4:5]
	s_cbranch_execz .LBB13_1508
.LBB13_1507:
	v_mov_b32_e32 v2, 8
	v_and_b32_e32 v3, 7, v9
	v_lshrrev_b32_sdwa v2, v2, v9 dst_sel:BYTE_1 dst_unused:UNUSED_PAD src0_sel:DWORD src1_sel:DWORD
	v_ffbh_u32_e32 v4, v3
	v_or_b32_sdwa v2, v9, v2 dst_sel:DWORD dst_unused:UNUSED_PAD src0_sel:BYTE_0 src1_sel:DWORD
	v_min_u32_e32 v4, 32, v4
	v_lshrrev_b16_e32 v2, 3, v2
	v_subrev_u32_e32 v6, 28, v4
	v_and_b32_e32 v2, 15, v2
	v_lshlrev_b32_e32 v6, v6, v9
	v_sub_u32_e32 v4, 29, v4
	v_and_b32_e32 v6, 7, v6
	v_cmp_eq_u16_e32 vcc, 0, v2
	v_cndmask_b32_e32 v3, v3, v6, vcc
	v_cndmask_b32_e32 v2, v2, v4, vcc
	v_lshlrev_b32_e32 v4, 24, v9
	v_mov_b32_e32 v6, 0x3b800000
	v_lshlrev_b32_e32 v3, 20, v3
	v_and_b32_e32 v4, 0x80000000, v4
	v_lshl_add_u32 v2, v2, 23, v6
	v_or3_b32 v2, v4, v2, v3
.LBB13_1508:
	s_or_b64 exec, exec, s[6:7]
	s_movk_i32 s4, 0x7f
	v_cmp_gt_i16_sdwa s[6:7], v5, s4 src0_sel:BYTE_0 src1_sel:DWORD
	s_mov_b64 s[4:5], 0
                                        ; implicit-def: $sgpr10
	s_and_saveexec_b64 s[8:9], s[6:7]
	s_xor_b64 s[6:7], exec, s[8:9]
	s_cbranch_execnz .LBB13_3557
; %bb.1509:
	s_or_saveexec_b64 s[6:7], s[6:7]
	v_mov_b32_e32 v3, s10
	s_xor_b64 exec, exec, s[6:7]
	s_cbranch_execnz .LBB13_3560
.LBB13_1510:
	s_or_b64 exec, exec, s[6:7]
	s_and_saveexec_b64 s[6:7], s[4:5]
	s_cbranch_execz .LBB13_1512
.LBB13_1511:
	v_mov_b32_e32 v3, 8
	v_and_b32_e32 v4, 7, v5
	v_lshrrev_b32_sdwa v3, v3, v5 dst_sel:BYTE_1 dst_unused:UNUSED_PAD src0_sel:DWORD src1_sel:DWORD
	v_ffbh_u32_e32 v6, v4
	v_or_b32_sdwa v3, v5, v3 dst_sel:DWORD dst_unused:UNUSED_PAD src0_sel:BYTE_0 src1_sel:DWORD
	v_min_u32_e32 v6, 32, v6
	v_lshrrev_b16_e32 v3, 3, v3
	v_subrev_u32_e32 v7, 28, v6
	v_and_b32_e32 v3, 15, v3
	v_lshlrev_b32_e32 v7, v7, v5
	v_sub_u32_e32 v6, 29, v6
	v_and_b32_e32 v7, 7, v7
	v_cmp_eq_u16_e32 vcc, 0, v3
	v_cndmask_b32_e32 v4, v4, v7, vcc
	v_cndmask_b32_e32 v3, v3, v6, vcc
	v_lshlrev_b32_e32 v6, 24, v5
	v_mov_b32_e32 v7, 0x3b800000
	v_lshlrev_b32_e32 v4, 20, v4
	v_and_b32_e32 v6, 0x80000000, v6
	v_lshl_add_u32 v3, v3, 23, v7
	v_or3_b32 v3, v6, v3, v4
.LBB13_1512:
	s_or_b64 exec, exec, s[6:7]
	s_nop 0
	v_mfma_f32_16x16x4f32 a[0:3], v2, v3, a[0:3]
	v_lshrrev_b32_e32 v3, 8, v9
	s_movk_i32 s4, 0x7f
	v_cmp_gt_i16_sdwa s[6:7], v3, s4 src0_sel:BYTE_0 src1_sel:DWORD
	s_mov_b64 s[4:5], 0
                                        ; implicit-def: $sgpr10
	s_and_saveexec_b64 s[8:9], s[6:7]
	s_xor_b64 s[6:7], exec, s[8:9]
	s_cbranch_execnz .LBB13_3561
; %bb.1513:
	s_or_saveexec_b64 s[6:7], s[6:7]
	v_mov_b32_e32 v2, s10
	s_xor_b64 exec, exec, s[6:7]
	s_cbranch_execnz .LBB13_3564
.LBB13_1514:
	s_or_b64 exec, exec, s[6:7]
	s_and_saveexec_b64 s[6:7], s[4:5]
	s_cbranch_execz .LBB13_1516
.LBB13_1515:
	v_bfe_u32 v2, v9, 8, 3
	v_ffbh_u32_e32 v6, v2
	v_min_u32_e32 v6, 32, v6
	v_lshrrev_b16_e32 v4, 3, v3
	v_subrev_u32_e32 v7, 28, v6
	v_and_b32_e32 v4, 15, v4
	v_lshlrev_b32_e32 v3, v7, v3
	v_sub_u32_e32 v6, 29, v6
	v_and_b32_e32 v3, 7, v3
	v_cmp_eq_u16_e32 vcc, 0, v4
	v_cndmask_b32_e32 v2, v2, v3, vcc
	v_cndmask_b32_e32 v3, v4, v6, vcc
	v_lshlrev_b32_e32 v4, 16, v9
	v_mov_b32_e32 v6, 0x3b800000
	v_lshlrev_b32_e32 v2, 20, v2
	v_and_b32_e32 v4, 0x80000000, v4
	v_lshl_add_u32 v3, v3, 23, v6
	v_or3_b32 v2, v4, v3, v2
.LBB13_1516:
	s_or_b64 exec, exec, s[6:7]
	v_lshrrev_b32_e32 v3, 8, v5
	s_movk_i32 s4, 0x7f
	v_cmp_gt_i16_sdwa s[6:7], v3, s4 src0_sel:BYTE_0 src1_sel:DWORD
	s_mov_b64 s[4:5], 0
                                        ; implicit-def: $sgpr10
	s_and_saveexec_b64 s[8:9], s[6:7]
	s_xor_b64 s[6:7], exec, s[8:9]
	s_cbranch_execnz .LBB13_3565
; %bb.1517:
	s_or_saveexec_b64 s[6:7], s[6:7]
	v_mov_b32_e32 v4, s10
	s_xor_b64 exec, exec, s[6:7]
	s_cbranch_execnz .LBB13_3568
.LBB13_1518:
	s_or_b64 exec, exec, s[6:7]
	s_and_saveexec_b64 s[6:7], s[4:5]
	s_cbranch_execz .LBB13_1520
.LBB13_1519:
	v_bfe_u32 v4, v5, 8, 3
	v_ffbh_u32_e32 v7, v4
	v_min_u32_e32 v7, 32, v7
	v_lshrrev_b16_e32 v6, 3, v3
	v_subrev_u32_e32 v8, 28, v7
	v_and_b32_e32 v6, 15, v6
	v_lshlrev_b32_e32 v3, v8, v3
	v_sub_u32_e32 v7, 29, v7
	v_and_b32_e32 v3, 7, v3
	v_cmp_eq_u16_e32 vcc, 0, v6
	v_cndmask_b32_e32 v3, v4, v3, vcc
	v_cndmask_b32_e32 v4, v6, v7, vcc
	v_lshlrev_b32_e32 v6, 16, v5
	v_mov_b32_e32 v7, 0x3b800000
	v_lshlrev_b32_e32 v3, 20, v3
	v_and_b32_e32 v6, 0x80000000, v6
	v_lshl_add_u32 v4, v4, 23, v7
	v_or3_b32 v4, v6, v4, v3
.LBB13_1520:
	s_or_b64 exec, exec, s[6:7]
	s_nop 0
	v_mfma_f32_16x16x4f32 a[0:3], v2, v4, a[0:3]
	s_movk_i32 s4, 0xff
	v_and_b32_sdwa v3, v9, s4 dst_sel:DWORD dst_unused:UNUSED_PAD src0_sel:WORD_1 src1_sel:DWORD
	s_movk_i32 s4, 0x7f
	v_cmp_lt_i16_e32 vcc, s4, v3
	s_mov_b64 s[4:5], 0
                                        ; implicit-def: $sgpr10
	s_and_saveexec_b64 s[6:7], vcc
	s_xor_b64 s[6:7], exec, s[6:7]
	s_cbranch_execnz .LBB13_3569
; %bb.1521:
	s_or_saveexec_b64 s[6:7], s[6:7]
	v_mov_b32_e32 v2, s10
	s_xor_b64 exec, exec, s[6:7]
	s_cbranch_execnz .LBB13_3572
.LBB13_1522:
	s_or_b64 exec, exec, s[6:7]
	s_and_saveexec_b64 s[6:7], s[4:5]
	s_cbranch_execz .LBB13_1524
.LBB13_1523:
	v_bfe_u32 v2, v9, 16, 3
	v_ffbh_u32_e32 v6, v2
	v_min_u32_e32 v6, 32, v6
	v_lshrrev_b32_e32 v3, 19, v9
	v_subrev_u32_e32 v7, 28, v6
	v_and_b32_e32 v3, 15, v3
	v_lshlrev_b32_sdwa v7, v7, v9 dst_sel:DWORD dst_unused:UNUSED_PAD src0_sel:DWORD src1_sel:WORD_1
	v_bfe_u32 v4, v9, 19, 4
	v_sub_u32_e32 v6, 29, v6
	v_and_b32_e32 v7, 7, v7
	v_cmp_eq_u16_e32 vcc, 0, v3
	v_cndmask_b32_e32 v2, v2, v7, vcc
	v_cndmask_b32_e32 v3, v4, v6, vcc
	v_lshlrev_b32_e32 v4, 8, v9
	v_mov_b32_e32 v6, 0x3b800000
	v_lshlrev_b32_e32 v2, 20, v2
	v_and_b32_e32 v4, 0x80000000, v4
	v_lshl_add_u32 v3, v3, 23, v6
	v_or3_b32 v2, v4, v3, v2
.LBB13_1524:
	s_or_b64 exec, exec, s[6:7]
	s_movk_i32 s4, 0xff
	v_and_b32_sdwa v3, v5, s4 dst_sel:DWORD dst_unused:UNUSED_PAD src0_sel:WORD_1 src1_sel:DWORD
	s_movk_i32 s4, 0x7f
	v_cmp_lt_i16_e32 vcc, s4, v3
	s_mov_b64 s[4:5], 0
                                        ; implicit-def: $sgpr10
	s_and_saveexec_b64 s[6:7], vcc
	s_xor_b64 s[6:7], exec, s[6:7]
	s_cbranch_execnz .LBB13_3573
; %bb.1525:
	s_or_saveexec_b64 s[6:7], s[6:7]
	v_mov_b32_e32 v4, s10
	s_xor_b64 exec, exec, s[6:7]
	s_cbranch_execnz .LBB13_3576
.LBB13_1526:
	s_or_b64 exec, exec, s[6:7]
	s_and_saveexec_b64 s[6:7], s[4:5]
	s_cbranch_execz .LBB13_1528
.LBB13_1527:
	v_bfe_u32 v3, v5, 16, 3
	v_ffbh_u32_e32 v7, v3
	v_min_u32_e32 v7, 32, v7
	v_lshrrev_b32_e32 v4, 19, v5
	v_subrev_u32_e32 v8, 28, v7
	v_and_b32_e32 v4, 15, v4
	v_lshlrev_b32_sdwa v8, v8, v5 dst_sel:DWORD dst_unused:UNUSED_PAD src0_sel:DWORD src1_sel:WORD_1
	v_bfe_u32 v6, v5, 19, 4
	v_sub_u32_e32 v7, 29, v7
	v_and_b32_e32 v8, 7, v8
	v_cmp_eq_u16_e32 vcc, 0, v4
	v_cndmask_b32_e32 v3, v3, v8, vcc
	v_cndmask_b32_e32 v4, v6, v7, vcc
	v_lshlrev_b32_e32 v6, 8, v5
	v_mov_b32_e32 v7, 0x3b800000
	v_lshlrev_b32_e32 v3, 20, v3
	v_and_b32_e32 v6, 0x80000000, v6
	v_lshl_add_u32 v4, v4, 23, v7
	v_or3_b32 v4, v6, v4, v3
.LBB13_1528:
	s_or_b64 exec, exec, s[6:7]
	s_nop 0
	v_mfma_f32_16x16x4f32 a[0:3], v2, v4, a[0:3]
	s_movk_i32 s4, 0x7f
	v_cmp_gt_i16_sdwa s[6:7], v9, s4 src0_sel:BYTE_3 src1_sel:DWORD
	s_mov_b64 s[4:5], 0
                                        ; implicit-def: $sgpr10
	s_and_saveexec_b64 s[8:9], s[6:7]
	s_xor_b64 s[6:7], exec, s[8:9]
	s_cbranch_execnz .LBB13_3577
; %bb.1529:
	s_or_saveexec_b64 s[6:7], s[6:7]
	v_mov_b32_e32 v2, s10
	s_xor_b64 exec, exec, s[6:7]
	s_cbranch_execnz .LBB13_3580
.LBB13_1530:
	s_or_b64 exec, exec, s[6:7]
	s_and_saveexec_b64 s[6:7], s[4:5]
	s_cbranch_execz .LBB13_1532
.LBB13_1531:
	v_bfe_u32 v2, v9, 24, 3
	v_ffbh_u32_e32 v7, v2
	v_min_u32_e32 v7, 32, v7
	v_lshrrev_b32_e32 v4, 27, v9
	v_subrev_u32_e32 v8, 28, v7
	v_and_b32_e32 v4, 15, v4
	v_lshlrev_b32_sdwa v8, v8, v9 dst_sel:DWORD dst_unused:UNUSED_PAD src0_sel:DWORD src1_sel:BYTE_3
	v_bfe_u32 v6, v9, 27, 4
	v_sub_u32_e32 v7, 29, v7
	v_and_b32_e32 v8, 7, v8
	v_cmp_eq_u16_e32 vcc, 0, v4
	v_cndmask_b32_e32 v2, v2, v8, vcc
	v_cndmask_b32_e32 v4, v6, v7, vcc
	v_mov_b32_e32 v6, 0x3b800000
	v_and_b32_e32 v3, 0x80000000, v9
	v_lshlrev_b32_e32 v2, 20, v2
	v_lshl_add_u32 v4, v4, 23, v6
	v_or3_b32 v2, v3, v4, v2
.LBB13_1532:
	s_or_b64 exec, exec, s[6:7]
	s_movk_i32 s4, 0x7f
	v_cmp_gt_i16_sdwa s[6:7], v5, s4 src0_sel:BYTE_3 src1_sel:DWORD
	s_mov_b64 s[4:5], 0
                                        ; implicit-def: $sgpr10
	s_and_saveexec_b64 s[8:9], s[6:7]
	s_xor_b64 s[6:7], exec, s[8:9]
	s_cbranch_execnz .LBB13_3581
; %bb.1533:
	s_or_saveexec_b64 s[6:7], s[6:7]
	v_mov_b32_e32 v3, s10
	s_xor_b64 exec, exec, s[6:7]
	s_cbranch_execnz .LBB13_3584
.LBB13_1534:
	s_or_b64 exec, exec, s[6:7]
	s_and_saveexec_b64 s[6:7], s[4:5]
	s_cbranch_execz .LBB13_1536
.LBB13_1535:
	v_bfe_u32 v3, v5, 24, 3
	v_ffbh_u32_e32 v8, v3
	v_min_u32_e32 v8, 32, v8
	v_lshrrev_b32_e32 v6, 27, v5
	v_subrev_u32_e32 v9, 28, v8
	v_and_b32_e32 v4, 0x80000000, v5
	v_and_b32_e32 v6, 15, v6
	v_bfe_u32 v7, v5, 27, 4
	v_lshlrev_b32_sdwa v5, v9, v5 dst_sel:DWORD dst_unused:UNUSED_PAD src0_sel:DWORD src1_sel:BYTE_3
	v_sub_u32_e32 v8, 29, v8
	v_and_b32_e32 v5, 7, v5
	v_cmp_eq_u16_e32 vcc, 0, v6
	v_cndmask_b32_e32 v3, v3, v5, vcc
	v_cndmask_b32_e32 v5, v7, v8, vcc
	v_mov_b32_e32 v6, 0x3b800000
	v_lshlrev_b32_e32 v3, 20, v3
	v_lshl_add_u32 v5, v5, 23, v6
	v_or3_b32 v3, v4, v5, v3
.LBB13_1536:
	s_or_b64 exec, exec, s[6:7]
	s_nop 0
	v_mfma_f32_16x16x4f32 a[0:3], v2, v3, a[0:3]
	s_movk_i32 s4, 0x7f
                                        ; implicit-def: $sgpr10
	s_nop 7
	s_nop 1
	flat_store_dwordx4 v[10:11], a[0:3] offset:176
	flat_load_dwordx4 v[12:15], v[0:1] offset:8
	s_nop 0
	flat_load_dwordx2 v[10:11], v[0:1] offset:32
	s_waitcnt vmcnt(0) lgkmcnt(0)
	flat_load_dwordx4 v[6:9], v[12:13] offset:112
	flat_load_dwordx4 v[2:5], v[14:15] offset:16
	s_waitcnt vmcnt(0) lgkmcnt(0)
	v_cmp_gt_i16_sdwa s[6:7], v6, s4 src0_sel:BYTE_0 src1_sel:DWORD
	s_mov_b64 s[4:5], 0
	s_and_saveexec_b64 s[8:9], s[6:7]
	s_xor_b64 s[6:7], exec, s[8:9]
	s_cbranch_execnz .LBB13_3585
; %bb.1537:
	s_or_saveexec_b64 s[6:7], s[6:7]
	v_mov_b32_e32 v12, s10
	s_xor_b64 exec, exec, s[6:7]
	s_cbranch_execnz .LBB13_3588
.LBB13_1538:
	s_or_b64 exec, exec, s[6:7]
	s_and_saveexec_b64 s[6:7], s[4:5]
	s_cbranch_execz .LBB13_1540
.LBB13_1539:
	v_and_b32_e32 v12, 7, v6
	v_ffbh_u32_e32 v14, v12
	v_min_u32_e32 v14, 32, v14
	v_lshrrev_b16_e32 v13, 3, v6
	v_subrev_u32_e32 v15, 28, v14
	v_and_b32_e32 v13, 15, v13
	v_lshlrev_b32_e32 v15, v15, v6
	v_sub_u32_e32 v14, 29, v14
	v_and_b32_e32 v15, 7, v15
	v_cmp_eq_u16_e32 vcc, 0, v13
	v_cndmask_b32_e32 v12, v12, v15, vcc
	v_cndmask_b32_e32 v13, v13, v14, vcc
	v_lshlrev_b32_e32 v14, 24, v6
	v_mov_b32_e32 v15, 0x3b800000
	v_lshlrev_b32_e32 v12, 20, v12
	v_and_b32_e32 v14, 0x80000000, v14
	v_lshl_add_u32 v13, v13, 23, v15
	v_or3_b32 v12, v14, v13, v12
.LBB13_1540:
	s_or_b64 exec, exec, s[6:7]
	s_movk_i32 s4, 0x7f
	v_cmp_gt_i16_sdwa s[6:7], v2, s4 src0_sel:BYTE_0 src1_sel:DWORD
	s_mov_b64 s[4:5], 0
                                        ; implicit-def: $sgpr10
	s_and_saveexec_b64 s[8:9], s[6:7]
	s_xor_b64 s[6:7], exec, s[8:9]
	s_cbranch_execnz .LBB13_3589
; %bb.1541:
	s_or_saveexec_b64 s[6:7], s[6:7]
	v_mov_b32_e32 v13, s10
	s_xor_b64 exec, exec, s[6:7]
	s_cbranch_execnz .LBB13_3592
.LBB13_1542:
	s_or_b64 exec, exec, s[6:7]
	s_and_saveexec_b64 s[6:7], s[4:5]
	s_cbranch_execz .LBB13_1544
.LBB13_1543:
	v_and_b32_e32 v13, 7, v2
	v_ffbh_u32_e32 v15, v13
	v_min_u32_e32 v15, 32, v15
	v_lshrrev_b16_e32 v14, 3, v2
	v_subrev_u32_e32 v16, 28, v15
	v_and_b32_e32 v14, 15, v14
	v_lshlrev_b32_e32 v16, v16, v2
	v_sub_u32_e32 v15, 29, v15
	v_and_b32_e32 v16, 7, v16
	v_cmp_eq_u16_e32 vcc, 0, v14
	v_cndmask_b32_e32 v13, v13, v16, vcc
	v_cndmask_b32_e32 v14, v14, v15, vcc
	v_lshlrev_b32_e32 v15, 24, v2
	v_mov_b32_e32 v16, 0x3b800000
	v_lshlrev_b32_e32 v13, 20, v13
	v_and_b32_e32 v15, 0x80000000, v15
	v_lshl_add_u32 v14, v14, 23, v16
	v_or3_b32 v13, v15, v14, v13
.LBB13_1544:
	s_or_b64 exec, exec, s[6:7]
	flat_load_dwordx4 a[0:3], v[10:11] offset:192
	s_movk_i32 s4, 0x7f
                                        ; implicit-def: $sgpr10
	s_waitcnt vmcnt(0) lgkmcnt(0)
	v_mfma_f32_16x16x4f32 a[0:3], v12, v13, a[0:3]
	v_lshrrev_b32_e32 v13, 8, v6
	v_cmp_gt_i16_sdwa s[6:7], v13, s4 src0_sel:BYTE_0 src1_sel:DWORD
	s_mov_b64 s[4:5], 0
	s_and_saveexec_b64 s[8:9], s[6:7]
	s_xor_b64 s[6:7], exec, s[8:9]
	s_cbranch_execnz .LBB13_3593
; %bb.1545:
	s_or_saveexec_b64 s[6:7], s[6:7]
	v_mov_b32_e32 v12, s10
	s_xor_b64 exec, exec, s[6:7]
	s_cbranch_execnz .LBB13_3596
.LBB13_1546:
	s_or_b64 exec, exec, s[6:7]
	s_and_saveexec_b64 s[6:7], s[4:5]
	s_cbranch_execz .LBB13_1548
.LBB13_1547:
	v_bfe_u32 v12, v6, 8, 3
	v_ffbh_u32_e32 v15, v12
	v_min_u32_e32 v15, 32, v15
	v_lshrrev_b16_e32 v14, 3, v13
	v_subrev_u32_e32 v16, 28, v15
	v_and_b32_e32 v14, 15, v14
	v_lshlrev_b32_e32 v13, v16, v13
	v_sub_u32_e32 v15, 29, v15
	v_and_b32_e32 v13, 7, v13
	v_cmp_eq_u16_e32 vcc, 0, v14
	v_cndmask_b32_e32 v12, v12, v13, vcc
	v_cndmask_b32_e32 v13, v14, v15, vcc
	v_lshlrev_b32_e32 v14, 16, v6
	v_mov_b32_e32 v15, 0x3b800000
	v_lshlrev_b32_e32 v12, 20, v12
	v_and_b32_e32 v14, 0x80000000, v14
	v_lshl_add_u32 v13, v13, 23, v15
	v_or3_b32 v12, v14, v13, v12
.LBB13_1548:
	s_or_b64 exec, exec, s[6:7]
	v_lshrrev_b32_e32 v13, 8, v2
	s_movk_i32 s4, 0x7f
	v_cmp_gt_i16_sdwa s[6:7], v13, s4 src0_sel:BYTE_0 src1_sel:DWORD
	s_mov_b64 s[4:5], 0
                                        ; implicit-def: $sgpr10
	s_and_saveexec_b64 s[8:9], s[6:7]
	s_xor_b64 s[6:7], exec, s[8:9]
	s_cbranch_execnz .LBB13_3597
; %bb.1549:
	s_or_saveexec_b64 s[6:7], s[6:7]
	v_mov_b32_e32 v14, s10
	s_xor_b64 exec, exec, s[6:7]
	s_cbranch_execnz .LBB13_3600
.LBB13_1550:
	s_or_b64 exec, exec, s[6:7]
	s_and_saveexec_b64 s[6:7], s[4:5]
	s_cbranch_execz .LBB13_1552
.LBB13_1551:
	v_bfe_u32 v14, v2, 8, 3
	v_ffbh_u32_e32 v16, v14
	v_min_u32_e32 v16, 32, v16
	v_lshrrev_b16_e32 v15, 3, v13
	v_subrev_u32_e32 v17, 28, v16
	v_and_b32_e32 v15, 15, v15
	v_lshlrev_b32_e32 v13, v17, v13
	v_sub_u32_e32 v16, 29, v16
	v_and_b32_e32 v13, 7, v13
	v_cmp_eq_u16_e32 vcc, 0, v15
	v_cndmask_b32_e32 v13, v14, v13, vcc
	v_cndmask_b32_e32 v14, v15, v16, vcc
	v_lshlrev_b32_e32 v15, 16, v2
	v_mov_b32_e32 v16, 0x3b800000
	v_lshlrev_b32_e32 v13, 20, v13
	v_and_b32_e32 v15, 0x80000000, v15
	v_lshl_add_u32 v14, v14, 23, v16
	v_or3_b32 v14, v15, v14, v13
.LBB13_1552:
	s_or_b64 exec, exec, s[6:7]
	s_nop 0
	v_mfma_f32_16x16x4f32 a[0:3], v12, v14, a[0:3]
	s_movk_i32 s4, 0xff
	v_and_b32_sdwa v13, v6, s4 dst_sel:DWORD dst_unused:UNUSED_PAD src0_sel:WORD_1 src1_sel:DWORD
	s_movk_i32 s4, 0x7f
	v_cmp_lt_i16_e32 vcc, s4, v13
	s_mov_b64 s[4:5], 0
                                        ; implicit-def: $sgpr10
	s_and_saveexec_b64 s[6:7], vcc
	s_xor_b64 s[6:7], exec, s[6:7]
	s_cbranch_execnz .LBB13_3601
; %bb.1553:
	s_or_saveexec_b64 s[6:7], s[6:7]
	v_mov_b32_e32 v12, s10
	s_xor_b64 exec, exec, s[6:7]
	s_cbranch_execnz .LBB13_3604
.LBB13_1554:
	s_or_b64 exec, exec, s[6:7]
	s_and_saveexec_b64 s[6:7], s[4:5]
	s_cbranch_execz .LBB13_1556
.LBB13_1555:
	v_bfe_u32 v12, v6, 16, 3
	v_ffbh_u32_e32 v15, v12
	v_min_u32_e32 v15, 32, v15
	v_lshrrev_b32_e32 v13, 19, v6
	v_subrev_u32_e32 v16, 28, v15
	v_and_b32_e32 v13, 15, v13
	v_lshlrev_b32_sdwa v16, v16, v6 dst_sel:DWORD dst_unused:UNUSED_PAD src0_sel:DWORD src1_sel:WORD_1
	v_bfe_u32 v14, v6, 19, 4
	v_sub_u32_e32 v15, 29, v15
	v_and_b32_e32 v16, 7, v16
	v_cmp_eq_u16_e32 vcc, 0, v13
	v_cndmask_b32_e32 v12, v12, v16, vcc
	v_cndmask_b32_e32 v13, v14, v15, vcc
	v_lshlrev_b32_e32 v14, 8, v6
	v_mov_b32_e32 v15, 0x3b800000
	v_lshlrev_b32_e32 v12, 20, v12
	v_and_b32_e32 v14, 0x80000000, v14
	v_lshl_add_u32 v13, v13, 23, v15
	v_or3_b32 v12, v14, v13, v12
.LBB13_1556:
	s_or_b64 exec, exec, s[6:7]
	s_movk_i32 s4, 0xff
	v_and_b32_sdwa v13, v2, s4 dst_sel:DWORD dst_unused:UNUSED_PAD src0_sel:WORD_1 src1_sel:DWORD
	s_movk_i32 s4, 0x7f
	v_cmp_lt_i16_e32 vcc, s4, v13
	s_mov_b64 s[4:5], 0
                                        ; implicit-def: $sgpr10
	s_and_saveexec_b64 s[6:7], vcc
	s_xor_b64 s[6:7], exec, s[6:7]
	s_cbranch_execnz .LBB13_3605
; %bb.1557:
	s_or_saveexec_b64 s[6:7], s[6:7]
	v_mov_b32_e32 v14, s10
	s_xor_b64 exec, exec, s[6:7]
	s_cbranch_execnz .LBB13_3608
.LBB13_1558:
	s_or_b64 exec, exec, s[6:7]
	s_and_saveexec_b64 s[6:7], s[4:5]
	s_cbranch_execz .LBB13_1560
.LBB13_1559:
	v_bfe_u32 v13, v2, 16, 3
	v_ffbh_u32_e32 v16, v13
	v_min_u32_e32 v16, 32, v16
	v_lshrrev_b32_e32 v14, 19, v2
	v_subrev_u32_e32 v17, 28, v16
	v_and_b32_e32 v14, 15, v14
	v_lshlrev_b32_sdwa v17, v17, v2 dst_sel:DWORD dst_unused:UNUSED_PAD src0_sel:DWORD src1_sel:WORD_1
	v_bfe_u32 v15, v2, 19, 4
	v_sub_u32_e32 v16, 29, v16
	v_and_b32_e32 v17, 7, v17
	v_cmp_eq_u16_e32 vcc, 0, v14
	v_cndmask_b32_e32 v13, v13, v17, vcc
	v_cndmask_b32_e32 v14, v15, v16, vcc
	v_lshlrev_b32_e32 v15, 8, v2
	v_mov_b32_e32 v16, 0x3b800000
	v_lshlrev_b32_e32 v13, 20, v13
	v_and_b32_e32 v15, 0x80000000, v15
	v_lshl_add_u32 v14, v14, 23, v16
	v_or3_b32 v14, v15, v14, v13
.LBB13_1560:
	s_or_b64 exec, exec, s[6:7]
	s_nop 0
	v_mfma_f32_16x16x4f32 a[0:3], v12, v14, a[0:3]
	s_movk_i32 s4, 0x7f
	v_cmp_gt_i16_sdwa s[6:7], v6, s4 src0_sel:BYTE_3 src1_sel:DWORD
	s_mov_b64 s[4:5], 0
                                        ; implicit-def: $sgpr10
	s_and_saveexec_b64 s[8:9], s[6:7]
	s_xor_b64 s[6:7], exec, s[8:9]
	s_cbranch_execnz .LBB13_3609
; %bb.1561:
	s_or_saveexec_b64 s[6:7], s[6:7]
	v_mov_b32_e32 v12, s10
	s_xor_b64 exec, exec, s[6:7]
	s_cbranch_execnz .LBB13_3612
.LBB13_1562:
	s_or_b64 exec, exec, s[6:7]
	s_and_saveexec_b64 s[6:7], s[4:5]
	s_cbranch_execz .LBB13_1564
.LBB13_1563:
	v_bfe_u32 v12, v6, 24, 3
	v_ffbh_u32_e32 v16, v12
	v_min_u32_e32 v16, 32, v16
	v_lshrrev_b32_e32 v14, 27, v6
	v_subrev_u32_e32 v17, 28, v16
	v_and_b32_e32 v13, 0x80000000, v6
	v_and_b32_e32 v14, 15, v14
	v_bfe_u32 v15, v6, 27, 4
	v_lshlrev_b32_sdwa v6, v17, v6 dst_sel:DWORD dst_unused:UNUSED_PAD src0_sel:DWORD src1_sel:BYTE_3
	v_sub_u32_e32 v16, 29, v16
	v_and_b32_e32 v6, 7, v6
	v_cmp_eq_u16_e32 vcc, 0, v14
	v_cndmask_b32_e32 v6, v12, v6, vcc
	v_cndmask_b32_e32 v12, v15, v16, vcc
	v_mov_b32_e32 v14, 0x3b800000
	v_lshlrev_b32_e32 v6, 20, v6
	v_lshl_add_u32 v12, v12, 23, v14
	v_or3_b32 v12, v13, v12, v6
.LBB13_1564:
	s_or_b64 exec, exec, s[6:7]
	s_movk_i32 s4, 0x7f
	v_cmp_gt_i16_sdwa s[6:7], v2, s4 src0_sel:BYTE_3 src1_sel:DWORD
	s_mov_b64 s[4:5], 0
                                        ; implicit-def: $sgpr10
	s_and_saveexec_b64 s[8:9], s[6:7]
	s_xor_b64 s[6:7], exec, s[8:9]
	s_cbranch_execnz .LBB13_3613
; %bb.1565:
	s_or_saveexec_b64 s[6:7], s[6:7]
	v_mov_b32_e32 v6, s10
	s_xor_b64 exec, exec, s[6:7]
	s_cbranch_execnz .LBB13_3616
.LBB13_1566:
	s_or_b64 exec, exec, s[6:7]
	s_and_saveexec_b64 s[6:7], s[4:5]
	s_cbranch_execz .LBB13_1568
.LBB13_1567:
	v_bfe_u32 v6, v2, 24, 3
	v_ffbh_u32_e32 v16, v6
	v_min_u32_e32 v16, 32, v16
	v_lshrrev_b32_e32 v14, 27, v2
	v_subrev_u32_e32 v17, 28, v16
	v_and_b32_e32 v13, 0x80000000, v2
	v_and_b32_e32 v14, 15, v14
	v_bfe_u32 v15, v2, 27, 4
	v_lshlrev_b32_sdwa v2, v17, v2 dst_sel:DWORD dst_unused:UNUSED_PAD src0_sel:DWORD src1_sel:BYTE_3
	v_sub_u32_e32 v16, 29, v16
	v_and_b32_e32 v2, 7, v2
	v_cmp_eq_u16_e32 vcc, 0, v14
	v_cndmask_b32_e32 v2, v6, v2, vcc
	v_cndmask_b32_e32 v6, v15, v16, vcc
	v_mov_b32_e32 v14, 0x3b800000
	v_lshlrev_b32_e32 v2, 20, v2
	v_lshl_add_u32 v6, v6, 23, v14
	v_or3_b32 v6, v13, v6, v2
.LBB13_1568:
	s_or_b64 exec, exec, s[6:7]
	s_nop 0
	v_mfma_f32_16x16x4f32 a[0:3], v12, v6, a[0:3]
	s_movk_i32 s4, 0x7f
	v_cmp_gt_i16_sdwa s[6:7], v7, s4 src0_sel:BYTE_0 src1_sel:DWORD
	s_mov_b64 s[4:5], 0
                                        ; implicit-def: $sgpr10
	s_and_saveexec_b64 s[8:9], s[6:7]
	s_xor_b64 s[6:7], exec, s[8:9]
	s_cbranch_execnz .LBB13_3617
; %bb.1569:
	s_or_saveexec_b64 s[6:7], s[6:7]
	v_mov_b32_e32 v2, s10
	s_xor_b64 exec, exec, s[6:7]
	s_cbranch_execnz .LBB13_3620
.LBB13_1570:
	s_or_b64 exec, exec, s[6:7]
	s_and_saveexec_b64 s[6:7], s[4:5]
	s_cbranch_execz .LBB13_1572
.LBB13_1571:
	v_and_b32_e32 v2, 7, v7
	v_ffbh_u32_e32 v12, v2
	v_min_u32_e32 v12, 32, v12
	v_lshrrev_b16_e32 v6, 3, v7
	v_subrev_u32_e32 v13, 28, v12
	v_and_b32_e32 v6, 15, v6
	v_lshlrev_b32_e32 v13, v13, v7
	v_sub_u32_e32 v12, 29, v12
	v_and_b32_e32 v13, 7, v13
	v_cmp_eq_u16_e32 vcc, 0, v6
	v_cndmask_b32_e32 v2, v2, v13, vcc
	v_cndmask_b32_e32 v6, v6, v12, vcc
	v_lshlrev_b32_e32 v12, 24, v7
	v_mov_b32_e32 v13, 0x3b800000
	v_lshlrev_b32_e32 v2, 20, v2
	v_and_b32_e32 v12, 0x80000000, v12
	v_lshl_add_u32 v6, v6, 23, v13
	v_or3_b32 v2, v12, v6, v2
.LBB13_1572:
	s_or_b64 exec, exec, s[6:7]
	s_movk_i32 s4, 0x7f
	v_cmp_gt_i16_sdwa s[6:7], v3, s4 src0_sel:BYTE_0 src1_sel:DWORD
	s_mov_b64 s[4:5], 0
                                        ; implicit-def: $sgpr10
	s_and_saveexec_b64 s[8:9], s[6:7]
	s_xor_b64 s[6:7], exec, s[8:9]
	s_cbranch_execnz .LBB13_3621
; %bb.1573:
	s_or_saveexec_b64 s[6:7], s[6:7]
	v_mov_b32_e32 v6, s10
	s_xor_b64 exec, exec, s[6:7]
	s_cbranch_execnz .LBB13_3624
.LBB13_1574:
	s_or_b64 exec, exec, s[6:7]
	s_and_saveexec_b64 s[6:7], s[4:5]
	s_cbranch_execz .LBB13_1576
.LBB13_1575:
	v_and_b32_e32 v6, 7, v3
	v_ffbh_u32_e32 v13, v6
	v_min_u32_e32 v13, 32, v13
	v_lshrrev_b16_e32 v12, 3, v3
	v_subrev_u32_e32 v14, 28, v13
	v_and_b32_e32 v12, 15, v12
	v_lshlrev_b32_e32 v14, v14, v3
	v_sub_u32_e32 v13, 29, v13
	v_and_b32_e32 v14, 7, v14
	v_cmp_eq_u16_e32 vcc, 0, v12
	v_cndmask_b32_e32 v6, v6, v14, vcc
	v_cndmask_b32_e32 v12, v12, v13, vcc
	v_lshlrev_b32_e32 v13, 24, v3
	v_mov_b32_e32 v14, 0x3b800000
	v_lshlrev_b32_e32 v6, 20, v6
	v_and_b32_e32 v13, 0x80000000, v13
	v_lshl_add_u32 v12, v12, 23, v14
	v_or3_b32 v6, v13, v12, v6
.LBB13_1576:
	s_or_b64 exec, exec, s[6:7]
	s_nop 0
	v_mfma_f32_16x16x4f32 a[0:3], v2, v6, a[0:3]
	v_lshrrev_b32_e32 v6, 8, v7
	s_movk_i32 s4, 0x7f
	v_cmp_gt_i16_sdwa s[6:7], v6, s4 src0_sel:BYTE_0 src1_sel:DWORD
	s_mov_b64 s[4:5], 0
                                        ; implicit-def: $sgpr10
	s_and_saveexec_b64 s[8:9], s[6:7]
	s_xor_b64 s[6:7], exec, s[8:9]
	s_cbranch_execnz .LBB13_3625
; %bb.1577:
	s_or_saveexec_b64 s[6:7], s[6:7]
	v_mov_b32_e32 v2, s10
	s_xor_b64 exec, exec, s[6:7]
	s_cbranch_execnz .LBB13_3628
.LBB13_1578:
	s_or_b64 exec, exec, s[6:7]
	s_and_saveexec_b64 s[6:7], s[4:5]
	s_cbranch_execz .LBB13_1580
.LBB13_1579:
	v_bfe_u32 v2, v7, 8, 3
	v_ffbh_u32_e32 v13, v2
	v_min_u32_e32 v13, 32, v13
	v_lshrrev_b16_e32 v12, 3, v6
	v_subrev_u32_e32 v14, 28, v13
	v_and_b32_e32 v12, 15, v12
	v_lshlrev_b32_e32 v6, v14, v6
	v_sub_u32_e32 v13, 29, v13
	v_and_b32_e32 v6, 7, v6
	v_cmp_eq_u16_e32 vcc, 0, v12
	v_cndmask_b32_e32 v2, v2, v6, vcc
	v_cndmask_b32_e32 v6, v12, v13, vcc
	v_lshlrev_b32_e32 v12, 16, v7
	v_mov_b32_e32 v13, 0x3b800000
	v_lshlrev_b32_e32 v2, 20, v2
	v_and_b32_e32 v12, 0x80000000, v12
	v_lshl_add_u32 v6, v6, 23, v13
	v_or3_b32 v2, v12, v6, v2
.LBB13_1580:
	s_or_b64 exec, exec, s[6:7]
	v_lshrrev_b32_e32 v6, 8, v3
	s_movk_i32 s4, 0x7f
	v_cmp_gt_i16_sdwa s[6:7], v6, s4 src0_sel:BYTE_0 src1_sel:DWORD
	s_mov_b64 s[4:5], 0
                                        ; implicit-def: $sgpr10
	s_and_saveexec_b64 s[8:9], s[6:7]
	s_xor_b64 s[6:7], exec, s[8:9]
	s_cbranch_execnz .LBB13_3629
; %bb.1581:
	s_or_saveexec_b64 s[6:7], s[6:7]
	v_mov_b32_e32 v12, s10
	s_xor_b64 exec, exec, s[6:7]
	s_cbranch_execnz .LBB13_3632
.LBB13_1582:
	s_or_b64 exec, exec, s[6:7]
	s_and_saveexec_b64 s[6:7], s[4:5]
	s_cbranch_execz .LBB13_1584
.LBB13_1583:
	v_bfe_u32 v12, v3, 8, 3
	v_ffbh_u32_e32 v14, v12
	v_min_u32_e32 v14, 32, v14
	v_lshrrev_b16_e32 v13, 3, v6
	v_subrev_u32_e32 v15, 28, v14
	v_and_b32_e32 v13, 15, v13
	v_lshlrev_b32_e32 v6, v15, v6
	v_sub_u32_e32 v14, 29, v14
	v_and_b32_e32 v6, 7, v6
	v_cmp_eq_u16_e32 vcc, 0, v13
	v_cndmask_b32_e32 v6, v12, v6, vcc
	v_cndmask_b32_e32 v12, v13, v14, vcc
	v_lshlrev_b32_e32 v13, 16, v3
	v_mov_b32_e32 v14, 0x3b800000
	v_lshlrev_b32_e32 v6, 20, v6
	v_and_b32_e32 v13, 0x80000000, v13
	v_lshl_add_u32 v12, v12, 23, v14
	v_or3_b32 v12, v13, v12, v6
.LBB13_1584:
	s_or_b64 exec, exec, s[6:7]
	s_nop 0
	v_mfma_f32_16x16x4f32 a[0:3], v2, v12, a[0:3]
	s_movk_i32 s4, 0xff
	v_and_b32_sdwa v6, v7, s4 dst_sel:DWORD dst_unused:UNUSED_PAD src0_sel:WORD_1 src1_sel:DWORD
	s_movk_i32 s4, 0x7f
	v_cmp_lt_i16_e32 vcc, s4, v6
	s_mov_b64 s[4:5], 0
                                        ; implicit-def: $sgpr10
	s_and_saveexec_b64 s[6:7], vcc
	s_xor_b64 s[6:7], exec, s[6:7]
	s_cbranch_execnz .LBB13_3633
; %bb.1585:
	s_or_saveexec_b64 s[6:7], s[6:7]
	v_mov_b32_e32 v2, s10
	s_xor_b64 exec, exec, s[6:7]
	s_cbranch_execnz .LBB13_3636
.LBB13_1586:
	s_or_b64 exec, exec, s[6:7]
	s_and_saveexec_b64 s[6:7], s[4:5]
	s_cbranch_execz .LBB13_1588
.LBB13_1587:
	v_bfe_u32 v2, v7, 16, 3
	v_ffbh_u32_e32 v13, v2
	v_min_u32_e32 v13, 32, v13
	v_lshrrev_b32_e32 v6, 19, v7
	v_subrev_u32_e32 v14, 28, v13
	v_and_b32_e32 v6, 15, v6
	v_lshlrev_b32_sdwa v14, v14, v7 dst_sel:DWORD dst_unused:UNUSED_PAD src0_sel:DWORD src1_sel:WORD_1
	v_bfe_u32 v12, v7, 19, 4
	v_sub_u32_e32 v13, 29, v13
	v_and_b32_e32 v14, 7, v14
	v_cmp_eq_u16_e32 vcc, 0, v6
	v_cndmask_b32_e32 v2, v2, v14, vcc
	v_cndmask_b32_e32 v6, v12, v13, vcc
	v_lshlrev_b32_e32 v12, 8, v7
	v_mov_b32_e32 v13, 0x3b800000
	v_lshlrev_b32_e32 v2, 20, v2
	v_and_b32_e32 v12, 0x80000000, v12
	v_lshl_add_u32 v6, v6, 23, v13
	v_or3_b32 v2, v12, v6, v2
.LBB13_1588:
	s_or_b64 exec, exec, s[6:7]
	s_movk_i32 s4, 0xff
	v_and_b32_sdwa v6, v3, s4 dst_sel:DWORD dst_unused:UNUSED_PAD src0_sel:WORD_1 src1_sel:DWORD
	s_movk_i32 s4, 0x7f
	v_cmp_lt_i16_e32 vcc, s4, v6
	s_mov_b64 s[4:5], 0
                                        ; implicit-def: $sgpr10
	s_and_saveexec_b64 s[6:7], vcc
	s_xor_b64 s[6:7], exec, s[6:7]
	s_cbranch_execnz .LBB13_3637
; %bb.1589:
	s_or_saveexec_b64 s[6:7], s[6:7]
	v_mov_b32_e32 v12, s10
	s_xor_b64 exec, exec, s[6:7]
	s_cbranch_execnz .LBB13_3640
.LBB13_1590:
	s_or_b64 exec, exec, s[6:7]
	s_and_saveexec_b64 s[6:7], s[4:5]
	s_cbranch_execz .LBB13_1592
.LBB13_1591:
	v_bfe_u32 v6, v3, 16, 3
	v_ffbh_u32_e32 v14, v6
	v_min_u32_e32 v14, 32, v14
	v_lshrrev_b32_e32 v12, 19, v3
	v_subrev_u32_e32 v15, 28, v14
	v_and_b32_e32 v12, 15, v12
	v_lshlrev_b32_sdwa v15, v15, v3 dst_sel:DWORD dst_unused:UNUSED_PAD src0_sel:DWORD src1_sel:WORD_1
	v_bfe_u32 v13, v3, 19, 4
	v_sub_u32_e32 v14, 29, v14
	v_and_b32_e32 v15, 7, v15
	v_cmp_eq_u16_e32 vcc, 0, v12
	v_cndmask_b32_e32 v6, v6, v15, vcc
	v_cndmask_b32_e32 v12, v13, v14, vcc
	v_lshlrev_b32_e32 v13, 8, v3
	v_mov_b32_e32 v14, 0x3b800000
	v_lshlrev_b32_e32 v6, 20, v6
	v_and_b32_e32 v13, 0x80000000, v13
	v_lshl_add_u32 v12, v12, 23, v14
	v_or3_b32 v12, v13, v12, v6
.LBB13_1592:
	s_or_b64 exec, exec, s[6:7]
	s_nop 0
	v_mfma_f32_16x16x4f32 a[0:3], v2, v12, a[0:3]
	s_movk_i32 s4, 0x7f
	v_cmp_gt_i16_sdwa s[6:7], v7, s4 src0_sel:BYTE_3 src1_sel:DWORD
	s_mov_b64 s[4:5], 0
                                        ; implicit-def: $sgpr10
	s_and_saveexec_b64 s[8:9], s[6:7]
	s_xor_b64 s[6:7], exec, s[8:9]
	s_cbranch_execnz .LBB13_3641
; %bb.1593:
	s_or_saveexec_b64 s[6:7], s[6:7]
	v_mov_b32_e32 v2, s10
	s_xor_b64 exec, exec, s[6:7]
	s_cbranch_execnz .LBB13_3644
.LBB13_1594:
	s_or_b64 exec, exec, s[6:7]
	s_and_saveexec_b64 s[6:7], s[4:5]
	s_cbranch_execz .LBB13_1596
.LBB13_1595:
	v_bfe_u32 v2, v7, 24, 3
	v_ffbh_u32_e32 v14, v2
	v_min_u32_e32 v14, 32, v14
	v_lshrrev_b32_e32 v12, 27, v7
	v_subrev_u32_e32 v15, 28, v14
	v_and_b32_e32 v6, 0x80000000, v7
	v_and_b32_e32 v12, 15, v12
	v_bfe_u32 v13, v7, 27, 4
	v_lshlrev_b32_sdwa v7, v15, v7 dst_sel:DWORD dst_unused:UNUSED_PAD src0_sel:DWORD src1_sel:BYTE_3
	v_sub_u32_e32 v14, 29, v14
	v_and_b32_e32 v7, 7, v7
	v_cmp_eq_u16_e32 vcc, 0, v12
	v_cndmask_b32_e32 v2, v2, v7, vcc
	v_cndmask_b32_e32 v7, v13, v14, vcc
	v_mov_b32_e32 v12, 0x3b800000
	v_lshlrev_b32_e32 v2, 20, v2
	v_lshl_add_u32 v7, v7, 23, v12
	v_or3_b32 v2, v6, v7, v2
.LBB13_1596:
	s_or_b64 exec, exec, s[6:7]
	s_movk_i32 s4, 0x7f
	v_cmp_gt_i16_sdwa s[6:7], v3, s4 src0_sel:BYTE_3 src1_sel:DWORD
	s_mov_b64 s[4:5], 0
                                        ; implicit-def: $sgpr10
	s_and_saveexec_b64 s[8:9], s[6:7]
	s_xor_b64 s[6:7], exec, s[8:9]
	s_cbranch_execnz .LBB13_3645
; %bb.1597:
	s_or_saveexec_b64 s[6:7], s[6:7]
	v_mov_b32_e32 v6, s10
	s_xor_b64 exec, exec, s[6:7]
	s_cbranch_execnz .LBB13_3648
.LBB13_1598:
	s_or_b64 exec, exec, s[6:7]
	s_and_saveexec_b64 s[6:7], s[4:5]
	s_cbranch_execz .LBB13_1600
.LBB13_1599:
	v_bfe_u32 v6, v3, 24, 3
	v_ffbh_u32_e32 v14, v6
	v_min_u32_e32 v14, 32, v14
	v_lshrrev_b32_e32 v12, 27, v3
	v_subrev_u32_e32 v15, 28, v14
	v_and_b32_e32 v7, 0x80000000, v3
	v_and_b32_e32 v12, 15, v12
	v_bfe_u32 v13, v3, 27, 4
	v_lshlrev_b32_sdwa v3, v15, v3 dst_sel:DWORD dst_unused:UNUSED_PAD src0_sel:DWORD src1_sel:BYTE_3
	v_sub_u32_e32 v14, 29, v14
	v_and_b32_e32 v3, 7, v3
	v_cmp_eq_u16_e32 vcc, 0, v12
	v_cndmask_b32_e32 v3, v6, v3, vcc
	v_cndmask_b32_e32 v6, v13, v14, vcc
	v_mov_b32_e32 v12, 0x3b800000
	v_lshlrev_b32_e32 v3, 20, v3
	v_lshl_add_u32 v6, v6, 23, v12
	v_or3_b32 v6, v7, v6, v3
.LBB13_1600:
	s_or_b64 exec, exec, s[6:7]
	s_nop 0
	v_mfma_f32_16x16x4f32 a[0:3], v2, v6, a[0:3]
	s_movk_i32 s4, 0x7f
	v_cmp_gt_i16_sdwa s[6:7], v8, s4 src0_sel:BYTE_0 src1_sel:DWORD
	s_mov_b64 s[4:5], 0
                                        ; implicit-def: $sgpr10
	s_and_saveexec_b64 s[8:9], s[6:7]
	s_xor_b64 s[6:7], exec, s[8:9]
	s_cbranch_execnz .LBB13_3649
; %bb.1601:
	s_or_saveexec_b64 s[6:7], s[6:7]
	v_mov_b32_e32 v2, s10
	s_xor_b64 exec, exec, s[6:7]
	s_cbranch_execnz .LBB13_3652
.LBB13_1602:
	s_or_b64 exec, exec, s[6:7]
	s_and_saveexec_b64 s[6:7], s[4:5]
	s_cbranch_execz .LBB13_1604
.LBB13_1603:
	v_and_b32_e32 v2, 7, v8
	v_ffbh_u32_e32 v6, v2
	v_min_u32_e32 v6, 32, v6
	v_lshrrev_b16_e32 v3, 3, v8
	v_subrev_u32_e32 v7, 28, v6
	v_and_b32_e32 v3, 15, v3
	v_lshlrev_b32_e32 v7, v7, v8
	v_sub_u32_e32 v6, 29, v6
	v_and_b32_e32 v7, 7, v7
	v_cmp_eq_u16_e32 vcc, 0, v3
	v_cndmask_b32_e32 v2, v2, v7, vcc
	v_cndmask_b32_e32 v3, v3, v6, vcc
	v_lshlrev_b32_e32 v6, 24, v8
	v_mov_b32_e32 v7, 0x3b800000
	v_lshlrev_b32_e32 v2, 20, v2
	v_and_b32_e32 v6, 0x80000000, v6
	v_lshl_add_u32 v3, v3, 23, v7
	v_or3_b32 v2, v6, v3, v2
.LBB13_1604:
	s_or_b64 exec, exec, s[6:7]
	s_movk_i32 s4, 0x7f
	v_cmp_gt_i16_sdwa s[6:7], v4, s4 src0_sel:BYTE_0 src1_sel:DWORD
	s_mov_b64 s[4:5], 0
                                        ; implicit-def: $sgpr10
	s_and_saveexec_b64 s[8:9], s[6:7]
	s_xor_b64 s[6:7], exec, s[8:9]
	s_cbranch_execnz .LBB13_3653
; %bb.1605:
	s_or_saveexec_b64 s[6:7], s[6:7]
	v_mov_b32_e32 v3, s10
	s_xor_b64 exec, exec, s[6:7]
	s_cbranch_execnz .LBB13_3656
.LBB13_1606:
	s_or_b64 exec, exec, s[6:7]
	s_and_saveexec_b64 s[6:7], s[4:5]
	s_cbranch_execz .LBB13_1608
.LBB13_1607:
	v_and_b32_e32 v3, 7, v4
	v_ffbh_u32_e32 v7, v3
	v_min_u32_e32 v7, 32, v7
	v_lshrrev_b16_e32 v6, 3, v4
	v_subrev_u32_e32 v12, 28, v7
	v_and_b32_e32 v6, 15, v6
	v_lshlrev_b32_e32 v12, v12, v4
	v_sub_u32_e32 v7, 29, v7
	v_and_b32_e32 v12, 7, v12
	v_cmp_eq_u16_e32 vcc, 0, v6
	v_cndmask_b32_e32 v3, v3, v12, vcc
	v_cndmask_b32_e32 v6, v6, v7, vcc
	v_lshlrev_b32_e32 v7, 24, v4
	v_mov_b32_e32 v12, 0x3b800000
	v_lshlrev_b32_e32 v3, 20, v3
	v_and_b32_e32 v7, 0x80000000, v7
	v_lshl_add_u32 v6, v6, 23, v12
	v_or3_b32 v3, v7, v6, v3
.LBB13_1608:
	s_or_b64 exec, exec, s[6:7]
	s_nop 0
	v_mfma_f32_16x16x4f32 a[0:3], v2, v3, a[0:3]
	v_lshrrev_b32_e32 v3, 8, v8
	s_movk_i32 s4, 0x7f
	v_cmp_gt_i16_sdwa s[6:7], v3, s4 src0_sel:BYTE_0 src1_sel:DWORD
	s_mov_b64 s[4:5], 0
                                        ; implicit-def: $sgpr10
	s_and_saveexec_b64 s[8:9], s[6:7]
	s_xor_b64 s[6:7], exec, s[8:9]
	s_cbranch_execnz .LBB13_3657
; %bb.1609:
	s_or_saveexec_b64 s[6:7], s[6:7]
	v_mov_b32_e32 v2, s10
	s_xor_b64 exec, exec, s[6:7]
	s_cbranch_execnz .LBB13_3660
.LBB13_1610:
	s_or_b64 exec, exec, s[6:7]
	s_and_saveexec_b64 s[6:7], s[4:5]
	s_cbranch_execz .LBB13_1612
.LBB13_1611:
	v_bfe_u32 v2, v8, 8, 3
	v_ffbh_u32_e32 v7, v2
	v_min_u32_e32 v7, 32, v7
	v_lshrrev_b16_e32 v6, 3, v3
	v_subrev_u32_e32 v12, 28, v7
	v_and_b32_e32 v6, 15, v6
	v_lshlrev_b32_e32 v3, v12, v3
	v_sub_u32_e32 v7, 29, v7
	v_and_b32_e32 v3, 7, v3
	v_cmp_eq_u16_e32 vcc, 0, v6
	v_cndmask_b32_e32 v2, v2, v3, vcc
	v_cndmask_b32_e32 v3, v6, v7, vcc
	v_lshlrev_b32_e32 v6, 16, v8
	v_mov_b32_e32 v7, 0x3b800000
	v_lshlrev_b32_e32 v2, 20, v2
	v_and_b32_e32 v6, 0x80000000, v6
	v_lshl_add_u32 v3, v3, 23, v7
	v_or3_b32 v2, v6, v3, v2
.LBB13_1612:
	s_or_b64 exec, exec, s[6:7]
	v_lshrrev_b32_e32 v3, 8, v4
	s_movk_i32 s4, 0x7f
	v_cmp_gt_i16_sdwa s[6:7], v3, s4 src0_sel:BYTE_0 src1_sel:DWORD
	s_mov_b64 s[4:5], 0
                                        ; implicit-def: $sgpr10
	s_and_saveexec_b64 s[8:9], s[6:7]
	s_xor_b64 s[6:7], exec, s[8:9]
	s_cbranch_execnz .LBB13_3661
; %bb.1613:
	s_or_saveexec_b64 s[6:7], s[6:7]
	v_mov_b32_e32 v6, s10
	s_xor_b64 exec, exec, s[6:7]
	s_cbranch_execnz .LBB13_3664
.LBB13_1614:
	s_or_b64 exec, exec, s[6:7]
	s_and_saveexec_b64 s[6:7], s[4:5]
	s_cbranch_execz .LBB13_1616
.LBB13_1615:
	v_bfe_u32 v6, v4, 8, 3
	v_ffbh_u32_e32 v12, v6
	v_min_u32_e32 v12, 32, v12
	v_lshrrev_b16_e32 v7, 3, v3
	v_subrev_u32_e32 v13, 28, v12
	v_and_b32_e32 v7, 15, v7
	v_lshlrev_b32_e32 v3, v13, v3
	v_sub_u32_e32 v12, 29, v12
	v_and_b32_e32 v3, 7, v3
	v_cmp_eq_u16_e32 vcc, 0, v7
	v_cndmask_b32_e32 v3, v6, v3, vcc
	v_cndmask_b32_e32 v6, v7, v12, vcc
	v_lshlrev_b32_e32 v7, 16, v4
	v_mov_b32_e32 v12, 0x3b800000
	v_lshlrev_b32_e32 v3, 20, v3
	v_and_b32_e32 v7, 0x80000000, v7
	v_lshl_add_u32 v6, v6, 23, v12
	v_or3_b32 v6, v7, v6, v3
.LBB13_1616:
	s_or_b64 exec, exec, s[6:7]
	s_nop 0
	v_mfma_f32_16x16x4f32 a[0:3], v2, v6, a[0:3]
	s_movk_i32 s4, 0xff
	v_and_b32_sdwa v3, v8, s4 dst_sel:DWORD dst_unused:UNUSED_PAD src0_sel:WORD_1 src1_sel:DWORD
	s_movk_i32 s4, 0x7f
	v_cmp_lt_i16_e32 vcc, s4, v3
	s_mov_b64 s[4:5], 0
                                        ; implicit-def: $sgpr10
	s_and_saveexec_b64 s[6:7], vcc
	s_xor_b64 s[6:7], exec, s[6:7]
	s_cbranch_execnz .LBB13_3665
; %bb.1617:
	s_or_saveexec_b64 s[6:7], s[6:7]
	v_mov_b32_e32 v2, s10
	s_xor_b64 exec, exec, s[6:7]
	s_cbranch_execnz .LBB13_3668
.LBB13_1618:
	s_or_b64 exec, exec, s[6:7]
	s_and_saveexec_b64 s[6:7], s[4:5]
	s_cbranch_execz .LBB13_1620
.LBB13_1619:
	v_bfe_u32 v2, v8, 16, 3
	v_ffbh_u32_e32 v7, v2
	v_min_u32_e32 v7, 32, v7
	v_lshrrev_b32_e32 v3, 19, v8
	v_subrev_u32_e32 v12, 28, v7
	v_and_b32_e32 v3, 15, v3
	v_lshlrev_b32_sdwa v12, v12, v8 dst_sel:DWORD dst_unused:UNUSED_PAD src0_sel:DWORD src1_sel:WORD_1
	v_bfe_u32 v6, v8, 19, 4
	v_sub_u32_e32 v7, 29, v7
	v_and_b32_e32 v12, 7, v12
	v_cmp_eq_u16_e32 vcc, 0, v3
	v_cndmask_b32_e32 v2, v2, v12, vcc
	v_cndmask_b32_e32 v3, v6, v7, vcc
	v_lshlrev_b32_e32 v6, 8, v8
	v_mov_b32_e32 v7, 0x3b800000
	v_lshlrev_b32_e32 v2, 20, v2
	v_and_b32_e32 v6, 0x80000000, v6
	v_lshl_add_u32 v3, v3, 23, v7
	v_or3_b32 v2, v6, v3, v2
.LBB13_1620:
	s_or_b64 exec, exec, s[6:7]
	s_movk_i32 s4, 0xff
	v_and_b32_sdwa v3, v4, s4 dst_sel:DWORD dst_unused:UNUSED_PAD src0_sel:WORD_1 src1_sel:DWORD
	s_movk_i32 s4, 0x7f
	v_cmp_lt_i16_e32 vcc, s4, v3
	s_mov_b64 s[4:5], 0
                                        ; implicit-def: $sgpr10
	s_and_saveexec_b64 s[6:7], vcc
	s_xor_b64 s[6:7], exec, s[6:7]
	s_cbranch_execnz .LBB13_3669
; %bb.1621:
	s_or_saveexec_b64 s[6:7], s[6:7]
	v_mov_b32_e32 v6, s10
	s_xor_b64 exec, exec, s[6:7]
	s_cbranch_execnz .LBB13_3672
.LBB13_1622:
	s_or_b64 exec, exec, s[6:7]
	s_and_saveexec_b64 s[6:7], s[4:5]
	s_cbranch_execz .LBB13_1624
.LBB13_1623:
	v_bfe_u32 v3, v4, 16, 3
	v_ffbh_u32_e32 v12, v3
	v_min_u32_e32 v12, 32, v12
	v_lshrrev_b32_e32 v6, 19, v4
	v_subrev_u32_e32 v13, 28, v12
	v_and_b32_e32 v6, 15, v6
	v_lshlrev_b32_sdwa v13, v13, v4 dst_sel:DWORD dst_unused:UNUSED_PAD src0_sel:DWORD src1_sel:WORD_1
	v_bfe_u32 v7, v4, 19, 4
	v_sub_u32_e32 v12, 29, v12
	v_and_b32_e32 v13, 7, v13
	v_cmp_eq_u16_e32 vcc, 0, v6
	v_cndmask_b32_e32 v3, v3, v13, vcc
	v_cndmask_b32_e32 v6, v7, v12, vcc
	v_lshlrev_b32_e32 v7, 8, v4
	v_mov_b32_e32 v12, 0x3b800000
	v_lshlrev_b32_e32 v3, 20, v3
	v_and_b32_e32 v7, 0x80000000, v7
	v_lshl_add_u32 v6, v6, 23, v12
	v_or3_b32 v6, v7, v6, v3
.LBB13_1624:
	s_or_b64 exec, exec, s[6:7]
	s_nop 0
	v_mfma_f32_16x16x4f32 a[0:3], v2, v6, a[0:3]
	s_movk_i32 s4, 0x7f
	v_cmp_gt_i16_sdwa s[6:7], v8, s4 src0_sel:BYTE_3 src1_sel:DWORD
	s_mov_b64 s[4:5], 0
                                        ; implicit-def: $sgpr10
	s_and_saveexec_b64 s[8:9], s[6:7]
	s_xor_b64 s[6:7], exec, s[8:9]
	s_cbranch_execnz .LBB13_3673
; %bb.1625:
	s_or_saveexec_b64 s[6:7], s[6:7]
	v_mov_b32_e32 v2, s10
	s_xor_b64 exec, exec, s[6:7]
	s_cbranch_execnz .LBB13_3676
.LBB13_1626:
	s_or_b64 exec, exec, s[6:7]
	s_and_saveexec_b64 s[6:7], s[4:5]
	s_cbranch_execz .LBB13_1628
.LBB13_1627:
	v_bfe_u32 v2, v8, 24, 3
	v_ffbh_u32_e32 v12, v2
	v_min_u32_e32 v12, 32, v12
	v_lshrrev_b32_e32 v6, 27, v8
	v_subrev_u32_e32 v13, 28, v12
	v_and_b32_e32 v3, 0x80000000, v8
	v_and_b32_e32 v6, 15, v6
	v_bfe_u32 v7, v8, 27, 4
	v_lshlrev_b32_sdwa v8, v13, v8 dst_sel:DWORD dst_unused:UNUSED_PAD src0_sel:DWORD src1_sel:BYTE_3
	v_sub_u32_e32 v12, 29, v12
	v_and_b32_e32 v8, 7, v8
	v_cmp_eq_u16_e32 vcc, 0, v6
	v_cndmask_b32_e32 v2, v2, v8, vcc
	v_cndmask_b32_e32 v6, v7, v12, vcc
	v_mov_b32_e32 v7, 0x3b800000
	v_lshlrev_b32_e32 v2, 20, v2
	v_lshl_add_u32 v6, v6, 23, v7
	v_or3_b32 v2, v3, v6, v2
.LBB13_1628:
	s_or_b64 exec, exec, s[6:7]
	s_movk_i32 s4, 0x7f
	v_cmp_gt_i16_sdwa s[6:7], v4, s4 src0_sel:BYTE_3 src1_sel:DWORD
	s_mov_b64 s[4:5], 0
                                        ; implicit-def: $sgpr10
	s_and_saveexec_b64 s[8:9], s[6:7]
	s_xor_b64 s[6:7], exec, s[8:9]
	s_cbranch_execnz .LBB13_3677
; %bb.1629:
	s_or_saveexec_b64 s[6:7], s[6:7]
	v_mov_b32_e32 v3, s10
	s_xor_b64 exec, exec, s[6:7]
	s_cbranch_execnz .LBB13_3680
.LBB13_1630:
	s_or_b64 exec, exec, s[6:7]
	s_and_saveexec_b64 s[6:7], s[4:5]
	s_cbranch_execz .LBB13_1632
.LBB13_1631:
	v_bfe_u32 v3, v4, 24, 3
	v_ffbh_u32_e32 v12, v3
	v_min_u32_e32 v12, 32, v12
	v_lshrrev_b32_e32 v7, 27, v4
	v_subrev_u32_e32 v13, 28, v12
	v_and_b32_e32 v6, 0x80000000, v4
	v_and_b32_e32 v7, 15, v7
	v_bfe_u32 v8, v4, 27, 4
	v_lshlrev_b32_sdwa v4, v13, v4 dst_sel:DWORD dst_unused:UNUSED_PAD src0_sel:DWORD src1_sel:BYTE_3
	v_sub_u32_e32 v12, 29, v12
	v_and_b32_e32 v4, 7, v4
	v_cmp_eq_u16_e32 vcc, 0, v7
	v_cndmask_b32_e32 v3, v3, v4, vcc
	v_cndmask_b32_e32 v4, v8, v12, vcc
	v_mov_b32_e32 v7, 0x3b800000
	v_lshlrev_b32_e32 v3, 20, v3
	v_lshl_add_u32 v4, v4, 23, v7
	v_or3_b32 v3, v6, v4, v3
.LBB13_1632:
	s_or_b64 exec, exec, s[6:7]
	s_nop 0
	v_mfma_f32_16x16x4f32 a[0:3], v2, v3, a[0:3]
	s_movk_i32 s4, 0x7f
	v_cmp_gt_i16_sdwa s[6:7], v9, s4 src0_sel:BYTE_0 src1_sel:DWORD
	s_mov_b64 s[4:5], 0
                                        ; implicit-def: $sgpr10
	s_and_saveexec_b64 s[8:9], s[6:7]
	s_xor_b64 s[6:7], exec, s[8:9]
	s_cbranch_execnz .LBB13_3681
; %bb.1633:
	s_or_saveexec_b64 s[6:7], s[6:7]
	v_mov_b32_e32 v2, s10
	s_xor_b64 exec, exec, s[6:7]
	s_cbranch_execnz .LBB13_3684
.LBB13_1634:
	s_or_b64 exec, exec, s[6:7]
	s_and_saveexec_b64 s[6:7], s[4:5]
	s_cbranch_execz .LBB13_1636
.LBB13_1635:
	v_mov_b32_e32 v2, 8
	v_and_b32_e32 v3, 7, v9
	v_lshrrev_b32_sdwa v2, v2, v9 dst_sel:BYTE_1 dst_unused:UNUSED_PAD src0_sel:DWORD src1_sel:DWORD
	v_ffbh_u32_e32 v4, v3
	v_or_b32_sdwa v2, v9, v2 dst_sel:DWORD dst_unused:UNUSED_PAD src0_sel:BYTE_0 src1_sel:DWORD
	v_min_u32_e32 v4, 32, v4
	v_lshrrev_b16_e32 v2, 3, v2
	v_subrev_u32_e32 v6, 28, v4
	v_and_b32_e32 v2, 15, v2
	v_lshlrev_b32_e32 v6, v6, v9
	v_sub_u32_e32 v4, 29, v4
	v_and_b32_e32 v6, 7, v6
	v_cmp_eq_u16_e32 vcc, 0, v2
	v_cndmask_b32_e32 v3, v3, v6, vcc
	v_cndmask_b32_e32 v2, v2, v4, vcc
	v_lshlrev_b32_e32 v4, 24, v9
	v_mov_b32_e32 v6, 0x3b800000
	v_lshlrev_b32_e32 v3, 20, v3
	v_and_b32_e32 v4, 0x80000000, v4
	v_lshl_add_u32 v2, v2, 23, v6
	v_or3_b32 v2, v4, v2, v3
.LBB13_1636:
	s_or_b64 exec, exec, s[6:7]
	s_movk_i32 s4, 0x7f
	v_cmp_gt_i16_sdwa s[6:7], v5, s4 src0_sel:BYTE_0 src1_sel:DWORD
	s_mov_b64 s[4:5], 0
                                        ; implicit-def: $sgpr10
	s_and_saveexec_b64 s[8:9], s[6:7]
	s_xor_b64 s[6:7], exec, s[8:9]
	s_cbranch_execnz .LBB13_3685
; %bb.1637:
	s_or_saveexec_b64 s[6:7], s[6:7]
	v_mov_b32_e32 v3, s10
	s_xor_b64 exec, exec, s[6:7]
	s_cbranch_execnz .LBB13_3688
.LBB13_1638:
	s_or_b64 exec, exec, s[6:7]
	s_and_saveexec_b64 s[6:7], s[4:5]
	s_cbranch_execz .LBB13_1640
.LBB13_1639:
	v_mov_b32_e32 v3, 8
	v_and_b32_e32 v4, 7, v5
	v_lshrrev_b32_sdwa v3, v3, v5 dst_sel:BYTE_1 dst_unused:UNUSED_PAD src0_sel:DWORD src1_sel:DWORD
	v_ffbh_u32_e32 v6, v4
	v_or_b32_sdwa v3, v5, v3 dst_sel:DWORD dst_unused:UNUSED_PAD src0_sel:BYTE_0 src1_sel:DWORD
	v_min_u32_e32 v6, 32, v6
	v_lshrrev_b16_e32 v3, 3, v3
	v_subrev_u32_e32 v7, 28, v6
	v_and_b32_e32 v3, 15, v3
	v_lshlrev_b32_e32 v7, v7, v5
	v_sub_u32_e32 v6, 29, v6
	v_and_b32_e32 v7, 7, v7
	v_cmp_eq_u16_e32 vcc, 0, v3
	v_cndmask_b32_e32 v4, v4, v7, vcc
	v_cndmask_b32_e32 v3, v3, v6, vcc
	v_lshlrev_b32_e32 v6, 24, v5
	v_mov_b32_e32 v7, 0x3b800000
	v_lshlrev_b32_e32 v4, 20, v4
	v_and_b32_e32 v6, 0x80000000, v6
	v_lshl_add_u32 v3, v3, 23, v7
	v_or3_b32 v3, v6, v3, v4
.LBB13_1640:
	s_or_b64 exec, exec, s[6:7]
	s_nop 0
	v_mfma_f32_16x16x4f32 a[0:3], v2, v3, a[0:3]
	v_lshrrev_b32_e32 v3, 8, v9
	s_movk_i32 s4, 0x7f
	v_cmp_gt_i16_sdwa s[6:7], v3, s4 src0_sel:BYTE_0 src1_sel:DWORD
	s_mov_b64 s[4:5], 0
                                        ; implicit-def: $sgpr10
	s_and_saveexec_b64 s[8:9], s[6:7]
	s_xor_b64 s[6:7], exec, s[8:9]
	s_cbranch_execnz .LBB13_3689
; %bb.1641:
	s_or_saveexec_b64 s[6:7], s[6:7]
	v_mov_b32_e32 v2, s10
	s_xor_b64 exec, exec, s[6:7]
	s_cbranch_execnz .LBB13_3692
.LBB13_1642:
	s_or_b64 exec, exec, s[6:7]
	s_and_saveexec_b64 s[6:7], s[4:5]
	s_cbranch_execz .LBB13_1644
.LBB13_1643:
	v_bfe_u32 v2, v9, 8, 3
	v_ffbh_u32_e32 v6, v2
	v_min_u32_e32 v6, 32, v6
	v_lshrrev_b16_e32 v4, 3, v3
	v_subrev_u32_e32 v7, 28, v6
	v_and_b32_e32 v4, 15, v4
	v_lshlrev_b32_e32 v3, v7, v3
	v_sub_u32_e32 v6, 29, v6
	v_and_b32_e32 v3, 7, v3
	v_cmp_eq_u16_e32 vcc, 0, v4
	v_cndmask_b32_e32 v2, v2, v3, vcc
	v_cndmask_b32_e32 v3, v4, v6, vcc
	v_lshlrev_b32_e32 v4, 16, v9
	v_mov_b32_e32 v6, 0x3b800000
	v_lshlrev_b32_e32 v2, 20, v2
	v_and_b32_e32 v4, 0x80000000, v4
	v_lshl_add_u32 v3, v3, 23, v6
	v_or3_b32 v2, v4, v3, v2
.LBB13_1644:
	s_or_b64 exec, exec, s[6:7]
	v_lshrrev_b32_e32 v3, 8, v5
	s_movk_i32 s4, 0x7f
	v_cmp_gt_i16_sdwa s[6:7], v3, s4 src0_sel:BYTE_0 src1_sel:DWORD
	s_mov_b64 s[4:5], 0
                                        ; implicit-def: $sgpr10
	s_and_saveexec_b64 s[8:9], s[6:7]
	s_xor_b64 s[6:7], exec, s[8:9]
	s_cbranch_execnz .LBB13_3693
; %bb.1645:
	s_or_saveexec_b64 s[6:7], s[6:7]
	v_mov_b32_e32 v4, s10
	s_xor_b64 exec, exec, s[6:7]
	s_cbranch_execnz .LBB13_3696
.LBB13_1646:
	s_or_b64 exec, exec, s[6:7]
	s_and_saveexec_b64 s[6:7], s[4:5]
	s_cbranch_execz .LBB13_1648
.LBB13_1647:
	v_bfe_u32 v4, v5, 8, 3
	v_ffbh_u32_e32 v7, v4
	v_min_u32_e32 v7, 32, v7
	v_lshrrev_b16_e32 v6, 3, v3
	v_subrev_u32_e32 v8, 28, v7
	v_and_b32_e32 v6, 15, v6
	v_lshlrev_b32_e32 v3, v8, v3
	v_sub_u32_e32 v7, 29, v7
	v_and_b32_e32 v3, 7, v3
	v_cmp_eq_u16_e32 vcc, 0, v6
	v_cndmask_b32_e32 v3, v4, v3, vcc
	v_cndmask_b32_e32 v4, v6, v7, vcc
	v_lshlrev_b32_e32 v6, 16, v5
	v_mov_b32_e32 v7, 0x3b800000
	v_lshlrev_b32_e32 v3, 20, v3
	v_and_b32_e32 v6, 0x80000000, v6
	v_lshl_add_u32 v4, v4, 23, v7
	v_or3_b32 v4, v6, v4, v3
.LBB13_1648:
	s_or_b64 exec, exec, s[6:7]
	s_nop 0
	v_mfma_f32_16x16x4f32 a[0:3], v2, v4, a[0:3]
	s_movk_i32 s4, 0xff
	v_and_b32_sdwa v3, v9, s4 dst_sel:DWORD dst_unused:UNUSED_PAD src0_sel:WORD_1 src1_sel:DWORD
	s_movk_i32 s4, 0x7f
	v_cmp_lt_i16_e32 vcc, s4, v3
	s_mov_b64 s[4:5], 0
                                        ; implicit-def: $sgpr10
	s_and_saveexec_b64 s[6:7], vcc
	s_xor_b64 s[6:7], exec, s[6:7]
	s_cbranch_execnz .LBB13_3697
; %bb.1649:
	s_or_saveexec_b64 s[6:7], s[6:7]
	v_mov_b32_e32 v2, s10
	s_xor_b64 exec, exec, s[6:7]
	s_cbranch_execnz .LBB13_3700
.LBB13_1650:
	s_or_b64 exec, exec, s[6:7]
	s_and_saveexec_b64 s[6:7], s[4:5]
	s_cbranch_execz .LBB13_1652
.LBB13_1651:
	v_bfe_u32 v2, v9, 16, 3
	v_ffbh_u32_e32 v6, v2
	v_min_u32_e32 v6, 32, v6
	v_lshrrev_b32_e32 v3, 19, v9
	v_subrev_u32_e32 v7, 28, v6
	v_and_b32_e32 v3, 15, v3
	v_lshlrev_b32_sdwa v7, v7, v9 dst_sel:DWORD dst_unused:UNUSED_PAD src0_sel:DWORD src1_sel:WORD_1
	v_bfe_u32 v4, v9, 19, 4
	v_sub_u32_e32 v6, 29, v6
	v_and_b32_e32 v7, 7, v7
	v_cmp_eq_u16_e32 vcc, 0, v3
	v_cndmask_b32_e32 v2, v2, v7, vcc
	v_cndmask_b32_e32 v3, v4, v6, vcc
	v_lshlrev_b32_e32 v4, 8, v9
	v_mov_b32_e32 v6, 0x3b800000
	v_lshlrev_b32_e32 v2, 20, v2
	v_and_b32_e32 v4, 0x80000000, v4
	v_lshl_add_u32 v3, v3, 23, v6
	v_or3_b32 v2, v4, v3, v2
.LBB13_1652:
	s_or_b64 exec, exec, s[6:7]
	s_movk_i32 s4, 0xff
	v_and_b32_sdwa v3, v5, s4 dst_sel:DWORD dst_unused:UNUSED_PAD src0_sel:WORD_1 src1_sel:DWORD
	s_movk_i32 s4, 0x7f
	v_cmp_lt_i16_e32 vcc, s4, v3
	s_mov_b64 s[4:5], 0
                                        ; implicit-def: $sgpr10
	s_and_saveexec_b64 s[6:7], vcc
	s_xor_b64 s[6:7], exec, s[6:7]
	s_cbranch_execnz .LBB13_3701
; %bb.1653:
	s_or_saveexec_b64 s[6:7], s[6:7]
	v_mov_b32_e32 v4, s10
	s_xor_b64 exec, exec, s[6:7]
	s_cbranch_execnz .LBB13_3704
.LBB13_1654:
	s_or_b64 exec, exec, s[6:7]
	s_and_saveexec_b64 s[6:7], s[4:5]
	s_cbranch_execz .LBB13_1656
.LBB13_1655:
	v_bfe_u32 v3, v5, 16, 3
	v_ffbh_u32_e32 v7, v3
	v_min_u32_e32 v7, 32, v7
	v_lshrrev_b32_e32 v4, 19, v5
	v_subrev_u32_e32 v8, 28, v7
	v_and_b32_e32 v4, 15, v4
	v_lshlrev_b32_sdwa v8, v8, v5 dst_sel:DWORD dst_unused:UNUSED_PAD src0_sel:DWORD src1_sel:WORD_1
	v_bfe_u32 v6, v5, 19, 4
	v_sub_u32_e32 v7, 29, v7
	v_and_b32_e32 v8, 7, v8
	v_cmp_eq_u16_e32 vcc, 0, v4
	v_cndmask_b32_e32 v3, v3, v8, vcc
	v_cndmask_b32_e32 v4, v6, v7, vcc
	v_lshlrev_b32_e32 v6, 8, v5
	v_mov_b32_e32 v7, 0x3b800000
	v_lshlrev_b32_e32 v3, 20, v3
	v_and_b32_e32 v6, 0x80000000, v6
	v_lshl_add_u32 v4, v4, 23, v7
	v_or3_b32 v4, v6, v4, v3
.LBB13_1656:
	s_or_b64 exec, exec, s[6:7]
	s_nop 0
	v_mfma_f32_16x16x4f32 a[0:3], v2, v4, a[0:3]
	s_movk_i32 s4, 0x7f
	v_cmp_gt_i16_sdwa s[6:7], v9, s4 src0_sel:BYTE_3 src1_sel:DWORD
	s_mov_b64 s[4:5], 0
                                        ; implicit-def: $sgpr10
	s_and_saveexec_b64 s[8:9], s[6:7]
	s_xor_b64 s[6:7], exec, s[8:9]
	s_cbranch_execnz .LBB13_3705
; %bb.1657:
	s_or_saveexec_b64 s[6:7], s[6:7]
	v_mov_b32_e32 v2, s10
	s_xor_b64 exec, exec, s[6:7]
	s_cbranch_execnz .LBB13_3708
.LBB13_1658:
	s_or_b64 exec, exec, s[6:7]
	s_and_saveexec_b64 s[6:7], s[4:5]
	s_cbranch_execz .LBB13_1660
.LBB13_1659:
	v_bfe_u32 v2, v9, 24, 3
	v_ffbh_u32_e32 v7, v2
	v_min_u32_e32 v7, 32, v7
	v_lshrrev_b32_e32 v4, 27, v9
	v_subrev_u32_e32 v8, 28, v7
	v_and_b32_e32 v4, 15, v4
	v_lshlrev_b32_sdwa v8, v8, v9 dst_sel:DWORD dst_unused:UNUSED_PAD src0_sel:DWORD src1_sel:BYTE_3
	v_bfe_u32 v6, v9, 27, 4
	v_sub_u32_e32 v7, 29, v7
	v_and_b32_e32 v8, 7, v8
	v_cmp_eq_u16_e32 vcc, 0, v4
	v_cndmask_b32_e32 v2, v2, v8, vcc
	v_cndmask_b32_e32 v4, v6, v7, vcc
	v_mov_b32_e32 v6, 0x3b800000
	v_and_b32_e32 v3, 0x80000000, v9
	v_lshlrev_b32_e32 v2, 20, v2
	v_lshl_add_u32 v4, v4, 23, v6
	v_or3_b32 v2, v3, v4, v2
.LBB13_1660:
	s_or_b64 exec, exec, s[6:7]
	s_movk_i32 s4, 0x7f
	v_cmp_gt_i16_sdwa s[6:7], v5, s4 src0_sel:BYTE_3 src1_sel:DWORD
	s_mov_b64 s[4:5], 0
                                        ; implicit-def: $sgpr10
	s_and_saveexec_b64 s[8:9], s[6:7]
	s_xor_b64 s[6:7], exec, s[8:9]
	s_cbranch_execnz .LBB13_3709
; %bb.1661:
	s_or_saveexec_b64 s[6:7], s[6:7]
	v_mov_b32_e32 v3, s10
	s_xor_b64 exec, exec, s[6:7]
	s_cbranch_execnz .LBB13_3712
.LBB13_1662:
	s_or_b64 exec, exec, s[6:7]
	s_and_saveexec_b64 s[6:7], s[4:5]
	s_cbranch_execz .LBB13_1664
.LBB13_1663:
	v_bfe_u32 v3, v5, 24, 3
	v_ffbh_u32_e32 v8, v3
	v_min_u32_e32 v8, 32, v8
	v_lshrrev_b32_e32 v6, 27, v5
	v_subrev_u32_e32 v9, 28, v8
	v_and_b32_e32 v4, 0x80000000, v5
	v_and_b32_e32 v6, 15, v6
	v_bfe_u32 v7, v5, 27, 4
	v_lshlrev_b32_sdwa v5, v9, v5 dst_sel:DWORD dst_unused:UNUSED_PAD src0_sel:DWORD src1_sel:BYTE_3
	v_sub_u32_e32 v8, 29, v8
	v_and_b32_e32 v5, 7, v5
	v_cmp_eq_u16_e32 vcc, 0, v6
	v_cndmask_b32_e32 v3, v3, v5, vcc
	v_cndmask_b32_e32 v5, v7, v8, vcc
	v_mov_b32_e32 v6, 0x3b800000
	v_lshlrev_b32_e32 v3, 20, v3
	v_lshl_add_u32 v5, v5, 23, v6
	v_or3_b32 v3, v4, v5, v3
.LBB13_1664:
	s_or_b64 exec, exec, s[6:7]
	s_nop 0
	v_mfma_f32_16x16x4f32 a[0:3], v2, v3, a[0:3]
	s_movk_i32 s4, 0x7f
                                        ; implicit-def: $sgpr10
	s_nop 7
	s_nop 1
	flat_store_dwordx4 v[10:11], a[0:3] offset:192
	flat_load_dwordx4 v[12:15], v[0:1] offset:8
	s_nop 0
	flat_load_dwordx2 v[10:11], v[0:1] offset:32
	s_waitcnt vmcnt(0) lgkmcnt(0)
	flat_load_dwordx4 v[6:9], v[12:13] offset:112
	flat_load_dwordx4 v[2:5], v[14:15] offset:48
	s_waitcnt vmcnt(0) lgkmcnt(0)
	v_cmp_gt_i16_sdwa s[6:7], v6, s4 src0_sel:BYTE_0 src1_sel:DWORD
	s_mov_b64 s[4:5], 0
	s_and_saveexec_b64 s[8:9], s[6:7]
	s_xor_b64 s[6:7], exec, s[8:9]
	s_cbranch_execnz .LBB13_3713
; %bb.1665:
	s_or_saveexec_b64 s[6:7], s[6:7]
	v_mov_b32_e32 v12, s10
	s_xor_b64 exec, exec, s[6:7]
	s_cbranch_execnz .LBB13_3716
.LBB13_1666:
	s_or_b64 exec, exec, s[6:7]
	s_and_saveexec_b64 s[6:7], s[4:5]
	s_cbranch_execz .LBB13_1668
.LBB13_1667:
	v_and_b32_e32 v12, 7, v6
	v_ffbh_u32_e32 v14, v12
	v_min_u32_e32 v14, 32, v14
	v_lshrrev_b16_e32 v13, 3, v6
	v_subrev_u32_e32 v15, 28, v14
	v_and_b32_e32 v13, 15, v13
	v_lshlrev_b32_e32 v15, v15, v6
	v_sub_u32_e32 v14, 29, v14
	v_and_b32_e32 v15, 7, v15
	v_cmp_eq_u16_e32 vcc, 0, v13
	v_cndmask_b32_e32 v12, v12, v15, vcc
	v_cndmask_b32_e32 v13, v13, v14, vcc
	v_lshlrev_b32_e32 v14, 24, v6
	v_mov_b32_e32 v15, 0x3b800000
	v_lshlrev_b32_e32 v12, 20, v12
	v_and_b32_e32 v14, 0x80000000, v14
	v_lshl_add_u32 v13, v13, 23, v15
	v_or3_b32 v12, v14, v13, v12
.LBB13_1668:
	s_or_b64 exec, exec, s[6:7]
	s_movk_i32 s4, 0x7f
	v_cmp_gt_i16_sdwa s[6:7], v2, s4 src0_sel:BYTE_0 src1_sel:DWORD
	s_mov_b64 s[4:5], 0
                                        ; implicit-def: $sgpr10
	s_and_saveexec_b64 s[8:9], s[6:7]
	s_xor_b64 s[6:7], exec, s[8:9]
	s_cbranch_execnz .LBB13_3717
; %bb.1669:
	s_or_saveexec_b64 s[6:7], s[6:7]
	v_mov_b32_e32 v13, s10
	s_xor_b64 exec, exec, s[6:7]
	s_cbranch_execnz .LBB13_3720
.LBB13_1670:
	s_or_b64 exec, exec, s[6:7]
	s_and_saveexec_b64 s[6:7], s[4:5]
	s_cbranch_execz .LBB13_1672
.LBB13_1671:
	v_and_b32_e32 v13, 7, v2
	v_ffbh_u32_e32 v15, v13
	v_min_u32_e32 v15, 32, v15
	v_lshrrev_b16_e32 v14, 3, v2
	v_subrev_u32_e32 v16, 28, v15
	v_and_b32_e32 v14, 15, v14
	v_lshlrev_b32_e32 v16, v16, v2
	v_sub_u32_e32 v15, 29, v15
	v_and_b32_e32 v16, 7, v16
	v_cmp_eq_u16_e32 vcc, 0, v14
	v_cndmask_b32_e32 v13, v13, v16, vcc
	v_cndmask_b32_e32 v14, v14, v15, vcc
	v_lshlrev_b32_e32 v15, 24, v2
	v_mov_b32_e32 v16, 0x3b800000
	v_lshlrev_b32_e32 v13, 20, v13
	v_and_b32_e32 v15, 0x80000000, v15
	v_lshl_add_u32 v14, v14, 23, v16
	v_or3_b32 v13, v15, v14, v13
.LBB13_1672:
	s_or_b64 exec, exec, s[6:7]
	flat_load_dwordx4 a[0:3], v[10:11] offset:208
	s_movk_i32 s4, 0x7f
                                        ; implicit-def: $sgpr10
	s_waitcnt vmcnt(0) lgkmcnt(0)
	v_mfma_f32_16x16x4f32 a[0:3], v12, v13, a[0:3]
	v_lshrrev_b32_e32 v13, 8, v6
	v_cmp_gt_i16_sdwa s[6:7], v13, s4 src0_sel:BYTE_0 src1_sel:DWORD
	s_mov_b64 s[4:5], 0
	s_and_saveexec_b64 s[8:9], s[6:7]
	s_xor_b64 s[6:7], exec, s[8:9]
	s_cbranch_execnz .LBB13_3721
; %bb.1673:
	s_or_saveexec_b64 s[6:7], s[6:7]
	v_mov_b32_e32 v12, s10
	s_xor_b64 exec, exec, s[6:7]
	s_cbranch_execnz .LBB13_3724
.LBB13_1674:
	s_or_b64 exec, exec, s[6:7]
	s_and_saveexec_b64 s[6:7], s[4:5]
	s_cbranch_execz .LBB13_1676
.LBB13_1675:
	v_bfe_u32 v12, v6, 8, 3
	v_ffbh_u32_e32 v15, v12
	v_min_u32_e32 v15, 32, v15
	v_lshrrev_b16_e32 v14, 3, v13
	v_subrev_u32_e32 v16, 28, v15
	v_and_b32_e32 v14, 15, v14
	v_lshlrev_b32_e32 v13, v16, v13
	v_sub_u32_e32 v15, 29, v15
	v_and_b32_e32 v13, 7, v13
	v_cmp_eq_u16_e32 vcc, 0, v14
	v_cndmask_b32_e32 v12, v12, v13, vcc
	v_cndmask_b32_e32 v13, v14, v15, vcc
	v_lshlrev_b32_e32 v14, 16, v6
	v_mov_b32_e32 v15, 0x3b800000
	v_lshlrev_b32_e32 v12, 20, v12
	v_and_b32_e32 v14, 0x80000000, v14
	v_lshl_add_u32 v13, v13, 23, v15
	v_or3_b32 v12, v14, v13, v12
.LBB13_1676:
	s_or_b64 exec, exec, s[6:7]
	v_lshrrev_b32_e32 v13, 8, v2
	s_movk_i32 s4, 0x7f
	v_cmp_gt_i16_sdwa s[6:7], v13, s4 src0_sel:BYTE_0 src1_sel:DWORD
	s_mov_b64 s[4:5], 0
                                        ; implicit-def: $sgpr10
	s_and_saveexec_b64 s[8:9], s[6:7]
	s_xor_b64 s[6:7], exec, s[8:9]
	s_cbranch_execnz .LBB13_3725
; %bb.1677:
	s_or_saveexec_b64 s[6:7], s[6:7]
	v_mov_b32_e32 v14, s10
	s_xor_b64 exec, exec, s[6:7]
	s_cbranch_execnz .LBB13_3728
.LBB13_1678:
	s_or_b64 exec, exec, s[6:7]
	s_and_saveexec_b64 s[6:7], s[4:5]
	s_cbranch_execz .LBB13_1680
.LBB13_1679:
	v_bfe_u32 v14, v2, 8, 3
	v_ffbh_u32_e32 v16, v14
	v_min_u32_e32 v16, 32, v16
	v_lshrrev_b16_e32 v15, 3, v13
	v_subrev_u32_e32 v17, 28, v16
	v_and_b32_e32 v15, 15, v15
	v_lshlrev_b32_e32 v13, v17, v13
	v_sub_u32_e32 v16, 29, v16
	v_and_b32_e32 v13, 7, v13
	v_cmp_eq_u16_e32 vcc, 0, v15
	v_cndmask_b32_e32 v13, v14, v13, vcc
	v_cndmask_b32_e32 v14, v15, v16, vcc
	v_lshlrev_b32_e32 v15, 16, v2
	v_mov_b32_e32 v16, 0x3b800000
	v_lshlrev_b32_e32 v13, 20, v13
	v_and_b32_e32 v15, 0x80000000, v15
	v_lshl_add_u32 v14, v14, 23, v16
	v_or3_b32 v14, v15, v14, v13
.LBB13_1680:
	s_or_b64 exec, exec, s[6:7]
	s_nop 0
	v_mfma_f32_16x16x4f32 a[0:3], v12, v14, a[0:3]
	s_movk_i32 s4, 0xff
	v_and_b32_sdwa v13, v6, s4 dst_sel:DWORD dst_unused:UNUSED_PAD src0_sel:WORD_1 src1_sel:DWORD
	s_movk_i32 s4, 0x7f
	v_cmp_lt_i16_e32 vcc, s4, v13
	s_mov_b64 s[4:5], 0
                                        ; implicit-def: $sgpr10
	s_and_saveexec_b64 s[6:7], vcc
	s_xor_b64 s[6:7], exec, s[6:7]
	s_cbranch_execnz .LBB13_3729
; %bb.1681:
	s_or_saveexec_b64 s[6:7], s[6:7]
	v_mov_b32_e32 v12, s10
	s_xor_b64 exec, exec, s[6:7]
	s_cbranch_execnz .LBB13_3732
.LBB13_1682:
	s_or_b64 exec, exec, s[6:7]
	s_and_saveexec_b64 s[6:7], s[4:5]
	s_cbranch_execz .LBB13_1684
.LBB13_1683:
	v_bfe_u32 v12, v6, 16, 3
	v_ffbh_u32_e32 v15, v12
	v_min_u32_e32 v15, 32, v15
	v_lshrrev_b32_e32 v13, 19, v6
	v_subrev_u32_e32 v16, 28, v15
	v_and_b32_e32 v13, 15, v13
	v_lshlrev_b32_sdwa v16, v16, v6 dst_sel:DWORD dst_unused:UNUSED_PAD src0_sel:DWORD src1_sel:WORD_1
	v_bfe_u32 v14, v6, 19, 4
	v_sub_u32_e32 v15, 29, v15
	v_and_b32_e32 v16, 7, v16
	v_cmp_eq_u16_e32 vcc, 0, v13
	v_cndmask_b32_e32 v12, v12, v16, vcc
	v_cndmask_b32_e32 v13, v14, v15, vcc
	v_lshlrev_b32_e32 v14, 8, v6
	v_mov_b32_e32 v15, 0x3b800000
	v_lshlrev_b32_e32 v12, 20, v12
	v_and_b32_e32 v14, 0x80000000, v14
	v_lshl_add_u32 v13, v13, 23, v15
	v_or3_b32 v12, v14, v13, v12
.LBB13_1684:
	s_or_b64 exec, exec, s[6:7]
	s_movk_i32 s4, 0xff
	v_and_b32_sdwa v13, v2, s4 dst_sel:DWORD dst_unused:UNUSED_PAD src0_sel:WORD_1 src1_sel:DWORD
	s_movk_i32 s4, 0x7f
	v_cmp_lt_i16_e32 vcc, s4, v13
	s_mov_b64 s[4:5], 0
                                        ; implicit-def: $sgpr10
	s_and_saveexec_b64 s[6:7], vcc
	s_xor_b64 s[6:7], exec, s[6:7]
	s_cbranch_execnz .LBB13_3733
; %bb.1685:
	s_or_saveexec_b64 s[6:7], s[6:7]
	v_mov_b32_e32 v14, s10
	s_xor_b64 exec, exec, s[6:7]
	s_cbranch_execnz .LBB13_3736
.LBB13_1686:
	s_or_b64 exec, exec, s[6:7]
	s_and_saveexec_b64 s[6:7], s[4:5]
	s_cbranch_execz .LBB13_1688
.LBB13_1687:
	v_bfe_u32 v13, v2, 16, 3
	v_ffbh_u32_e32 v16, v13
	v_min_u32_e32 v16, 32, v16
	v_lshrrev_b32_e32 v14, 19, v2
	v_subrev_u32_e32 v17, 28, v16
	v_and_b32_e32 v14, 15, v14
	v_lshlrev_b32_sdwa v17, v17, v2 dst_sel:DWORD dst_unused:UNUSED_PAD src0_sel:DWORD src1_sel:WORD_1
	v_bfe_u32 v15, v2, 19, 4
	v_sub_u32_e32 v16, 29, v16
	v_and_b32_e32 v17, 7, v17
	v_cmp_eq_u16_e32 vcc, 0, v14
	v_cndmask_b32_e32 v13, v13, v17, vcc
	v_cndmask_b32_e32 v14, v15, v16, vcc
	v_lshlrev_b32_e32 v15, 8, v2
	v_mov_b32_e32 v16, 0x3b800000
	v_lshlrev_b32_e32 v13, 20, v13
	v_and_b32_e32 v15, 0x80000000, v15
	v_lshl_add_u32 v14, v14, 23, v16
	v_or3_b32 v14, v15, v14, v13
.LBB13_1688:
	s_or_b64 exec, exec, s[6:7]
	s_nop 0
	v_mfma_f32_16x16x4f32 a[0:3], v12, v14, a[0:3]
	s_movk_i32 s4, 0x7f
	v_cmp_gt_i16_sdwa s[6:7], v6, s4 src0_sel:BYTE_3 src1_sel:DWORD
	s_mov_b64 s[4:5], 0
                                        ; implicit-def: $sgpr10
	s_and_saveexec_b64 s[8:9], s[6:7]
	s_xor_b64 s[6:7], exec, s[8:9]
	s_cbranch_execnz .LBB13_3737
; %bb.1689:
	s_or_saveexec_b64 s[6:7], s[6:7]
	v_mov_b32_e32 v12, s10
	s_xor_b64 exec, exec, s[6:7]
	s_cbranch_execnz .LBB13_3740
.LBB13_1690:
	s_or_b64 exec, exec, s[6:7]
	s_and_saveexec_b64 s[6:7], s[4:5]
	s_cbranch_execz .LBB13_1692
.LBB13_1691:
	v_bfe_u32 v12, v6, 24, 3
	v_ffbh_u32_e32 v16, v12
	v_min_u32_e32 v16, 32, v16
	v_lshrrev_b32_e32 v14, 27, v6
	v_subrev_u32_e32 v17, 28, v16
	v_and_b32_e32 v13, 0x80000000, v6
	v_and_b32_e32 v14, 15, v14
	v_bfe_u32 v15, v6, 27, 4
	v_lshlrev_b32_sdwa v6, v17, v6 dst_sel:DWORD dst_unused:UNUSED_PAD src0_sel:DWORD src1_sel:BYTE_3
	v_sub_u32_e32 v16, 29, v16
	v_and_b32_e32 v6, 7, v6
	v_cmp_eq_u16_e32 vcc, 0, v14
	v_cndmask_b32_e32 v6, v12, v6, vcc
	v_cndmask_b32_e32 v12, v15, v16, vcc
	v_mov_b32_e32 v14, 0x3b800000
	v_lshlrev_b32_e32 v6, 20, v6
	v_lshl_add_u32 v12, v12, 23, v14
	v_or3_b32 v12, v13, v12, v6
.LBB13_1692:
	s_or_b64 exec, exec, s[6:7]
	s_movk_i32 s4, 0x7f
	v_cmp_gt_i16_sdwa s[6:7], v2, s4 src0_sel:BYTE_3 src1_sel:DWORD
	s_mov_b64 s[4:5], 0
                                        ; implicit-def: $sgpr10
	s_and_saveexec_b64 s[8:9], s[6:7]
	s_xor_b64 s[6:7], exec, s[8:9]
	s_cbranch_execnz .LBB13_3741
; %bb.1693:
	s_or_saveexec_b64 s[6:7], s[6:7]
	v_mov_b32_e32 v6, s10
	s_xor_b64 exec, exec, s[6:7]
	s_cbranch_execnz .LBB13_3744
.LBB13_1694:
	s_or_b64 exec, exec, s[6:7]
	s_and_saveexec_b64 s[6:7], s[4:5]
	s_cbranch_execz .LBB13_1696
.LBB13_1695:
	v_bfe_u32 v6, v2, 24, 3
	v_ffbh_u32_e32 v16, v6
	v_min_u32_e32 v16, 32, v16
	v_lshrrev_b32_e32 v14, 27, v2
	v_subrev_u32_e32 v17, 28, v16
	v_and_b32_e32 v13, 0x80000000, v2
	v_and_b32_e32 v14, 15, v14
	v_bfe_u32 v15, v2, 27, 4
	v_lshlrev_b32_sdwa v2, v17, v2 dst_sel:DWORD dst_unused:UNUSED_PAD src0_sel:DWORD src1_sel:BYTE_3
	v_sub_u32_e32 v16, 29, v16
	v_and_b32_e32 v2, 7, v2
	v_cmp_eq_u16_e32 vcc, 0, v14
	v_cndmask_b32_e32 v2, v6, v2, vcc
	v_cndmask_b32_e32 v6, v15, v16, vcc
	v_mov_b32_e32 v14, 0x3b800000
	v_lshlrev_b32_e32 v2, 20, v2
	v_lshl_add_u32 v6, v6, 23, v14
	v_or3_b32 v6, v13, v6, v2
.LBB13_1696:
	s_or_b64 exec, exec, s[6:7]
	s_nop 0
	v_mfma_f32_16x16x4f32 a[0:3], v12, v6, a[0:3]
	s_movk_i32 s4, 0x7f
	v_cmp_gt_i16_sdwa s[6:7], v7, s4 src0_sel:BYTE_0 src1_sel:DWORD
	s_mov_b64 s[4:5], 0
                                        ; implicit-def: $sgpr10
	s_and_saveexec_b64 s[8:9], s[6:7]
	s_xor_b64 s[6:7], exec, s[8:9]
	s_cbranch_execnz .LBB13_3745
; %bb.1697:
	s_or_saveexec_b64 s[6:7], s[6:7]
	v_mov_b32_e32 v2, s10
	s_xor_b64 exec, exec, s[6:7]
	s_cbranch_execnz .LBB13_3748
.LBB13_1698:
	s_or_b64 exec, exec, s[6:7]
	s_and_saveexec_b64 s[6:7], s[4:5]
	s_cbranch_execz .LBB13_1700
.LBB13_1699:
	v_and_b32_e32 v2, 7, v7
	v_ffbh_u32_e32 v12, v2
	v_min_u32_e32 v12, 32, v12
	v_lshrrev_b16_e32 v6, 3, v7
	v_subrev_u32_e32 v13, 28, v12
	v_and_b32_e32 v6, 15, v6
	v_lshlrev_b32_e32 v13, v13, v7
	v_sub_u32_e32 v12, 29, v12
	v_and_b32_e32 v13, 7, v13
	v_cmp_eq_u16_e32 vcc, 0, v6
	v_cndmask_b32_e32 v2, v2, v13, vcc
	v_cndmask_b32_e32 v6, v6, v12, vcc
	v_lshlrev_b32_e32 v12, 24, v7
	v_mov_b32_e32 v13, 0x3b800000
	v_lshlrev_b32_e32 v2, 20, v2
	v_and_b32_e32 v12, 0x80000000, v12
	v_lshl_add_u32 v6, v6, 23, v13
	v_or3_b32 v2, v12, v6, v2
.LBB13_1700:
	s_or_b64 exec, exec, s[6:7]
	s_movk_i32 s4, 0x7f
	v_cmp_gt_i16_sdwa s[6:7], v3, s4 src0_sel:BYTE_0 src1_sel:DWORD
	s_mov_b64 s[4:5], 0
                                        ; implicit-def: $sgpr10
	s_and_saveexec_b64 s[8:9], s[6:7]
	s_xor_b64 s[6:7], exec, s[8:9]
	s_cbranch_execnz .LBB13_3749
; %bb.1701:
	s_or_saveexec_b64 s[6:7], s[6:7]
	v_mov_b32_e32 v6, s10
	s_xor_b64 exec, exec, s[6:7]
	s_cbranch_execnz .LBB13_3752
.LBB13_1702:
	s_or_b64 exec, exec, s[6:7]
	s_and_saveexec_b64 s[6:7], s[4:5]
	s_cbranch_execz .LBB13_1704
.LBB13_1703:
	v_and_b32_e32 v6, 7, v3
	v_ffbh_u32_e32 v13, v6
	v_min_u32_e32 v13, 32, v13
	v_lshrrev_b16_e32 v12, 3, v3
	v_subrev_u32_e32 v14, 28, v13
	v_and_b32_e32 v12, 15, v12
	v_lshlrev_b32_e32 v14, v14, v3
	v_sub_u32_e32 v13, 29, v13
	v_and_b32_e32 v14, 7, v14
	v_cmp_eq_u16_e32 vcc, 0, v12
	v_cndmask_b32_e32 v6, v6, v14, vcc
	v_cndmask_b32_e32 v12, v12, v13, vcc
	v_lshlrev_b32_e32 v13, 24, v3
	v_mov_b32_e32 v14, 0x3b800000
	v_lshlrev_b32_e32 v6, 20, v6
	v_and_b32_e32 v13, 0x80000000, v13
	v_lshl_add_u32 v12, v12, 23, v14
	v_or3_b32 v6, v13, v12, v6
.LBB13_1704:
	s_or_b64 exec, exec, s[6:7]
	s_nop 0
	v_mfma_f32_16x16x4f32 a[0:3], v2, v6, a[0:3]
	v_lshrrev_b32_e32 v6, 8, v7
	s_movk_i32 s4, 0x7f
	v_cmp_gt_i16_sdwa s[6:7], v6, s4 src0_sel:BYTE_0 src1_sel:DWORD
	s_mov_b64 s[4:5], 0
                                        ; implicit-def: $sgpr10
	s_and_saveexec_b64 s[8:9], s[6:7]
	s_xor_b64 s[6:7], exec, s[8:9]
	s_cbranch_execnz .LBB13_3753
; %bb.1705:
	s_or_saveexec_b64 s[6:7], s[6:7]
	v_mov_b32_e32 v2, s10
	s_xor_b64 exec, exec, s[6:7]
	s_cbranch_execnz .LBB13_3756
.LBB13_1706:
	s_or_b64 exec, exec, s[6:7]
	s_and_saveexec_b64 s[6:7], s[4:5]
	s_cbranch_execz .LBB13_1708
.LBB13_1707:
	v_bfe_u32 v2, v7, 8, 3
	v_ffbh_u32_e32 v13, v2
	v_min_u32_e32 v13, 32, v13
	v_lshrrev_b16_e32 v12, 3, v6
	v_subrev_u32_e32 v14, 28, v13
	v_and_b32_e32 v12, 15, v12
	v_lshlrev_b32_e32 v6, v14, v6
	v_sub_u32_e32 v13, 29, v13
	v_and_b32_e32 v6, 7, v6
	v_cmp_eq_u16_e32 vcc, 0, v12
	v_cndmask_b32_e32 v2, v2, v6, vcc
	v_cndmask_b32_e32 v6, v12, v13, vcc
	v_lshlrev_b32_e32 v12, 16, v7
	v_mov_b32_e32 v13, 0x3b800000
	v_lshlrev_b32_e32 v2, 20, v2
	v_and_b32_e32 v12, 0x80000000, v12
	v_lshl_add_u32 v6, v6, 23, v13
	v_or3_b32 v2, v12, v6, v2
.LBB13_1708:
	s_or_b64 exec, exec, s[6:7]
	v_lshrrev_b32_e32 v6, 8, v3
	s_movk_i32 s4, 0x7f
	v_cmp_gt_i16_sdwa s[6:7], v6, s4 src0_sel:BYTE_0 src1_sel:DWORD
	s_mov_b64 s[4:5], 0
                                        ; implicit-def: $sgpr10
	s_and_saveexec_b64 s[8:9], s[6:7]
	s_xor_b64 s[6:7], exec, s[8:9]
	s_cbranch_execnz .LBB13_3757
; %bb.1709:
	s_or_saveexec_b64 s[6:7], s[6:7]
	v_mov_b32_e32 v12, s10
	s_xor_b64 exec, exec, s[6:7]
	s_cbranch_execnz .LBB13_3760
.LBB13_1710:
	s_or_b64 exec, exec, s[6:7]
	s_and_saveexec_b64 s[6:7], s[4:5]
	s_cbranch_execz .LBB13_1712
.LBB13_1711:
	v_bfe_u32 v12, v3, 8, 3
	v_ffbh_u32_e32 v14, v12
	v_min_u32_e32 v14, 32, v14
	v_lshrrev_b16_e32 v13, 3, v6
	v_subrev_u32_e32 v15, 28, v14
	v_and_b32_e32 v13, 15, v13
	v_lshlrev_b32_e32 v6, v15, v6
	v_sub_u32_e32 v14, 29, v14
	v_and_b32_e32 v6, 7, v6
	v_cmp_eq_u16_e32 vcc, 0, v13
	v_cndmask_b32_e32 v6, v12, v6, vcc
	v_cndmask_b32_e32 v12, v13, v14, vcc
	v_lshlrev_b32_e32 v13, 16, v3
	v_mov_b32_e32 v14, 0x3b800000
	v_lshlrev_b32_e32 v6, 20, v6
	v_and_b32_e32 v13, 0x80000000, v13
	v_lshl_add_u32 v12, v12, 23, v14
	v_or3_b32 v12, v13, v12, v6
.LBB13_1712:
	s_or_b64 exec, exec, s[6:7]
	s_nop 0
	v_mfma_f32_16x16x4f32 a[0:3], v2, v12, a[0:3]
	s_movk_i32 s4, 0xff
	v_and_b32_sdwa v6, v7, s4 dst_sel:DWORD dst_unused:UNUSED_PAD src0_sel:WORD_1 src1_sel:DWORD
	s_movk_i32 s4, 0x7f
	v_cmp_lt_i16_e32 vcc, s4, v6
	s_mov_b64 s[4:5], 0
                                        ; implicit-def: $sgpr10
	s_and_saveexec_b64 s[6:7], vcc
	s_xor_b64 s[6:7], exec, s[6:7]
	s_cbranch_execnz .LBB13_3761
; %bb.1713:
	s_or_saveexec_b64 s[6:7], s[6:7]
	v_mov_b32_e32 v2, s10
	s_xor_b64 exec, exec, s[6:7]
	s_cbranch_execnz .LBB13_3764
.LBB13_1714:
	s_or_b64 exec, exec, s[6:7]
	s_and_saveexec_b64 s[6:7], s[4:5]
	s_cbranch_execz .LBB13_1716
.LBB13_1715:
	v_bfe_u32 v2, v7, 16, 3
	v_ffbh_u32_e32 v13, v2
	v_min_u32_e32 v13, 32, v13
	v_lshrrev_b32_e32 v6, 19, v7
	v_subrev_u32_e32 v14, 28, v13
	v_and_b32_e32 v6, 15, v6
	v_lshlrev_b32_sdwa v14, v14, v7 dst_sel:DWORD dst_unused:UNUSED_PAD src0_sel:DWORD src1_sel:WORD_1
	v_bfe_u32 v12, v7, 19, 4
	v_sub_u32_e32 v13, 29, v13
	v_and_b32_e32 v14, 7, v14
	v_cmp_eq_u16_e32 vcc, 0, v6
	v_cndmask_b32_e32 v2, v2, v14, vcc
	v_cndmask_b32_e32 v6, v12, v13, vcc
	v_lshlrev_b32_e32 v12, 8, v7
	v_mov_b32_e32 v13, 0x3b800000
	v_lshlrev_b32_e32 v2, 20, v2
	v_and_b32_e32 v12, 0x80000000, v12
	v_lshl_add_u32 v6, v6, 23, v13
	v_or3_b32 v2, v12, v6, v2
.LBB13_1716:
	s_or_b64 exec, exec, s[6:7]
	s_movk_i32 s4, 0xff
	v_and_b32_sdwa v6, v3, s4 dst_sel:DWORD dst_unused:UNUSED_PAD src0_sel:WORD_1 src1_sel:DWORD
	s_movk_i32 s4, 0x7f
	v_cmp_lt_i16_e32 vcc, s4, v6
	s_mov_b64 s[4:5], 0
                                        ; implicit-def: $sgpr10
	s_and_saveexec_b64 s[6:7], vcc
	s_xor_b64 s[6:7], exec, s[6:7]
	s_cbranch_execnz .LBB13_3765
; %bb.1717:
	s_or_saveexec_b64 s[6:7], s[6:7]
	v_mov_b32_e32 v12, s10
	s_xor_b64 exec, exec, s[6:7]
	s_cbranch_execnz .LBB13_3768
.LBB13_1718:
	s_or_b64 exec, exec, s[6:7]
	s_and_saveexec_b64 s[6:7], s[4:5]
	s_cbranch_execz .LBB13_1720
.LBB13_1719:
	v_bfe_u32 v6, v3, 16, 3
	v_ffbh_u32_e32 v14, v6
	v_min_u32_e32 v14, 32, v14
	v_lshrrev_b32_e32 v12, 19, v3
	v_subrev_u32_e32 v15, 28, v14
	v_and_b32_e32 v12, 15, v12
	v_lshlrev_b32_sdwa v15, v15, v3 dst_sel:DWORD dst_unused:UNUSED_PAD src0_sel:DWORD src1_sel:WORD_1
	v_bfe_u32 v13, v3, 19, 4
	v_sub_u32_e32 v14, 29, v14
	v_and_b32_e32 v15, 7, v15
	v_cmp_eq_u16_e32 vcc, 0, v12
	v_cndmask_b32_e32 v6, v6, v15, vcc
	v_cndmask_b32_e32 v12, v13, v14, vcc
	v_lshlrev_b32_e32 v13, 8, v3
	v_mov_b32_e32 v14, 0x3b800000
	v_lshlrev_b32_e32 v6, 20, v6
	v_and_b32_e32 v13, 0x80000000, v13
	v_lshl_add_u32 v12, v12, 23, v14
	v_or3_b32 v12, v13, v12, v6
.LBB13_1720:
	s_or_b64 exec, exec, s[6:7]
	s_nop 0
	v_mfma_f32_16x16x4f32 a[0:3], v2, v12, a[0:3]
	s_movk_i32 s4, 0x7f
	v_cmp_gt_i16_sdwa s[6:7], v7, s4 src0_sel:BYTE_3 src1_sel:DWORD
	s_mov_b64 s[4:5], 0
                                        ; implicit-def: $sgpr10
	s_and_saveexec_b64 s[8:9], s[6:7]
	s_xor_b64 s[6:7], exec, s[8:9]
	s_cbranch_execnz .LBB13_3769
; %bb.1721:
	s_or_saveexec_b64 s[6:7], s[6:7]
	v_mov_b32_e32 v2, s10
	s_xor_b64 exec, exec, s[6:7]
	s_cbranch_execnz .LBB13_3772
.LBB13_1722:
	s_or_b64 exec, exec, s[6:7]
	s_and_saveexec_b64 s[6:7], s[4:5]
	s_cbranch_execz .LBB13_1724
.LBB13_1723:
	v_bfe_u32 v2, v7, 24, 3
	v_ffbh_u32_e32 v14, v2
	v_min_u32_e32 v14, 32, v14
	v_lshrrev_b32_e32 v12, 27, v7
	v_subrev_u32_e32 v15, 28, v14
	v_and_b32_e32 v6, 0x80000000, v7
	v_and_b32_e32 v12, 15, v12
	v_bfe_u32 v13, v7, 27, 4
	v_lshlrev_b32_sdwa v7, v15, v7 dst_sel:DWORD dst_unused:UNUSED_PAD src0_sel:DWORD src1_sel:BYTE_3
	v_sub_u32_e32 v14, 29, v14
	v_and_b32_e32 v7, 7, v7
	v_cmp_eq_u16_e32 vcc, 0, v12
	v_cndmask_b32_e32 v2, v2, v7, vcc
	v_cndmask_b32_e32 v7, v13, v14, vcc
	v_mov_b32_e32 v12, 0x3b800000
	v_lshlrev_b32_e32 v2, 20, v2
	v_lshl_add_u32 v7, v7, 23, v12
	v_or3_b32 v2, v6, v7, v2
.LBB13_1724:
	s_or_b64 exec, exec, s[6:7]
	s_movk_i32 s4, 0x7f
	v_cmp_gt_i16_sdwa s[6:7], v3, s4 src0_sel:BYTE_3 src1_sel:DWORD
	s_mov_b64 s[4:5], 0
                                        ; implicit-def: $sgpr10
	s_and_saveexec_b64 s[8:9], s[6:7]
	s_xor_b64 s[6:7], exec, s[8:9]
	s_cbranch_execnz .LBB13_3773
; %bb.1725:
	s_or_saveexec_b64 s[6:7], s[6:7]
	v_mov_b32_e32 v6, s10
	s_xor_b64 exec, exec, s[6:7]
	s_cbranch_execnz .LBB13_3776
.LBB13_1726:
	s_or_b64 exec, exec, s[6:7]
	s_and_saveexec_b64 s[6:7], s[4:5]
	s_cbranch_execz .LBB13_1728
.LBB13_1727:
	v_bfe_u32 v6, v3, 24, 3
	v_ffbh_u32_e32 v14, v6
	v_min_u32_e32 v14, 32, v14
	v_lshrrev_b32_e32 v12, 27, v3
	v_subrev_u32_e32 v15, 28, v14
	v_and_b32_e32 v7, 0x80000000, v3
	v_and_b32_e32 v12, 15, v12
	v_bfe_u32 v13, v3, 27, 4
	v_lshlrev_b32_sdwa v3, v15, v3 dst_sel:DWORD dst_unused:UNUSED_PAD src0_sel:DWORD src1_sel:BYTE_3
	v_sub_u32_e32 v14, 29, v14
	v_and_b32_e32 v3, 7, v3
	v_cmp_eq_u16_e32 vcc, 0, v12
	v_cndmask_b32_e32 v3, v6, v3, vcc
	v_cndmask_b32_e32 v6, v13, v14, vcc
	v_mov_b32_e32 v12, 0x3b800000
	v_lshlrev_b32_e32 v3, 20, v3
	v_lshl_add_u32 v6, v6, 23, v12
	v_or3_b32 v6, v7, v6, v3
.LBB13_1728:
	s_or_b64 exec, exec, s[6:7]
	s_nop 0
	v_mfma_f32_16x16x4f32 a[0:3], v2, v6, a[0:3]
	s_movk_i32 s4, 0x7f
	v_cmp_gt_i16_sdwa s[6:7], v8, s4 src0_sel:BYTE_0 src1_sel:DWORD
	s_mov_b64 s[4:5], 0
                                        ; implicit-def: $sgpr10
	s_and_saveexec_b64 s[8:9], s[6:7]
	s_xor_b64 s[6:7], exec, s[8:9]
	s_cbranch_execnz .LBB13_3777
; %bb.1729:
	s_or_saveexec_b64 s[6:7], s[6:7]
	v_mov_b32_e32 v2, s10
	s_xor_b64 exec, exec, s[6:7]
	s_cbranch_execnz .LBB13_3780
.LBB13_1730:
	s_or_b64 exec, exec, s[6:7]
	s_and_saveexec_b64 s[6:7], s[4:5]
	s_cbranch_execz .LBB13_1732
.LBB13_1731:
	v_and_b32_e32 v2, 7, v8
	v_ffbh_u32_e32 v6, v2
	v_min_u32_e32 v6, 32, v6
	v_lshrrev_b16_e32 v3, 3, v8
	v_subrev_u32_e32 v7, 28, v6
	v_and_b32_e32 v3, 15, v3
	v_lshlrev_b32_e32 v7, v7, v8
	v_sub_u32_e32 v6, 29, v6
	v_and_b32_e32 v7, 7, v7
	v_cmp_eq_u16_e32 vcc, 0, v3
	v_cndmask_b32_e32 v2, v2, v7, vcc
	v_cndmask_b32_e32 v3, v3, v6, vcc
	v_lshlrev_b32_e32 v6, 24, v8
	v_mov_b32_e32 v7, 0x3b800000
	v_lshlrev_b32_e32 v2, 20, v2
	v_and_b32_e32 v6, 0x80000000, v6
	v_lshl_add_u32 v3, v3, 23, v7
	v_or3_b32 v2, v6, v3, v2
.LBB13_1732:
	s_or_b64 exec, exec, s[6:7]
	s_movk_i32 s4, 0x7f
	v_cmp_gt_i16_sdwa s[6:7], v4, s4 src0_sel:BYTE_0 src1_sel:DWORD
	s_mov_b64 s[4:5], 0
                                        ; implicit-def: $sgpr10
	s_and_saveexec_b64 s[8:9], s[6:7]
	s_xor_b64 s[6:7], exec, s[8:9]
	s_cbranch_execnz .LBB13_3781
; %bb.1733:
	s_or_saveexec_b64 s[6:7], s[6:7]
	v_mov_b32_e32 v3, s10
	s_xor_b64 exec, exec, s[6:7]
	s_cbranch_execnz .LBB13_3784
.LBB13_1734:
	s_or_b64 exec, exec, s[6:7]
	s_and_saveexec_b64 s[6:7], s[4:5]
	s_cbranch_execz .LBB13_1736
.LBB13_1735:
	v_and_b32_e32 v3, 7, v4
	v_ffbh_u32_e32 v7, v3
	v_min_u32_e32 v7, 32, v7
	v_lshrrev_b16_e32 v6, 3, v4
	v_subrev_u32_e32 v12, 28, v7
	v_and_b32_e32 v6, 15, v6
	v_lshlrev_b32_e32 v12, v12, v4
	v_sub_u32_e32 v7, 29, v7
	v_and_b32_e32 v12, 7, v12
	v_cmp_eq_u16_e32 vcc, 0, v6
	v_cndmask_b32_e32 v3, v3, v12, vcc
	v_cndmask_b32_e32 v6, v6, v7, vcc
	v_lshlrev_b32_e32 v7, 24, v4
	v_mov_b32_e32 v12, 0x3b800000
	v_lshlrev_b32_e32 v3, 20, v3
	v_and_b32_e32 v7, 0x80000000, v7
	v_lshl_add_u32 v6, v6, 23, v12
	v_or3_b32 v3, v7, v6, v3
.LBB13_1736:
	s_or_b64 exec, exec, s[6:7]
	s_nop 0
	v_mfma_f32_16x16x4f32 a[0:3], v2, v3, a[0:3]
	v_lshrrev_b32_e32 v3, 8, v8
	s_movk_i32 s4, 0x7f
	v_cmp_gt_i16_sdwa s[6:7], v3, s4 src0_sel:BYTE_0 src1_sel:DWORD
	s_mov_b64 s[4:5], 0
                                        ; implicit-def: $sgpr10
	s_and_saveexec_b64 s[8:9], s[6:7]
	s_xor_b64 s[6:7], exec, s[8:9]
	s_cbranch_execnz .LBB13_3785
; %bb.1737:
	s_or_saveexec_b64 s[6:7], s[6:7]
	v_mov_b32_e32 v2, s10
	s_xor_b64 exec, exec, s[6:7]
	s_cbranch_execnz .LBB13_3788
.LBB13_1738:
	s_or_b64 exec, exec, s[6:7]
	s_and_saveexec_b64 s[6:7], s[4:5]
	s_cbranch_execz .LBB13_1740
.LBB13_1739:
	v_bfe_u32 v2, v8, 8, 3
	v_ffbh_u32_e32 v7, v2
	v_min_u32_e32 v7, 32, v7
	v_lshrrev_b16_e32 v6, 3, v3
	v_subrev_u32_e32 v12, 28, v7
	v_and_b32_e32 v6, 15, v6
	v_lshlrev_b32_e32 v3, v12, v3
	v_sub_u32_e32 v7, 29, v7
	v_and_b32_e32 v3, 7, v3
	v_cmp_eq_u16_e32 vcc, 0, v6
	v_cndmask_b32_e32 v2, v2, v3, vcc
	v_cndmask_b32_e32 v3, v6, v7, vcc
	v_lshlrev_b32_e32 v6, 16, v8
	v_mov_b32_e32 v7, 0x3b800000
	v_lshlrev_b32_e32 v2, 20, v2
	v_and_b32_e32 v6, 0x80000000, v6
	v_lshl_add_u32 v3, v3, 23, v7
	v_or3_b32 v2, v6, v3, v2
.LBB13_1740:
	s_or_b64 exec, exec, s[6:7]
	v_lshrrev_b32_e32 v3, 8, v4
	s_movk_i32 s4, 0x7f
	v_cmp_gt_i16_sdwa s[6:7], v3, s4 src0_sel:BYTE_0 src1_sel:DWORD
	s_mov_b64 s[4:5], 0
                                        ; implicit-def: $sgpr10
	s_and_saveexec_b64 s[8:9], s[6:7]
	s_xor_b64 s[6:7], exec, s[8:9]
	s_cbranch_execnz .LBB13_3789
; %bb.1741:
	s_or_saveexec_b64 s[6:7], s[6:7]
	v_mov_b32_e32 v6, s10
	s_xor_b64 exec, exec, s[6:7]
	s_cbranch_execnz .LBB13_3792
.LBB13_1742:
	s_or_b64 exec, exec, s[6:7]
	s_and_saveexec_b64 s[6:7], s[4:5]
	s_cbranch_execz .LBB13_1744
.LBB13_1743:
	v_bfe_u32 v6, v4, 8, 3
	v_ffbh_u32_e32 v12, v6
	v_min_u32_e32 v12, 32, v12
	v_lshrrev_b16_e32 v7, 3, v3
	v_subrev_u32_e32 v13, 28, v12
	v_and_b32_e32 v7, 15, v7
	v_lshlrev_b32_e32 v3, v13, v3
	v_sub_u32_e32 v12, 29, v12
	v_and_b32_e32 v3, 7, v3
	v_cmp_eq_u16_e32 vcc, 0, v7
	v_cndmask_b32_e32 v3, v6, v3, vcc
	v_cndmask_b32_e32 v6, v7, v12, vcc
	v_lshlrev_b32_e32 v7, 16, v4
	v_mov_b32_e32 v12, 0x3b800000
	v_lshlrev_b32_e32 v3, 20, v3
	v_and_b32_e32 v7, 0x80000000, v7
	v_lshl_add_u32 v6, v6, 23, v12
	v_or3_b32 v6, v7, v6, v3
.LBB13_1744:
	s_or_b64 exec, exec, s[6:7]
	s_nop 0
	v_mfma_f32_16x16x4f32 a[0:3], v2, v6, a[0:3]
	s_movk_i32 s4, 0xff
	v_and_b32_sdwa v3, v8, s4 dst_sel:DWORD dst_unused:UNUSED_PAD src0_sel:WORD_1 src1_sel:DWORD
	s_movk_i32 s4, 0x7f
	v_cmp_lt_i16_e32 vcc, s4, v3
	s_mov_b64 s[4:5], 0
                                        ; implicit-def: $sgpr10
	s_and_saveexec_b64 s[6:7], vcc
	s_xor_b64 s[6:7], exec, s[6:7]
	s_cbranch_execnz .LBB13_3793
; %bb.1745:
	s_or_saveexec_b64 s[6:7], s[6:7]
	v_mov_b32_e32 v2, s10
	s_xor_b64 exec, exec, s[6:7]
	s_cbranch_execnz .LBB13_3796
.LBB13_1746:
	s_or_b64 exec, exec, s[6:7]
	s_and_saveexec_b64 s[6:7], s[4:5]
	s_cbranch_execz .LBB13_1748
.LBB13_1747:
	v_bfe_u32 v2, v8, 16, 3
	v_ffbh_u32_e32 v7, v2
	v_min_u32_e32 v7, 32, v7
	v_lshrrev_b32_e32 v3, 19, v8
	v_subrev_u32_e32 v12, 28, v7
	v_and_b32_e32 v3, 15, v3
	v_lshlrev_b32_sdwa v12, v12, v8 dst_sel:DWORD dst_unused:UNUSED_PAD src0_sel:DWORD src1_sel:WORD_1
	v_bfe_u32 v6, v8, 19, 4
	v_sub_u32_e32 v7, 29, v7
	v_and_b32_e32 v12, 7, v12
	v_cmp_eq_u16_e32 vcc, 0, v3
	v_cndmask_b32_e32 v2, v2, v12, vcc
	v_cndmask_b32_e32 v3, v6, v7, vcc
	v_lshlrev_b32_e32 v6, 8, v8
	v_mov_b32_e32 v7, 0x3b800000
	v_lshlrev_b32_e32 v2, 20, v2
	v_and_b32_e32 v6, 0x80000000, v6
	v_lshl_add_u32 v3, v3, 23, v7
	v_or3_b32 v2, v6, v3, v2
.LBB13_1748:
	s_or_b64 exec, exec, s[6:7]
	s_movk_i32 s4, 0xff
	v_and_b32_sdwa v3, v4, s4 dst_sel:DWORD dst_unused:UNUSED_PAD src0_sel:WORD_1 src1_sel:DWORD
	s_movk_i32 s4, 0x7f
	v_cmp_lt_i16_e32 vcc, s4, v3
	s_mov_b64 s[4:5], 0
                                        ; implicit-def: $sgpr10
	s_and_saveexec_b64 s[6:7], vcc
	s_xor_b64 s[6:7], exec, s[6:7]
	s_cbranch_execnz .LBB13_3797
; %bb.1749:
	s_or_saveexec_b64 s[6:7], s[6:7]
	v_mov_b32_e32 v6, s10
	s_xor_b64 exec, exec, s[6:7]
	s_cbranch_execnz .LBB13_3800
.LBB13_1750:
	s_or_b64 exec, exec, s[6:7]
	s_and_saveexec_b64 s[6:7], s[4:5]
	s_cbranch_execz .LBB13_1752
.LBB13_1751:
	v_bfe_u32 v3, v4, 16, 3
	v_ffbh_u32_e32 v12, v3
	v_min_u32_e32 v12, 32, v12
	v_lshrrev_b32_e32 v6, 19, v4
	v_subrev_u32_e32 v13, 28, v12
	v_and_b32_e32 v6, 15, v6
	v_lshlrev_b32_sdwa v13, v13, v4 dst_sel:DWORD dst_unused:UNUSED_PAD src0_sel:DWORD src1_sel:WORD_1
	v_bfe_u32 v7, v4, 19, 4
	v_sub_u32_e32 v12, 29, v12
	v_and_b32_e32 v13, 7, v13
	v_cmp_eq_u16_e32 vcc, 0, v6
	v_cndmask_b32_e32 v3, v3, v13, vcc
	v_cndmask_b32_e32 v6, v7, v12, vcc
	v_lshlrev_b32_e32 v7, 8, v4
	v_mov_b32_e32 v12, 0x3b800000
	v_lshlrev_b32_e32 v3, 20, v3
	v_and_b32_e32 v7, 0x80000000, v7
	v_lshl_add_u32 v6, v6, 23, v12
	v_or3_b32 v6, v7, v6, v3
.LBB13_1752:
	s_or_b64 exec, exec, s[6:7]
	s_nop 0
	v_mfma_f32_16x16x4f32 a[0:3], v2, v6, a[0:3]
	s_movk_i32 s4, 0x7f
	v_cmp_gt_i16_sdwa s[6:7], v8, s4 src0_sel:BYTE_3 src1_sel:DWORD
	s_mov_b64 s[4:5], 0
                                        ; implicit-def: $sgpr10
	s_and_saveexec_b64 s[8:9], s[6:7]
	s_xor_b64 s[6:7], exec, s[8:9]
	s_cbranch_execnz .LBB13_3801
; %bb.1753:
	s_or_saveexec_b64 s[6:7], s[6:7]
	v_mov_b32_e32 v2, s10
	s_xor_b64 exec, exec, s[6:7]
	s_cbranch_execnz .LBB13_3804
.LBB13_1754:
	s_or_b64 exec, exec, s[6:7]
	s_and_saveexec_b64 s[6:7], s[4:5]
	s_cbranch_execz .LBB13_1756
.LBB13_1755:
	v_bfe_u32 v2, v8, 24, 3
	v_ffbh_u32_e32 v12, v2
	v_min_u32_e32 v12, 32, v12
	v_lshrrev_b32_e32 v6, 27, v8
	v_subrev_u32_e32 v13, 28, v12
	v_and_b32_e32 v3, 0x80000000, v8
	v_and_b32_e32 v6, 15, v6
	v_bfe_u32 v7, v8, 27, 4
	v_lshlrev_b32_sdwa v8, v13, v8 dst_sel:DWORD dst_unused:UNUSED_PAD src0_sel:DWORD src1_sel:BYTE_3
	v_sub_u32_e32 v12, 29, v12
	v_and_b32_e32 v8, 7, v8
	v_cmp_eq_u16_e32 vcc, 0, v6
	v_cndmask_b32_e32 v2, v2, v8, vcc
	v_cndmask_b32_e32 v6, v7, v12, vcc
	v_mov_b32_e32 v7, 0x3b800000
	v_lshlrev_b32_e32 v2, 20, v2
	v_lshl_add_u32 v6, v6, 23, v7
	v_or3_b32 v2, v3, v6, v2
.LBB13_1756:
	s_or_b64 exec, exec, s[6:7]
	s_movk_i32 s4, 0x7f
	v_cmp_gt_i16_sdwa s[6:7], v4, s4 src0_sel:BYTE_3 src1_sel:DWORD
	s_mov_b64 s[4:5], 0
                                        ; implicit-def: $sgpr10
	s_and_saveexec_b64 s[8:9], s[6:7]
	s_xor_b64 s[6:7], exec, s[8:9]
	s_cbranch_execnz .LBB13_3805
; %bb.1757:
	s_or_saveexec_b64 s[6:7], s[6:7]
	v_mov_b32_e32 v3, s10
	s_xor_b64 exec, exec, s[6:7]
	s_cbranch_execnz .LBB13_3808
.LBB13_1758:
	s_or_b64 exec, exec, s[6:7]
	s_and_saveexec_b64 s[6:7], s[4:5]
	s_cbranch_execz .LBB13_1760
.LBB13_1759:
	v_bfe_u32 v3, v4, 24, 3
	v_ffbh_u32_e32 v12, v3
	v_min_u32_e32 v12, 32, v12
	v_lshrrev_b32_e32 v7, 27, v4
	v_subrev_u32_e32 v13, 28, v12
	v_and_b32_e32 v6, 0x80000000, v4
	v_and_b32_e32 v7, 15, v7
	v_bfe_u32 v8, v4, 27, 4
	v_lshlrev_b32_sdwa v4, v13, v4 dst_sel:DWORD dst_unused:UNUSED_PAD src0_sel:DWORD src1_sel:BYTE_3
	v_sub_u32_e32 v12, 29, v12
	v_and_b32_e32 v4, 7, v4
	v_cmp_eq_u16_e32 vcc, 0, v7
	v_cndmask_b32_e32 v3, v3, v4, vcc
	v_cndmask_b32_e32 v4, v8, v12, vcc
	v_mov_b32_e32 v7, 0x3b800000
	v_lshlrev_b32_e32 v3, 20, v3
	v_lshl_add_u32 v4, v4, 23, v7
	v_or3_b32 v3, v6, v4, v3
.LBB13_1760:
	s_or_b64 exec, exec, s[6:7]
	s_nop 0
	v_mfma_f32_16x16x4f32 a[0:3], v2, v3, a[0:3]
	s_movk_i32 s4, 0x7f
	v_cmp_gt_i16_sdwa s[6:7], v9, s4 src0_sel:BYTE_0 src1_sel:DWORD
	s_mov_b64 s[4:5], 0
                                        ; implicit-def: $sgpr10
	s_and_saveexec_b64 s[8:9], s[6:7]
	s_xor_b64 s[6:7], exec, s[8:9]
	s_cbranch_execnz .LBB13_3809
; %bb.1761:
	s_or_saveexec_b64 s[6:7], s[6:7]
	v_mov_b32_e32 v2, s10
	s_xor_b64 exec, exec, s[6:7]
	s_cbranch_execnz .LBB13_3812
.LBB13_1762:
	s_or_b64 exec, exec, s[6:7]
	s_and_saveexec_b64 s[6:7], s[4:5]
	s_cbranch_execz .LBB13_1764
.LBB13_1763:
	v_mov_b32_e32 v2, 8
	v_and_b32_e32 v3, 7, v9
	v_lshrrev_b32_sdwa v2, v2, v9 dst_sel:BYTE_1 dst_unused:UNUSED_PAD src0_sel:DWORD src1_sel:DWORD
	v_ffbh_u32_e32 v4, v3
	v_or_b32_sdwa v2, v9, v2 dst_sel:DWORD dst_unused:UNUSED_PAD src0_sel:BYTE_0 src1_sel:DWORD
	v_min_u32_e32 v4, 32, v4
	v_lshrrev_b16_e32 v2, 3, v2
	v_subrev_u32_e32 v6, 28, v4
	v_and_b32_e32 v2, 15, v2
	v_lshlrev_b32_e32 v6, v6, v9
	v_sub_u32_e32 v4, 29, v4
	v_and_b32_e32 v6, 7, v6
	v_cmp_eq_u16_e32 vcc, 0, v2
	v_cndmask_b32_e32 v3, v3, v6, vcc
	v_cndmask_b32_e32 v2, v2, v4, vcc
	v_lshlrev_b32_e32 v4, 24, v9
	v_mov_b32_e32 v6, 0x3b800000
	v_lshlrev_b32_e32 v3, 20, v3
	v_and_b32_e32 v4, 0x80000000, v4
	v_lshl_add_u32 v2, v2, 23, v6
	v_or3_b32 v2, v4, v2, v3
.LBB13_1764:
	s_or_b64 exec, exec, s[6:7]
	s_movk_i32 s4, 0x7f
	v_cmp_gt_i16_sdwa s[6:7], v5, s4 src0_sel:BYTE_0 src1_sel:DWORD
	s_mov_b64 s[4:5], 0
                                        ; implicit-def: $sgpr10
	s_and_saveexec_b64 s[8:9], s[6:7]
	s_xor_b64 s[6:7], exec, s[8:9]
	s_cbranch_execnz .LBB13_3813
; %bb.1765:
	s_or_saveexec_b64 s[6:7], s[6:7]
	v_mov_b32_e32 v3, s10
	s_xor_b64 exec, exec, s[6:7]
	s_cbranch_execnz .LBB13_3816
.LBB13_1766:
	s_or_b64 exec, exec, s[6:7]
	s_and_saveexec_b64 s[6:7], s[4:5]
	s_cbranch_execz .LBB13_1768
.LBB13_1767:
	v_mov_b32_e32 v3, 8
	v_and_b32_e32 v4, 7, v5
	v_lshrrev_b32_sdwa v3, v3, v5 dst_sel:BYTE_1 dst_unused:UNUSED_PAD src0_sel:DWORD src1_sel:DWORD
	v_ffbh_u32_e32 v6, v4
	v_or_b32_sdwa v3, v5, v3 dst_sel:DWORD dst_unused:UNUSED_PAD src0_sel:BYTE_0 src1_sel:DWORD
	v_min_u32_e32 v6, 32, v6
	v_lshrrev_b16_e32 v3, 3, v3
	v_subrev_u32_e32 v7, 28, v6
	v_and_b32_e32 v3, 15, v3
	v_lshlrev_b32_e32 v7, v7, v5
	v_sub_u32_e32 v6, 29, v6
	v_and_b32_e32 v7, 7, v7
	v_cmp_eq_u16_e32 vcc, 0, v3
	v_cndmask_b32_e32 v4, v4, v7, vcc
	v_cndmask_b32_e32 v3, v3, v6, vcc
	v_lshlrev_b32_e32 v6, 24, v5
	v_mov_b32_e32 v7, 0x3b800000
	v_lshlrev_b32_e32 v4, 20, v4
	v_and_b32_e32 v6, 0x80000000, v6
	v_lshl_add_u32 v3, v3, 23, v7
	v_or3_b32 v3, v6, v3, v4
.LBB13_1768:
	s_or_b64 exec, exec, s[6:7]
	s_nop 0
	v_mfma_f32_16x16x4f32 a[0:3], v2, v3, a[0:3]
	v_lshrrev_b32_e32 v3, 8, v9
	s_movk_i32 s4, 0x7f
	v_cmp_gt_i16_sdwa s[6:7], v3, s4 src0_sel:BYTE_0 src1_sel:DWORD
	s_mov_b64 s[4:5], 0
                                        ; implicit-def: $sgpr10
	s_and_saveexec_b64 s[8:9], s[6:7]
	s_xor_b64 s[6:7], exec, s[8:9]
	s_cbranch_execnz .LBB13_3817
; %bb.1769:
	s_or_saveexec_b64 s[6:7], s[6:7]
	v_mov_b32_e32 v2, s10
	s_xor_b64 exec, exec, s[6:7]
	s_cbranch_execnz .LBB13_3820
.LBB13_1770:
	s_or_b64 exec, exec, s[6:7]
	s_and_saveexec_b64 s[6:7], s[4:5]
	s_cbranch_execz .LBB13_1772
.LBB13_1771:
	v_bfe_u32 v2, v9, 8, 3
	v_ffbh_u32_e32 v6, v2
	v_min_u32_e32 v6, 32, v6
	v_lshrrev_b16_e32 v4, 3, v3
	v_subrev_u32_e32 v7, 28, v6
	v_and_b32_e32 v4, 15, v4
	v_lshlrev_b32_e32 v3, v7, v3
	v_sub_u32_e32 v6, 29, v6
	v_and_b32_e32 v3, 7, v3
	v_cmp_eq_u16_e32 vcc, 0, v4
	v_cndmask_b32_e32 v2, v2, v3, vcc
	v_cndmask_b32_e32 v3, v4, v6, vcc
	v_lshlrev_b32_e32 v4, 16, v9
	v_mov_b32_e32 v6, 0x3b800000
	v_lshlrev_b32_e32 v2, 20, v2
	v_and_b32_e32 v4, 0x80000000, v4
	v_lshl_add_u32 v3, v3, 23, v6
	v_or3_b32 v2, v4, v3, v2
.LBB13_1772:
	s_or_b64 exec, exec, s[6:7]
	v_lshrrev_b32_e32 v3, 8, v5
	s_movk_i32 s4, 0x7f
	v_cmp_gt_i16_sdwa s[6:7], v3, s4 src0_sel:BYTE_0 src1_sel:DWORD
	s_mov_b64 s[4:5], 0
                                        ; implicit-def: $sgpr10
	s_and_saveexec_b64 s[8:9], s[6:7]
	s_xor_b64 s[6:7], exec, s[8:9]
	s_cbranch_execnz .LBB13_3821
; %bb.1773:
	s_or_saveexec_b64 s[6:7], s[6:7]
	v_mov_b32_e32 v4, s10
	s_xor_b64 exec, exec, s[6:7]
	s_cbranch_execnz .LBB13_3824
.LBB13_1774:
	s_or_b64 exec, exec, s[6:7]
	s_and_saveexec_b64 s[6:7], s[4:5]
	s_cbranch_execz .LBB13_1776
.LBB13_1775:
	v_bfe_u32 v4, v5, 8, 3
	v_ffbh_u32_e32 v7, v4
	v_min_u32_e32 v7, 32, v7
	v_lshrrev_b16_e32 v6, 3, v3
	v_subrev_u32_e32 v8, 28, v7
	v_and_b32_e32 v6, 15, v6
	v_lshlrev_b32_e32 v3, v8, v3
	v_sub_u32_e32 v7, 29, v7
	v_and_b32_e32 v3, 7, v3
	v_cmp_eq_u16_e32 vcc, 0, v6
	v_cndmask_b32_e32 v3, v4, v3, vcc
	v_cndmask_b32_e32 v4, v6, v7, vcc
	v_lshlrev_b32_e32 v6, 16, v5
	v_mov_b32_e32 v7, 0x3b800000
	v_lshlrev_b32_e32 v3, 20, v3
	v_and_b32_e32 v6, 0x80000000, v6
	v_lshl_add_u32 v4, v4, 23, v7
	v_or3_b32 v4, v6, v4, v3
.LBB13_1776:
	s_or_b64 exec, exec, s[6:7]
	s_nop 0
	v_mfma_f32_16x16x4f32 a[0:3], v2, v4, a[0:3]
	s_movk_i32 s4, 0xff
	v_and_b32_sdwa v3, v9, s4 dst_sel:DWORD dst_unused:UNUSED_PAD src0_sel:WORD_1 src1_sel:DWORD
	s_movk_i32 s4, 0x7f
	v_cmp_lt_i16_e32 vcc, s4, v3
	s_mov_b64 s[4:5], 0
                                        ; implicit-def: $sgpr10
	s_and_saveexec_b64 s[6:7], vcc
	s_xor_b64 s[6:7], exec, s[6:7]
	s_cbranch_execnz .LBB13_3825
; %bb.1777:
	s_or_saveexec_b64 s[6:7], s[6:7]
	v_mov_b32_e32 v2, s10
	s_xor_b64 exec, exec, s[6:7]
	s_cbranch_execnz .LBB13_3828
.LBB13_1778:
	s_or_b64 exec, exec, s[6:7]
	s_and_saveexec_b64 s[6:7], s[4:5]
	s_cbranch_execz .LBB13_1780
.LBB13_1779:
	v_bfe_u32 v2, v9, 16, 3
	v_ffbh_u32_e32 v6, v2
	v_min_u32_e32 v6, 32, v6
	v_lshrrev_b32_e32 v3, 19, v9
	v_subrev_u32_e32 v7, 28, v6
	v_and_b32_e32 v3, 15, v3
	v_lshlrev_b32_sdwa v7, v7, v9 dst_sel:DWORD dst_unused:UNUSED_PAD src0_sel:DWORD src1_sel:WORD_1
	v_bfe_u32 v4, v9, 19, 4
	v_sub_u32_e32 v6, 29, v6
	v_and_b32_e32 v7, 7, v7
	v_cmp_eq_u16_e32 vcc, 0, v3
	v_cndmask_b32_e32 v2, v2, v7, vcc
	v_cndmask_b32_e32 v3, v4, v6, vcc
	v_lshlrev_b32_e32 v4, 8, v9
	v_mov_b32_e32 v6, 0x3b800000
	v_lshlrev_b32_e32 v2, 20, v2
	v_and_b32_e32 v4, 0x80000000, v4
	v_lshl_add_u32 v3, v3, 23, v6
	v_or3_b32 v2, v4, v3, v2
.LBB13_1780:
	s_or_b64 exec, exec, s[6:7]
	s_movk_i32 s4, 0xff
	v_and_b32_sdwa v3, v5, s4 dst_sel:DWORD dst_unused:UNUSED_PAD src0_sel:WORD_1 src1_sel:DWORD
	s_movk_i32 s4, 0x7f
	v_cmp_lt_i16_e32 vcc, s4, v3
	s_mov_b64 s[4:5], 0
                                        ; implicit-def: $sgpr10
	s_and_saveexec_b64 s[6:7], vcc
	s_xor_b64 s[6:7], exec, s[6:7]
	s_cbranch_execnz .LBB13_3829
; %bb.1781:
	s_or_saveexec_b64 s[6:7], s[6:7]
	v_mov_b32_e32 v4, s10
	s_xor_b64 exec, exec, s[6:7]
	s_cbranch_execnz .LBB13_3832
.LBB13_1782:
	s_or_b64 exec, exec, s[6:7]
	s_and_saveexec_b64 s[6:7], s[4:5]
	s_cbranch_execz .LBB13_1784
.LBB13_1783:
	v_bfe_u32 v3, v5, 16, 3
	v_ffbh_u32_e32 v7, v3
	v_min_u32_e32 v7, 32, v7
	v_lshrrev_b32_e32 v4, 19, v5
	v_subrev_u32_e32 v8, 28, v7
	v_and_b32_e32 v4, 15, v4
	v_lshlrev_b32_sdwa v8, v8, v5 dst_sel:DWORD dst_unused:UNUSED_PAD src0_sel:DWORD src1_sel:WORD_1
	v_bfe_u32 v6, v5, 19, 4
	v_sub_u32_e32 v7, 29, v7
	v_and_b32_e32 v8, 7, v8
	v_cmp_eq_u16_e32 vcc, 0, v4
	v_cndmask_b32_e32 v3, v3, v8, vcc
	v_cndmask_b32_e32 v4, v6, v7, vcc
	v_lshlrev_b32_e32 v6, 8, v5
	v_mov_b32_e32 v7, 0x3b800000
	v_lshlrev_b32_e32 v3, 20, v3
	v_and_b32_e32 v6, 0x80000000, v6
	v_lshl_add_u32 v4, v4, 23, v7
	v_or3_b32 v4, v6, v4, v3
.LBB13_1784:
	s_or_b64 exec, exec, s[6:7]
	s_nop 0
	v_mfma_f32_16x16x4f32 a[0:3], v2, v4, a[0:3]
	s_movk_i32 s4, 0x7f
	v_cmp_gt_i16_sdwa s[6:7], v9, s4 src0_sel:BYTE_3 src1_sel:DWORD
	s_mov_b64 s[4:5], 0
                                        ; implicit-def: $sgpr10
	s_and_saveexec_b64 s[8:9], s[6:7]
	s_xor_b64 s[6:7], exec, s[8:9]
	s_cbranch_execnz .LBB13_3833
; %bb.1785:
	s_or_saveexec_b64 s[6:7], s[6:7]
	v_mov_b32_e32 v2, s10
	s_xor_b64 exec, exec, s[6:7]
	s_cbranch_execnz .LBB13_3836
.LBB13_1786:
	s_or_b64 exec, exec, s[6:7]
	s_and_saveexec_b64 s[6:7], s[4:5]
	s_cbranch_execz .LBB13_1788
.LBB13_1787:
	v_bfe_u32 v2, v9, 24, 3
	v_ffbh_u32_e32 v7, v2
	v_min_u32_e32 v7, 32, v7
	v_lshrrev_b32_e32 v4, 27, v9
	v_subrev_u32_e32 v8, 28, v7
	v_and_b32_e32 v4, 15, v4
	v_lshlrev_b32_sdwa v8, v8, v9 dst_sel:DWORD dst_unused:UNUSED_PAD src0_sel:DWORD src1_sel:BYTE_3
	v_bfe_u32 v6, v9, 27, 4
	v_sub_u32_e32 v7, 29, v7
	v_and_b32_e32 v8, 7, v8
	v_cmp_eq_u16_e32 vcc, 0, v4
	v_cndmask_b32_e32 v2, v2, v8, vcc
	v_cndmask_b32_e32 v4, v6, v7, vcc
	v_mov_b32_e32 v6, 0x3b800000
	v_and_b32_e32 v3, 0x80000000, v9
	v_lshlrev_b32_e32 v2, 20, v2
	v_lshl_add_u32 v4, v4, 23, v6
	v_or3_b32 v2, v3, v4, v2
.LBB13_1788:
	s_or_b64 exec, exec, s[6:7]
	s_movk_i32 s4, 0x7f
	v_cmp_gt_i16_sdwa s[6:7], v5, s4 src0_sel:BYTE_3 src1_sel:DWORD
	s_mov_b64 s[4:5], 0
                                        ; implicit-def: $sgpr10
	s_and_saveexec_b64 s[8:9], s[6:7]
	s_xor_b64 s[6:7], exec, s[8:9]
	s_cbranch_execnz .LBB13_3837
; %bb.1789:
	s_or_saveexec_b64 s[6:7], s[6:7]
	v_mov_b32_e32 v3, s10
	s_xor_b64 exec, exec, s[6:7]
	s_cbranch_execnz .LBB13_3840
.LBB13_1790:
	s_or_b64 exec, exec, s[6:7]
	s_and_saveexec_b64 s[6:7], s[4:5]
	s_cbranch_execz .LBB13_1792
.LBB13_1791:
	v_bfe_u32 v3, v5, 24, 3
	v_ffbh_u32_e32 v8, v3
	v_min_u32_e32 v8, 32, v8
	v_lshrrev_b32_e32 v6, 27, v5
	v_subrev_u32_e32 v9, 28, v8
	v_and_b32_e32 v4, 0x80000000, v5
	v_and_b32_e32 v6, 15, v6
	v_bfe_u32 v7, v5, 27, 4
	v_lshlrev_b32_sdwa v5, v9, v5 dst_sel:DWORD dst_unused:UNUSED_PAD src0_sel:DWORD src1_sel:BYTE_3
	v_sub_u32_e32 v8, 29, v8
	v_and_b32_e32 v5, 7, v5
	v_cmp_eq_u16_e32 vcc, 0, v6
	v_cndmask_b32_e32 v3, v3, v5, vcc
	v_cndmask_b32_e32 v5, v7, v8, vcc
	v_mov_b32_e32 v6, 0x3b800000
	v_lshlrev_b32_e32 v3, 20, v3
	v_lshl_add_u32 v5, v5, 23, v6
	v_or3_b32 v3, v4, v5, v3
.LBB13_1792:
	s_or_b64 exec, exec, s[6:7]
	s_nop 0
	v_mfma_f32_16x16x4f32 a[0:3], v2, v3, a[0:3]
	s_movk_i32 s4, 0x7f
                                        ; implicit-def: $sgpr10
	s_nop 7
	s_nop 1
	flat_store_dwordx4 v[10:11], a[0:3] offset:208
	flat_load_dwordx4 v[12:15], v[0:1] offset:8
	s_nop 0
	flat_load_dwordx2 v[10:11], v[0:1] offset:32
	s_waitcnt vmcnt(0) lgkmcnt(0)
	flat_load_dwordx4 v[6:9], v[12:13] offset:112
	flat_load_dwordx4 v[2:5], v[14:15] offset:80
	s_waitcnt vmcnt(0) lgkmcnt(0)
	v_cmp_gt_i16_sdwa s[6:7], v6, s4 src0_sel:BYTE_0 src1_sel:DWORD
	s_mov_b64 s[4:5], 0
	s_and_saveexec_b64 s[8:9], s[6:7]
	s_xor_b64 s[6:7], exec, s[8:9]
	s_cbranch_execnz .LBB13_3841
; %bb.1793:
	s_or_saveexec_b64 s[6:7], s[6:7]
	v_mov_b32_e32 v12, s10
	s_xor_b64 exec, exec, s[6:7]
	s_cbranch_execnz .LBB13_3844
.LBB13_1794:
	s_or_b64 exec, exec, s[6:7]
	s_and_saveexec_b64 s[6:7], s[4:5]
	s_cbranch_execz .LBB13_1796
.LBB13_1795:
	v_and_b32_e32 v12, 7, v6
	v_ffbh_u32_e32 v14, v12
	v_min_u32_e32 v14, 32, v14
	v_lshrrev_b16_e32 v13, 3, v6
	v_subrev_u32_e32 v15, 28, v14
	v_and_b32_e32 v13, 15, v13
	v_lshlrev_b32_e32 v15, v15, v6
	v_sub_u32_e32 v14, 29, v14
	v_and_b32_e32 v15, 7, v15
	v_cmp_eq_u16_e32 vcc, 0, v13
	v_cndmask_b32_e32 v12, v12, v15, vcc
	v_cndmask_b32_e32 v13, v13, v14, vcc
	v_lshlrev_b32_e32 v14, 24, v6
	v_mov_b32_e32 v15, 0x3b800000
	v_lshlrev_b32_e32 v12, 20, v12
	v_and_b32_e32 v14, 0x80000000, v14
	v_lshl_add_u32 v13, v13, 23, v15
	v_or3_b32 v12, v14, v13, v12
.LBB13_1796:
	s_or_b64 exec, exec, s[6:7]
	s_movk_i32 s4, 0x7f
	v_cmp_gt_i16_sdwa s[6:7], v2, s4 src0_sel:BYTE_0 src1_sel:DWORD
	s_mov_b64 s[4:5], 0
                                        ; implicit-def: $sgpr10
	s_and_saveexec_b64 s[8:9], s[6:7]
	s_xor_b64 s[6:7], exec, s[8:9]
	s_cbranch_execnz .LBB13_3845
; %bb.1797:
	s_or_saveexec_b64 s[6:7], s[6:7]
	v_mov_b32_e32 v13, s10
	s_xor_b64 exec, exec, s[6:7]
	s_cbranch_execnz .LBB13_3848
.LBB13_1798:
	s_or_b64 exec, exec, s[6:7]
	s_and_saveexec_b64 s[6:7], s[4:5]
	s_cbranch_execz .LBB13_1800
.LBB13_1799:
	v_and_b32_e32 v13, 7, v2
	v_ffbh_u32_e32 v15, v13
	v_min_u32_e32 v15, 32, v15
	v_lshrrev_b16_e32 v14, 3, v2
	v_subrev_u32_e32 v16, 28, v15
	v_and_b32_e32 v14, 15, v14
	v_lshlrev_b32_e32 v16, v16, v2
	v_sub_u32_e32 v15, 29, v15
	v_and_b32_e32 v16, 7, v16
	v_cmp_eq_u16_e32 vcc, 0, v14
	v_cndmask_b32_e32 v13, v13, v16, vcc
	v_cndmask_b32_e32 v14, v14, v15, vcc
	v_lshlrev_b32_e32 v15, 24, v2
	v_mov_b32_e32 v16, 0x3b800000
	v_lshlrev_b32_e32 v13, 20, v13
	v_and_b32_e32 v15, 0x80000000, v15
	v_lshl_add_u32 v14, v14, 23, v16
	v_or3_b32 v13, v15, v14, v13
.LBB13_1800:
	s_or_b64 exec, exec, s[6:7]
	flat_load_dwordx4 a[0:3], v[10:11] offset:224
	s_movk_i32 s4, 0x7f
                                        ; implicit-def: $sgpr10
	s_waitcnt vmcnt(0) lgkmcnt(0)
	v_mfma_f32_16x16x4f32 a[0:3], v12, v13, a[0:3]
	v_lshrrev_b32_e32 v13, 8, v6
	v_cmp_gt_i16_sdwa s[6:7], v13, s4 src0_sel:BYTE_0 src1_sel:DWORD
	s_mov_b64 s[4:5], 0
	s_and_saveexec_b64 s[8:9], s[6:7]
	s_xor_b64 s[6:7], exec, s[8:9]
	s_cbranch_execnz .LBB13_3849
; %bb.1801:
	s_or_saveexec_b64 s[6:7], s[6:7]
	v_mov_b32_e32 v12, s10
	s_xor_b64 exec, exec, s[6:7]
	s_cbranch_execnz .LBB13_3852
.LBB13_1802:
	s_or_b64 exec, exec, s[6:7]
	s_and_saveexec_b64 s[6:7], s[4:5]
	s_cbranch_execz .LBB13_1804
.LBB13_1803:
	v_bfe_u32 v12, v6, 8, 3
	v_ffbh_u32_e32 v15, v12
	v_min_u32_e32 v15, 32, v15
	v_lshrrev_b16_e32 v14, 3, v13
	v_subrev_u32_e32 v16, 28, v15
	v_and_b32_e32 v14, 15, v14
	v_lshlrev_b32_e32 v13, v16, v13
	v_sub_u32_e32 v15, 29, v15
	v_and_b32_e32 v13, 7, v13
	v_cmp_eq_u16_e32 vcc, 0, v14
	v_cndmask_b32_e32 v12, v12, v13, vcc
	v_cndmask_b32_e32 v13, v14, v15, vcc
	v_lshlrev_b32_e32 v14, 16, v6
	v_mov_b32_e32 v15, 0x3b800000
	v_lshlrev_b32_e32 v12, 20, v12
	v_and_b32_e32 v14, 0x80000000, v14
	v_lshl_add_u32 v13, v13, 23, v15
	v_or3_b32 v12, v14, v13, v12
.LBB13_1804:
	s_or_b64 exec, exec, s[6:7]
	v_lshrrev_b32_e32 v13, 8, v2
	s_movk_i32 s4, 0x7f
	v_cmp_gt_i16_sdwa s[6:7], v13, s4 src0_sel:BYTE_0 src1_sel:DWORD
	s_mov_b64 s[4:5], 0
                                        ; implicit-def: $sgpr10
	s_and_saveexec_b64 s[8:9], s[6:7]
	s_xor_b64 s[6:7], exec, s[8:9]
	s_cbranch_execnz .LBB13_3853
; %bb.1805:
	s_or_saveexec_b64 s[6:7], s[6:7]
	v_mov_b32_e32 v14, s10
	s_xor_b64 exec, exec, s[6:7]
	s_cbranch_execnz .LBB13_3856
.LBB13_1806:
	s_or_b64 exec, exec, s[6:7]
	s_and_saveexec_b64 s[6:7], s[4:5]
	s_cbranch_execz .LBB13_1808
.LBB13_1807:
	v_bfe_u32 v14, v2, 8, 3
	v_ffbh_u32_e32 v16, v14
	v_min_u32_e32 v16, 32, v16
	v_lshrrev_b16_e32 v15, 3, v13
	v_subrev_u32_e32 v17, 28, v16
	v_and_b32_e32 v15, 15, v15
	v_lshlrev_b32_e32 v13, v17, v13
	v_sub_u32_e32 v16, 29, v16
	v_and_b32_e32 v13, 7, v13
	v_cmp_eq_u16_e32 vcc, 0, v15
	v_cndmask_b32_e32 v13, v14, v13, vcc
	v_cndmask_b32_e32 v14, v15, v16, vcc
	v_lshlrev_b32_e32 v15, 16, v2
	v_mov_b32_e32 v16, 0x3b800000
	v_lshlrev_b32_e32 v13, 20, v13
	v_and_b32_e32 v15, 0x80000000, v15
	v_lshl_add_u32 v14, v14, 23, v16
	v_or3_b32 v14, v15, v14, v13
.LBB13_1808:
	s_or_b64 exec, exec, s[6:7]
	s_nop 0
	v_mfma_f32_16x16x4f32 a[0:3], v12, v14, a[0:3]
	s_movk_i32 s4, 0xff
	v_and_b32_sdwa v13, v6, s4 dst_sel:DWORD dst_unused:UNUSED_PAD src0_sel:WORD_1 src1_sel:DWORD
	s_movk_i32 s4, 0x7f
	v_cmp_lt_i16_e32 vcc, s4, v13
	s_mov_b64 s[4:5], 0
                                        ; implicit-def: $sgpr10
	s_and_saveexec_b64 s[6:7], vcc
	s_xor_b64 s[6:7], exec, s[6:7]
	s_cbranch_execnz .LBB13_3857
; %bb.1809:
	s_or_saveexec_b64 s[6:7], s[6:7]
	v_mov_b32_e32 v12, s10
	s_xor_b64 exec, exec, s[6:7]
	s_cbranch_execnz .LBB13_3860
.LBB13_1810:
	s_or_b64 exec, exec, s[6:7]
	s_and_saveexec_b64 s[6:7], s[4:5]
	s_cbranch_execz .LBB13_1812
.LBB13_1811:
	v_bfe_u32 v12, v6, 16, 3
	v_ffbh_u32_e32 v15, v12
	v_min_u32_e32 v15, 32, v15
	v_lshrrev_b32_e32 v13, 19, v6
	v_subrev_u32_e32 v16, 28, v15
	v_and_b32_e32 v13, 15, v13
	v_lshlrev_b32_sdwa v16, v16, v6 dst_sel:DWORD dst_unused:UNUSED_PAD src0_sel:DWORD src1_sel:WORD_1
	v_bfe_u32 v14, v6, 19, 4
	v_sub_u32_e32 v15, 29, v15
	v_and_b32_e32 v16, 7, v16
	v_cmp_eq_u16_e32 vcc, 0, v13
	v_cndmask_b32_e32 v12, v12, v16, vcc
	v_cndmask_b32_e32 v13, v14, v15, vcc
	v_lshlrev_b32_e32 v14, 8, v6
	v_mov_b32_e32 v15, 0x3b800000
	v_lshlrev_b32_e32 v12, 20, v12
	v_and_b32_e32 v14, 0x80000000, v14
	v_lshl_add_u32 v13, v13, 23, v15
	v_or3_b32 v12, v14, v13, v12
.LBB13_1812:
	s_or_b64 exec, exec, s[6:7]
	s_movk_i32 s4, 0xff
	v_and_b32_sdwa v13, v2, s4 dst_sel:DWORD dst_unused:UNUSED_PAD src0_sel:WORD_1 src1_sel:DWORD
	s_movk_i32 s4, 0x7f
	v_cmp_lt_i16_e32 vcc, s4, v13
	s_mov_b64 s[4:5], 0
                                        ; implicit-def: $sgpr10
	s_and_saveexec_b64 s[6:7], vcc
	s_xor_b64 s[6:7], exec, s[6:7]
	s_cbranch_execnz .LBB13_3861
; %bb.1813:
	s_or_saveexec_b64 s[6:7], s[6:7]
	v_mov_b32_e32 v14, s10
	s_xor_b64 exec, exec, s[6:7]
	s_cbranch_execnz .LBB13_3864
.LBB13_1814:
	s_or_b64 exec, exec, s[6:7]
	s_and_saveexec_b64 s[6:7], s[4:5]
	s_cbranch_execz .LBB13_1816
.LBB13_1815:
	v_bfe_u32 v13, v2, 16, 3
	v_ffbh_u32_e32 v16, v13
	v_min_u32_e32 v16, 32, v16
	v_lshrrev_b32_e32 v14, 19, v2
	v_subrev_u32_e32 v17, 28, v16
	v_and_b32_e32 v14, 15, v14
	v_lshlrev_b32_sdwa v17, v17, v2 dst_sel:DWORD dst_unused:UNUSED_PAD src0_sel:DWORD src1_sel:WORD_1
	v_bfe_u32 v15, v2, 19, 4
	v_sub_u32_e32 v16, 29, v16
	v_and_b32_e32 v17, 7, v17
	v_cmp_eq_u16_e32 vcc, 0, v14
	v_cndmask_b32_e32 v13, v13, v17, vcc
	v_cndmask_b32_e32 v14, v15, v16, vcc
	v_lshlrev_b32_e32 v15, 8, v2
	v_mov_b32_e32 v16, 0x3b800000
	v_lshlrev_b32_e32 v13, 20, v13
	v_and_b32_e32 v15, 0x80000000, v15
	v_lshl_add_u32 v14, v14, 23, v16
	v_or3_b32 v14, v15, v14, v13
.LBB13_1816:
	s_or_b64 exec, exec, s[6:7]
	s_nop 0
	v_mfma_f32_16x16x4f32 a[0:3], v12, v14, a[0:3]
	s_movk_i32 s4, 0x7f
	v_cmp_gt_i16_sdwa s[6:7], v6, s4 src0_sel:BYTE_3 src1_sel:DWORD
	s_mov_b64 s[4:5], 0
                                        ; implicit-def: $sgpr10
	s_and_saveexec_b64 s[8:9], s[6:7]
	s_xor_b64 s[6:7], exec, s[8:9]
	s_cbranch_execnz .LBB13_3865
; %bb.1817:
	s_or_saveexec_b64 s[6:7], s[6:7]
	v_mov_b32_e32 v12, s10
	s_xor_b64 exec, exec, s[6:7]
	s_cbranch_execnz .LBB13_3868
.LBB13_1818:
	s_or_b64 exec, exec, s[6:7]
	s_and_saveexec_b64 s[6:7], s[4:5]
	s_cbranch_execz .LBB13_1820
.LBB13_1819:
	v_bfe_u32 v12, v6, 24, 3
	v_ffbh_u32_e32 v16, v12
	v_min_u32_e32 v16, 32, v16
	v_lshrrev_b32_e32 v14, 27, v6
	v_subrev_u32_e32 v17, 28, v16
	v_and_b32_e32 v13, 0x80000000, v6
	v_and_b32_e32 v14, 15, v14
	v_bfe_u32 v15, v6, 27, 4
	v_lshlrev_b32_sdwa v6, v17, v6 dst_sel:DWORD dst_unused:UNUSED_PAD src0_sel:DWORD src1_sel:BYTE_3
	v_sub_u32_e32 v16, 29, v16
	v_and_b32_e32 v6, 7, v6
	v_cmp_eq_u16_e32 vcc, 0, v14
	v_cndmask_b32_e32 v6, v12, v6, vcc
	v_cndmask_b32_e32 v12, v15, v16, vcc
	v_mov_b32_e32 v14, 0x3b800000
	v_lshlrev_b32_e32 v6, 20, v6
	v_lshl_add_u32 v12, v12, 23, v14
	v_or3_b32 v12, v13, v12, v6
.LBB13_1820:
	s_or_b64 exec, exec, s[6:7]
	s_movk_i32 s4, 0x7f
	v_cmp_gt_i16_sdwa s[6:7], v2, s4 src0_sel:BYTE_3 src1_sel:DWORD
	s_mov_b64 s[4:5], 0
                                        ; implicit-def: $sgpr10
	s_and_saveexec_b64 s[8:9], s[6:7]
	s_xor_b64 s[6:7], exec, s[8:9]
	s_cbranch_execnz .LBB13_3869
; %bb.1821:
	s_or_saveexec_b64 s[6:7], s[6:7]
	v_mov_b32_e32 v6, s10
	s_xor_b64 exec, exec, s[6:7]
	s_cbranch_execnz .LBB13_3872
.LBB13_1822:
	s_or_b64 exec, exec, s[6:7]
	s_and_saveexec_b64 s[6:7], s[4:5]
	s_cbranch_execz .LBB13_1824
.LBB13_1823:
	v_bfe_u32 v6, v2, 24, 3
	v_ffbh_u32_e32 v16, v6
	v_min_u32_e32 v16, 32, v16
	v_lshrrev_b32_e32 v14, 27, v2
	v_subrev_u32_e32 v17, 28, v16
	v_and_b32_e32 v13, 0x80000000, v2
	v_and_b32_e32 v14, 15, v14
	v_bfe_u32 v15, v2, 27, 4
	v_lshlrev_b32_sdwa v2, v17, v2 dst_sel:DWORD dst_unused:UNUSED_PAD src0_sel:DWORD src1_sel:BYTE_3
	v_sub_u32_e32 v16, 29, v16
	v_and_b32_e32 v2, 7, v2
	v_cmp_eq_u16_e32 vcc, 0, v14
	v_cndmask_b32_e32 v2, v6, v2, vcc
	v_cndmask_b32_e32 v6, v15, v16, vcc
	v_mov_b32_e32 v14, 0x3b800000
	v_lshlrev_b32_e32 v2, 20, v2
	v_lshl_add_u32 v6, v6, 23, v14
	v_or3_b32 v6, v13, v6, v2
.LBB13_1824:
	s_or_b64 exec, exec, s[6:7]
	s_nop 0
	v_mfma_f32_16x16x4f32 a[0:3], v12, v6, a[0:3]
	s_movk_i32 s4, 0x7f
	v_cmp_gt_i16_sdwa s[6:7], v7, s4 src0_sel:BYTE_0 src1_sel:DWORD
	s_mov_b64 s[4:5], 0
                                        ; implicit-def: $sgpr10
	s_and_saveexec_b64 s[8:9], s[6:7]
	s_xor_b64 s[6:7], exec, s[8:9]
	s_cbranch_execnz .LBB13_3873
; %bb.1825:
	s_or_saveexec_b64 s[6:7], s[6:7]
	v_mov_b32_e32 v2, s10
	s_xor_b64 exec, exec, s[6:7]
	s_cbranch_execnz .LBB13_3876
.LBB13_1826:
	s_or_b64 exec, exec, s[6:7]
	s_and_saveexec_b64 s[6:7], s[4:5]
	s_cbranch_execz .LBB13_1828
.LBB13_1827:
	v_and_b32_e32 v2, 7, v7
	v_ffbh_u32_e32 v12, v2
	v_min_u32_e32 v12, 32, v12
	v_lshrrev_b16_e32 v6, 3, v7
	v_subrev_u32_e32 v13, 28, v12
	v_and_b32_e32 v6, 15, v6
	v_lshlrev_b32_e32 v13, v13, v7
	v_sub_u32_e32 v12, 29, v12
	v_and_b32_e32 v13, 7, v13
	v_cmp_eq_u16_e32 vcc, 0, v6
	v_cndmask_b32_e32 v2, v2, v13, vcc
	v_cndmask_b32_e32 v6, v6, v12, vcc
	v_lshlrev_b32_e32 v12, 24, v7
	v_mov_b32_e32 v13, 0x3b800000
	v_lshlrev_b32_e32 v2, 20, v2
	v_and_b32_e32 v12, 0x80000000, v12
	v_lshl_add_u32 v6, v6, 23, v13
	v_or3_b32 v2, v12, v6, v2
.LBB13_1828:
	s_or_b64 exec, exec, s[6:7]
	s_movk_i32 s4, 0x7f
	v_cmp_gt_i16_sdwa s[6:7], v3, s4 src0_sel:BYTE_0 src1_sel:DWORD
	s_mov_b64 s[4:5], 0
                                        ; implicit-def: $sgpr10
	s_and_saveexec_b64 s[8:9], s[6:7]
	s_xor_b64 s[6:7], exec, s[8:9]
	s_cbranch_execnz .LBB13_3877
; %bb.1829:
	s_or_saveexec_b64 s[6:7], s[6:7]
	v_mov_b32_e32 v6, s10
	s_xor_b64 exec, exec, s[6:7]
	s_cbranch_execnz .LBB13_3880
.LBB13_1830:
	s_or_b64 exec, exec, s[6:7]
	s_and_saveexec_b64 s[6:7], s[4:5]
	s_cbranch_execz .LBB13_1832
.LBB13_1831:
	v_and_b32_e32 v6, 7, v3
	v_ffbh_u32_e32 v13, v6
	v_min_u32_e32 v13, 32, v13
	v_lshrrev_b16_e32 v12, 3, v3
	v_subrev_u32_e32 v14, 28, v13
	v_and_b32_e32 v12, 15, v12
	v_lshlrev_b32_e32 v14, v14, v3
	v_sub_u32_e32 v13, 29, v13
	v_and_b32_e32 v14, 7, v14
	v_cmp_eq_u16_e32 vcc, 0, v12
	v_cndmask_b32_e32 v6, v6, v14, vcc
	v_cndmask_b32_e32 v12, v12, v13, vcc
	v_lshlrev_b32_e32 v13, 24, v3
	v_mov_b32_e32 v14, 0x3b800000
	v_lshlrev_b32_e32 v6, 20, v6
	v_and_b32_e32 v13, 0x80000000, v13
	v_lshl_add_u32 v12, v12, 23, v14
	v_or3_b32 v6, v13, v12, v6
.LBB13_1832:
	s_or_b64 exec, exec, s[6:7]
	s_nop 0
	v_mfma_f32_16x16x4f32 a[0:3], v2, v6, a[0:3]
	v_lshrrev_b32_e32 v6, 8, v7
	s_movk_i32 s4, 0x7f
	v_cmp_gt_i16_sdwa s[6:7], v6, s4 src0_sel:BYTE_0 src1_sel:DWORD
	s_mov_b64 s[4:5], 0
                                        ; implicit-def: $sgpr10
	s_and_saveexec_b64 s[8:9], s[6:7]
	s_xor_b64 s[6:7], exec, s[8:9]
	s_cbranch_execnz .LBB13_3881
; %bb.1833:
	s_or_saveexec_b64 s[6:7], s[6:7]
	v_mov_b32_e32 v2, s10
	s_xor_b64 exec, exec, s[6:7]
	s_cbranch_execnz .LBB13_3884
.LBB13_1834:
	s_or_b64 exec, exec, s[6:7]
	s_and_saveexec_b64 s[6:7], s[4:5]
	s_cbranch_execz .LBB13_1836
.LBB13_1835:
	v_bfe_u32 v2, v7, 8, 3
	v_ffbh_u32_e32 v13, v2
	v_min_u32_e32 v13, 32, v13
	v_lshrrev_b16_e32 v12, 3, v6
	v_subrev_u32_e32 v14, 28, v13
	v_and_b32_e32 v12, 15, v12
	v_lshlrev_b32_e32 v6, v14, v6
	v_sub_u32_e32 v13, 29, v13
	v_and_b32_e32 v6, 7, v6
	v_cmp_eq_u16_e32 vcc, 0, v12
	v_cndmask_b32_e32 v2, v2, v6, vcc
	v_cndmask_b32_e32 v6, v12, v13, vcc
	v_lshlrev_b32_e32 v12, 16, v7
	v_mov_b32_e32 v13, 0x3b800000
	v_lshlrev_b32_e32 v2, 20, v2
	v_and_b32_e32 v12, 0x80000000, v12
	v_lshl_add_u32 v6, v6, 23, v13
	v_or3_b32 v2, v12, v6, v2
.LBB13_1836:
	s_or_b64 exec, exec, s[6:7]
	v_lshrrev_b32_e32 v6, 8, v3
	s_movk_i32 s4, 0x7f
	v_cmp_gt_i16_sdwa s[6:7], v6, s4 src0_sel:BYTE_0 src1_sel:DWORD
	s_mov_b64 s[4:5], 0
                                        ; implicit-def: $sgpr10
	s_and_saveexec_b64 s[8:9], s[6:7]
	s_xor_b64 s[6:7], exec, s[8:9]
	s_cbranch_execnz .LBB13_3885
; %bb.1837:
	s_or_saveexec_b64 s[6:7], s[6:7]
	v_mov_b32_e32 v12, s10
	s_xor_b64 exec, exec, s[6:7]
	s_cbranch_execnz .LBB13_3888
.LBB13_1838:
	s_or_b64 exec, exec, s[6:7]
	s_and_saveexec_b64 s[6:7], s[4:5]
	s_cbranch_execz .LBB13_1840
.LBB13_1839:
	v_bfe_u32 v12, v3, 8, 3
	v_ffbh_u32_e32 v14, v12
	v_min_u32_e32 v14, 32, v14
	v_lshrrev_b16_e32 v13, 3, v6
	v_subrev_u32_e32 v15, 28, v14
	v_and_b32_e32 v13, 15, v13
	v_lshlrev_b32_e32 v6, v15, v6
	v_sub_u32_e32 v14, 29, v14
	v_and_b32_e32 v6, 7, v6
	v_cmp_eq_u16_e32 vcc, 0, v13
	v_cndmask_b32_e32 v6, v12, v6, vcc
	v_cndmask_b32_e32 v12, v13, v14, vcc
	v_lshlrev_b32_e32 v13, 16, v3
	v_mov_b32_e32 v14, 0x3b800000
	v_lshlrev_b32_e32 v6, 20, v6
	v_and_b32_e32 v13, 0x80000000, v13
	v_lshl_add_u32 v12, v12, 23, v14
	v_or3_b32 v12, v13, v12, v6
.LBB13_1840:
	s_or_b64 exec, exec, s[6:7]
	s_nop 0
	v_mfma_f32_16x16x4f32 a[0:3], v2, v12, a[0:3]
	s_movk_i32 s4, 0xff
	v_and_b32_sdwa v6, v7, s4 dst_sel:DWORD dst_unused:UNUSED_PAD src0_sel:WORD_1 src1_sel:DWORD
	s_movk_i32 s4, 0x7f
	v_cmp_lt_i16_e32 vcc, s4, v6
	s_mov_b64 s[4:5], 0
                                        ; implicit-def: $sgpr10
	s_and_saveexec_b64 s[6:7], vcc
	s_xor_b64 s[6:7], exec, s[6:7]
	s_cbranch_execnz .LBB13_3889
; %bb.1841:
	s_or_saveexec_b64 s[6:7], s[6:7]
	v_mov_b32_e32 v2, s10
	s_xor_b64 exec, exec, s[6:7]
	s_cbranch_execnz .LBB13_3892
.LBB13_1842:
	s_or_b64 exec, exec, s[6:7]
	s_and_saveexec_b64 s[6:7], s[4:5]
	s_cbranch_execz .LBB13_1844
.LBB13_1843:
	v_bfe_u32 v2, v7, 16, 3
	v_ffbh_u32_e32 v13, v2
	v_min_u32_e32 v13, 32, v13
	v_lshrrev_b32_e32 v6, 19, v7
	v_subrev_u32_e32 v14, 28, v13
	v_and_b32_e32 v6, 15, v6
	v_lshlrev_b32_sdwa v14, v14, v7 dst_sel:DWORD dst_unused:UNUSED_PAD src0_sel:DWORD src1_sel:WORD_1
	v_bfe_u32 v12, v7, 19, 4
	v_sub_u32_e32 v13, 29, v13
	v_and_b32_e32 v14, 7, v14
	v_cmp_eq_u16_e32 vcc, 0, v6
	v_cndmask_b32_e32 v2, v2, v14, vcc
	v_cndmask_b32_e32 v6, v12, v13, vcc
	v_lshlrev_b32_e32 v12, 8, v7
	v_mov_b32_e32 v13, 0x3b800000
	v_lshlrev_b32_e32 v2, 20, v2
	v_and_b32_e32 v12, 0x80000000, v12
	v_lshl_add_u32 v6, v6, 23, v13
	v_or3_b32 v2, v12, v6, v2
.LBB13_1844:
	s_or_b64 exec, exec, s[6:7]
	s_movk_i32 s4, 0xff
	v_and_b32_sdwa v6, v3, s4 dst_sel:DWORD dst_unused:UNUSED_PAD src0_sel:WORD_1 src1_sel:DWORD
	s_movk_i32 s4, 0x7f
	v_cmp_lt_i16_e32 vcc, s4, v6
	s_mov_b64 s[4:5], 0
                                        ; implicit-def: $sgpr10
	s_and_saveexec_b64 s[6:7], vcc
	s_xor_b64 s[6:7], exec, s[6:7]
	s_cbranch_execnz .LBB13_3893
; %bb.1845:
	s_or_saveexec_b64 s[6:7], s[6:7]
	v_mov_b32_e32 v12, s10
	s_xor_b64 exec, exec, s[6:7]
	s_cbranch_execnz .LBB13_3896
.LBB13_1846:
	s_or_b64 exec, exec, s[6:7]
	s_and_saveexec_b64 s[6:7], s[4:5]
	s_cbranch_execz .LBB13_1848
.LBB13_1847:
	v_bfe_u32 v6, v3, 16, 3
	v_ffbh_u32_e32 v14, v6
	v_min_u32_e32 v14, 32, v14
	v_lshrrev_b32_e32 v12, 19, v3
	v_subrev_u32_e32 v15, 28, v14
	v_and_b32_e32 v12, 15, v12
	v_lshlrev_b32_sdwa v15, v15, v3 dst_sel:DWORD dst_unused:UNUSED_PAD src0_sel:DWORD src1_sel:WORD_1
	v_bfe_u32 v13, v3, 19, 4
	v_sub_u32_e32 v14, 29, v14
	v_and_b32_e32 v15, 7, v15
	v_cmp_eq_u16_e32 vcc, 0, v12
	v_cndmask_b32_e32 v6, v6, v15, vcc
	v_cndmask_b32_e32 v12, v13, v14, vcc
	v_lshlrev_b32_e32 v13, 8, v3
	v_mov_b32_e32 v14, 0x3b800000
	v_lshlrev_b32_e32 v6, 20, v6
	v_and_b32_e32 v13, 0x80000000, v13
	v_lshl_add_u32 v12, v12, 23, v14
	v_or3_b32 v12, v13, v12, v6
.LBB13_1848:
	s_or_b64 exec, exec, s[6:7]
	s_nop 0
	v_mfma_f32_16x16x4f32 a[0:3], v2, v12, a[0:3]
	s_movk_i32 s4, 0x7f
	v_cmp_gt_i16_sdwa s[6:7], v7, s4 src0_sel:BYTE_3 src1_sel:DWORD
	s_mov_b64 s[4:5], 0
                                        ; implicit-def: $sgpr10
	s_and_saveexec_b64 s[8:9], s[6:7]
	s_xor_b64 s[6:7], exec, s[8:9]
	s_cbranch_execnz .LBB13_3897
; %bb.1849:
	s_or_saveexec_b64 s[6:7], s[6:7]
	v_mov_b32_e32 v2, s10
	s_xor_b64 exec, exec, s[6:7]
	s_cbranch_execnz .LBB13_3900
.LBB13_1850:
	s_or_b64 exec, exec, s[6:7]
	s_and_saveexec_b64 s[6:7], s[4:5]
	s_cbranch_execz .LBB13_1852
.LBB13_1851:
	v_bfe_u32 v2, v7, 24, 3
	v_ffbh_u32_e32 v14, v2
	v_min_u32_e32 v14, 32, v14
	v_lshrrev_b32_e32 v12, 27, v7
	v_subrev_u32_e32 v15, 28, v14
	v_and_b32_e32 v6, 0x80000000, v7
	v_and_b32_e32 v12, 15, v12
	v_bfe_u32 v13, v7, 27, 4
	v_lshlrev_b32_sdwa v7, v15, v7 dst_sel:DWORD dst_unused:UNUSED_PAD src0_sel:DWORD src1_sel:BYTE_3
	v_sub_u32_e32 v14, 29, v14
	v_and_b32_e32 v7, 7, v7
	v_cmp_eq_u16_e32 vcc, 0, v12
	v_cndmask_b32_e32 v2, v2, v7, vcc
	v_cndmask_b32_e32 v7, v13, v14, vcc
	v_mov_b32_e32 v12, 0x3b800000
	v_lshlrev_b32_e32 v2, 20, v2
	v_lshl_add_u32 v7, v7, 23, v12
	v_or3_b32 v2, v6, v7, v2
.LBB13_1852:
	s_or_b64 exec, exec, s[6:7]
	s_movk_i32 s4, 0x7f
	v_cmp_gt_i16_sdwa s[6:7], v3, s4 src0_sel:BYTE_3 src1_sel:DWORD
	s_mov_b64 s[4:5], 0
                                        ; implicit-def: $sgpr10
	s_and_saveexec_b64 s[8:9], s[6:7]
	s_xor_b64 s[6:7], exec, s[8:9]
	s_cbranch_execnz .LBB13_3901
; %bb.1853:
	s_or_saveexec_b64 s[6:7], s[6:7]
	v_mov_b32_e32 v6, s10
	s_xor_b64 exec, exec, s[6:7]
	s_cbranch_execnz .LBB13_3904
.LBB13_1854:
	s_or_b64 exec, exec, s[6:7]
	s_and_saveexec_b64 s[6:7], s[4:5]
	s_cbranch_execz .LBB13_1856
.LBB13_1855:
	v_bfe_u32 v6, v3, 24, 3
	v_ffbh_u32_e32 v14, v6
	v_min_u32_e32 v14, 32, v14
	v_lshrrev_b32_e32 v12, 27, v3
	v_subrev_u32_e32 v15, 28, v14
	v_and_b32_e32 v7, 0x80000000, v3
	v_and_b32_e32 v12, 15, v12
	v_bfe_u32 v13, v3, 27, 4
	v_lshlrev_b32_sdwa v3, v15, v3 dst_sel:DWORD dst_unused:UNUSED_PAD src0_sel:DWORD src1_sel:BYTE_3
	v_sub_u32_e32 v14, 29, v14
	v_and_b32_e32 v3, 7, v3
	v_cmp_eq_u16_e32 vcc, 0, v12
	v_cndmask_b32_e32 v3, v6, v3, vcc
	v_cndmask_b32_e32 v6, v13, v14, vcc
	v_mov_b32_e32 v12, 0x3b800000
	v_lshlrev_b32_e32 v3, 20, v3
	v_lshl_add_u32 v6, v6, 23, v12
	v_or3_b32 v6, v7, v6, v3
.LBB13_1856:
	s_or_b64 exec, exec, s[6:7]
	s_nop 0
	v_mfma_f32_16x16x4f32 a[0:3], v2, v6, a[0:3]
	s_movk_i32 s4, 0x7f
	v_cmp_gt_i16_sdwa s[6:7], v8, s4 src0_sel:BYTE_0 src1_sel:DWORD
	s_mov_b64 s[4:5], 0
                                        ; implicit-def: $sgpr10
	s_and_saveexec_b64 s[8:9], s[6:7]
	s_xor_b64 s[6:7], exec, s[8:9]
	s_cbranch_execnz .LBB13_3905
; %bb.1857:
	s_or_saveexec_b64 s[6:7], s[6:7]
	v_mov_b32_e32 v2, s10
	s_xor_b64 exec, exec, s[6:7]
	s_cbranch_execnz .LBB13_3908
.LBB13_1858:
	s_or_b64 exec, exec, s[6:7]
	s_and_saveexec_b64 s[6:7], s[4:5]
	s_cbranch_execz .LBB13_1860
.LBB13_1859:
	v_and_b32_e32 v2, 7, v8
	v_ffbh_u32_e32 v6, v2
	v_min_u32_e32 v6, 32, v6
	v_lshrrev_b16_e32 v3, 3, v8
	v_subrev_u32_e32 v7, 28, v6
	v_and_b32_e32 v3, 15, v3
	v_lshlrev_b32_e32 v7, v7, v8
	v_sub_u32_e32 v6, 29, v6
	v_and_b32_e32 v7, 7, v7
	v_cmp_eq_u16_e32 vcc, 0, v3
	v_cndmask_b32_e32 v2, v2, v7, vcc
	v_cndmask_b32_e32 v3, v3, v6, vcc
	v_lshlrev_b32_e32 v6, 24, v8
	v_mov_b32_e32 v7, 0x3b800000
	v_lshlrev_b32_e32 v2, 20, v2
	v_and_b32_e32 v6, 0x80000000, v6
	v_lshl_add_u32 v3, v3, 23, v7
	v_or3_b32 v2, v6, v3, v2
.LBB13_1860:
	s_or_b64 exec, exec, s[6:7]
	s_movk_i32 s4, 0x7f
	v_cmp_gt_i16_sdwa s[6:7], v4, s4 src0_sel:BYTE_0 src1_sel:DWORD
	s_mov_b64 s[4:5], 0
                                        ; implicit-def: $sgpr10
	s_and_saveexec_b64 s[8:9], s[6:7]
	s_xor_b64 s[6:7], exec, s[8:9]
	s_cbranch_execnz .LBB13_3909
; %bb.1861:
	s_or_saveexec_b64 s[6:7], s[6:7]
	v_mov_b32_e32 v3, s10
	s_xor_b64 exec, exec, s[6:7]
	s_cbranch_execnz .LBB13_3912
.LBB13_1862:
	s_or_b64 exec, exec, s[6:7]
	s_and_saveexec_b64 s[6:7], s[4:5]
	s_cbranch_execz .LBB13_1864
.LBB13_1863:
	v_and_b32_e32 v3, 7, v4
	v_ffbh_u32_e32 v7, v3
	v_min_u32_e32 v7, 32, v7
	v_lshrrev_b16_e32 v6, 3, v4
	v_subrev_u32_e32 v12, 28, v7
	v_and_b32_e32 v6, 15, v6
	v_lshlrev_b32_e32 v12, v12, v4
	v_sub_u32_e32 v7, 29, v7
	v_and_b32_e32 v12, 7, v12
	v_cmp_eq_u16_e32 vcc, 0, v6
	v_cndmask_b32_e32 v3, v3, v12, vcc
	v_cndmask_b32_e32 v6, v6, v7, vcc
	v_lshlrev_b32_e32 v7, 24, v4
	v_mov_b32_e32 v12, 0x3b800000
	v_lshlrev_b32_e32 v3, 20, v3
	v_and_b32_e32 v7, 0x80000000, v7
	v_lshl_add_u32 v6, v6, 23, v12
	v_or3_b32 v3, v7, v6, v3
.LBB13_1864:
	s_or_b64 exec, exec, s[6:7]
	s_nop 0
	v_mfma_f32_16x16x4f32 a[0:3], v2, v3, a[0:3]
	v_lshrrev_b32_e32 v3, 8, v8
	s_movk_i32 s4, 0x7f
	v_cmp_gt_i16_sdwa s[6:7], v3, s4 src0_sel:BYTE_0 src1_sel:DWORD
	s_mov_b64 s[4:5], 0
                                        ; implicit-def: $sgpr10
	s_and_saveexec_b64 s[8:9], s[6:7]
	s_xor_b64 s[6:7], exec, s[8:9]
	s_cbranch_execnz .LBB13_3913
; %bb.1865:
	s_or_saveexec_b64 s[6:7], s[6:7]
	v_mov_b32_e32 v2, s10
	s_xor_b64 exec, exec, s[6:7]
	s_cbranch_execnz .LBB13_3916
.LBB13_1866:
	s_or_b64 exec, exec, s[6:7]
	s_and_saveexec_b64 s[6:7], s[4:5]
	s_cbranch_execz .LBB13_1868
.LBB13_1867:
	v_bfe_u32 v2, v8, 8, 3
	v_ffbh_u32_e32 v7, v2
	v_min_u32_e32 v7, 32, v7
	v_lshrrev_b16_e32 v6, 3, v3
	v_subrev_u32_e32 v12, 28, v7
	v_and_b32_e32 v6, 15, v6
	v_lshlrev_b32_e32 v3, v12, v3
	v_sub_u32_e32 v7, 29, v7
	v_and_b32_e32 v3, 7, v3
	v_cmp_eq_u16_e32 vcc, 0, v6
	v_cndmask_b32_e32 v2, v2, v3, vcc
	v_cndmask_b32_e32 v3, v6, v7, vcc
	v_lshlrev_b32_e32 v6, 16, v8
	v_mov_b32_e32 v7, 0x3b800000
	v_lshlrev_b32_e32 v2, 20, v2
	v_and_b32_e32 v6, 0x80000000, v6
	v_lshl_add_u32 v3, v3, 23, v7
	v_or3_b32 v2, v6, v3, v2
.LBB13_1868:
	s_or_b64 exec, exec, s[6:7]
	v_lshrrev_b32_e32 v3, 8, v4
	s_movk_i32 s4, 0x7f
	v_cmp_gt_i16_sdwa s[6:7], v3, s4 src0_sel:BYTE_0 src1_sel:DWORD
	s_mov_b64 s[4:5], 0
                                        ; implicit-def: $sgpr10
	s_and_saveexec_b64 s[8:9], s[6:7]
	s_xor_b64 s[6:7], exec, s[8:9]
	s_cbranch_execnz .LBB13_3917
; %bb.1869:
	s_or_saveexec_b64 s[6:7], s[6:7]
	v_mov_b32_e32 v6, s10
	s_xor_b64 exec, exec, s[6:7]
	s_cbranch_execnz .LBB13_3920
.LBB13_1870:
	s_or_b64 exec, exec, s[6:7]
	s_and_saveexec_b64 s[6:7], s[4:5]
	s_cbranch_execz .LBB13_1872
.LBB13_1871:
	v_bfe_u32 v6, v4, 8, 3
	v_ffbh_u32_e32 v12, v6
	v_min_u32_e32 v12, 32, v12
	v_lshrrev_b16_e32 v7, 3, v3
	v_subrev_u32_e32 v13, 28, v12
	v_and_b32_e32 v7, 15, v7
	v_lshlrev_b32_e32 v3, v13, v3
	v_sub_u32_e32 v12, 29, v12
	v_and_b32_e32 v3, 7, v3
	v_cmp_eq_u16_e32 vcc, 0, v7
	v_cndmask_b32_e32 v3, v6, v3, vcc
	v_cndmask_b32_e32 v6, v7, v12, vcc
	v_lshlrev_b32_e32 v7, 16, v4
	v_mov_b32_e32 v12, 0x3b800000
	v_lshlrev_b32_e32 v3, 20, v3
	v_and_b32_e32 v7, 0x80000000, v7
	v_lshl_add_u32 v6, v6, 23, v12
	v_or3_b32 v6, v7, v6, v3
.LBB13_1872:
	s_or_b64 exec, exec, s[6:7]
	s_nop 0
	v_mfma_f32_16x16x4f32 a[0:3], v2, v6, a[0:3]
	s_movk_i32 s4, 0xff
	v_and_b32_sdwa v3, v8, s4 dst_sel:DWORD dst_unused:UNUSED_PAD src0_sel:WORD_1 src1_sel:DWORD
	s_movk_i32 s4, 0x7f
	v_cmp_lt_i16_e32 vcc, s4, v3
	s_mov_b64 s[4:5], 0
                                        ; implicit-def: $sgpr10
	s_and_saveexec_b64 s[6:7], vcc
	s_xor_b64 s[6:7], exec, s[6:7]
	s_cbranch_execnz .LBB13_3921
; %bb.1873:
	s_or_saveexec_b64 s[6:7], s[6:7]
	v_mov_b32_e32 v2, s10
	s_xor_b64 exec, exec, s[6:7]
	s_cbranch_execnz .LBB13_3924
.LBB13_1874:
	s_or_b64 exec, exec, s[6:7]
	s_and_saveexec_b64 s[6:7], s[4:5]
	s_cbranch_execz .LBB13_1876
.LBB13_1875:
	v_bfe_u32 v2, v8, 16, 3
	v_ffbh_u32_e32 v7, v2
	v_min_u32_e32 v7, 32, v7
	v_lshrrev_b32_e32 v3, 19, v8
	v_subrev_u32_e32 v12, 28, v7
	v_and_b32_e32 v3, 15, v3
	v_lshlrev_b32_sdwa v12, v12, v8 dst_sel:DWORD dst_unused:UNUSED_PAD src0_sel:DWORD src1_sel:WORD_1
	v_bfe_u32 v6, v8, 19, 4
	v_sub_u32_e32 v7, 29, v7
	v_and_b32_e32 v12, 7, v12
	v_cmp_eq_u16_e32 vcc, 0, v3
	v_cndmask_b32_e32 v2, v2, v12, vcc
	v_cndmask_b32_e32 v3, v6, v7, vcc
	v_lshlrev_b32_e32 v6, 8, v8
	v_mov_b32_e32 v7, 0x3b800000
	v_lshlrev_b32_e32 v2, 20, v2
	v_and_b32_e32 v6, 0x80000000, v6
	v_lshl_add_u32 v3, v3, 23, v7
	v_or3_b32 v2, v6, v3, v2
.LBB13_1876:
	s_or_b64 exec, exec, s[6:7]
	s_movk_i32 s4, 0xff
	v_and_b32_sdwa v3, v4, s4 dst_sel:DWORD dst_unused:UNUSED_PAD src0_sel:WORD_1 src1_sel:DWORD
	s_movk_i32 s4, 0x7f
	v_cmp_lt_i16_e32 vcc, s4, v3
	s_mov_b64 s[4:5], 0
                                        ; implicit-def: $sgpr10
	s_and_saveexec_b64 s[6:7], vcc
	s_xor_b64 s[6:7], exec, s[6:7]
	s_cbranch_execnz .LBB13_3925
; %bb.1877:
	s_or_saveexec_b64 s[6:7], s[6:7]
	v_mov_b32_e32 v6, s10
	s_xor_b64 exec, exec, s[6:7]
	s_cbranch_execnz .LBB13_3928
.LBB13_1878:
	s_or_b64 exec, exec, s[6:7]
	s_and_saveexec_b64 s[6:7], s[4:5]
	s_cbranch_execz .LBB13_1880
.LBB13_1879:
	v_bfe_u32 v3, v4, 16, 3
	v_ffbh_u32_e32 v12, v3
	v_min_u32_e32 v12, 32, v12
	v_lshrrev_b32_e32 v6, 19, v4
	v_subrev_u32_e32 v13, 28, v12
	v_and_b32_e32 v6, 15, v6
	v_lshlrev_b32_sdwa v13, v13, v4 dst_sel:DWORD dst_unused:UNUSED_PAD src0_sel:DWORD src1_sel:WORD_1
	v_bfe_u32 v7, v4, 19, 4
	v_sub_u32_e32 v12, 29, v12
	v_and_b32_e32 v13, 7, v13
	v_cmp_eq_u16_e32 vcc, 0, v6
	v_cndmask_b32_e32 v3, v3, v13, vcc
	v_cndmask_b32_e32 v6, v7, v12, vcc
	v_lshlrev_b32_e32 v7, 8, v4
	v_mov_b32_e32 v12, 0x3b800000
	v_lshlrev_b32_e32 v3, 20, v3
	v_and_b32_e32 v7, 0x80000000, v7
	v_lshl_add_u32 v6, v6, 23, v12
	v_or3_b32 v6, v7, v6, v3
.LBB13_1880:
	s_or_b64 exec, exec, s[6:7]
	s_nop 0
	v_mfma_f32_16x16x4f32 a[0:3], v2, v6, a[0:3]
	s_movk_i32 s4, 0x7f
	v_cmp_gt_i16_sdwa s[6:7], v8, s4 src0_sel:BYTE_3 src1_sel:DWORD
	s_mov_b64 s[4:5], 0
                                        ; implicit-def: $sgpr10
	s_and_saveexec_b64 s[8:9], s[6:7]
	s_xor_b64 s[6:7], exec, s[8:9]
	s_cbranch_execnz .LBB13_3929
; %bb.1881:
	s_or_saveexec_b64 s[6:7], s[6:7]
	v_mov_b32_e32 v2, s10
	s_xor_b64 exec, exec, s[6:7]
	s_cbranch_execnz .LBB13_3932
.LBB13_1882:
	s_or_b64 exec, exec, s[6:7]
	s_and_saveexec_b64 s[6:7], s[4:5]
	s_cbranch_execz .LBB13_1884
.LBB13_1883:
	v_bfe_u32 v2, v8, 24, 3
	v_ffbh_u32_e32 v12, v2
	v_min_u32_e32 v12, 32, v12
	v_lshrrev_b32_e32 v6, 27, v8
	v_subrev_u32_e32 v13, 28, v12
	v_and_b32_e32 v3, 0x80000000, v8
	v_and_b32_e32 v6, 15, v6
	v_bfe_u32 v7, v8, 27, 4
	v_lshlrev_b32_sdwa v8, v13, v8 dst_sel:DWORD dst_unused:UNUSED_PAD src0_sel:DWORD src1_sel:BYTE_3
	v_sub_u32_e32 v12, 29, v12
	v_and_b32_e32 v8, 7, v8
	v_cmp_eq_u16_e32 vcc, 0, v6
	v_cndmask_b32_e32 v2, v2, v8, vcc
	v_cndmask_b32_e32 v6, v7, v12, vcc
	v_mov_b32_e32 v7, 0x3b800000
	v_lshlrev_b32_e32 v2, 20, v2
	v_lshl_add_u32 v6, v6, 23, v7
	v_or3_b32 v2, v3, v6, v2
.LBB13_1884:
	s_or_b64 exec, exec, s[6:7]
	s_movk_i32 s4, 0x7f
	v_cmp_gt_i16_sdwa s[6:7], v4, s4 src0_sel:BYTE_3 src1_sel:DWORD
	s_mov_b64 s[4:5], 0
                                        ; implicit-def: $sgpr10
	s_and_saveexec_b64 s[8:9], s[6:7]
	s_xor_b64 s[6:7], exec, s[8:9]
	s_cbranch_execnz .LBB13_3933
; %bb.1885:
	s_or_saveexec_b64 s[6:7], s[6:7]
	v_mov_b32_e32 v3, s10
	s_xor_b64 exec, exec, s[6:7]
	s_cbranch_execnz .LBB13_3936
.LBB13_1886:
	s_or_b64 exec, exec, s[6:7]
	s_and_saveexec_b64 s[6:7], s[4:5]
	s_cbranch_execz .LBB13_1888
.LBB13_1887:
	v_bfe_u32 v3, v4, 24, 3
	v_ffbh_u32_e32 v12, v3
	v_min_u32_e32 v12, 32, v12
	v_lshrrev_b32_e32 v7, 27, v4
	v_subrev_u32_e32 v13, 28, v12
	v_and_b32_e32 v6, 0x80000000, v4
	v_and_b32_e32 v7, 15, v7
	v_bfe_u32 v8, v4, 27, 4
	v_lshlrev_b32_sdwa v4, v13, v4 dst_sel:DWORD dst_unused:UNUSED_PAD src0_sel:DWORD src1_sel:BYTE_3
	v_sub_u32_e32 v12, 29, v12
	v_and_b32_e32 v4, 7, v4
	v_cmp_eq_u16_e32 vcc, 0, v7
	v_cndmask_b32_e32 v3, v3, v4, vcc
	v_cndmask_b32_e32 v4, v8, v12, vcc
	v_mov_b32_e32 v7, 0x3b800000
	v_lshlrev_b32_e32 v3, 20, v3
	v_lshl_add_u32 v4, v4, 23, v7
	v_or3_b32 v3, v6, v4, v3
.LBB13_1888:
	s_or_b64 exec, exec, s[6:7]
	s_nop 0
	v_mfma_f32_16x16x4f32 a[0:3], v2, v3, a[0:3]
	s_movk_i32 s4, 0x7f
	v_cmp_gt_i16_sdwa s[6:7], v9, s4 src0_sel:BYTE_0 src1_sel:DWORD
	s_mov_b64 s[4:5], 0
                                        ; implicit-def: $sgpr10
	s_and_saveexec_b64 s[8:9], s[6:7]
	s_xor_b64 s[6:7], exec, s[8:9]
	s_cbranch_execnz .LBB13_3937
; %bb.1889:
	s_or_saveexec_b64 s[6:7], s[6:7]
	v_mov_b32_e32 v2, s10
	s_xor_b64 exec, exec, s[6:7]
	s_cbranch_execnz .LBB13_3940
.LBB13_1890:
	s_or_b64 exec, exec, s[6:7]
	s_and_saveexec_b64 s[6:7], s[4:5]
	s_cbranch_execz .LBB13_1892
.LBB13_1891:
	v_mov_b32_e32 v2, 8
	v_and_b32_e32 v3, 7, v9
	v_lshrrev_b32_sdwa v2, v2, v9 dst_sel:BYTE_1 dst_unused:UNUSED_PAD src0_sel:DWORD src1_sel:DWORD
	v_ffbh_u32_e32 v4, v3
	v_or_b32_sdwa v2, v9, v2 dst_sel:DWORD dst_unused:UNUSED_PAD src0_sel:BYTE_0 src1_sel:DWORD
	v_min_u32_e32 v4, 32, v4
	v_lshrrev_b16_e32 v2, 3, v2
	v_subrev_u32_e32 v6, 28, v4
	v_and_b32_e32 v2, 15, v2
	v_lshlrev_b32_e32 v6, v6, v9
	v_sub_u32_e32 v4, 29, v4
	v_and_b32_e32 v6, 7, v6
	v_cmp_eq_u16_e32 vcc, 0, v2
	v_cndmask_b32_e32 v3, v3, v6, vcc
	v_cndmask_b32_e32 v2, v2, v4, vcc
	v_lshlrev_b32_e32 v4, 24, v9
	v_mov_b32_e32 v6, 0x3b800000
	v_lshlrev_b32_e32 v3, 20, v3
	v_and_b32_e32 v4, 0x80000000, v4
	v_lshl_add_u32 v2, v2, 23, v6
	v_or3_b32 v2, v4, v2, v3
.LBB13_1892:
	s_or_b64 exec, exec, s[6:7]
	s_movk_i32 s4, 0x7f
	v_cmp_gt_i16_sdwa s[6:7], v5, s4 src0_sel:BYTE_0 src1_sel:DWORD
	s_mov_b64 s[4:5], 0
                                        ; implicit-def: $sgpr10
	s_and_saveexec_b64 s[8:9], s[6:7]
	s_xor_b64 s[6:7], exec, s[8:9]
	s_cbranch_execnz .LBB13_3941
; %bb.1893:
	s_or_saveexec_b64 s[6:7], s[6:7]
	v_mov_b32_e32 v3, s10
	s_xor_b64 exec, exec, s[6:7]
	s_cbranch_execnz .LBB13_3944
.LBB13_1894:
	s_or_b64 exec, exec, s[6:7]
	s_and_saveexec_b64 s[6:7], s[4:5]
	s_cbranch_execz .LBB13_1896
.LBB13_1895:
	v_mov_b32_e32 v3, 8
	v_and_b32_e32 v4, 7, v5
	v_lshrrev_b32_sdwa v3, v3, v5 dst_sel:BYTE_1 dst_unused:UNUSED_PAD src0_sel:DWORD src1_sel:DWORD
	v_ffbh_u32_e32 v6, v4
	v_or_b32_sdwa v3, v5, v3 dst_sel:DWORD dst_unused:UNUSED_PAD src0_sel:BYTE_0 src1_sel:DWORD
	v_min_u32_e32 v6, 32, v6
	v_lshrrev_b16_e32 v3, 3, v3
	v_subrev_u32_e32 v7, 28, v6
	v_and_b32_e32 v3, 15, v3
	v_lshlrev_b32_e32 v7, v7, v5
	v_sub_u32_e32 v6, 29, v6
	v_and_b32_e32 v7, 7, v7
	v_cmp_eq_u16_e32 vcc, 0, v3
	v_cndmask_b32_e32 v4, v4, v7, vcc
	v_cndmask_b32_e32 v3, v3, v6, vcc
	v_lshlrev_b32_e32 v6, 24, v5
	v_mov_b32_e32 v7, 0x3b800000
	v_lshlrev_b32_e32 v4, 20, v4
	v_and_b32_e32 v6, 0x80000000, v6
	v_lshl_add_u32 v3, v3, 23, v7
	v_or3_b32 v3, v6, v3, v4
.LBB13_1896:
	s_or_b64 exec, exec, s[6:7]
	s_nop 0
	v_mfma_f32_16x16x4f32 a[0:3], v2, v3, a[0:3]
	v_lshrrev_b32_e32 v3, 8, v9
	s_movk_i32 s4, 0x7f
	v_cmp_gt_i16_sdwa s[6:7], v3, s4 src0_sel:BYTE_0 src1_sel:DWORD
	s_mov_b64 s[4:5], 0
                                        ; implicit-def: $sgpr10
	s_and_saveexec_b64 s[8:9], s[6:7]
	s_xor_b64 s[6:7], exec, s[8:9]
	s_cbranch_execnz .LBB13_3945
; %bb.1897:
	s_or_saveexec_b64 s[6:7], s[6:7]
	v_mov_b32_e32 v2, s10
	s_xor_b64 exec, exec, s[6:7]
	s_cbranch_execnz .LBB13_3948
.LBB13_1898:
	s_or_b64 exec, exec, s[6:7]
	s_and_saveexec_b64 s[6:7], s[4:5]
	s_cbranch_execz .LBB13_1900
.LBB13_1899:
	v_bfe_u32 v2, v9, 8, 3
	v_ffbh_u32_e32 v6, v2
	v_min_u32_e32 v6, 32, v6
	v_lshrrev_b16_e32 v4, 3, v3
	v_subrev_u32_e32 v7, 28, v6
	v_and_b32_e32 v4, 15, v4
	v_lshlrev_b32_e32 v3, v7, v3
	v_sub_u32_e32 v6, 29, v6
	v_and_b32_e32 v3, 7, v3
	v_cmp_eq_u16_e32 vcc, 0, v4
	v_cndmask_b32_e32 v2, v2, v3, vcc
	v_cndmask_b32_e32 v3, v4, v6, vcc
	v_lshlrev_b32_e32 v4, 16, v9
	v_mov_b32_e32 v6, 0x3b800000
	v_lshlrev_b32_e32 v2, 20, v2
	v_and_b32_e32 v4, 0x80000000, v4
	v_lshl_add_u32 v3, v3, 23, v6
	v_or3_b32 v2, v4, v3, v2
.LBB13_1900:
	s_or_b64 exec, exec, s[6:7]
	v_lshrrev_b32_e32 v3, 8, v5
	s_movk_i32 s4, 0x7f
	v_cmp_gt_i16_sdwa s[6:7], v3, s4 src0_sel:BYTE_0 src1_sel:DWORD
	s_mov_b64 s[4:5], 0
                                        ; implicit-def: $sgpr10
	s_and_saveexec_b64 s[8:9], s[6:7]
	s_xor_b64 s[6:7], exec, s[8:9]
	s_cbranch_execnz .LBB13_3949
; %bb.1901:
	s_or_saveexec_b64 s[6:7], s[6:7]
	v_mov_b32_e32 v4, s10
	s_xor_b64 exec, exec, s[6:7]
	s_cbranch_execnz .LBB13_3952
.LBB13_1902:
	s_or_b64 exec, exec, s[6:7]
	s_and_saveexec_b64 s[6:7], s[4:5]
	s_cbranch_execz .LBB13_1904
.LBB13_1903:
	v_bfe_u32 v4, v5, 8, 3
	v_ffbh_u32_e32 v7, v4
	v_min_u32_e32 v7, 32, v7
	v_lshrrev_b16_e32 v6, 3, v3
	v_subrev_u32_e32 v8, 28, v7
	v_and_b32_e32 v6, 15, v6
	v_lshlrev_b32_e32 v3, v8, v3
	v_sub_u32_e32 v7, 29, v7
	v_and_b32_e32 v3, 7, v3
	v_cmp_eq_u16_e32 vcc, 0, v6
	v_cndmask_b32_e32 v3, v4, v3, vcc
	v_cndmask_b32_e32 v4, v6, v7, vcc
	v_lshlrev_b32_e32 v6, 16, v5
	v_mov_b32_e32 v7, 0x3b800000
	v_lshlrev_b32_e32 v3, 20, v3
	v_and_b32_e32 v6, 0x80000000, v6
	v_lshl_add_u32 v4, v4, 23, v7
	v_or3_b32 v4, v6, v4, v3
.LBB13_1904:
	s_or_b64 exec, exec, s[6:7]
	s_nop 0
	v_mfma_f32_16x16x4f32 a[0:3], v2, v4, a[0:3]
	s_movk_i32 s4, 0xff
	v_and_b32_sdwa v3, v9, s4 dst_sel:DWORD dst_unused:UNUSED_PAD src0_sel:WORD_1 src1_sel:DWORD
	s_movk_i32 s4, 0x7f
	v_cmp_lt_i16_e32 vcc, s4, v3
	s_mov_b64 s[4:5], 0
                                        ; implicit-def: $sgpr10
	s_and_saveexec_b64 s[6:7], vcc
	s_xor_b64 s[6:7], exec, s[6:7]
	s_cbranch_execnz .LBB13_3953
; %bb.1905:
	s_or_saveexec_b64 s[6:7], s[6:7]
	v_mov_b32_e32 v2, s10
	s_xor_b64 exec, exec, s[6:7]
	s_cbranch_execnz .LBB13_3956
.LBB13_1906:
	s_or_b64 exec, exec, s[6:7]
	s_and_saveexec_b64 s[6:7], s[4:5]
	s_cbranch_execz .LBB13_1908
.LBB13_1907:
	v_bfe_u32 v2, v9, 16, 3
	v_ffbh_u32_e32 v6, v2
	v_min_u32_e32 v6, 32, v6
	v_lshrrev_b32_e32 v3, 19, v9
	v_subrev_u32_e32 v7, 28, v6
	v_and_b32_e32 v3, 15, v3
	v_lshlrev_b32_sdwa v7, v7, v9 dst_sel:DWORD dst_unused:UNUSED_PAD src0_sel:DWORD src1_sel:WORD_1
	v_bfe_u32 v4, v9, 19, 4
	v_sub_u32_e32 v6, 29, v6
	v_and_b32_e32 v7, 7, v7
	v_cmp_eq_u16_e32 vcc, 0, v3
	v_cndmask_b32_e32 v2, v2, v7, vcc
	v_cndmask_b32_e32 v3, v4, v6, vcc
	v_lshlrev_b32_e32 v4, 8, v9
	v_mov_b32_e32 v6, 0x3b800000
	v_lshlrev_b32_e32 v2, 20, v2
	v_and_b32_e32 v4, 0x80000000, v4
	v_lshl_add_u32 v3, v3, 23, v6
	v_or3_b32 v2, v4, v3, v2
.LBB13_1908:
	s_or_b64 exec, exec, s[6:7]
	s_movk_i32 s4, 0xff
	v_and_b32_sdwa v3, v5, s4 dst_sel:DWORD dst_unused:UNUSED_PAD src0_sel:WORD_1 src1_sel:DWORD
	s_movk_i32 s4, 0x7f
	v_cmp_lt_i16_e32 vcc, s4, v3
	s_mov_b64 s[4:5], 0
                                        ; implicit-def: $sgpr10
	s_and_saveexec_b64 s[6:7], vcc
	s_xor_b64 s[6:7], exec, s[6:7]
	s_cbranch_execnz .LBB13_3957
; %bb.1909:
	s_or_saveexec_b64 s[6:7], s[6:7]
	v_mov_b32_e32 v4, s10
	s_xor_b64 exec, exec, s[6:7]
	s_cbranch_execnz .LBB13_3960
.LBB13_1910:
	s_or_b64 exec, exec, s[6:7]
	s_and_saveexec_b64 s[6:7], s[4:5]
	s_cbranch_execz .LBB13_1912
.LBB13_1911:
	v_bfe_u32 v3, v5, 16, 3
	v_ffbh_u32_e32 v7, v3
	v_min_u32_e32 v7, 32, v7
	v_lshrrev_b32_e32 v4, 19, v5
	v_subrev_u32_e32 v8, 28, v7
	v_and_b32_e32 v4, 15, v4
	v_lshlrev_b32_sdwa v8, v8, v5 dst_sel:DWORD dst_unused:UNUSED_PAD src0_sel:DWORD src1_sel:WORD_1
	v_bfe_u32 v6, v5, 19, 4
	v_sub_u32_e32 v7, 29, v7
	v_and_b32_e32 v8, 7, v8
	v_cmp_eq_u16_e32 vcc, 0, v4
	v_cndmask_b32_e32 v3, v3, v8, vcc
	v_cndmask_b32_e32 v4, v6, v7, vcc
	v_lshlrev_b32_e32 v6, 8, v5
	v_mov_b32_e32 v7, 0x3b800000
	v_lshlrev_b32_e32 v3, 20, v3
	v_and_b32_e32 v6, 0x80000000, v6
	v_lshl_add_u32 v4, v4, 23, v7
	v_or3_b32 v4, v6, v4, v3
.LBB13_1912:
	s_or_b64 exec, exec, s[6:7]
	s_nop 0
	v_mfma_f32_16x16x4f32 a[0:3], v2, v4, a[0:3]
	s_movk_i32 s4, 0x7f
	v_cmp_gt_i16_sdwa s[6:7], v9, s4 src0_sel:BYTE_3 src1_sel:DWORD
	s_mov_b64 s[4:5], 0
                                        ; implicit-def: $sgpr10
	s_and_saveexec_b64 s[8:9], s[6:7]
	s_xor_b64 s[6:7], exec, s[8:9]
	s_cbranch_execnz .LBB13_3961
; %bb.1913:
	s_or_saveexec_b64 s[6:7], s[6:7]
	v_mov_b32_e32 v2, s10
	s_xor_b64 exec, exec, s[6:7]
	s_cbranch_execnz .LBB13_3964
.LBB13_1914:
	s_or_b64 exec, exec, s[6:7]
	s_and_saveexec_b64 s[6:7], s[4:5]
	s_cbranch_execz .LBB13_1916
.LBB13_1915:
	v_bfe_u32 v2, v9, 24, 3
	v_ffbh_u32_e32 v7, v2
	v_min_u32_e32 v7, 32, v7
	v_lshrrev_b32_e32 v4, 27, v9
	v_subrev_u32_e32 v8, 28, v7
	v_and_b32_e32 v4, 15, v4
	v_lshlrev_b32_sdwa v8, v8, v9 dst_sel:DWORD dst_unused:UNUSED_PAD src0_sel:DWORD src1_sel:BYTE_3
	v_bfe_u32 v6, v9, 27, 4
	v_sub_u32_e32 v7, 29, v7
	v_and_b32_e32 v8, 7, v8
	v_cmp_eq_u16_e32 vcc, 0, v4
	v_cndmask_b32_e32 v2, v2, v8, vcc
	v_cndmask_b32_e32 v4, v6, v7, vcc
	v_mov_b32_e32 v6, 0x3b800000
	v_and_b32_e32 v3, 0x80000000, v9
	v_lshlrev_b32_e32 v2, 20, v2
	v_lshl_add_u32 v4, v4, 23, v6
	v_or3_b32 v2, v3, v4, v2
.LBB13_1916:
	s_or_b64 exec, exec, s[6:7]
	s_movk_i32 s4, 0x7f
	v_cmp_gt_i16_sdwa s[6:7], v5, s4 src0_sel:BYTE_3 src1_sel:DWORD
	s_mov_b64 s[4:5], 0
                                        ; implicit-def: $sgpr10
	s_and_saveexec_b64 s[8:9], s[6:7]
	s_xor_b64 s[6:7], exec, s[8:9]
	s_cbranch_execnz .LBB13_3965
; %bb.1917:
	s_or_saveexec_b64 s[6:7], s[6:7]
	v_mov_b32_e32 v3, s10
	s_xor_b64 exec, exec, s[6:7]
	s_cbranch_execnz .LBB13_3968
.LBB13_1918:
	s_or_b64 exec, exec, s[6:7]
	s_and_saveexec_b64 s[6:7], s[4:5]
	s_cbranch_execz .LBB13_1920
.LBB13_1919:
	v_bfe_u32 v3, v5, 24, 3
	v_ffbh_u32_e32 v8, v3
	v_min_u32_e32 v8, 32, v8
	v_lshrrev_b32_e32 v6, 27, v5
	v_subrev_u32_e32 v9, 28, v8
	v_and_b32_e32 v4, 0x80000000, v5
	v_and_b32_e32 v6, 15, v6
	v_bfe_u32 v7, v5, 27, 4
	v_lshlrev_b32_sdwa v5, v9, v5 dst_sel:DWORD dst_unused:UNUSED_PAD src0_sel:DWORD src1_sel:BYTE_3
	v_sub_u32_e32 v8, 29, v8
	v_and_b32_e32 v5, 7, v5
	v_cmp_eq_u16_e32 vcc, 0, v6
	v_cndmask_b32_e32 v3, v3, v5, vcc
	v_cndmask_b32_e32 v5, v7, v8, vcc
	v_mov_b32_e32 v6, 0x3b800000
	v_lshlrev_b32_e32 v3, 20, v3
	v_lshl_add_u32 v5, v5, 23, v6
	v_or3_b32 v3, v4, v5, v3
.LBB13_1920:
	s_or_b64 exec, exec, s[6:7]
	s_nop 0
	v_mfma_f32_16x16x4f32 a[0:3], v2, v3, a[0:3]
	s_nop 7
	s_nop 2
	flat_store_dwordx4 v[10:11], a[0:3] offset:224
	flat_load_dwordx4 v[10:13], v[0:1] offset:8
	s_waitcnt vmcnt(0) lgkmcnt(0)
	flat_load_dwordx4 v[6:9], v[10:11] offset:112
	flat_load_dwordx4 v[2:5], v[12:13] offset:112
	; sched_barrier mask(0x00000000)
	s_waitcnt lgkmcnt(0)
	s_barrier
	; sched_barrier mask(0x00000000)
	flat_load_dwordx2 v[0:1], v[0:1] offset:32
	s_movk_i32 s4, 0x7f
	s_waitcnt vmcnt(0)
	v_cmp_gt_i16_sdwa s[6:7], v6, s4 src0_sel:BYTE_0 src1_sel:DWORD
	s_mov_b64 s[4:5], 0
                                        ; implicit-def: $sgpr10
	s_and_saveexec_b64 s[8:9], s[6:7]
	s_xor_b64 s[6:7], exec, s[8:9]
	s_cbranch_execnz .LBB13_3969
; %bb.1921:
	s_or_saveexec_b64 s[6:7], s[6:7]
	v_mov_b32_e32 v10, s10
	s_xor_b64 exec, exec, s[6:7]
	s_cbranch_execnz .LBB13_3972
.LBB13_1922:
	s_or_b64 exec, exec, s[6:7]
	s_and_saveexec_b64 s[6:7], s[4:5]
	s_cbranch_execz .LBB13_1924
.LBB13_1923:
	v_and_b32_e32 v10, 7, v6
	v_ffbh_u32_e32 v12, v10
	v_min_u32_e32 v12, 32, v12
	v_lshrrev_b16_e32 v11, 3, v6
	v_subrev_u32_e32 v13, 28, v12
	v_and_b32_e32 v11, 15, v11
	v_lshlrev_b32_e32 v13, v13, v6
	v_sub_u32_e32 v12, 29, v12
	v_and_b32_e32 v13, 7, v13
	v_cmp_eq_u16_e32 vcc, 0, v11
	v_cndmask_b32_e32 v10, v10, v13, vcc
	v_cndmask_b32_e32 v11, v11, v12, vcc
	v_lshlrev_b32_e32 v12, 24, v6
	v_mov_b32_e32 v13, 0x3b800000
	v_lshlrev_b32_e32 v10, 20, v10
	v_and_b32_e32 v12, 0x80000000, v12
	v_lshl_add_u32 v11, v11, 23, v13
	v_or3_b32 v10, v12, v11, v10
.LBB13_1924:
	s_or_b64 exec, exec, s[6:7]
	s_movk_i32 s4, 0x7f
	v_cmp_gt_i16_sdwa s[6:7], v2, s4 src0_sel:BYTE_0 src1_sel:DWORD
	s_mov_b64 s[4:5], 0
                                        ; implicit-def: $sgpr10
	s_and_saveexec_b64 s[8:9], s[6:7]
	s_xor_b64 s[6:7], exec, s[8:9]
	s_cbranch_execnz .LBB13_3973
; %bb.1925:
	s_or_saveexec_b64 s[6:7], s[6:7]
	v_mov_b32_e32 v11, s10
	s_xor_b64 exec, exec, s[6:7]
	s_cbranch_execnz .LBB13_3976
.LBB13_1926:
	s_or_b64 exec, exec, s[6:7]
	s_and_saveexec_b64 s[6:7], s[4:5]
	s_cbranch_execz .LBB13_1928
.LBB13_1927:
	v_and_b32_e32 v11, 7, v2
	v_ffbh_u32_e32 v13, v11
	v_min_u32_e32 v13, 32, v13
	v_lshrrev_b16_e32 v12, 3, v2
	v_subrev_u32_e32 v14, 28, v13
	v_and_b32_e32 v12, 15, v12
	v_lshlrev_b32_e32 v14, v14, v2
	v_sub_u32_e32 v13, 29, v13
	v_and_b32_e32 v14, 7, v14
	v_cmp_eq_u16_e32 vcc, 0, v12
	v_cndmask_b32_e32 v11, v11, v14, vcc
	v_cndmask_b32_e32 v12, v12, v13, vcc
	v_lshlrev_b32_e32 v13, 24, v2
	v_mov_b32_e32 v14, 0x3b800000
	v_lshlrev_b32_e32 v11, 20, v11
	v_and_b32_e32 v13, 0x80000000, v13
	v_lshl_add_u32 v12, v12, 23, v14
	v_or3_b32 v11, v13, v12, v11
.LBB13_1928:
	s_or_b64 exec, exec, s[6:7]
	s_waitcnt lgkmcnt(0)
	flat_load_dwordx4 a[0:3], v[0:1] offset:240
	s_movk_i32 s4, 0x7f
                                        ; implicit-def: $sgpr10
	s_waitcnt vmcnt(0) lgkmcnt(0)
	v_mfma_f32_16x16x4f32 a[0:3], v10, v11, a[0:3]
	v_lshrrev_b32_e32 v11, 8, v6
	v_cmp_gt_i16_sdwa s[6:7], v11, s4 src0_sel:BYTE_0 src1_sel:DWORD
	s_mov_b64 s[4:5], 0
	s_and_saveexec_b64 s[8:9], s[6:7]
	s_xor_b64 s[6:7], exec, s[8:9]
	s_cbranch_execnz .LBB13_3977
; %bb.1929:
	s_or_saveexec_b64 s[6:7], s[6:7]
	v_mov_b32_e32 v10, s10
	s_xor_b64 exec, exec, s[6:7]
	s_cbranch_execnz .LBB13_3980
.LBB13_1930:
	s_or_b64 exec, exec, s[6:7]
	s_and_saveexec_b64 s[6:7], s[4:5]
	s_cbranch_execz .LBB13_1932
.LBB13_1931:
	v_bfe_u32 v10, v6, 8, 3
	v_ffbh_u32_e32 v13, v10
	v_min_u32_e32 v13, 32, v13
	v_lshrrev_b16_e32 v12, 3, v11
	v_subrev_u32_e32 v14, 28, v13
	v_and_b32_e32 v12, 15, v12
	v_lshlrev_b32_e32 v11, v14, v11
	v_sub_u32_e32 v13, 29, v13
	v_and_b32_e32 v11, 7, v11
	v_cmp_eq_u16_e32 vcc, 0, v12
	v_cndmask_b32_e32 v10, v10, v11, vcc
	v_cndmask_b32_e32 v11, v12, v13, vcc
	v_lshlrev_b32_e32 v12, 16, v6
	v_mov_b32_e32 v13, 0x3b800000
	v_lshlrev_b32_e32 v10, 20, v10
	v_and_b32_e32 v12, 0x80000000, v12
	v_lshl_add_u32 v11, v11, 23, v13
	v_or3_b32 v10, v12, v11, v10
.LBB13_1932:
	s_or_b64 exec, exec, s[6:7]
	v_lshrrev_b32_e32 v11, 8, v2
	s_movk_i32 s4, 0x7f
	v_cmp_gt_i16_sdwa s[6:7], v11, s4 src0_sel:BYTE_0 src1_sel:DWORD
	s_mov_b64 s[4:5], 0
                                        ; implicit-def: $sgpr10
	s_and_saveexec_b64 s[8:9], s[6:7]
	s_xor_b64 s[6:7], exec, s[8:9]
	s_cbranch_execnz .LBB13_3981
; %bb.1933:
	s_or_saveexec_b64 s[6:7], s[6:7]
	v_mov_b32_e32 v12, s10
	s_xor_b64 exec, exec, s[6:7]
	s_cbranch_execnz .LBB13_3984
.LBB13_1934:
	s_or_b64 exec, exec, s[6:7]
	s_and_saveexec_b64 s[6:7], s[4:5]
	s_cbranch_execz .LBB13_1936
.LBB13_1935:
	v_bfe_u32 v12, v2, 8, 3
	v_ffbh_u32_e32 v14, v12
	v_min_u32_e32 v14, 32, v14
	v_lshrrev_b16_e32 v13, 3, v11
	v_subrev_u32_e32 v15, 28, v14
	v_and_b32_e32 v13, 15, v13
	v_lshlrev_b32_e32 v11, v15, v11
	v_sub_u32_e32 v14, 29, v14
	v_and_b32_e32 v11, 7, v11
	v_cmp_eq_u16_e32 vcc, 0, v13
	v_cndmask_b32_e32 v11, v12, v11, vcc
	v_cndmask_b32_e32 v12, v13, v14, vcc
	v_lshlrev_b32_e32 v13, 16, v2
	v_mov_b32_e32 v14, 0x3b800000
	v_lshlrev_b32_e32 v11, 20, v11
	v_and_b32_e32 v13, 0x80000000, v13
	v_lshl_add_u32 v12, v12, 23, v14
	v_or3_b32 v12, v13, v12, v11
.LBB13_1936:
	s_or_b64 exec, exec, s[6:7]
	s_nop 0
	v_mfma_f32_16x16x4f32 a[0:3], v10, v12, a[0:3]
	s_movk_i32 s4, 0xff
	v_and_b32_sdwa v11, v6, s4 dst_sel:DWORD dst_unused:UNUSED_PAD src0_sel:WORD_1 src1_sel:DWORD
	s_movk_i32 s4, 0x7f
	v_cmp_lt_i16_e32 vcc, s4, v11
	s_mov_b64 s[4:5], 0
                                        ; implicit-def: $sgpr10
	s_and_saveexec_b64 s[6:7], vcc
	s_xor_b64 s[6:7], exec, s[6:7]
	s_cbranch_execnz .LBB13_3985
; %bb.1937:
	s_or_saveexec_b64 s[6:7], s[6:7]
	v_mov_b32_e32 v10, s10
	s_xor_b64 exec, exec, s[6:7]
	s_cbranch_execnz .LBB13_3988
.LBB13_1938:
	s_or_b64 exec, exec, s[6:7]
	s_and_saveexec_b64 s[6:7], s[4:5]
	s_cbranch_execz .LBB13_1940
.LBB13_1939:
	v_bfe_u32 v10, v6, 16, 3
	v_ffbh_u32_e32 v13, v10
	v_min_u32_e32 v13, 32, v13
	v_lshrrev_b32_e32 v11, 19, v6
	v_subrev_u32_e32 v14, 28, v13
	v_and_b32_e32 v11, 15, v11
	v_lshlrev_b32_sdwa v14, v14, v6 dst_sel:DWORD dst_unused:UNUSED_PAD src0_sel:DWORD src1_sel:WORD_1
	v_bfe_u32 v12, v6, 19, 4
	v_sub_u32_e32 v13, 29, v13
	v_and_b32_e32 v14, 7, v14
	v_cmp_eq_u16_e32 vcc, 0, v11
	v_cndmask_b32_e32 v10, v10, v14, vcc
	v_cndmask_b32_e32 v11, v12, v13, vcc
	v_lshlrev_b32_e32 v12, 8, v6
	v_mov_b32_e32 v13, 0x3b800000
	v_lshlrev_b32_e32 v10, 20, v10
	v_and_b32_e32 v12, 0x80000000, v12
	v_lshl_add_u32 v11, v11, 23, v13
	v_or3_b32 v10, v12, v11, v10
.LBB13_1940:
	s_or_b64 exec, exec, s[6:7]
	s_movk_i32 s4, 0xff
	v_and_b32_sdwa v11, v2, s4 dst_sel:DWORD dst_unused:UNUSED_PAD src0_sel:WORD_1 src1_sel:DWORD
	s_movk_i32 s4, 0x7f
	v_cmp_lt_i16_e32 vcc, s4, v11
	s_mov_b64 s[4:5], 0
                                        ; implicit-def: $sgpr10
	s_and_saveexec_b64 s[6:7], vcc
	s_xor_b64 s[6:7], exec, s[6:7]
	s_cbranch_execnz .LBB13_3989
; %bb.1941:
	s_or_saveexec_b64 s[6:7], s[6:7]
	v_mov_b32_e32 v12, s10
	s_xor_b64 exec, exec, s[6:7]
	s_cbranch_execnz .LBB13_3992
.LBB13_1942:
	s_or_b64 exec, exec, s[6:7]
	s_and_saveexec_b64 s[6:7], s[4:5]
	s_cbranch_execz .LBB13_1944
.LBB13_1943:
	v_bfe_u32 v11, v2, 16, 3
	v_ffbh_u32_e32 v14, v11
	v_min_u32_e32 v14, 32, v14
	v_lshrrev_b32_e32 v12, 19, v2
	v_subrev_u32_e32 v15, 28, v14
	v_and_b32_e32 v12, 15, v12
	v_lshlrev_b32_sdwa v15, v15, v2 dst_sel:DWORD dst_unused:UNUSED_PAD src0_sel:DWORD src1_sel:WORD_1
	v_bfe_u32 v13, v2, 19, 4
	v_sub_u32_e32 v14, 29, v14
	v_and_b32_e32 v15, 7, v15
	v_cmp_eq_u16_e32 vcc, 0, v12
	v_cndmask_b32_e32 v11, v11, v15, vcc
	v_cndmask_b32_e32 v12, v13, v14, vcc
	v_lshlrev_b32_e32 v13, 8, v2
	v_mov_b32_e32 v14, 0x3b800000
	v_lshlrev_b32_e32 v11, 20, v11
	v_and_b32_e32 v13, 0x80000000, v13
	v_lshl_add_u32 v12, v12, 23, v14
	v_or3_b32 v12, v13, v12, v11
.LBB13_1944:
	s_or_b64 exec, exec, s[6:7]
	s_nop 0
	v_mfma_f32_16x16x4f32 a[0:3], v10, v12, a[0:3]
	s_movk_i32 s4, 0x7f
	v_cmp_gt_i16_sdwa s[6:7], v6, s4 src0_sel:BYTE_3 src1_sel:DWORD
	s_mov_b64 s[4:5], 0
                                        ; implicit-def: $sgpr10
	s_and_saveexec_b64 s[8:9], s[6:7]
	s_xor_b64 s[6:7], exec, s[8:9]
	s_cbranch_execnz .LBB13_3993
; %bb.1945:
	s_or_saveexec_b64 s[6:7], s[6:7]
	v_mov_b32_e32 v10, s10
	s_xor_b64 exec, exec, s[6:7]
	s_cbranch_execnz .LBB13_3996
.LBB13_1946:
	s_or_b64 exec, exec, s[6:7]
	s_and_saveexec_b64 s[6:7], s[4:5]
	s_cbranch_execz .LBB13_1948
.LBB13_1947:
	v_bfe_u32 v10, v6, 24, 3
	v_ffbh_u32_e32 v14, v10
	v_min_u32_e32 v14, 32, v14
	v_lshrrev_b32_e32 v12, 27, v6
	v_subrev_u32_e32 v15, 28, v14
	v_and_b32_e32 v11, 0x80000000, v6
	v_and_b32_e32 v12, 15, v12
	v_bfe_u32 v13, v6, 27, 4
	v_lshlrev_b32_sdwa v6, v15, v6 dst_sel:DWORD dst_unused:UNUSED_PAD src0_sel:DWORD src1_sel:BYTE_3
	v_sub_u32_e32 v14, 29, v14
	v_and_b32_e32 v6, 7, v6
	v_cmp_eq_u16_e32 vcc, 0, v12
	v_cndmask_b32_e32 v6, v10, v6, vcc
	v_cndmask_b32_e32 v10, v13, v14, vcc
	v_mov_b32_e32 v12, 0x3b800000
	v_lshlrev_b32_e32 v6, 20, v6
	v_lshl_add_u32 v10, v10, 23, v12
	v_or3_b32 v10, v11, v10, v6
.LBB13_1948:
	s_or_b64 exec, exec, s[6:7]
	s_movk_i32 s4, 0x7f
	v_cmp_gt_i16_sdwa s[6:7], v2, s4 src0_sel:BYTE_3 src1_sel:DWORD
	s_mov_b64 s[4:5], 0
                                        ; implicit-def: $sgpr10
	s_and_saveexec_b64 s[8:9], s[6:7]
	s_xor_b64 s[6:7], exec, s[8:9]
	s_cbranch_execnz .LBB13_3997
; %bb.1949:
	s_or_saveexec_b64 s[6:7], s[6:7]
	v_mov_b32_e32 v6, s10
	s_xor_b64 exec, exec, s[6:7]
	s_cbranch_execnz .LBB13_4000
.LBB13_1950:
	s_or_b64 exec, exec, s[6:7]
	s_and_saveexec_b64 s[6:7], s[4:5]
	s_cbranch_execz .LBB13_1952
.LBB13_1951:
	v_bfe_u32 v6, v2, 24, 3
	v_ffbh_u32_e32 v14, v6
	v_min_u32_e32 v14, 32, v14
	v_lshrrev_b32_e32 v12, 27, v2
	v_subrev_u32_e32 v15, 28, v14
	v_and_b32_e32 v11, 0x80000000, v2
	v_and_b32_e32 v12, 15, v12
	v_bfe_u32 v13, v2, 27, 4
	v_lshlrev_b32_sdwa v2, v15, v2 dst_sel:DWORD dst_unused:UNUSED_PAD src0_sel:DWORD src1_sel:BYTE_3
	v_sub_u32_e32 v14, 29, v14
	v_and_b32_e32 v2, 7, v2
	v_cmp_eq_u16_e32 vcc, 0, v12
	v_cndmask_b32_e32 v2, v6, v2, vcc
	v_cndmask_b32_e32 v6, v13, v14, vcc
	v_mov_b32_e32 v12, 0x3b800000
	v_lshlrev_b32_e32 v2, 20, v2
	v_lshl_add_u32 v6, v6, 23, v12
	v_or3_b32 v6, v11, v6, v2
.LBB13_1952:
	s_or_b64 exec, exec, s[6:7]
	s_nop 0
	v_mfma_f32_16x16x4f32 a[0:3], v10, v6, a[0:3]
	s_movk_i32 s4, 0x7f
	v_cmp_gt_i16_sdwa s[6:7], v7, s4 src0_sel:BYTE_0 src1_sel:DWORD
	s_mov_b64 s[4:5], 0
                                        ; implicit-def: $sgpr10
	s_and_saveexec_b64 s[8:9], s[6:7]
	s_xor_b64 s[6:7], exec, s[8:9]
	s_cbranch_execnz .LBB13_4001
; %bb.1953:
	s_or_saveexec_b64 s[6:7], s[6:7]
	v_mov_b32_e32 v2, s10
	s_xor_b64 exec, exec, s[6:7]
	s_cbranch_execnz .LBB13_4004
.LBB13_1954:
	s_or_b64 exec, exec, s[6:7]
	s_and_saveexec_b64 s[6:7], s[4:5]
	s_cbranch_execz .LBB13_1956
.LBB13_1955:
	v_and_b32_e32 v2, 7, v7
	v_ffbh_u32_e32 v10, v2
	v_min_u32_e32 v10, 32, v10
	v_lshrrev_b16_e32 v6, 3, v7
	v_subrev_u32_e32 v11, 28, v10
	v_and_b32_e32 v6, 15, v6
	v_lshlrev_b32_e32 v11, v11, v7
	v_sub_u32_e32 v10, 29, v10
	v_and_b32_e32 v11, 7, v11
	v_cmp_eq_u16_e32 vcc, 0, v6
	v_cndmask_b32_e32 v2, v2, v11, vcc
	v_cndmask_b32_e32 v6, v6, v10, vcc
	v_lshlrev_b32_e32 v10, 24, v7
	v_mov_b32_e32 v11, 0x3b800000
	v_lshlrev_b32_e32 v2, 20, v2
	v_and_b32_e32 v10, 0x80000000, v10
	v_lshl_add_u32 v6, v6, 23, v11
	v_or3_b32 v2, v10, v6, v2
.LBB13_1956:
	s_or_b64 exec, exec, s[6:7]
	s_movk_i32 s4, 0x7f
	v_cmp_gt_i16_sdwa s[6:7], v3, s4 src0_sel:BYTE_0 src1_sel:DWORD
	s_mov_b64 s[4:5], 0
                                        ; implicit-def: $sgpr10
	s_and_saveexec_b64 s[8:9], s[6:7]
	s_xor_b64 s[6:7], exec, s[8:9]
	s_cbranch_execnz .LBB13_4005
; %bb.1957:
	s_or_saveexec_b64 s[6:7], s[6:7]
	v_mov_b32_e32 v6, s10
	s_xor_b64 exec, exec, s[6:7]
	s_cbranch_execnz .LBB13_4008
.LBB13_1958:
	s_or_b64 exec, exec, s[6:7]
	s_and_saveexec_b64 s[6:7], s[4:5]
	s_cbranch_execz .LBB13_1960
.LBB13_1959:
	v_and_b32_e32 v6, 7, v3
	v_ffbh_u32_e32 v11, v6
	v_min_u32_e32 v11, 32, v11
	v_lshrrev_b16_e32 v10, 3, v3
	v_subrev_u32_e32 v12, 28, v11
	v_and_b32_e32 v10, 15, v10
	v_lshlrev_b32_e32 v12, v12, v3
	v_sub_u32_e32 v11, 29, v11
	v_and_b32_e32 v12, 7, v12
	v_cmp_eq_u16_e32 vcc, 0, v10
	v_cndmask_b32_e32 v6, v6, v12, vcc
	v_cndmask_b32_e32 v10, v10, v11, vcc
	v_lshlrev_b32_e32 v11, 24, v3
	v_mov_b32_e32 v12, 0x3b800000
	v_lshlrev_b32_e32 v6, 20, v6
	v_and_b32_e32 v11, 0x80000000, v11
	v_lshl_add_u32 v10, v10, 23, v12
	v_or3_b32 v6, v11, v10, v6
.LBB13_1960:
	s_or_b64 exec, exec, s[6:7]
	s_nop 0
	v_mfma_f32_16x16x4f32 a[0:3], v2, v6, a[0:3]
	v_lshrrev_b32_e32 v6, 8, v7
	s_movk_i32 s4, 0x7f
	v_cmp_gt_i16_sdwa s[6:7], v6, s4 src0_sel:BYTE_0 src1_sel:DWORD
	s_mov_b64 s[4:5], 0
                                        ; implicit-def: $sgpr10
	s_and_saveexec_b64 s[8:9], s[6:7]
	s_xor_b64 s[6:7], exec, s[8:9]
	s_cbranch_execnz .LBB13_4009
; %bb.1961:
	s_or_saveexec_b64 s[6:7], s[6:7]
	v_mov_b32_e32 v2, s10
	s_xor_b64 exec, exec, s[6:7]
	s_cbranch_execnz .LBB13_4012
.LBB13_1962:
	s_or_b64 exec, exec, s[6:7]
	s_and_saveexec_b64 s[6:7], s[4:5]
	s_cbranch_execz .LBB13_1964
.LBB13_1963:
	v_bfe_u32 v2, v7, 8, 3
	v_ffbh_u32_e32 v11, v2
	v_min_u32_e32 v11, 32, v11
	v_lshrrev_b16_e32 v10, 3, v6
	v_subrev_u32_e32 v12, 28, v11
	v_and_b32_e32 v10, 15, v10
	v_lshlrev_b32_e32 v6, v12, v6
	v_sub_u32_e32 v11, 29, v11
	v_and_b32_e32 v6, 7, v6
	v_cmp_eq_u16_e32 vcc, 0, v10
	v_cndmask_b32_e32 v2, v2, v6, vcc
	v_cndmask_b32_e32 v6, v10, v11, vcc
	v_lshlrev_b32_e32 v10, 16, v7
	v_mov_b32_e32 v11, 0x3b800000
	v_lshlrev_b32_e32 v2, 20, v2
	v_and_b32_e32 v10, 0x80000000, v10
	v_lshl_add_u32 v6, v6, 23, v11
	v_or3_b32 v2, v10, v6, v2
.LBB13_1964:
	s_or_b64 exec, exec, s[6:7]
	v_lshrrev_b32_e32 v6, 8, v3
	s_movk_i32 s4, 0x7f
	v_cmp_gt_i16_sdwa s[6:7], v6, s4 src0_sel:BYTE_0 src1_sel:DWORD
	s_mov_b64 s[4:5], 0
                                        ; implicit-def: $sgpr10
	s_and_saveexec_b64 s[8:9], s[6:7]
	s_xor_b64 s[6:7], exec, s[8:9]
	s_cbranch_execnz .LBB13_4013
; %bb.1965:
	s_or_saveexec_b64 s[6:7], s[6:7]
	v_mov_b32_e32 v10, s10
	s_xor_b64 exec, exec, s[6:7]
	s_cbranch_execnz .LBB13_4016
.LBB13_1966:
	s_or_b64 exec, exec, s[6:7]
	s_and_saveexec_b64 s[6:7], s[4:5]
	s_cbranch_execz .LBB13_1968
.LBB13_1967:
	v_bfe_u32 v10, v3, 8, 3
	v_ffbh_u32_e32 v12, v10
	v_min_u32_e32 v12, 32, v12
	v_lshrrev_b16_e32 v11, 3, v6
	v_subrev_u32_e32 v13, 28, v12
	v_and_b32_e32 v11, 15, v11
	v_lshlrev_b32_e32 v6, v13, v6
	v_sub_u32_e32 v12, 29, v12
	v_and_b32_e32 v6, 7, v6
	v_cmp_eq_u16_e32 vcc, 0, v11
	v_cndmask_b32_e32 v6, v10, v6, vcc
	v_cndmask_b32_e32 v10, v11, v12, vcc
	v_lshlrev_b32_e32 v11, 16, v3
	v_mov_b32_e32 v12, 0x3b800000
	v_lshlrev_b32_e32 v6, 20, v6
	v_and_b32_e32 v11, 0x80000000, v11
	v_lshl_add_u32 v10, v10, 23, v12
	v_or3_b32 v10, v11, v10, v6
.LBB13_1968:
	s_or_b64 exec, exec, s[6:7]
	s_nop 0
	v_mfma_f32_16x16x4f32 a[0:3], v2, v10, a[0:3]
	s_movk_i32 s4, 0xff
	v_and_b32_sdwa v6, v7, s4 dst_sel:DWORD dst_unused:UNUSED_PAD src0_sel:WORD_1 src1_sel:DWORD
	s_movk_i32 s4, 0x7f
	v_cmp_lt_i16_e32 vcc, s4, v6
	s_mov_b64 s[4:5], 0
                                        ; implicit-def: $sgpr10
	s_and_saveexec_b64 s[6:7], vcc
	s_xor_b64 s[6:7], exec, s[6:7]
	s_cbranch_execnz .LBB13_4017
; %bb.1969:
	s_or_saveexec_b64 s[6:7], s[6:7]
	v_mov_b32_e32 v2, s10
	s_xor_b64 exec, exec, s[6:7]
	s_cbranch_execnz .LBB13_4020
.LBB13_1970:
	s_or_b64 exec, exec, s[6:7]
	s_and_saveexec_b64 s[6:7], s[4:5]
	s_cbranch_execz .LBB13_1972
.LBB13_1971:
	v_bfe_u32 v2, v7, 16, 3
	v_ffbh_u32_e32 v11, v2
	v_min_u32_e32 v11, 32, v11
	v_lshrrev_b32_e32 v6, 19, v7
	v_subrev_u32_e32 v12, 28, v11
	v_and_b32_e32 v6, 15, v6
	v_lshlrev_b32_sdwa v12, v12, v7 dst_sel:DWORD dst_unused:UNUSED_PAD src0_sel:DWORD src1_sel:WORD_1
	v_bfe_u32 v10, v7, 19, 4
	v_sub_u32_e32 v11, 29, v11
	v_and_b32_e32 v12, 7, v12
	v_cmp_eq_u16_e32 vcc, 0, v6
	v_cndmask_b32_e32 v2, v2, v12, vcc
	v_cndmask_b32_e32 v6, v10, v11, vcc
	v_lshlrev_b32_e32 v10, 8, v7
	v_mov_b32_e32 v11, 0x3b800000
	v_lshlrev_b32_e32 v2, 20, v2
	v_and_b32_e32 v10, 0x80000000, v10
	v_lshl_add_u32 v6, v6, 23, v11
	v_or3_b32 v2, v10, v6, v2
.LBB13_1972:
	s_or_b64 exec, exec, s[6:7]
	s_movk_i32 s4, 0xff
	v_and_b32_sdwa v6, v3, s4 dst_sel:DWORD dst_unused:UNUSED_PAD src0_sel:WORD_1 src1_sel:DWORD
	s_movk_i32 s4, 0x7f
	v_cmp_lt_i16_e32 vcc, s4, v6
	s_mov_b64 s[4:5], 0
                                        ; implicit-def: $sgpr10
	s_and_saveexec_b64 s[6:7], vcc
	s_xor_b64 s[6:7], exec, s[6:7]
	s_cbranch_execnz .LBB13_4021
; %bb.1973:
	s_or_saveexec_b64 s[6:7], s[6:7]
	v_mov_b32_e32 v10, s10
	s_xor_b64 exec, exec, s[6:7]
	s_cbranch_execnz .LBB13_4024
.LBB13_1974:
	s_or_b64 exec, exec, s[6:7]
	s_and_saveexec_b64 s[6:7], s[4:5]
	s_cbranch_execz .LBB13_1976
.LBB13_1975:
	v_bfe_u32 v6, v3, 16, 3
	v_ffbh_u32_e32 v12, v6
	v_min_u32_e32 v12, 32, v12
	v_lshrrev_b32_e32 v10, 19, v3
	v_subrev_u32_e32 v13, 28, v12
	v_and_b32_e32 v10, 15, v10
	v_lshlrev_b32_sdwa v13, v13, v3 dst_sel:DWORD dst_unused:UNUSED_PAD src0_sel:DWORD src1_sel:WORD_1
	v_bfe_u32 v11, v3, 19, 4
	v_sub_u32_e32 v12, 29, v12
	v_and_b32_e32 v13, 7, v13
	v_cmp_eq_u16_e32 vcc, 0, v10
	v_cndmask_b32_e32 v6, v6, v13, vcc
	v_cndmask_b32_e32 v10, v11, v12, vcc
	v_lshlrev_b32_e32 v11, 8, v3
	v_mov_b32_e32 v12, 0x3b800000
	v_lshlrev_b32_e32 v6, 20, v6
	v_and_b32_e32 v11, 0x80000000, v11
	v_lshl_add_u32 v10, v10, 23, v12
	v_or3_b32 v10, v11, v10, v6
.LBB13_1976:
	s_or_b64 exec, exec, s[6:7]
	s_nop 0
	v_mfma_f32_16x16x4f32 a[0:3], v2, v10, a[0:3]
	s_movk_i32 s4, 0x7f
	v_cmp_gt_i16_sdwa s[6:7], v7, s4 src0_sel:BYTE_3 src1_sel:DWORD
	s_mov_b64 s[4:5], 0
                                        ; implicit-def: $sgpr10
	s_and_saveexec_b64 s[8:9], s[6:7]
	s_xor_b64 s[6:7], exec, s[8:9]
	s_cbranch_execnz .LBB13_4025
; %bb.1977:
	s_or_saveexec_b64 s[6:7], s[6:7]
	v_mov_b32_e32 v2, s10
	s_xor_b64 exec, exec, s[6:7]
	s_cbranch_execnz .LBB13_4028
.LBB13_1978:
	s_or_b64 exec, exec, s[6:7]
	s_and_saveexec_b64 s[6:7], s[4:5]
	s_cbranch_execz .LBB13_1980
.LBB13_1979:
	v_bfe_u32 v2, v7, 24, 3
	v_ffbh_u32_e32 v12, v2
	v_min_u32_e32 v12, 32, v12
	v_lshrrev_b32_e32 v10, 27, v7
	v_subrev_u32_e32 v13, 28, v12
	v_and_b32_e32 v6, 0x80000000, v7
	v_and_b32_e32 v10, 15, v10
	v_bfe_u32 v11, v7, 27, 4
	v_lshlrev_b32_sdwa v7, v13, v7 dst_sel:DWORD dst_unused:UNUSED_PAD src0_sel:DWORD src1_sel:BYTE_3
	v_sub_u32_e32 v12, 29, v12
	v_and_b32_e32 v7, 7, v7
	v_cmp_eq_u16_e32 vcc, 0, v10
	v_cndmask_b32_e32 v2, v2, v7, vcc
	v_cndmask_b32_e32 v7, v11, v12, vcc
	v_mov_b32_e32 v10, 0x3b800000
	v_lshlrev_b32_e32 v2, 20, v2
	v_lshl_add_u32 v7, v7, 23, v10
	v_or3_b32 v2, v6, v7, v2
.LBB13_1980:
	s_or_b64 exec, exec, s[6:7]
	s_movk_i32 s4, 0x7f
	v_cmp_gt_i16_sdwa s[6:7], v3, s4 src0_sel:BYTE_3 src1_sel:DWORD
	s_mov_b64 s[4:5], 0
                                        ; implicit-def: $sgpr10
	s_and_saveexec_b64 s[8:9], s[6:7]
	s_xor_b64 s[6:7], exec, s[8:9]
	s_cbranch_execnz .LBB13_4029
; %bb.1981:
	s_or_saveexec_b64 s[6:7], s[6:7]
	v_mov_b32_e32 v6, s10
	s_xor_b64 exec, exec, s[6:7]
	s_cbranch_execnz .LBB13_4032
.LBB13_1982:
	s_or_b64 exec, exec, s[6:7]
	s_and_saveexec_b64 s[6:7], s[4:5]
	s_cbranch_execz .LBB13_1984
.LBB13_1983:
	v_bfe_u32 v6, v3, 24, 3
	v_ffbh_u32_e32 v12, v6
	v_min_u32_e32 v12, 32, v12
	v_lshrrev_b32_e32 v10, 27, v3
	v_subrev_u32_e32 v13, 28, v12
	v_and_b32_e32 v7, 0x80000000, v3
	v_and_b32_e32 v10, 15, v10
	v_bfe_u32 v11, v3, 27, 4
	v_lshlrev_b32_sdwa v3, v13, v3 dst_sel:DWORD dst_unused:UNUSED_PAD src0_sel:DWORD src1_sel:BYTE_3
	v_sub_u32_e32 v12, 29, v12
	v_and_b32_e32 v3, 7, v3
	v_cmp_eq_u16_e32 vcc, 0, v10
	v_cndmask_b32_e32 v3, v6, v3, vcc
	v_cndmask_b32_e32 v6, v11, v12, vcc
	v_mov_b32_e32 v10, 0x3b800000
	v_lshlrev_b32_e32 v3, 20, v3
	v_lshl_add_u32 v6, v6, 23, v10
	v_or3_b32 v6, v7, v6, v3
.LBB13_1984:
	s_or_b64 exec, exec, s[6:7]
	s_nop 0
	v_mfma_f32_16x16x4f32 a[0:3], v2, v6, a[0:3]
	s_movk_i32 s4, 0x7f
	v_cmp_gt_i16_sdwa s[6:7], v8, s4 src0_sel:BYTE_0 src1_sel:DWORD
	s_mov_b64 s[4:5], 0
                                        ; implicit-def: $sgpr10
	s_and_saveexec_b64 s[8:9], s[6:7]
	s_xor_b64 s[6:7], exec, s[8:9]
	s_cbranch_execnz .LBB13_4033
; %bb.1985:
	s_or_saveexec_b64 s[6:7], s[6:7]
	v_mov_b32_e32 v2, s10
	s_xor_b64 exec, exec, s[6:7]
	s_cbranch_execnz .LBB13_4036
.LBB13_1986:
	s_or_b64 exec, exec, s[6:7]
	s_and_saveexec_b64 s[6:7], s[4:5]
	s_cbranch_execz .LBB13_1988
.LBB13_1987:
	v_and_b32_e32 v2, 7, v8
	v_ffbh_u32_e32 v6, v2
	v_min_u32_e32 v6, 32, v6
	v_lshrrev_b16_e32 v3, 3, v8
	v_subrev_u32_e32 v7, 28, v6
	v_and_b32_e32 v3, 15, v3
	v_lshlrev_b32_e32 v7, v7, v8
	v_sub_u32_e32 v6, 29, v6
	v_and_b32_e32 v7, 7, v7
	v_cmp_eq_u16_e32 vcc, 0, v3
	v_cndmask_b32_e32 v2, v2, v7, vcc
	v_cndmask_b32_e32 v3, v3, v6, vcc
	v_lshlrev_b32_e32 v6, 24, v8
	v_mov_b32_e32 v7, 0x3b800000
	v_lshlrev_b32_e32 v2, 20, v2
	v_and_b32_e32 v6, 0x80000000, v6
	v_lshl_add_u32 v3, v3, 23, v7
	v_or3_b32 v2, v6, v3, v2
.LBB13_1988:
	s_or_b64 exec, exec, s[6:7]
	s_movk_i32 s4, 0x7f
	v_cmp_gt_i16_sdwa s[6:7], v4, s4 src0_sel:BYTE_0 src1_sel:DWORD
	s_mov_b64 s[4:5], 0
                                        ; implicit-def: $sgpr10
	s_and_saveexec_b64 s[8:9], s[6:7]
	s_xor_b64 s[6:7], exec, s[8:9]
	s_cbranch_execnz .LBB13_4037
; %bb.1989:
	s_or_saveexec_b64 s[6:7], s[6:7]
	v_mov_b32_e32 v3, s10
	s_xor_b64 exec, exec, s[6:7]
	s_cbranch_execnz .LBB13_4040
.LBB13_1990:
	s_or_b64 exec, exec, s[6:7]
	s_and_saveexec_b64 s[6:7], s[4:5]
	s_cbranch_execz .LBB13_1992
.LBB13_1991:
	v_and_b32_e32 v3, 7, v4
	v_ffbh_u32_e32 v7, v3
	v_min_u32_e32 v7, 32, v7
	v_lshrrev_b16_e32 v6, 3, v4
	v_subrev_u32_e32 v10, 28, v7
	v_and_b32_e32 v6, 15, v6
	v_lshlrev_b32_e32 v10, v10, v4
	v_sub_u32_e32 v7, 29, v7
	v_and_b32_e32 v10, 7, v10
	v_cmp_eq_u16_e32 vcc, 0, v6
	v_cndmask_b32_e32 v3, v3, v10, vcc
	v_cndmask_b32_e32 v6, v6, v7, vcc
	v_lshlrev_b32_e32 v7, 24, v4
	v_mov_b32_e32 v10, 0x3b800000
	v_lshlrev_b32_e32 v3, 20, v3
	v_and_b32_e32 v7, 0x80000000, v7
	v_lshl_add_u32 v6, v6, 23, v10
	v_or3_b32 v3, v7, v6, v3
.LBB13_1992:
	s_or_b64 exec, exec, s[6:7]
	s_nop 0
	v_mfma_f32_16x16x4f32 a[0:3], v2, v3, a[0:3]
	v_lshrrev_b32_e32 v3, 8, v8
	s_movk_i32 s4, 0x7f
	v_cmp_gt_i16_sdwa s[6:7], v3, s4 src0_sel:BYTE_0 src1_sel:DWORD
	s_mov_b64 s[4:5], 0
                                        ; implicit-def: $sgpr10
	s_and_saveexec_b64 s[8:9], s[6:7]
	s_xor_b64 s[6:7], exec, s[8:9]
	s_cbranch_execnz .LBB13_4041
; %bb.1993:
	s_or_saveexec_b64 s[6:7], s[6:7]
	v_mov_b32_e32 v2, s10
	s_xor_b64 exec, exec, s[6:7]
	s_cbranch_execnz .LBB13_4044
.LBB13_1994:
	s_or_b64 exec, exec, s[6:7]
	s_and_saveexec_b64 s[6:7], s[4:5]
	s_cbranch_execz .LBB13_1996
.LBB13_1995:
	v_bfe_u32 v2, v8, 8, 3
	v_ffbh_u32_e32 v7, v2
	v_min_u32_e32 v7, 32, v7
	v_lshrrev_b16_e32 v6, 3, v3
	v_subrev_u32_e32 v10, 28, v7
	v_and_b32_e32 v6, 15, v6
	v_lshlrev_b32_e32 v3, v10, v3
	v_sub_u32_e32 v7, 29, v7
	v_and_b32_e32 v3, 7, v3
	v_cmp_eq_u16_e32 vcc, 0, v6
	v_cndmask_b32_e32 v2, v2, v3, vcc
	v_cndmask_b32_e32 v3, v6, v7, vcc
	v_lshlrev_b32_e32 v6, 16, v8
	v_mov_b32_e32 v7, 0x3b800000
	v_lshlrev_b32_e32 v2, 20, v2
	v_and_b32_e32 v6, 0x80000000, v6
	v_lshl_add_u32 v3, v3, 23, v7
	v_or3_b32 v2, v6, v3, v2
.LBB13_1996:
	s_or_b64 exec, exec, s[6:7]
	v_lshrrev_b32_e32 v3, 8, v4
	s_movk_i32 s4, 0x7f
	v_cmp_gt_i16_sdwa s[6:7], v3, s4 src0_sel:BYTE_0 src1_sel:DWORD
	s_mov_b64 s[4:5], 0
                                        ; implicit-def: $sgpr10
	s_and_saveexec_b64 s[8:9], s[6:7]
	s_xor_b64 s[6:7], exec, s[8:9]
	s_cbranch_execnz .LBB13_4045
; %bb.1997:
	s_or_saveexec_b64 s[6:7], s[6:7]
	v_mov_b32_e32 v6, s10
	s_xor_b64 exec, exec, s[6:7]
	s_cbranch_execnz .LBB13_4048
.LBB13_1998:
	s_or_b64 exec, exec, s[6:7]
	s_and_saveexec_b64 s[6:7], s[4:5]
	s_cbranch_execz .LBB13_2000
.LBB13_1999:
	v_bfe_u32 v6, v4, 8, 3
	v_ffbh_u32_e32 v10, v6
	v_min_u32_e32 v10, 32, v10
	v_lshrrev_b16_e32 v7, 3, v3
	v_subrev_u32_e32 v11, 28, v10
	v_and_b32_e32 v7, 15, v7
	v_lshlrev_b32_e32 v3, v11, v3
	v_sub_u32_e32 v10, 29, v10
	v_and_b32_e32 v3, 7, v3
	v_cmp_eq_u16_e32 vcc, 0, v7
	v_cndmask_b32_e32 v3, v6, v3, vcc
	v_cndmask_b32_e32 v6, v7, v10, vcc
	v_lshlrev_b32_e32 v7, 16, v4
	v_mov_b32_e32 v10, 0x3b800000
	v_lshlrev_b32_e32 v3, 20, v3
	v_and_b32_e32 v7, 0x80000000, v7
	v_lshl_add_u32 v6, v6, 23, v10
	v_or3_b32 v6, v7, v6, v3
.LBB13_2000:
	s_or_b64 exec, exec, s[6:7]
	s_nop 0
	v_mfma_f32_16x16x4f32 a[0:3], v2, v6, a[0:3]
	s_movk_i32 s4, 0xff
	v_and_b32_sdwa v3, v8, s4 dst_sel:DWORD dst_unused:UNUSED_PAD src0_sel:WORD_1 src1_sel:DWORD
	s_movk_i32 s4, 0x7f
	v_cmp_lt_i16_e32 vcc, s4, v3
	s_mov_b64 s[4:5], 0
                                        ; implicit-def: $sgpr10
	s_and_saveexec_b64 s[6:7], vcc
	s_xor_b64 s[6:7], exec, s[6:7]
	s_cbranch_execnz .LBB13_4049
; %bb.2001:
	s_or_saveexec_b64 s[6:7], s[6:7]
	v_mov_b32_e32 v2, s10
	s_xor_b64 exec, exec, s[6:7]
	s_cbranch_execnz .LBB13_4052
.LBB13_2002:
	s_or_b64 exec, exec, s[6:7]
	s_and_saveexec_b64 s[6:7], s[4:5]
	s_cbranch_execz .LBB13_2004
.LBB13_2003:
	v_bfe_u32 v2, v8, 16, 3
	v_ffbh_u32_e32 v7, v2
	v_min_u32_e32 v7, 32, v7
	v_lshrrev_b32_e32 v3, 19, v8
	v_subrev_u32_e32 v10, 28, v7
	v_and_b32_e32 v3, 15, v3
	v_lshlrev_b32_sdwa v10, v10, v8 dst_sel:DWORD dst_unused:UNUSED_PAD src0_sel:DWORD src1_sel:WORD_1
	v_bfe_u32 v6, v8, 19, 4
	v_sub_u32_e32 v7, 29, v7
	v_and_b32_e32 v10, 7, v10
	v_cmp_eq_u16_e32 vcc, 0, v3
	v_cndmask_b32_e32 v2, v2, v10, vcc
	v_cndmask_b32_e32 v3, v6, v7, vcc
	v_lshlrev_b32_e32 v6, 8, v8
	v_mov_b32_e32 v7, 0x3b800000
	v_lshlrev_b32_e32 v2, 20, v2
	v_and_b32_e32 v6, 0x80000000, v6
	v_lshl_add_u32 v3, v3, 23, v7
	v_or3_b32 v2, v6, v3, v2
.LBB13_2004:
	s_or_b64 exec, exec, s[6:7]
	s_movk_i32 s4, 0xff
	v_and_b32_sdwa v3, v4, s4 dst_sel:DWORD dst_unused:UNUSED_PAD src0_sel:WORD_1 src1_sel:DWORD
	s_movk_i32 s4, 0x7f
	v_cmp_lt_i16_e32 vcc, s4, v3
	s_mov_b64 s[4:5], 0
                                        ; implicit-def: $sgpr10
	s_and_saveexec_b64 s[6:7], vcc
	s_xor_b64 s[6:7], exec, s[6:7]
	s_cbranch_execnz .LBB13_4053
; %bb.2005:
	s_or_saveexec_b64 s[6:7], s[6:7]
	v_mov_b32_e32 v6, s10
	s_xor_b64 exec, exec, s[6:7]
	s_cbranch_execnz .LBB13_4056
.LBB13_2006:
	s_or_b64 exec, exec, s[6:7]
	s_and_saveexec_b64 s[6:7], s[4:5]
	s_cbranch_execz .LBB13_2008
.LBB13_2007:
	v_bfe_u32 v3, v4, 16, 3
	v_ffbh_u32_e32 v10, v3
	v_min_u32_e32 v10, 32, v10
	v_lshrrev_b32_e32 v6, 19, v4
	v_subrev_u32_e32 v11, 28, v10
	v_and_b32_e32 v6, 15, v6
	v_lshlrev_b32_sdwa v11, v11, v4 dst_sel:DWORD dst_unused:UNUSED_PAD src0_sel:DWORD src1_sel:WORD_1
	v_bfe_u32 v7, v4, 19, 4
	v_sub_u32_e32 v10, 29, v10
	v_and_b32_e32 v11, 7, v11
	v_cmp_eq_u16_e32 vcc, 0, v6
	v_cndmask_b32_e32 v3, v3, v11, vcc
	v_cndmask_b32_e32 v6, v7, v10, vcc
	v_lshlrev_b32_e32 v7, 8, v4
	v_mov_b32_e32 v10, 0x3b800000
	v_lshlrev_b32_e32 v3, 20, v3
	v_and_b32_e32 v7, 0x80000000, v7
	v_lshl_add_u32 v6, v6, 23, v10
	v_or3_b32 v6, v7, v6, v3
.LBB13_2008:
	s_or_b64 exec, exec, s[6:7]
	s_nop 0
	v_mfma_f32_16x16x4f32 a[0:3], v2, v6, a[0:3]
	s_movk_i32 s4, 0x7f
	v_cmp_gt_i16_sdwa s[6:7], v8, s4 src0_sel:BYTE_3 src1_sel:DWORD
	s_mov_b64 s[4:5], 0
                                        ; implicit-def: $sgpr10
	s_and_saveexec_b64 s[8:9], s[6:7]
	s_xor_b64 s[6:7], exec, s[8:9]
	s_cbranch_execnz .LBB13_4057
; %bb.2009:
	s_or_saveexec_b64 s[6:7], s[6:7]
	v_mov_b32_e32 v2, s10
	s_xor_b64 exec, exec, s[6:7]
	s_cbranch_execnz .LBB13_4060
.LBB13_2010:
	s_or_b64 exec, exec, s[6:7]
	s_and_saveexec_b64 s[6:7], s[4:5]
	s_cbranch_execz .LBB13_2012
.LBB13_2011:
	v_bfe_u32 v2, v8, 24, 3
	v_ffbh_u32_e32 v10, v2
	v_min_u32_e32 v10, 32, v10
	v_lshrrev_b32_e32 v6, 27, v8
	v_subrev_u32_e32 v11, 28, v10
	v_and_b32_e32 v3, 0x80000000, v8
	v_and_b32_e32 v6, 15, v6
	v_bfe_u32 v7, v8, 27, 4
	v_lshlrev_b32_sdwa v8, v11, v8 dst_sel:DWORD dst_unused:UNUSED_PAD src0_sel:DWORD src1_sel:BYTE_3
	v_sub_u32_e32 v10, 29, v10
	v_and_b32_e32 v8, 7, v8
	v_cmp_eq_u16_e32 vcc, 0, v6
	v_cndmask_b32_e32 v2, v2, v8, vcc
	v_cndmask_b32_e32 v6, v7, v10, vcc
	v_mov_b32_e32 v7, 0x3b800000
	v_lshlrev_b32_e32 v2, 20, v2
	v_lshl_add_u32 v6, v6, 23, v7
	v_or3_b32 v2, v3, v6, v2
.LBB13_2012:
	s_or_b64 exec, exec, s[6:7]
	s_movk_i32 s4, 0x7f
	v_cmp_gt_i16_sdwa s[6:7], v4, s4 src0_sel:BYTE_3 src1_sel:DWORD
	s_mov_b64 s[4:5], 0
                                        ; implicit-def: $sgpr10
	s_and_saveexec_b64 s[8:9], s[6:7]
	s_xor_b64 s[6:7], exec, s[8:9]
	s_cbranch_execnz .LBB13_4061
; %bb.2013:
	s_or_saveexec_b64 s[6:7], s[6:7]
	v_mov_b32_e32 v3, s10
	s_xor_b64 exec, exec, s[6:7]
	s_cbranch_execnz .LBB13_4064
.LBB13_2014:
	s_or_b64 exec, exec, s[6:7]
	s_and_saveexec_b64 s[6:7], s[4:5]
	s_cbranch_execz .LBB13_2016
.LBB13_2015:
	v_bfe_u32 v3, v4, 24, 3
	v_ffbh_u32_e32 v10, v3
	v_min_u32_e32 v10, 32, v10
	v_lshrrev_b32_e32 v7, 27, v4
	v_subrev_u32_e32 v11, 28, v10
	v_and_b32_e32 v6, 0x80000000, v4
	v_and_b32_e32 v7, 15, v7
	v_bfe_u32 v8, v4, 27, 4
	v_lshlrev_b32_sdwa v4, v11, v4 dst_sel:DWORD dst_unused:UNUSED_PAD src0_sel:DWORD src1_sel:BYTE_3
	v_sub_u32_e32 v10, 29, v10
	v_and_b32_e32 v4, 7, v4
	v_cmp_eq_u16_e32 vcc, 0, v7
	v_cndmask_b32_e32 v3, v3, v4, vcc
	v_cndmask_b32_e32 v4, v8, v10, vcc
	v_mov_b32_e32 v7, 0x3b800000
	v_lshlrev_b32_e32 v3, 20, v3
	v_lshl_add_u32 v4, v4, 23, v7
	v_or3_b32 v3, v6, v4, v3
.LBB13_2016:
	s_or_b64 exec, exec, s[6:7]
	s_nop 0
	v_mfma_f32_16x16x4f32 a[0:3], v2, v3, a[0:3]
	s_movk_i32 s4, 0x7f
	v_cmp_gt_i16_sdwa s[6:7], v9, s4 src0_sel:BYTE_0 src1_sel:DWORD
	s_mov_b64 s[4:5], 0
                                        ; implicit-def: $sgpr10
	s_and_saveexec_b64 s[8:9], s[6:7]
	s_xor_b64 s[6:7], exec, s[8:9]
	s_cbranch_execnz .LBB13_4065
; %bb.2017:
	s_or_saveexec_b64 s[6:7], s[6:7]
	v_mov_b32_e32 v2, s10
	s_xor_b64 exec, exec, s[6:7]
	s_cbranch_execnz .LBB13_4068
.LBB13_2018:
	s_or_b64 exec, exec, s[6:7]
	s_and_saveexec_b64 s[6:7], s[4:5]
	s_cbranch_execz .LBB13_2020
.LBB13_2019:
	v_mov_b32_e32 v2, 8
	v_and_b32_e32 v3, 7, v9
	v_lshrrev_b32_sdwa v2, v2, v9 dst_sel:BYTE_1 dst_unused:UNUSED_PAD src0_sel:DWORD src1_sel:DWORD
	v_ffbh_u32_e32 v4, v3
	v_or_b32_sdwa v2, v9, v2 dst_sel:DWORD dst_unused:UNUSED_PAD src0_sel:BYTE_0 src1_sel:DWORD
	v_min_u32_e32 v4, 32, v4
	v_lshrrev_b16_e32 v2, 3, v2
	v_subrev_u32_e32 v6, 28, v4
	v_and_b32_e32 v2, 15, v2
	v_lshlrev_b32_e32 v6, v6, v9
	v_sub_u32_e32 v4, 29, v4
	v_and_b32_e32 v6, 7, v6
	v_cmp_eq_u16_e32 vcc, 0, v2
	v_cndmask_b32_e32 v3, v3, v6, vcc
	v_cndmask_b32_e32 v2, v2, v4, vcc
	v_lshlrev_b32_e32 v4, 24, v9
	v_mov_b32_e32 v6, 0x3b800000
	v_lshlrev_b32_e32 v3, 20, v3
	v_and_b32_e32 v4, 0x80000000, v4
	v_lshl_add_u32 v2, v2, 23, v6
	v_or3_b32 v2, v4, v2, v3
.LBB13_2020:
	s_or_b64 exec, exec, s[6:7]
	s_movk_i32 s4, 0x7f
	v_cmp_gt_i16_sdwa s[6:7], v5, s4 src0_sel:BYTE_0 src1_sel:DWORD
	s_mov_b64 s[4:5], 0
                                        ; implicit-def: $sgpr10
	s_and_saveexec_b64 s[8:9], s[6:7]
	s_xor_b64 s[6:7], exec, s[8:9]
	s_cbranch_execnz .LBB13_4069
; %bb.2021:
	s_or_saveexec_b64 s[6:7], s[6:7]
	v_mov_b32_e32 v3, s10
	s_xor_b64 exec, exec, s[6:7]
	s_cbranch_execnz .LBB13_4072
.LBB13_2022:
	s_or_b64 exec, exec, s[6:7]
	s_and_saveexec_b64 s[6:7], s[4:5]
	s_cbranch_execz .LBB13_2024
.LBB13_2023:
	v_mov_b32_e32 v3, 8
	v_and_b32_e32 v4, 7, v5
	v_lshrrev_b32_sdwa v3, v3, v5 dst_sel:BYTE_1 dst_unused:UNUSED_PAD src0_sel:DWORD src1_sel:DWORD
	v_ffbh_u32_e32 v6, v4
	v_or_b32_sdwa v3, v5, v3 dst_sel:DWORD dst_unused:UNUSED_PAD src0_sel:BYTE_0 src1_sel:DWORD
	v_min_u32_e32 v6, 32, v6
	v_lshrrev_b16_e32 v3, 3, v3
	v_subrev_u32_e32 v7, 28, v6
	v_and_b32_e32 v3, 15, v3
	v_lshlrev_b32_e32 v7, v7, v5
	v_sub_u32_e32 v6, 29, v6
	v_and_b32_e32 v7, 7, v7
	v_cmp_eq_u16_e32 vcc, 0, v3
	v_cndmask_b32_e32 v4, v4, v7, vcc
	v_cndmask_b32_e32 v3, v3, v6, vcc
	v_lshlrev_b32_e32 v6, 24, v5
	v_mov_b32_e32 v7, 0x3b800000
	v_lshlrev_b32_e32 v4, 20, v4
	v_and_b32_e32 v6, 0x80000000, v6
	v_lshl_add_u32 v3, v3, 23, v7
	v_or3_b32 v3, v6, v3, v4
.LBB13_2024:
	s_or_b64 exec, exec, s[6:7]
	s_nop 0
	v_mfma_f32_16x16x4f32 a[0:3], v2, v3, a[0:3]
	v_lshrrev_b32_e32 v3, 8, v9
	s_movk_i32 s4, 0x7f
	v_cmp_gt_i16_sdwa s[6:7], v3, s4 src0_sel:BYTE_0 src1_sel:DWORD
	s_mov_b64 s[4:5], 0
                                        ; implicit-def: $sgpr10
	s_and_saveexec_b64 s[8:9], s[6:7]
	s_xor_b64 s[6:7], exec, s[8:9]
	s_cbranch_execnz .LBB13_4073
; %bb.2025:
	s_or_saveexec_b64 s[6:7], s[6:7]
	v_mov_b32_e32 v2, s10
	s_xor_b64 exec, exec, s[6:7]
	s_cbranch_execnz .LBB13_4076
.LBB13_2026:
	s_or_b64 exec, exec, s[6:7]
	s_and_saveexec_b64 s[6:7], s[4:5]
	s_cbranch_execz .LBB13_2028
.LBB13_2027:
	v_bfe_u32 v2, v9, 8, 3
	v_ffbh_u32_e32 v6, v2
	v_min_u32_e32 v6, 32, v6
	v_lshrrev_b16_e32 v4, 3, v3
	v_subrev_u32_e32 v7, 28, v6
	v_and_b32_e32 v4, 15, v4
	v_lshlrev_b32_e32 v3, v7, v3
	v_sub_u32_e32 v6, 29, v6
	v_and_b32_e32 v3, 7, v3
	v_cmp_eq_u16_e32 vcc, 0, v4
	v_cndmask_b32_e32 v2, v2, v3, vcc
	v_cndmask_b32_e32 v3, v4, v6, vcc
	v_lshlrev_b32_e32 v4, 16, v9
	v_mov_b32_e32 v6, 0x3b800000
	v_lshlrev_b32_e32 v2, 20, v2
	v_and_b32_e32 v4, 0x80000000, v4
	v_lshl_add_u32 v3, v3, 23, v6
	v_or3_b32 v2, v4, v3, v2
.LBB13_2028:
	s_or_b64 exec, exec, s[6:7]
	v_lshrrev_b32_e32 v3, 8, v5
	s_movk_i32 s4, 0x7f
	v_cmp_gt_i16_sdwa s[6:7], v3, s4 src0_sel:BYTE_0 src1_sel:DWORD
	s_mov_b64 s[4:5], 0
                                        ; implicit-def: $sgpr10
	s_and_saveexec_b64 s[8:9], s[6:7]
	s_xor_b64 s[6:7], exec, s[8:9]
	s_cbranch_execnz .LBB13_4077
; %bb.2029:
	s_or_saveexec_b64 s[6:7], s[6:7]
	v_mov_b32_e32 v4, s10
	s_xor_b64 exec, exec, s[6:7]
	s_cbranch_execnz .LBB13_4080
.LBB13_2030:
	s_or_b64 exec, exec, s[6:7]
	s_and_saveexec_b64 s[6:7], s[4:5]
	s_cbranch_execz .LBB13_2032
.LBB13_2031:
	v_bfe_u32 v4, v5, 8, 3
	v_ffbh_u32_e32 v7, v4
	v_min_u32_e32 v7, 32, v7
	v_lshrrev_b16_e32 v6, 3, v3
	v_subrev_u32_e32 v8, 28, v7
	v_and_b32_e32 v6, 15, v6
	v_lshlrev_b32_e32 v3, v8, v3
	v_sub_u32_e32 v7, 29, v7
	v_and_b32_e32 v3, 7, v3
	v_cmp_eq_u16_e32 vcc, 0, v6
	v_cndmask_b32_e32 v3, v4, v3, vcc
	v_cndmask_b32_e32 v4, v6, v7, vcc
	v_lshlrev_b32_e32 v6, 16, v5
	v_mov_b32_e32 v7, 0x3b800000
	v_lshlrev_b32_e32 v3, 20, v3
	v_and_b32_e32 v6, 0x80000000, v6
	v_lshl_add_u32 v4, v4, 23, v7
	v_or3_b32 v4, v6, v4, v3
.LBB13_2032:
	s_or_b64 exec, exec, s[6:7]
	s_nop 0
	v_mfma_f32_16x16x4f32 a[0:3], v2, v4, a[0:3]
	s_movk_i32 s4, 0xff
	v_and_b32_sdwa v3, v9, s4 dst_sel:DWORD dst_unused:UNUSED_PAD src0_sel:WORD_1 src1_sel:DWORD
	s_movk_i32 s4, 0x7f
	v_cmp_lt_i16_e32 vcc, s4, v3
	s_mov_b64 s[4:5], 0
                                        ; implicit-def: $sgpr10
	s_and_saveexec_b64 s[6:7], vcc
	s_xor_b64 s[6:7], exec, s[6:7]
	s_cbranch_execnz .LBB13_4081
; %bb.2033:
	s_or_saveexec_b64 s[6:7], s[6:7]
	v_mov_b32_e32 v2, s10
	s_xor_b64 exec, exec, s[6:7]
	s_cbranch_execnz .LBB13_4084
.LBB13_2034:
	s_or_b64 exec, exec, s[6:7]
	s_and_saveexec_b64 s[6:7], s[4:5]
	s_cbranch_execz .LBB13_2036
.LBB13_2035:
	v_bfe_u32 v2, v9, 16, 3
	v_ffbh_u32_e32 v6, v2
	v_min_u32_e32 v6, 32, v6
	v_lshrrev_b32_e32 v3, 19, v9
	v_subrev_u32_e32 v7, 28, v6
	v_and_b32_e32 v3, 15, v3
	v_lshlrev_b32_sdwa v7, v7, v9 dst_sel:DWORD dst_unused:UNUSED_PAD src0_sel:DWORD src1_sel:WORD_1
	v_bfe_u32 v4, v9, 19, 4
	v_sub_u32_e32 v6, 29, v6
	v_and_b32_e32 v7, 7, v7
	v_cmp_eq_u16_e32 vcc, 0, v3
	v_cndmask_b32_e32 v2, v2, v7, vcc
	v_cndmask_b32_e32 v3, v4, v6, vcc
	v_lshlrev_b32_e32 v4, 8, v9
	v_mov_b32_e32 v6, 0x3b800000
	v_lshlrev_b32_e32 v2, 20, v2
	v_and_b32_e32 v4, 0x80000000, v4
	v_lshl_add_u32 v3, v3, 23, v6
	v_or3_b32 v2, v4, v3, v2
.LBB13_2036:
	s_or_b64 exec, exec, s[6:7]
	s_movk_i32 s4, 0xff
	v_and_b32_sdwa v3, v5, s4 dst_sel:DWORD dst_unused:UNUSED_PAD src0_sel:WORD_1 src1_sel:DWORD
	s_movk_i32 s4, 0x7f
	v_cmp_lt_i16_e32 vcc, s4, v3
	s_mov_b64 s[4:5], 0
                                        ; implicit-def: $sgpr10
	s_and_saveexec_b64 s[6:7], vcc
	s_xor_b64 s[6:7], exec, s[6:7]
	s_cbranch_execnz .LBB13_4085
; %bb.2037:
	s_or_saveexec_b64 s[6:7], s[6:7]
	v_mov_b32_e32 v4, s10
	s_xor_b64 exec, exec, s[6:7]
	s_cbranch_execnz .LBB13_4088
.LBB13_2038:
	s_or_b64 exec, exec, s[6:7]
	s_and_saveexec_b64 s[6:7], s[4:5]
	s_cbranch_execz .LBB13_2040
.LBB13_2039:
	v_bfe_u32 v3, v5, 16, 3
	v_ffbh_u32_e32 v7, v3
	v_min_u32_e32 v7, 32, v7
	v_lshrrev_b32_e32 v4, 19, v5
	v_subrev_u32_e32 v8, 28, v7
	v_and_b32_e32 v4, 15, v4
	v_lshlrev_b32_sdwa v8, v8, v5 dst_sel:DWORD dst_unused:UNUSED_PAD src0_sel:DWORD src1_sel:WORD_1
	v_bfe_u32 v6, v5, 19, 4
	v_sub_u32_e32 v7, 29, v7
	v_and_b32_e32 v8, 7, v8
	v_cmp_eq_u16_e32 vcc, 0, v4
	v_cndmask_b32_e32 v3, v3, v8, vcc
	v_cndmask_b32_e32 v4, v6, v7, vcc
	v_lshlrev_b32_e32 v6, 8, v5
	v_mov_b32_e32 v7, 0x3b800000
	v_lshlrev_b32_e32 v3, 20, v3
	v_and_b32_e32 v6, 0x80000000, v6
	v_lshl_add_u32 v4, v4, 23, v7
	v_or3_b32 v4, v6, v4, v3
.LBB13_2040:
	s_or_b64 exec, exec, s[6:7]
	s_nop 0
	v_mfma_f32_16x16x4f32 a[0:3], v2, v4, a[0:3]
	s_movk_i32 s4, 0x7f
	v_cmp_gt_i16_sdwa s[6:7], v9, s4 src0_sel:BYTE_3 src1_sel:DWORD
	s_mov_b64 s[4:5], 0
                                        ; implicit-def: $sgpr10
	s_and_saveexec_b64 s[8:9], s[6:7]
	s_xor_b64 s[6:7], exec, s[8:9]
	s_cbranch_execnz .LBB13_4089
; %bb.2041:
	s_or_saveexec_b64 s[6:7], s[6:7]
	v_mov_b32_e32 v2, s10
	s_xor_b64 exec, exec, s[6:7]
	s_cbranch_execnz .LBB13_4092
.LBB13_2042:
	s_or_b64 exec, exec, s[6:7]
	s_and_saveexec_b64 s[6:7], s[4:5]
	s_cbranch_execz .LBB13_2044
.LBB13_2043:
	v_bfe_u32 v2, v9, 24, 3
	v_ffbh_u32_e32 v7, v2
	v_min_u32_e32 v7, 32, v7
	v_lshrrev_b32_e32 v4, 27, v9
	v_subrev_u32_e32 v8, 28, v7
	v_and_b32_e32 v4, 15, v4
	v_lshlrev_b32_sdwa v8, v8, v9 dst_sel:DWORD dst_unused:UNUSED_PAD src0_sel:DWORD src1_sel:BYTE_3
	v_bfe_u32 v6, v9, 27, 4
	v_sub_u32_e32 v7, 29, v7
	v_and_b32_e32 v8, 7, v8
	v_cmp_eq_u16_e32 vcc, 0, v4
	v_cndmask_b32_e32 v2, v2, v8, vcc
	v_cndmask_b32_e32 v4, v6, v7, vcc
	v_mov_b32_e32 v6, 0x3b800000
	v_and_b32_e32 v3, 0x80000000, v9
	v_lshlrev_b32_e32 v2, 20, v2
	v_lshl_add_u32 v4, v4, 23, v6
	v_or3_b32 v2, v3, v4, v2
.LBB13_2044:
	s_or_b64 exec, exec, s[6:7]
	s_movk_i32 s4, 0x7f
	v_cmp_gt_i16_sdwa s[6:7], v5, s4 src0_sel:BYTE_3 src1_sel:DWORD
	s_mov_b64 s[4:5], 0
                                        ; implicit-def: $sgpr10
	s_and_saveexec_b64 s[8:9], s[6:7]
	s_xor_b64 s[6:7], exec, s[8:9]
	s_cbranch_execnz .LBB13_4093
; %bb.2045:
	s_or_saveexec_b64 s[6:7], s[6:7]
	v_mov_b32_e32 v3, s10
	s_xor_b64 exec, exec, s[6:7]
	s_cbranch_execnz .LBB13_4096
.LBB13_2046:
	s_or_b64 exec, exec, s[6:7]
	s_and_saveexec_b64 s[6:7], s[4:5]
	s_cbranch_execz .LBB13_2048
.LBB13_2047:
	v_bfe_u32 v3, v5, 24, 3
	v_ffbh_u32_e32 v8, v3
	v_min_u32_e32 v8, 32, v8
	v_lshrrev_b32_e32 v6, 27, v5
	v_subrev_u32_e32 v9, 28, v8
	v_and_b32_e32 v4, 0x80000000, v5
	v_and_b32_e32 v6, 15, v6
	v_bfe_u32 v7, v5, 27, 4
	v_lshlrev_b32_sdwa v5, v9, v5 dst_sel:DWORD dst_unused:UNUSED_PAD src0_sel:DWORD src1_sel:BYTE_3
	v_sub_u32_e32 v8, 29, v8
	v_and_b32_e32 v5, 7, v5
	v_cmp_eq_u16_e32 vcc, 0, v6
	v_cndmask_b32_e32 v3, v3, v5, vcc
	v_cndmask_b32_e32 v5, v7, v8, vcc
	v_mov_b32_e32 v6, 0x3b800000
	v_lshlrev_b32_e32 v3, 20, v3
	v_lshl_add_u32 v5, v5, 23, v6
	v_or3_b32 v3, v4, v5, v3
.LBB13_2048:
	s_or_b64 exec, exec, s[6:7]
	s_nop 0
	v_mfma_f32_16x16x4f32 a[0:3], v2, v3, a[0:3]
	s_nop 7
	s_nop 2
	flat_store_dwordx4 v[0:1], a[0:3] offset:240
	s_waitcnt vmcnt(0) lgkmcnt(0)
	s_setpc_b64 s[30:31]
.LBB13_2049:
	s_movk_i32 s4, 0x80
	v_cmp_eq_u16_sdwa s[12:13], v6, s4 src0_sel:BYTE_0 src1_sel:DWORD
	s_mov_b64 s[4:5], -1
                                        ; implicit-def: $sgpr10
	s_and_saveexec_b64 s[8:9], s[12:13]
; %bb.2050:
	s_mov_b32 s10, 0x7f800001
	s_xor_b64 s[4:5], exec, -1
; %bb.2051:
	s_or_b64 exec, exec, s[8:9]
	s_and_b64 s[4:5], s[4:5], exec
	s_or_saveexec_b64 s[6:7], s[6:7]
	v_mov_b32_e32 v12, s10
	s_xor_b64 exec, exec, s[6:7]
	s_cbranch_execz .LBB13_2
.LBB13_2052:
	v_mov_b32_e32 v12, 0
	v_cmp_ne_u16_sdwa s[8:9], v6, v12 src0_sel:BYTE_0 src1_sel:DWORD
	s_andn2_b64 s[4:5], s[4:5], exec
	s_and_b64 s[8:9], s[8:9], exec
	s_or_b64 s[4:5], s[4:5], s[8:9]
	s_or_b64 exec, exec, s[6:7]
	s_and_saveexec_b64 s[6:7], s[4:5]
	s_cbranch_execnz .LBB13_3
	s_branch .LBB13_4
.LBB13_2053:
	s_movk_i32 s4, 0x80
	v_cmp_eq_u16_sdwa s[12:13], v2, s4 src0_sel:BYTE_0 src1_sel:DWORD
	s_mov_b64 s[4:5], -1
                                        ; implicit-def: $sgpr10
	s_and_saveexec_b64 s[8:9], s[12:13]
; %bb.2054:
	s_mov_b32 s10, 0x7f800001
	s_xor_b64 s[4:5], exec, -1
; %bb.2055:
	s_or_b64 exec, exec, s[8:9]
	s_and_b64 s[4:5], s[4:5], exec
	s_or_saveexec_b64 s[6:7], s[6:7]
	v_mov_b32_e32 v13, s10
	s_xor_b64 exec, exec, s[6:7]
	s_cbranch_execz .LBB13_6
.LBB13_2056:
	v_mov_b32_e32 v13, 0
	v_cmp_ne_u16_sdwa s[8:9], v2, v13 src0_sel:BYTE_0 src1_sel:DWORD
	s_andn2_b64 s[4:5], s[4:5], exec
	s_and_b64 s[8:9], s[8:9], exec
	s_or_b64 s[4:5], s[4:5], s[8:9]
	s_or_b64 exec, exec, s[6:7]
	s_and_saveexec_b64 s[6:7], s[4:5]
	s_cbranch_execnz .LBB13_7
	s_branch .LBB13_8
.LBB13_2057:
	s_movk_i32 s4, 0x80
	v_cmp_eq_u16_sdwa s[12:13], v13, s4 src0_sel:BYTE_0 src1_sel:DWORD
	s_mov_b64 s[4:5], -1
                                        ; implicit-def: $sgpr10
	s_and_saveexec_b64 s[8:9], s[12:13]
; %bb.2058:
	s_mov_b32 s10, 0x7f800001
	s_xor_b64 s[4:5], exec, -1
; %bb.2059:
	s_or_b64 exec, exec, s[8:9]
	s_and_b64 s[4:5], s[4:5], exec
	s_or_saveexec_b64 s[6:7], s[6:7]
	v_mov_b32_e32 v12, s10
	s_xor_b64 exec, exec, s[6:7]
	s_cbranch_execz .LBB13_10
.LBB13_2060:
	v_mov_b32_e32 v12, 0
	v_cmp_ne_u16_sdwa s[8:9], v13, v12 src0_sel:BYTE_0 src1_sel:DWORD
	s_andn2_b64 s[4:5], s[4:5], exec
	s_and_b64 s[8:9], s[8:9], exec
	s_or_b64 s[4:5], s[4:5], s[8:9]
	s_or_b64 exec, exec, s[6:7]
	s_and_saveexec_b64 s[6:7], s[4:5]
	s_cbranch_execnz .LBB13_11
	s_branch .LBB13_12
.LBB13_2061:
	s_movk_i32 s4, 0x80
	v_cmp_eq_u16_sdwa s[12:13], v13, s4 src0_sel:BYTE_0 src1_sel:DWORD
	s_mov_b64 s[4:5], -1
                                        ; implicit-def: $sgpr10
	s_and_saveexec_b64 s[8:9], s[12:13]
; %bb.2062:
	s_mov_b32 s10, 0x7f800001
	s_xor_b64 s[4:5], exec, -1
; %bb.2063:
	s_or_b64 exec, exec, s[8:9]
	s_and_b64 s[4:5], s[4:5], exec
	s_or_saveexec_b64 s[6:7], s[6:7]
	v_mov_b32_e32 v14, s10
	s_xor_b64 exec, exec, s[6:7]
	s_cbranch_execz .LBB13_14
.LBB13_2064:
	v_mov_b32_e32 v14, 0
	v_cmp_ne_u16_sdwa s[8:9], v13, v14 src0_sel:BYTE_0 src1_sel:DWORD
	s_andn2_b64 s[4:5], s[4:5], exec
	s_and_b64 s[8:9], s[8:9], exec
	s_or_b64 s[4:5], s[4:5], s[8:9]
	s_or_b64 exec, exec, s[6:7]
	s_and_saveexec_b64 s[6:7], s[4:5]
	s_cbranch_execnz .LBB13_15
	s_branch .LBB13_16
.LBB13_2065:
	s_movk_i32 s4, 0x80
	v_cmp_eq_u16_e32 vcc, s4, v13
	s_mov_b64 s[4:5], -1
                                        ; implicit-def: $sgpr10
	s_and_saveexec_b64 s[8:9], vcc
; %bb.2066:
	s_mov_b32 s10, 0x7f800001
	s_xor_b64 s[4:5], exec, -1
; %bb.2067:
	s_or_b64 exec, exec, s[8:9]
	s_and_b64 s[4:5], s[4:5], exec
                                        ; implicit-def: $vgpr13
	s_or_saveexec_b64 s[6:7], s[6:7]
	v_mov_b32_e32 v12, s10
	s_xor_b64 exec, exec, s[6:7]
	s_cbranch_execz .LBB13_18
.LBB13_2068:
	v_cmp_ne_u16_e32 vcc, 0, v13
	s_andn2_b64 s[4:5], s[4:5], exec
	s_and_b64 s[8:9], vcc, exec
	v_mov_b32_e32 v12, 0
	s_or_b64 s[4:5], s[4:5], s[8:9]
	s_or_b64 exec, exec, s[6:7]
	s_and_saveexec_b64 s[6:7], s[4:5]
	s_cbranch_execnz .LBB13_19
	s_branch .LBB13_20
.LBB13_2069:
	s_movk_i32 s4, 0x80
	v_cmp_eq_u16_e32 vcc, s4, v13
	s_mov_b64 s[4:5], -1
                                        ; implicit-def: $sgpr10
	s_and_saveexec_b64 s[8:9], vcc
; %bb.2070:
	s_mov_b32 s10, 0x7f800001
	s_xor_b64 s[4:5], exec, -1
; %bb.2071:
	s_or_b64 exec, exec, s[8:9]
	s_and_b64 s[4:5], s[4:5], exec
                                        ; implicit-def: $vgpr13
	s_or_saveexec_b64 s[6:7], s[6:7]
	v_mov_b32_e32 v14, s10
	s_xor_b64 exec, exec, s[6:7]
	s_cbranch_execz .LBB13_22
.LBB13_2072:
	v_cmp_ne_u16_e32 vcc, 0, v13
	s_andn2_b64 s[4:5], s[4:5], exec
	s_and_b64 s[8:9], vcc, exec
	v_mov_b32_e32 v14, 0
	s_or_b64 s[4:5], s[4:5], s[8:9]
	s_or_b64 exec, exec, s[6:7]
	s_and_saveexec_b64 s[6:7], s[4:5]
	s_cbranch_execnz .LBB13_23
	s_branch .LBB13_24
.LBB13_2073:
	s_movk_i32 s4, 0x80
	v_cmp_eq_u16_sdwa s[12:13], v6, s4 src0_sel:BYTE_3 src1_sel:DWORD
	s_mov_b64 s[4:5], -1
                                        ; implicit-def: $sgpr10
	s_and_saveexec_b64 s[8:9], s[12:13]
; %bb.2074:
	s_mov_b32 s10, 0x7f800001
	s_xor_b64 s[4:5], exec, -1
; %bb.2075:
	s_or_b64 exec, exec, s[8:9]
	s_and_b64 s[4:5], s[4:5], exec
	s_or_saveexec_b64 s[6:7], s[6:7]
	v_mov_b32_e32 v12, s10
	s_xor_b64 exec, exec, s[6:7]
	s_cbranch_execz .LBB13_26
.LBB13_2076:
	v_mov_b32_e32 v12, 0
	v_cmp_ne_u16_sdwa s[8:9], v6, v12 src0_sel:BYTE_3 src1_sel:DWORD
	s_andn2_b64 s[4:5], s[4:5], exec
	s_and_b64 s[8:9], s[8:9], exec
	s_or_b64 s[4:5], s[4:5], s[8:9]
	s_or_b64 exec, exec, s[6:7]
	s_and_saveexec_b64 s[6:7], s[4:5]
	s_cbranch_execnz .LBB13_27
	s_branch .LBB13_28
.LBB13_2077:
	s_movk_i32 s4, 0x80
	v_cmp_eq_u16_sdwa s[12:13], v2, s4 src0_sel:BYTE_3 src1_sel:DWORD
	s_mov_b64 s[4:5], -1
                                        ; implicit-def: $sgpr10
	s_and_saveexec_b64 s[8:9], s[12:13]
; %bb.2078:
	s_mov_b32 s10, 0x7f800001
	s_xor_b64 s[4:5], exec, -1
; %bb.2079:
	s_or_b64 exec, exec, s[8:9]
	s_and_b64 s[4:5], s[4:5], exec
	s_or_saveexec_b64 s[6:7], s[6:7]
	v_mov_b32_e32 v6, s10
	s_xor_b64 exec, exec, s[6:7]
	s_cbranch_execz .LBB13_30
.LBB13_2080:
	v_mov_b32_e32 v6, 0
	v_cmp_ne_u16_sdwa s[8:9], v2, v6 src0_sel:BYTE_3 src1_sel:DWORD
	s_andn2_b64 s[4:5], s[4:5], exec
	s_and_b64 s[8:9], s[8:9], exec
	s_or_b64 s[4:5], s[4:5], s[8:9]
	s_or_b64 exec, exec, s[6:7]
	s_and_saveexec_b64 s[6:7], s[4:5]
	s_cbranch_execnz .LBB13_31
	s_branch .LBB13_32
.LBB13_2081:
	s_movk_i32 s4, 0x80
	v_cmp_eq_u16_sdwa s[12:13], v7, s4 src0_sel:BYTE_0 src1_sel:DWORD
	s_mov_b64 s[4:5], -1
                                        ; implicit-def: $sgpr10
	s_and_saveexec_b64 s[8:9], s[12:13]
; %bb.2082:
	s_mov_b32 s10, 0x7f800001
	s_xor_b64 s[4:5], exec, -1
; %bb.2083:
	s_or_b64 exec, exec, s[8:9]
	s_and_b64 s[4:5], s[4:5], exec
	s_or_saveexec_b64 s[6:7], s[6:7]
	v_mov_b32_e32 v2, s10
	s_xor_b64 exec, exec, s[6:7]
	s_cbranch_execz .LBB13_34
.LBB13_2084:
	v_mov_b32_e32 v2, 0
	v_cmp_ne_u16_sdwa s[8:9], v7, v2 src0_sel:BYTE_0 src1_sel:DWORD
	s_andn2_b64 s[4:5], s[4:5], exec
	s_and_b64 s[8:9], s[8:9], exec
	s_or_b64 s[4:5], s[4:5], s[8:9]
	s_or_b64 exec, exec, s[6:7]
	s_and_saveexec_b64 s[6:7], s[4:5]
	s_cbranch_execnz .LBB13_35
	s_branch .LBB13_36
.LBB13_2085:
	s_movk_i32 s4, 0x80
	v_cmp_eq_u16_sdwa s[12:13], v3, s4 src0_sel:BYTE_0 src1_sel:DWORD
	s_mov_b64 s[4:5], -1
                                        ; implicit-def: $sgpr10
	s_and_saveexec_b64 s[8:9], s[12:13]
; %bb.2086:
	s_mov_b32 s10, 0x7f800001
	s_xor_b64 s[4:5], exec, -1
; %bb.2087:
	s_or_b64 exec, exec, s[8:9]
	s_and_b64 s[4:5], s[4:5], exec
	s_or_saveexec_b64 s[6:7], s[6:7]
	v_mov_b32_e32 v6, s10
	s_xor_b64 exec, exec, s[6:7]
	s_cbranch_execz .LBB13_38
.LBB13_2088:
	v_mov_b32_e32 v6, 0
	v_cmp_ne_u16_sdwa s[8:9], v3, v6 src0_sel:BYTE_0 src1_sel:DWORD
	s_andn2_b64 s[4:5], s[4:5], exec
	s_and_b64 s[8:9], s[8:9], exec
	s_or_b64 s[4:5], s[4:5], s[8:9]
	s_or_b64 exec, exec, s[6:7]
	s_and_saveexec_b64 s[6:7], s[4:5]
	s_cbranch_execnz .LBB13_39
	s_branch .LBB13_40
.LBB13_2089:
	s_movk_i32 s4, 0x80
	v_cmp_eq_u16_sdwa s[12:13], v6, s4 src0_sel:BYTE_0 src1_sel:DWORD
	s_mov_b64 s[4:5], -1
                                        ; implicit-def: $sgpr10
	s_and_saveexec_b64 s[8:9], s[12:13]
; %bb.2090:
	s_mov_b32 s10, 0x7f800001
	s_xor_b64 s[4:5], exec, -1
; %bb.2091:
	s_or_b64 exec, exec, s[8:9]
	s_and_b64 s[4:5], s[4:5], exec
	s_or_saveexec_b64 s[6:7], s[6:7]
	v_mov_b32_e32 v2, s10
	s_xor_b64 exec, exec, s[6:7]
	s_cbranch_execz .LBB13_42
.LBB13_2092:
	v_mov_b32_e32 v2, 0
	v_cmp_ne_u16_sdwa s[8:9], v6, v2 src0_sel:BYTE_0 src1_sel:DWORD
	s_andn2_b64 s[4:5], s[4:5], exec
	s_and_b64 s[8:9], s[8:9], exec
	s_or_b64 s[4:5], s[4:5], s[8:9]
	s_or_b64 exec, exec, s[6:7]
	s_and_saveexec_b64 s[6:7], s[4:5]
	s_cbranch_execnz .LBB13_43
	s_branch .LBB13_44
.LBB13_2093:
	s_movk_i32 s4, 0x80
	v_cmp_eq_u16_sdwa s[12:13], v6, s4 src0_sel:BYTE_0 src1_sel:DWORD
	s_mov_b64 s[4:5], -1
                                        ; implicit-def: $sgpr10
	s_and_saveexec_b64 s[8:9], s[12:13]
; %bb.2094:
	s_mov_b32 s10, 0x7f800001
	s_xor_b64 s[4:5], exec, -1
; %bb.2095:
	s_or_b64 exec, exec, s[8:9]
	s_and_b64 s[4:5], s[4:5], exec
	s_or_saveexec_b64 s[6:7], s[6:7]
	v_mov_b32_e32 v12, s10
	s_xor_b64 exec, exec, s[6:7]
	s_cbranch_execz .LBB13_46
.LBB13_2096:
	v_mov_b32_e32 v12, 0
	v_cmp_ne_u16_sdwa s[8:9], v6, v12 src0_sel:BYTE_0 src1_sel:DWORD
	s_andn2_b64 s[4:5], s[4:5], exec
	s_and_b64 s[8:9], s[8:9], exec
	s_or_b64 s[4:5], s[4:5], s[8:9]
	s_or_b64 exec, exec, s[6:7]
	s_and_saveexec_b64 s[6:7], s[4:5]
	s_cbranch_execnz .LBB13_47
	s_branch .LBB13_48
.LBB13_2097:
	s_movk_i32 s4, 0x80
	v_cmp_eq_u16_e32 vcc, s4, v6
	s_mov_b64 s[4:5], -1
                                        ; implicit-def: $sgpr10
	s_and_saveexec_b64 s[8:9], vcc
; %bb.2098:
	s_mov_b32 s10, 0x7f800001
	s_xor_b64 s[4:5], exec, -1
; %bb.2099:
	s_or_b64 exec, exec, s[8:9]
	s_and_b64 s[4:5], s[4:5], exec
                                        ; implicit-def: $vgpr6
	s_or_saveexec_b64 s[6:7], s[6:7]
	v_mov_b32_e32 v2, s10
	s_xor_b64 exec, exec, s[6:7]
	s_cbranch_execz .LBB13_50
.LBB13_2100:
	v_cmp_ne_u16_e32 vcc, 0, v6
	s_andn2_b64 s[4:5], s[4:5], exec
	s_and_b64 s[8:9], vcc, exec
	v_mov_b32_e32 v2, 0
	s_or_b64 s[4:5], s[4:5], s[8:9]
	s_or_b64 exec, exec, s[6:7]
	s_and_saveexec_b64 s[6:7], s[4:5]
	s_cbranch_execnz .LBB13_51
	s_branch .LBB13_52
.LBB13_2101:
	s_movk_i32 s4, 0x80
	v_cmp_eq_u16_e32 vcc, s4, v6
	s_mov_b64 s[4:5], -1
                                        ; implicit-def: $sgpr10
	s_and_saveexec_b64 s[8:9], vcc
; %bb.2102:
	s_mov_b32 s10, 0x7f800001
	s_xor_b64 s[4:5], exec, -1
; %bb.2103:
	s_or_b64 exec, exec, s[8:9]
	s_and_b64 s[4:5], s[4:5], exec
                                        ; implicit-def: $vgpr6
	s_or_saveexec_b64 s[6:7], s[6:7]
	v_mov_b32_e32 v12, s10
	s_xor_b64 exec, exec, s[6:7]
	s_cbranch_execz .LBB13_54
.LBB13_2104:
	v_cmp_ne_u16_e32 vcc, 0, v6
	s_andn2_b64 s[4:5], s[4:5], exec
	s_and_b64 s[8:9], vcc, exec
	v_mov_b32_e32 v12, 0
	s_or_b64 s[4:5], s[4:5], s[8:9]
	s_or_b64 exec, exec, s[6:7]
	s_and_saveexec_b64 s[6:7], s[4:5]
	s_cbranch_execnz .LBB13_55
	s_branch .LBB13_56
.LBB13_2105:
	s_movk_i32 s4, 0x80
	v_cmp_eq_u16_sdwa s[12:13], v7, s4 src0_sel:BYTE_3 src1_sel:DWORD
	s_mov_b64 s[4:5], -1
                                        ; implicit-def: $sgpr10
	s_and_saveexec_b64 s[8:9], s[12:13]
; %bb.2106:
	s_mov_b32 s10, 0x7f800001
	s_xor_b64 s[4:5], exec, -1
; %bb.2107:
	s_or_b64 exec, exec, s[8:9]
	s_and_b64 s[4:5], s[4:5], exec
	s_or_saveexec_b64 s[6:7], s[6:7]
	v_mov_b32_e32 v2, s10
	s_xor_b64 exec, exec, s[6:7]
	s_cbranch_execz .LBB13_58
.LBB13_2108:
	v_mov_b32_e32 v2, 0
	v_cmp_ne_u16_sdwa s[8:9], v7, v2 src0_sel:BYTE_3 src1_sel:DWORD
	s_andn2_b64 s[4:5], s[4:5], exec
	s_and_b64 s[8:9], s[8:9], exec
	s_or_b64 s[4:5], s[4:5], s[8:9]
	s_or_b64 exec, exec, s[6:7]
	s_and_saveexec_b64 s[6:7], s[4:5]
	s_cbranch_execnz .LBB13_59
	s_branch .LBB13_60
.LBB13_2109:
	s_movk_i32 s4, 0x80
	v_cmp_eq_u16_sdwa s[12:13], v3, s4 src0_sel:BYTE_3 src1_sel:DWORD
	s_mov_b64 s[4:5], -1
                                        ; implicit-def: $sgpr10
	s_and_saveexec_b64 s[8:9], s[12:13]
; %bb.2110:
	s_mov_b32 s10, 0x7f800001
	s_xor_b64 s[4:5], exec, -1
; %bb.2111:
	s_or_b64 exec, exec, s[8:9]
	s_and_b64 s[4:5], s[4:5], exec
	s_or_saveexec_b64 s[6:7], s[6:7]
	v_mov_b32_e32 v6, s10
	s_xor_b64 exec, exec, s[6:7]
	s_cbranch_execz .LBB13_62
.LBB13_2112:
	v_mov_b32_e32 v6, 0
	v_cmp_ne_u16_sdwa s[8:9], v3, v6 src0_sel:BYTE_3 src1_sel:DWORD
	s_andn2_b64 s[4:5], s[4:5], exec
	s_and_b64 s[8:9], s[8:9], exec
	s_or_b64 s[4:5], s[4:5], s[8:9]
	s_or_b64 exec, exec, s[6:7]
	s_and_saveexec_b64 s[6:7], s[4:5]
	s_cbranch_execnz .LBB13_63
	s_branch .LBB13_64
.LBB13_2113:
	s_movk_i32 s4, 0x80
	v_cmp_eq_u16_sdwa s[12:13], v8, s4 src0_sel:BYTE_0 src1_sel:DWORD
	s_mov_b64 s[4:5], -1
                                        ; implicit-def: $sgpr10
	s_and_saveexec_b64 s[8:9], s[12:13]
; %bb.2114:
	s_mov_b32 s10, 0x7f800001
	s_xor_b64 s[4:5], exec, -1
; %bb.2115:
	s_or_b64 exec, exec, s[8:9]
	s_and_b64 s[4:5], s[4:5], exec
	s_or_saveexec_b64 s[6:7], s[6:7]
	v_mov_b32_e32 v2, s10
	s_xor_b64 exec, exec, s[6:7]
	s_cbranch_execz .LBB13_66
.LBB13_2116:
	v_mov_b32_e32 v2, 0
	v_cmp_ne_u16_sdwa s[8:9], v8, v2 src0_sel:BYTE_0 src1_sel:DWORD
	s_andn2_b64 s[4:5], s[4:5], exec
	s_and_b64 s[8:9], s[8:9], exec
	s_or_b64 s[4:5], s[4:5], s[8:9]
	s_or_b64 exec, exec, s[6:7]
	s_and_saveexec_b64 s[6:7], s[4:5]
	s_cbranch_execnz .LBB13_67
	s_branch .LBB13_68
.LBB13_2117:
	s_movk_i32 s4, 0x80
	v_cmp_eq_u16_sdwa s[12:13], v4, s4 src0_sel:BYTE_0 src1_sel:DWORD
	s_mov_b64 s[4:5], -1
                                        ; implicit-def: $sgpr10
	s_and_saveexec_b64 s[8:9], s[12:13]
; %bb.2118:
	s_mov_b32 s10, 0x7f800001
	s_xor_b64 s[4:5], exec, -1
; %bb.2119:
	s_or_b64 exec, exec, s[8:9]
	s_and_b64 s[4:5], s[4:5], exec
	s_or_saveexec_b64 s[6:7], s[6:7]
	v_mov_b32_e32 v3, s10
	s_xor_b64 exec, exec, s[6:7]
	s_cbranch_execz .LBB13_70
.LBB13_2120:
	v_mov_b32_e32 v3, 0
	v_cmp_ne_u16_sdwa s[8:9], v4, v3 src0_sel:BYTE_0 src1_sel:DWORD
	s_andn2_b64 s[4:5], s[4:5], exec
	s_and_b64 s[8:9], s[8:9], exec
	s_or_b64 s[4:5], s[4:5], s[8:9]
	s_or_b64 exec, exec, s[6:7]
	s_and_saveexec_b64 s[6:7], s[4:5]
	s_cbranch_execnz .LBB13_71
	s_branch .LBB13_72
.LBB13_2121:
	s_movk_i32 s4, 0x80
	v_cmp_eq_u16_sdwa s[12:13], v3, s4 src0_sel:BYTE_0 src1_sel:DWORD
	s_mov_b64 s[4:5], -1
                                        ; implicit-def: $sgpr10
	s_and_saveexec_b64 s[8:9], s[12:13]
; %bb.2122:
	s_mov_b32 s10, 0x7f800001
	s_xor_b64 s[4:5], exec, -1
; %bb.2123:
	s_or_b64 exec, exec, s[8:9]
	s_and_b64 s[4:5], s[4:5], exec
	s_or_saveexec_b64 s[6:7], s[6:7]
	v_mov_b32_e32 v2, s10
	s_xor_b64 exec, exec, s[6:7]
	s_cbranch_execz .LBB13_74
.LBB13_2124:
	v_mov_b32_e32 v2, 0
	v_cmp_ne_u16_sdwa s[8:9], v3, v2 src0_sel:BYTE_0 src1_sel:DWORD
	s_andn2_b64 s[4:5], s[4:5], exec
	s_and_b64 s[8:9], s[8:9], exec
	s_or_b64 s[4:5], s[4:5], s[8:9]
	s_or_b64 exec, exec, s[6:7]
	s_and_saveexec_b64 s[6:7], s[4:5]
	s_cbranch_execnz .LBB13_75
	s_branch .LBB13_76
.LBB13_2125:
	s_movk_i32 s4, 0x80
	v_cmp_eq_u16_sdwa s[12:13], v3, s4 src0_sel:BYTE_0 src1_sel:DWORD
	s_mov_b64 s[4:5], -1
                                        ; implicit-def: $sgpr10
	s_and_saveexec_b64 s[8:9], s[12:13]
; %bb.2126:
	s_mov_b32 s10, 0x7f800001
	s_xor_b64 s[4:5], exec, -1
; %bb.2127:
	s_or_b64 exec, exec, s[8:9]
	s_and_b64 s[4:5], s[4:5], exec
	s_or_saveexec_b64 s[6:7], s[6:7]
	v_mov_b32_e32 v6, s10
	s_xor_b64 exec, exec, s[6:7]
	s_cbranch_execz .LBB13_78
.LBB13_2128:
	v_mov_b32_e32 v6, 0
	v_cmp_ne_u16_sdwa s[8:9], v3, v6 src0_sel:BYTE_0 src1_sel:DWORD
	s_andn2_b64 s[4:5], s[4:5], exec
	s_and_b64 s[8:9], s[8:9], exec
	s_or_b64 s[4:5], s[4:5], s[8:9]
	s_or_b64 exec, exec, s[6:7]
	s_and_saveexec_b64 s[6:7], s[4:5]
	s_cbranch_execnz .LBB13_79
	s_branch .LBB13_80
.LBB13_2129:
	s_movk_i32 s4, 0x80
	v_cmp_eq_u16_e32 vcc, s4, v3
	s_mov_b64 s[4:5], -1
                                        ; implicit-def: $sgpr10
	s_and_saveexec_b64 s[8:9], vcc
; %bb.2130:
	s_mov_b32 s10, 0x7f800001
	s_xor_b64 s[4:5], exec, -1
; %bb.2131:
	s_or_b64 exec, exec, s[8:9]
	s_and_b64 s[4:5], s[4:5], exec
                                        ; implicit-def: $vgpr3
	s_or_saveexec_b64 s[6:7], s[6:7]
	v_mov_b32_e32 v2, s10
	s_xor_b64 exec, exec, s[6:7]
	s_cbranch_execz .LBB13_82
.LBB13_2132:
	v_cmp_ne_u16_e32 vcc, 0, v3
	s_andn2_b64 s[4:5], s[4:5], exec
	s_and_b64 s[8:9], vcc, exec
	v_mov_b32_e32 v2, 0
	s_or_b64 s[4:5], s[4:5], s[8:9]
	s_or_b64 exec, exec, s[6:7]
	s_and_saveexec_b64 s[6:7], s[4:5]
	s_cbranch_execnz .LBB13_83
	s_branch .LBB13_84
.LBB13_2133:
	s_movk_i32 s4, 0x80
	v_cmp_eq_u16_e32 vcc, s4, v3
	s_mov_b64 s[4:5], -1
                                        ; implicit-def: $sgpr10
	s_and_saveexec_b64 s[8:9], vcc
; %bb.2134:
	s_mov_b32 s10, 0x7f800001
	s_xor_b64 s[4:5], exec, -1
; %bb.2135:
	s_or_b64 exec, exec, s[8:9]
	s_and_b64 s[4:5], s[4:5], exec
                                        ; implicit-def: $vgpr3
	s_or_saveexec_b64 s[6:7], s[6:7]
	v_mov_b32_e32 v6, s10
	s_xor_b64 exec, exec, s[6:7]
	s_cbranch_execz .LBB13_86
.LBB13_2136:
	v_cmp_ne_u16_e32 vcc, 0, v3
	s_andn2_b64 s[4:5], s[4:5], exec
	s_and_b64 s[8:9], vcc, exec
	v_mov_b32_e32 v6, 0
	s_or_b64 s[4:5], s[4:5], s[8:9]
	s_or_b64 exec, exec, s[6:7]
	s_and_saveexec_b64 s[6:7], s[4:5]
	s_cbranch_execnz .LBB13_87
	s_branch .LBB13_88
.LBB13_2137:
	s_movk_i32 s4, 0x80
	v_cmp_eq_u16_sdwa s[12:13], v8, s4 src0_sel:BYTE_3 src1_sel:DWORD
	s_mov_b64 s[4:5], -1
                                        ; implicit-def: $sgpr10
	s_and_saveexec_b64 s[8:9], s[12:13]
; %bb.2138:
	s_mov_b32 s10, 0x7f800001
	s_xor_b64 s[4:5], exec, -1
; %bb.2139:
	s_or_b64 exec, exec, s[8:9]
	s_and_b64 s[4:5], s[4:5], exec
	s_or_saveexec_b64 s[6:7], s[6:7]
	v_mov_b32_e32 v2, s10
	s_xor_b64 exec, exec, s[6:7]
	s_cbranch_execz .LBB13_90
.LBB13_2140:
	v_mov_b32_e32 v2, 0
	v_cmp_ne_u16_sdwa s[8:9], v8, v2 src0_sel:BYTE_3 src1_sel:DWORD
	s_andn2_b64 s[4:5], s[4:5], exec
	s_and_b64 s[8:9], s[8:9], exec
	s_or_b64 s[4:5], s[4:5], s[8:9]
	s_or_b64 exec, exec, s[6:7]
	s_and_saveexec_b64 s[6:7], s[4:5]
	s_cbranch_execnz .LBB13_91
	s_branch .LBB13_92
.LBB13_2141:
	s_movk_i32 s4, 0x80
	v_cmp_eq_u16_sdwa s[12:13], v4, s4 src0_sel:BYTE_3 src1_sel:DWORD
	s_mov_b64 s[4:5], -1
                                        ; implicit-def: $sgpr10
	s_and_saveexec_b64 s[8:9], s[12:13]
; %bb.2142:
	s_mov_b32 s10, 0x7f800001
	s_xor_b64 s[4:5], exec, -1
; %bb.2143:
	s_or_b64 exec, exec, s[8:9]
	s_and_b64 s[4:5], s[4:5], exec
	s_or_saveexec_b64 s[6:7], s[6:7]
	v_mov_b32_e32 v3, s10
	s_xor_b64 exec, exec, s[6:7]
	s_cbranch_execz .LBB13_94
.LBB13_2144:
	v_mov_b32_e32 v3, 0
	v_cmp_ne_u16_sdwa s[8:9], v4, v3 src0_sel:BYTE_3 src1_sel:DWORD
	s_andn2_b64 s[4:5], s[4:5], exec
	s_and_b64 s[8:9], s[8:9], exec
	s_or_b64 s[4:5], s[4:5], s[8:9]
	s_or_b64 exec, exec, s[6:7]
	s_and_saveexec_b64 s[6:7], s[4:5]
	s_cbranch_execnz .LBB13_95
	s_branch .LBB13_96
.LBB13_2145:
	s_movk_i32 s4, 0x80
	v_cmp_eq_u16_sdwa s[12:13], v9, s4 src0_sel:BYTE_0 src1_sel:DWORD
	s_mov_b64 s[4:5], -1
                                        ; implicit-def: $sgpr10
	s_and_saveexec_b64 s[8:9], s[12:13]
; %bb.2146:
	s_mov_b32 s10, 0x7f800001
	s_xor_b64 s[4:5], exec, -1
; %bb.2147:
	s_or_b64 exec, exec, s[8:9]
	s_and_b64 s[4:5], s[4:5], exec
	s_or_saveexec_b64 s[6:7], s[6:7]
	v_mov_b32_e32 v2, s10
	s_xor_b64 exec, exec, s[6:7]
	s_cbranch_execz .LBB13_98
.LBB13_2148:
	v_mov_b32_e32 v2, 0
	v_cmp_ne_u16_sdwa s[8:9], v9, v2 src0_sel:BYTE_0 src1_sel:DWORD
	s_andn2_b64 s[4:5], s[4:5], exec
	s_and_b64 s[8:9], s[8:9], exec
	s_or_b64 s[4:5], s[4:5], s[8:9]
	s_or_b64 exec, exec, s[6:7]
	s_and_saveexec_b64 s[6:7], s[4:5]
	s_cbranch_execnz .LBB13_99
	s_branch .LBB13_100
.LBB13_2149:
	s_movk_i32 s4, 0x80
	v_cmp_eq_u16_sdwa s[12:13], v5, s4 src0_sel:BYTE_0 src1_sel:DWORD
	s_mov_b64 s[4:5], -1
                                        ; implicit-def: $sgpr10
	s_and_saveexec_b64 s[8:9], s[12:13]
; %bb.2150:
	s_mov_b32 s10, 0x7f800001
	s_xor_b64 s[4:5], exec, -1
; %bb.2151:
	s_or_b64 exec, exec, s[8:9]
	s_and_b64 s[4:5], s[4:5], exec
	s_or_saveexec_b64 s[6:7], s[6:7]
	v_mov_b32_e32 v3, s10
	s_xor_b64 exec, exec, s[6:7]
	s_cbranch_execz .LBB13_102
.LBB13_2152:
	v_mov_b32_e32 v3, 0
	v_cmp_ne_u16_sdwa s[8:9], v5, v3 src0_sel:BYTE_0 src1_sel:DWORD
	s_andn2_b64 s[4:5], s[4:5], exec
	s_and_b64 s[8:9], s[8:9], exec
	s_or_b64 s[4:5], s[4:5], s[8:9]
	s_or_b64 exec, exec, s[6:7]
	s_and_saveexec_b64 s[6:7], s[4:5]
	s_cbranch_execnz .LBB13_103
	s_branch .LBB13_104
.LBB13_2153:
	s_movk_i32 s4, 0x80
	v_cmp_eq_u16_sdwa s[12:13], v3, s4 src0_sel:BYTE_0 src1_sel:DWORD
	s_mov_b64 s[4:5], -1
                                        ; implicit-def: $sgpr10
	s_and_saveexec_b64 s[8:9], s[12:13]
; %bb.2154:
	s_mov_b32 s10, 0x7f800001
	s_xor_b64 s[4:5], exec, -1
; %bb.2155:
	s_or_b64 exec, exec, s[8:9]
	s_and_b64 s[4:5], s[4:5], exec
	s_or_saveexec_b64 s[6:7], s[6:7]
	v_mov_b32_e32 v2, s10
	s_xor_b64 exec, exec, s[6:7]
	s_cbranch_execz .LBB13_106
.LBB13_2156:
	v_mov_b32_e32 v2, 0
	v_cmp_ne_u16_sdwa s[8:9], v3, v2 src0_sel:BYTE_0 src1_sel:DWORD
	s_andn2_b64 s[4:5], s[4:5], exec
	s_and_b64 s[8:9], s[8:9], exec
	s_or_b64 s[4:5], s[4:5], s[8:9]
	s_or_b64 exec, exec, s[6:7]
	s_and_saveexec_b64 s[6:7], s[4:5]
	s_cbranch_execnz .LBB13_107
	s_branch .LBB13_108
.LBB13_2157:
	s_movk_i32 s4, 0x80
	v_cmp_eq_u16_sdwa s[12:13], v3, s4 src0_sel:BYTE_0 src1_sel:DWORD
	s_mov_b64 s[4:5], -1
                                        ; implicit-def: $sgpr10
	s_and_saveexec_b64 s[8:9], s[12:13]
; %bb.2158:
	s_mov_b32 s10, 0x7f800001
	s_xor_b64 s[4:5], exec, -1
; %bb.2159:
	s_or_b64 exec, exec, s[8:9]
	s_and_b64 s[4:5], s[4:5], exec
	s_or_saveexec_b64 s[6:7], s[6:7]
	v_mov_b32_e32 v4, s10
	s_xor_b64 exec, exec, s[6:7]
	s_cbranch_execz .LBB13_110
.LBB13_2160:
	v_mov_b32_e32 v4, 0
	v_cmp_ne_u16_sdwa s[8:9], v3, v4 src0_sel:BYTE_0 src1_sel:DWORD
	s_andn2_b64 s[4:5], s[4:5], exec
	s_and_b64 s[8:9], s[8:9], exec
	s_or_b64 s[4:5], s[4:5], s[8:9]
	s_or_b64 exec, exec, s[6:7]
	s_and_saveexec_b64 s[6:7], s[4:5]
	s_cbranch_execnz .LBB13_111
	s_branch .LBB13_112
.LBB13_2161:
	s_movk_i32 s4, 0x80
	v_cmp_eq_u16_e32 vcc, s4, v3
	s_mov_b64 s[4:5], -1
                                        ; implicit-def: $sgpr10
	s_and_saveexec_b64 s[8:9], vcc
; %bb.2162:
	s_mov_b32 s10, 0x7f800001
	s_xor_b64 s[4:5], exec, -1
; %bb.2163:
	s_or_b64 exec, exec, s[8:9]
	s_and_b64 s[4:5], s[4:5], exec
                                        ; implicit-def: $vgpr3
	s_or_saveexec_b64 s[6:7], s[6:7]
	v_mov_b32_e32 v2, s10
	s_xor_b64 exec, exec, s[6:7]
	s_cbranch_execz .LBB13_114
.LBB13_2164:
	v_cmp_ne_u16_e32 vcc, 0, v3
	s_andn2_b64 s[4:5], s[4:5], exec
	s_and_b64 s[8:9], vcc, exec
	v_mov_b32_e32 v2, 0
	s_or_b64 s[4:5], s[4:5], s[8:9]
	s_or_b64 exec, exec, s[6:7]
	s_and_saveexec_b64 s[6:7], s[4:5]
	s_cbranch_execnz .LBB13_115
	s_branch .LBB13_116
.LBB13_2165:
	s_movk_i32 s4, 0x80
	v_cmp_eq_u16_e32 vcc, s4, v3
	s_mov_b64 s[4:5], -1
                                        ; implicit-def: $sgpr10
	s_and_saveexec_b64 s[8:9], vcc
; %bb.2166:
	s_mov_b32 s10, 0x7f800001
	s_xor_b64 s[4:5], exec, -1
; %bb.2167:
	s_or_b64 exec, exec, s[8:9]
	s_and_b64 s[4:5], s[4:5], exec
                                        ; implicit-def: $vgpr3
	s_or_saveexec_b64 s[6:7], s[6:7]
	v_mov_b32_e32 v4, s10
	s_xor_b64 exec, exec, s[6:7]
	s_cbranch_execz .LBB13_118
.LBB13_2168:
	v_cmp_ne_u16_e32 vcc, 0, v3
	s_andn2_b64 s[4:5], s[4:5], exec
	s_and_b64 s[8:9], vcc, exec
	v_mov_b32_e32 v4, 0
	s_or_b64 s[4:5], s[4:5], s[8:9]
	s_or_b64 exec, exec, s[6:7]
	s_and_saveexec_b64 s[6:7], s[4:5]
	s_cbranch_execnz .LBB13_119
	s_branch .LBB13_120
.LBB13_2169:
	s_movk_i32 s4, 0x80
	v_cmp_eq_u16_sdwa s[12:13], v9, s4 src0_sel:BYTE_3 src1_sel:DWORD
	s_mov_b64 s[4:5], -1
                                        ; implicit-def: $sgpr10
	s_and_saveexec_b64 s[8:9], s[12:13]
; %bb.2170:
	s_mov_b32 s10, 0x7f800001
	s_xor_b64 s[4:5], exec, -1
; %bb.2171:
	s_or_b64 exec, exec, s[8:9]
	s_and_b64 s[4:5], s[4:5], exec
	s_or_saveexec_b64 s[6:7], s[6:7]
	v_mov_b32_e32 v2, s10
	s_xor_b64 exec, exec, s[6:7]
	s_cbranch_execz .LBB13_122
.LBB13_2172:
	v_mov_b32_e32 v2, 0
	v_cmp_ne_u16_sdwa s[8:9], v9, v2 src0_sel:BYTE_3 src1_sel:DWORD
	s_andn2_b64 s[4:5], s[4:5], exec
	s_and_b64 s[8:9], s[8:9], exec
	s_or_b64 s[4:5], s[4:5], s[8:9]
	s_or_b64 exec, exec, s[6:7]
	s_and_saveexec_b64 s[6:7], s[4:5]
	s_cbranch_execnz .LBB13_123
	s_branch .LBB13_124
.LBB13_2173:
	s_movk_i32 s4, 0x80
	v_cmp_eq_u16_sdwa s[12:13], v5, s4 src0_sel:BYTE_3 src1_sel:DWORD
	s_mov_b64 s[4:5], -1
                                        ; implicit-def: $sgpr10
	s_and_saveexec_b64 s[8:9], s[12:13]
; %bb.2174:
	s_mov_b32 s10, 0x7f800001
	s_xor_b64 s[4:5], exec, -1
; %bb.2175:
	s_or_b64 exec, exec, s[8:9]
	s_and_b64 s[4:5], s[4:5], exec
	s_or_saveexec_b64 s[6:7], s[6:7]
	v_mov_b32_e32 v3, s10
	s_xor_b64 exec, exec, s[6:7]
	s_cbranch_execz .LBB13_126
.LBB13_2176:
	v_mov_b32_e32 v3, 0
	v_cmp_ne_u16_sdwa s[8:9], v5, v3 src0_sel:BYTE_3 src1_sel:DWORD
	s_andn2_b64 s[4:5], s[4:5], exec
	s_and_b64 s[8:9], s[8:9], exec
	s_or_b64 s[4:5], s[4:5], s[8:9]
	s_or_b64 exec, exec, s[6:7]
	s_and_saveexec_b64 s[6:7], s[4:5]
	s_cbranch_execnz .LBB13_127
	s_branch .LBB13_128
.LBB13_2177:
	s_movk_i32 s4, 0x80
	v_cmp_eq_u16_sdwa s[12:13], v6, s4 src0_sel:BYTE_0 src1_sel:DWORD
	s_mov_b64 s[4:5], -1
                                        ; implicit-def: $sgpr10
	s_and_saveexec_b64 s[8:9], s[12:13]
; %bb.2178:
	s_mov_b32 s10, 0x7f800001
	s_xor_b64 s[4:5], exec, -1
; %bb.2179:
	s_or_b64 exec, exec, s[8:9]
	s_and_b64 s[4:5], s[4:5], exec
	s_or_saveexec_b64 s[6:7], s[6:7]
	v_mov_b32_e32 v12, s10
	s_xor_b64 exec, exec, s[6:7]
	s_cbranch_execz .LBB13_130
.LBB13_2180:
	v_mov_b32_e32 v12, 0
	v_cmp_ne_u16_sdwa s[8:9], v6, v12 src0_sel:BYTE_0 src1_sel:DWORD
	s_andn2_b64 s[4:5], s[4:5], exec
	s_and_b64 s[8:9], s[8:9], exec
	s_or_b64 s[4:5], s[4:5], s[8:9]
	s_or_b64 exec, exec, s[6:7]
	s_and_saveexec_b64 s[6:7], s[4:5]
	s_cbranch_execnz .LBB13_131
	s_branch .LBB13_132
.LBB13_2181:
	s_movk_i32 s4, 0x80
	v_cmp_eq_u16_sdwa s[12:13], v2, s4 src0_sel:BYTE_0 src1_sel:DWORD
	s_mov_b64 s[4:5], -1
                                        ; implicit-def: $sgpr10
	s_and_saveexec_b64 s[8:9], s[12:13]
; %bb.2182:
	s_mov_b32 s10, 0x7f800001
	s_xor_b64 s[4:5], exec, -1
; %bb.2183:
	s_or_b64 exec, exec, s[8:9]
	s_and_b64 s[4:5], s[4:5], exec
	s_or_saveexec_b64 s[6:7], s[6:7]
	v_mov_b32_e32 v13, s10
	s_xor_b64 exec, exec, s[6:7]
	s_cbranch_execz .LBB13_134
.LBB13_2184:
	v_mov_b32_e32 v13, 0
	v_cmp_ne_u16_sdwa s[8:9], v2, v13 src0_sel:BYTE_0 src1_sel:DWORD
	s_andn2_b64 s[4:5], s[4:5], exec
	s_and_b64 s[8:9], s[8:9], exec
	s_or_b64 s[4:5], s[4:5], s[8:9]
	s_or_b64 exec, exec, s[6:7]
	s_and_saveexec_b64 s[6:7], s[4:5]
	s_cbranch_execnz .LBB13_135
	s_branch .LBB13_136
.LBB13_2185:
	s_movk_i32 s4, 0x80
	v_cmp_eq_u16_sdwa s[12:13], v13, s4 src0_sel:BYTE_0 src1_sel:DWORD
	s_mov_b64 s[4:5], -1
                                        ; implicit-def: $sgpr10
	s_and_saveexec_b64 s[8:9], s[12:13]
; %bb.2186:
	s_mov_b32 s10, 0x7f800001
	s_xor_b64 s[4:5], exec, -1
; %bb.2187:
	s_or_b64 exec, exec, s[8:9]
	s_and_b64 s[4:5], s[4:5], exec
	s_or_saveexec_b64 s[6:7], s[6:7]
	v_mov_b32_e32 v12, s10
	s_xor_b64 exec, exec, s[6:7]
	s_cbranch_execz .LBB13_138
.LBB13_2188:
	v_mov_b32_e32 v12, 0
	v_cmp_ne_u16_sdwa s[8:9], v13, v12 src0_sel:BYTE_0 src1_sel:DWORD
	s_andn2_b64 s[4:5], s[4:5], exec
	s_and_b64 s[8:9], s[8:9], exec
	s_or_b64 s[4:5], s[4:5], s[8:9]
	s_or_b64 exec, exec, s[6:7]
	s_and_saveexec_b64 s[6:7], s[4:5]
	s_cbranch_execnz .LBB13_139
	s_branch .LBB13_140
.LBB13_2189:
	s_movk_i32 s4, 0x80
	v_cmp_eq_u16_sdwa s[12:13], v13, s4 src0_sel:BYTE_0 src1_sel:DWORD
	s_mov_b64 s[4:5], -1
                                        ; implicit-def: $sgpr10
	s_and_saveexec_b64 s[8:9], s[12:13]
; %bb.2190:
	s_mov_b32 s10, 0x7f800001
	s_xor_b64 s[4:5], exec, -1
; %bb.2191:
	s_or_b64 exec, exec, s[8:9]
	s_and_b64 s[4:5], s[4:5], exec
	s_or_saveexec_b64 s[6:7], s[6:7]
	v_mov_b32_e32 v14, s10
	s_xor_b64 exec, exec, s[6:7]
	s_cbranch_execz .LBB13_142
.LBB13_2192:
	v_mov_b32_e32 v14, 0
	v_cmp_ne_u16_sdwa s[8:9], v13, v14 src0_sel:BYTE_0 src1_sel:DWORD
	s_andn2_b64 s[4:5], s[4:5], exec
	s_and_b64 s[8:9], s[8:9], exec
	s_or_b64 s[4:5], s[4:5], s[8:9]
	s_or_b64 exec, exec, s[6:7]
	s_and_saveexec_b64 s[6:7], s[4:5]
	s_cbranch_execnz .LBB13_143
	s_branch .LBB13_144
.LBB13_2193:
	s_movk_i32 s4, 0x80
	v_cmp_eq_u16_e32 vcc, s4, v13
	s_mov_b64 s[4:5], -1
                                        ; implicit-def: $sgpr10
	s_and_saveexec_b64 s[8:9], vcc
; %bb.2194:
	s_mov_b32 s10, 0x7f800001
	s_xor_b64 s[4:5], exec, -1
; %bb.2195:
	s_or_b64 exec, exec, s[8:9]
	s_and_b64 s[4:5], s[4:5], exec
                                        ; implicit-def: $vgpr13
	s_or_saveexec_b64 s[6:7], s[6:7]
	v_mov_b32_e32 v12, s10
	s_xor_b64 exec, exec, s[6:7]
	s_cbranch_execz .LBB13_146
.LBB13_2196:
	v_cmp_ne_u16_e32 vcc, 0, v13
	s_andn2_b64 s[4:5], s[4:5], exec
	s_and_b64 s[8:9], vcc, exec
	v_mov_b32_e32 v12, 0
	s_or_b64 s[4:5], s[4:5], s[8:9]
	s_or_b64 exec, exec, s[6:7]
	s_and_saveexec_b64 s[6:7], s[4:5]
	s_cbranch_execnz .LBB13_147
	s_branch .LBB13_148
.LBB13_2197:
	s_movk_i32 s4, 0x80
	v_cmp_eq_u16_e32 vcc, s4, v13
	s_mov_b64 s[4:5], -1
                                        ; implicit-def: $sgpr10
	s_and_saveexec_b64 s[8:9], vcc
; %bb.2198:
	s_mov_b32 s10, 0x7f800001
	s_xor_b64 s[4:5], exec, -1
; %bb.2199:
	s_or_b64 exec, exec, s[8:9]
	s_and_b64 s[4:5], s[4:5], exec
                                        ; implicit-def: $vgpr13
	s_or_saveexec_b64 s[6:7], s[6:7]
	v_mov_b32_e32 v14, s10
	s_xor_b64 exec, exec, s[6:7]
	s_cbranch_execz .LBB13_150
.LBB13_2200:
	v_cmp_ne_u16_e32 vcc, 0, v13
	s_andn2_b64 s[4:5], s[4:5], exec
	s_and_b64 s[8:9], vcc, exec
	v_mov_b32_e32 v14, 0
	s_or_b64 s[4:5], s[4:5], s[8:9]
	s_or_b64 exec, exec, s[6:7]
	s_and_saveexec_b64 s[6:7], s[4:5]
	s_cbranch_execnz .LBB13_151
	s_branch .LBB13_152
.LBB13_2201:
	s_movk_i32 s4, 0x80
	v_cmp_eq_u16_sdwa s[12:13], v6, s4 src0_sel:BYTE_3 src1_sel:DWORD
	s_mov_b64 s[4:5], -1
                                        ; implicit-def: $sgpr10
	s_and_saveexec_b64 s[8:9], s[12:13]
; %bb.2202:
	s_mov_b32 s10, 0x7f800001
	s_xor_b64 s[4:5], exec, -1
; %bb.2203:
	s_or_b64 exec, exec, s[8:9]
	s_and_b64 s[4:5], s[4:5], exec
	s_or_saveexec_b64 s[6:7], s[6:7]
	v_mov_b32_e32 v12, s10
	s_xor_b64 exec, exec, s[6:7]
	s_cbranch_execz .LBB13_154
.LBB13_2204:
	v_mov_b32_e32 v12, 0
	v_cmp_ne_u16_sdwa s[8:9], v6, v12 src0_sel:BYTE_3 src1_sel:DWORD
	s_andn2_b64 s[4:5], s[4:5], exec
	s_and_b64 s[8:9], s[8:9], exec
	s_or_b64 s[4:5], s[4:5], s[8:9]
	s_or_b64 exec, exec, s[6:7]
	s_and_saveexec_b64 s[6:7], s[4:5]
	s_cbranch_execnz .LBB13_155
	s_branch .LBB13_156
.LBB13_2205:
	s_movk_i32 s4, 0x80
	v_cmp_eq_u16_sdwa s[12:13], v2, s4 src0_sel:BYTE_3 src1_sel:DWORD
	s_mov_b64 s[4:5], -1
                                        ; implicit-def: $sgpr10
	s_and_saveexec_b64 s[8:9], s[12:13]
; %bb.2206:
	s_mov_b32 s10, 0x7f800001
	s_xor_b64 s[4:5], exec, -1
; %bb.2207:
	s_or_b64 exec, exec, s[8:9]
	s_and_b64 s[4:5], s[4:5], exec
	s_or_saveexec_b64 s[6:7], s[6:7]
	v_mov_b32_e32 v6, s10
	s_xor_b64 exec, exec, s[6:7]
	s_cbranch_execz .LBB13_158
.LBB13_2208:
	v_mov_b32_e32 v6, 0
	v_cmp_ne_u16_sdwa s[8:9], v2, v6 src0_sel:BYTE_3 src1_sel:DWORD
	s_andn2_b64 s[4:5], s[4:5], exec
	s_and_b64 s[8:9], s[8:9], exec
	s_or_b64 s[4:5], s[4:5], s[8:9]
	s_or_b64 exec, exec, s[6:7]
	s_and_saveexec_b64 s[6:7], s[4:5]
	s_cbranch_execnz .LBB13_159
	s_branch .LBB13_160
.LBB13_2209:
	s_movk_i32 s4, 0x80
	v_cmp_eq_u16_sdwa s[12:13], v7, s4 src0_sel:BYTE_0 src1_sel:DWORD
	s_mov_b64 s[4:5], -1
                                        ; implicit-def: $sgpr10
	s_and_saveexec_b64 s[8:9], s[12:13]
; %bb.2210:
	s_mov_b32 s10, 0x7f800001
	s_xor_b64 s[4:5], exec, -1
; %bb.2211:
	s_or_b64 exec, exec, s[8:9]
	s_and_b64 s[4:5], s[4:5], exec
	s_or_saveexec_b64 s[6:7], s[6:7]
	v_mov_b32_e32 v2, s10
	s_xor_b64 exec, exec, s[6:7]
	s_cbranch_execz .LBB13_162
.LBB13_2212:
	v_mov_b32_e32 v2, 0
	v_cmp_ne_u16_sdwa s[8:9], v7, v2 src0_sel:BYTE_0 src1_sel:DWORD
	s_andn2_b64 s[4:5], s[4:5], exec
	s_and_b64 s[8:9], s[8:9], exec
	s_or_b64 s[4:5], s[4:5], s[8:9]
	s_or_b64 exec, exec, s[6:7]
	s_and_saveexec_b64 s[6:7], s[4:5]
	s_cbranch_execnz .LBB13_163
	s_branch .LBB13_164
.LBB13_2213:
	s_movk_i32 s4, 0x80
	v_cmp_eq_u16_sdwa s[12:13], v3, s4 src0_sel:BYTE_0 src1_sel:DWORD
	s_mov_b64 s[4:5], -1
                                        ; implicit-def: $sgpr10
	s_and_saveexec_b64 s[8:9], s[12:13]
; %bb.2214:
	s_mov_b32 s10, 0x7f800001
	s_xor_b64 s[4:5], exec, -1
; %bb.2215:
	s_or_b64 exec, exec, s[8:9]
	s_and_b64 s[4:5], s[4:5], exec
	s_or_saveexec_b64 s[6:7], s[6:7]
	v_mov_b32_e32 v6, s10
	s_xor_b64 exec, exec, s[6:7]
	s_cbranch_execz .LBB13_166
.LBB13_2216:
	v_mov_b32_e32 v6, 0
	v_cmp_ne_u16_sdwa s[8:9], v3, v6 src0_sel:BYTE_0 src1_sel:DWORD
	s_andn2_b64 s[4:5], s[4:5], exec
	s_and_b64 s[8:9], s[8:9], exec
	s_or_b64 s[4:5], s[4:5], s[8:9]
	s_or_b64 exec, exec, s[6:7]
	s_and_saveexec_b64 s[6:7], s[4:5]
	s_cbranch_execnz .LBB13_167
	s_branch .LBB13_168
.LBB13_2217:
	s_movk_i32 s4, 0x80
	v_cmp_eq_u16_sdwa s[12:13], v6, s4 src0_sel:BYTE_0 src1_sel:DWORD
	s_mov_b64 s[4:5], -1
                                        ; implicit-def: $sgpr10
	s_and_saveexec_b64 s[8:9], s[12:13]
; %bb.2218:
	s_mov_b32 s10, 0x7f800001
	s_xor_b64 s[4:5], exec, -1
; %bb.2219:
	s_or_b64 exec, exec, s[8:9]
	s_and_b64 s[4:5], s[4:5], exec
	s_or_saveexec_b64 s[6:7], s[6:7]
	v_mov_b32_e32 v2, s10
	s_xor_b64 exec, exec, s[6:7]
	s_cbranch_execz .LBB13_170
.LBB13_2220:
	v_mov_b32_e32 v2, 0
	v_cmp_ne_u16_sdwa s[8:9], v6, v2 src0_sel:BYTE_0 src1_sel:DWORD
	s_andn2_b64 s[4:5], s[4:5], exec
	s_and_b64 s[8:9], s[8:9], exec
	s_or_b64 s[4:5], s[4:5], s[8:9]
	s_or_b64 exec, exec, s[6:7]
	s_and_saveexec_b64 s[6:7], s[4:5]
	s_cbranch_execnz .LBB13_171
	s_branch .LBB13_172
.LBB13_2221:
	s_movk_i32 s4, 0x80
	v_cmp_eq_u16_sdwa s[12:13], v6, s4 src0_sel:BYTE_0 src1_sel:DWORD
	s_mov_b64 s[4:5], -1
                                        ; implicit-def: $sgpr10
	s_and_saveexec_b64 s[8:9], s[12:13]
; %bb.2222:
	s_mov_b32 s10, 0x7f800001
	s_xor_b64 s[4:5], exec, -1
; %bb.2223:
	s_or_b64 exec, exec, s[8:9]
	s_and_b64 s[4:5], s[4:5], exec
	s_or_saveexec_b64 s[6:7], s[6:7]
	v_mov_b32_e32 v12, s10
	s_xor_b64 exec, exec, s[6:7]
	s_cbranch_execz .LBB13_174
.LBB13_2224:
	v_mov_b32_e32 v12, 0
	v_cmp_ne_u16_sdwa s[8:9], v6, v12 src0_sel:BYTE_0 src1_sel:DWORD
	s_andn2_b64 s[4:5], s[4:5], exec
	s_and_b64 s[8:9], s[8:9], exec
	s_or_b64 s[4:5], s[4:5], s[8:9]
	s_or_b64 exec, exec, s[6:7]
	s_and_saveexec_b64 s[6:7], s[4:5]
	s_cbranch_execnz .LBB13_175
	s_branch .LBB13_176
.LBB13_2225:
	s_movk_i32 s4, 0x80
	v_cmp_eq_u16_e32 vcc, s4, v6
	s_mov_b64 s[4:5], -1
                                        ; implicit-def: $sgpr10
	s_and_saveexec_b64 s[8:9], vcc
; %bb.2226:
	s_mov_b32 s10, 0x7f800001
	s_xor_b64 s[4:5], exec, -1
; %bb.2227:
	s_or_b64 exec, exec, s[8:9]
	s_and_b64 s[4:5], s[4:5], exec
                                        ; implicit-def: $vgpr6
	s_or_saveexec_b64 s[6:7], s[6:7]
	v_mov_b32_e32 v2, s10
	s_xor_b64 exec, exec, s[6:7]
	s_cbranch_execz .LBB13_178
.LBB13_2228:
	v_cmp_ne_u16_e32 vcc, 0, v6
	s_andn2_b64 s[4:5], s[4:5], exec
	s_and_b64 s[8:9], vcc, exec
	v_mov_b32_e32 v2, 0
	s_or_b64 s[4:5], s[4:5], s[8:9]
	s_or_b64 exec, exec, s[6:7]
	s_and_saveexec_b64 s[6:7], s[4:5]
	s_cbranch_execnz .LBB13_179
	s_branch .LBB13_180
.LBB13_2229:
	s_movk_i32 s4, 0x80
	v_cmp_eq_u16_e32 vcc, s4, v6
	s_mov_b64 s[4:5], -1
                                        ; implicit-def: $sgpr10
	s_and_saveexec_b64 s[8:9], vcc
; %bb.2230:
	s_mov_b32 s10, 0x7f800001
	s_xor_b64 s[4:5], exec, -1
; %bb.2231:
	s_or_b64 exec, exec, s[8:9]
	s_and_b64 s[4:5], s[4:5], exec
                                        ; implicit-def: $vgpr6
	s_or_saveexec_b64 s[6:7], s[6:7]
	v_mov_b32_e32 v12, s10
	s_xor_b64 exec, exec, s[6:7]
	s_cbranch_execz .LBB13_182
.LBB13_2232:
	v_cmp_ne_u16_e32 vcc, 0, v6
	s_andn2_b64 s[4:5], s[4:5], exec
	s_and_b64 s[8:9], vcc, exec
	v_mov_b32_e32 v12, 0
	s_or_b64 s[4:5], s[4:5], s[8:9]
	s_or_b64 exec, exec, s[6:7]
	s_and_saveexec_b64 s[6:7], s[4:5]
	s_cbranch_execnz .LBB13_183
	s_branch .LBB13_184
.LBB13_2233:
	s_movk_i32 s4, 0x80
	v_cmp_eq_u16_sdwa s[12:13], v7, s4 src0_sel:BYTE_3 src1_sel:DWORD
	s_mov_b64 s[4:5], -1
                                        ; implicit-def: $sgpr10
	s_and_saveexec_b64 s[8:9], s[12:13]
; %bb.2234:
	s_mov_b32 s10, 0x7f800001
	s_xor_b64 s[4:5], exec, -1
; %bb.2235:
	s_or_b64 exec, exec, s[8:9]
	s_and_b64 s[4:5], s[4:5], exec
	s_or_saveexec_b64 s[6:7], s[6:7]
	v_mov_b32_e32 v2, s10
	s_xor_b64 exec, exec, s[6:7]
	s_cbranch_execz .LBB13_186
.LBB13_2236:
	v_mov_b32_e32 v2, 0
	v_cmp_ne_u16_sdwa s[8:9], v7, v2 src0_sel:BYTE_3 src1_sel:DWORD
	s_andn2_b64 s[4:5], s[4:5], exec
	s_and_b64 s[8:9], s[8:9], exec
	s_or_b64 s[4:5], s[4:5], s[8:9]
	s_or_b64 exec, exec, s[6:7]
	s_and_saveexec_b64 s[6:7], s[4:5]
	s_cbranch_execnz .LBB13_187
	s_branch .LBB13_188
.LBB13_2237:
	s_movk_i32 s4, 0x80
	v_cmp_eq_u16_sdwa s[12:13], v3, s4 src0_sel:BYTE_3 src1_sel:DWORD
	s_mov_b64 s[4:5], -1
                                        ; implicit-def: $sgpr10
	s_and_saveexec_b64 s[8:9], s[12:13]
; %bb.2238:
	s_mov_b32 s10, 0x7f800001
	s_xor_b64 s[4:5], exec, -1
; %bb.2239:
	s_or_b64 exec, exec, s[8:9]
	s_and_b64 s[4:5], s[4:5], exec
	s_or_saveexec_b64 s[6:7], s[6:7]
	v_mov_b32_e32 v6, s10
	s_xor_b64 exec, exec, s[6:7]
	s_cbranch_execz .LBB13_190
.LBB13_2240:
	v_mov_b32_e32 v6, 0
	v_cmp_ne_u16_sdwa s[8:9], v3, v6 src0_sel:BYTE_3 src1_sel:DWORD
	s_andn2_b64 s[4:5], s[4:5], exec
	s_and_b64 s[8:9], s[8:9], exec
	s_or_b64 s[4:5], s[4:5], s[8:9]
	s_or_b64 exec, exec, s[6:7]
	s_and_saveexec_b64 s[6:7], s[4:5]
	s_cbranch_execnz .LBB13_191
	s_branch .LBB13_192
.LBB13_2241:
	s_movk_i32 s4, 0x80
	v_cmp_eq_u16_sdwa s[12:13], v8, s4 src0_sel:BYTE_0 src1_sel:DWORD
	s_mov_b64 s[4:5], -1
                                        ; implicit-def: $sgpr10
	s_and_saveexec_b64 s[8:9], s[12:13]
; %bb.2242:
	s_mov_b32 s10, 0x7f800001
	s_xor_b64 s[4:5], exec, -1
; %bb.2243:
	s_or_b64 exec, exec, s[8:9]
	s_and_b64 s[4:5], s[4:5], exec
	s_or_saveexec_b64 s[6:7], s[6:7]
	v_mov_b32_e32 v2, s10
	s_xor_b64 exec, exec, s[6:7]
	s_cbranch_execz .LBB13_194
.LBB13_2244:
	v_mov_b32_e32 v2, 0
	v_cmp_ne_u16_sdwa s[8:9], v8, v2 src0_sel:BYTE_0 src1_sel:DWORD
	s_andn2_b64 s[4:5], s[4:5], exec
	s_and_b64 s[8:9], s[8:9], exec
	s_or_b64 s[4:5], s[4:5], s[8:9]
	s_or_b64 exec, exec, s[6:7]
	s_and_saveexec_b64 s[6:7], s[4:5]
	s_cbranch_execnz .LBB13_195
	s_branch .LBB13_196
.LBB13_2245:
	s_movk_i32 s4, 0x80
	v_cmp_eq_u16_sdwa s[12:13], v4, s4 src0_sel:BYTE_0 src1_sel:DWORD
	s_mov_b64 s[4:5], -1
                                        ; implicit-def: $sgpr10
	s_and_saveexec_b64 s[8:9], s[12:13]
; %bb.2246:
	s_mov_b32 s10, 0x7f800001
	s_xor_b64 s[4:5], exec, -1
; %bb.2247:
	s_or_b64 exec, exec, s[8:9]
	s_and_b64 s[4:5], s[4:5], exec
	s_or_saveexec_b64 s[6:7], s[6:7]
	v_mov_b32_e32 v3, s10
	s_xor_b64 exec, exec, s[6:7]
	s_cbranch_execz .LBB13_198
.LBB13_2248:
	v_mov_b32_e32 v3, 0
	v_cmp_ne_u16_sdwa s[8:9], v4, v3 src0_sel:BYTE_0 src1_sel:DWORD
	s_andn2_b64 s[4:5], s[4:5], exec
	s_and_b64 s[8:9], s[8:9], exec
	s_or_b64 s[4:5], s[4:5], s[8:9]
	s_or_b64 exec, exec, s[6:7]
	s_and_saveexec_b64 s[6:7], s[4:5]
	s_cbranch_execnz .LBB13_199
	s_branch .LBB13_200
.LBB13_2249:
	s_movk_i32 s4, 0x80
	v_cmp_eq_u16_sdwa s[12:13], v3, s4 src0_sel:BYTE_0 src1_sel:DWORD
	s_mov_b64 s[4:5], -1
                                        ; implicit-def: $sgpr10
	s_and_saveexec_b64 s[8:9], s[12:13]
; %bb.2250:
	s_mov_b32 s10, 0x7f800001
	s_xor_b64 s[4:5], exec, -1
; %bb.2251:
	s_or_b64 exec, exec, s[8:9]
	s_and_b64 s[4:5], s[4:5], exec
	s_or_saveexec_b64 s[6:7], s[6:7]
	v_mov_b32_e32 v2, s10
	s_xor_b64 exec, exec, s[6:7]
	s_cbranch_execz .LBB13_202
.LBB13_2252:
	v_mov_b32_e32 v2, 0
	v_cmp_ne_u16_sdwa s[8:9], v3, v2 src0_sel:BYTE_0 src1_sel:DWORD
	s_andn2_b64 s[4:5], s[4:5], exec
	s_and_b64 s[8:9], s[8:9], exec
	s_or_b64 s[4:5], s[4:5], s[8:9]
	s_or_b64 exec, exec, s[6:7]
	s_and_saveexec_b64 s[6:7], s[4:5]
	s_cbranch_execnz .LBB13_203
	s_branch .LBB13_204
.LBB13_2253:
	s_movk_i32 s4, 0x80
	v_cmp_eq_u16_sdwa s[12:13], v3, s4 src0_sel:BYTE_0 src1_sel:DWORD
	s_mov_b64 s[4:5], -1
                                        ; implicit-def: $sgpr10
	s_and_saveexec_b64 s[8:9], s[12:13]
; %bb.2254:
	s_mov_b32 s10, 0x7f800001
	s_xor_b64 s[4:5], exec, -1
; %bb.2255:
	s_or_b64 exec, exec, s[8:9]
	s_and_b64 s[4:5], s[4:5], exec
	s_or_saveexec_b64 s[6:7], s[6:7]
	v_mov_b32_e32 v6, s10
	s_xor_b64 exec, exec, s[6:7]
	s_cbranch_execz .LBB13_206
.LBB13_2256:
	v_mov_b32_e32 v6, 0
	v_cmp_ne_u16_sdwa s[8:9], v3, v6 src0_sel:BYTE_0 src1_sel:DWORD
	s_andn2_b64 s[4:5], s[4:5], exec
	s_and_b64 s[8:9], s[8:9], exec
	s_or_b64 s[4:5], s[4:5], s[8:9]
	s_or_b64 exec, exec, s[6:7]
	s_and_saveexec_b64 s[6:7], s[4:5]
	s_cbranch_execnz .LBB13_207
	s_branch .LBB13_208
.LBB13_2257:
	s_movk_i32 s4, 0x80
	v_cmp_eq_u16_e32 vcc, s4, v3
	s_mov_b64 s[4:5], -1
                                        ; implicit-def: $sgpr10
	s_and_saveexec_b64 s[8:9], vcc
; %bb.2258:
	s_mov_b32 s10, 0x7f800001
	s_xor_b64 s[4:5], exec, -1
; %bb.2259:
	s_or_b64 exec, exec, s[8:9]
	s_and_b64 s[4:5], s[4:5], exec
                                        ; implicit-def: $vgpr3
	s_or_saveexec_b64 s[6:7], s[6:7]
	v_mov_b32_e32 v2, s10
	s_xor_b64 exec, exec, s[6:7]
	s_cbranch_execz .LBB13_210
.LBB13_2260:
	v_cmp_ne_u16_e32 vcc, 0, v3
	s_andn2_b64 s[4:5], s[4:5], exec
	s_and_b64 s[8:9], vcc, exec
	v_mov_b32_e32 v2, 0
	s_or_b64 s[4:5], s[4:5], s[8:9]
	s_or_b64 exec, exec, s[6:7]
	s_and_saveexec_b64 s[6:7], s[4:5]
	s_cbranch_execnz .LBB13_211
	s_branch .LBB13_212
.LBB13_2261:
	s_movk_i32 s4, 0x80
	v_cmp_eq_u16_e32 vcc, s4, v3
	s_mov_b64 s[4:5], -1
                                        ; implicit-def: $sgpr10
	s_and_saveexec_b64 s[8:9], vcc
; %bb.2262:
	s_mov_b32 s10, 0x7f800001
	s_xor_b64 s[4:5], exec, -1
; %bb.2263:
	s_or_b64 exec, exec, s[8:9]
	s_and_b64 s[4:5], s[4:5], exec
                                        ; implicit-def: $vgpr3
	s_or_saveexec_b64 s[6:7], s[6:7]
	v_mov_b32_e32 v6, s10
	s_xor_b64 exec, exec, s[6:7]
	s_cbranch_execz .LBB13_214
.LBB13_2264:
	v_cmp_ne_u16_e32 vcc, 0, v3
	s_andn2_b64 s[4:5], s[4:5], exec
	s_and_b64 s[8:9], vcc, exec
	v_mov_b32_e32 v6, 0
	s_or_b64 s[4:5], s[4:5], s[8:9]
	s_or_b64 exec, exec, s[6:7]
	s_and_saveexec_b64 s[6:7], s[4:5]
	s_cbranch_execnz .LBB13_215
	s_branch .LBB13_216
.LBB13_2265:
	s_movk_i32 s4, 0x80
	v_cmp_eq_u16_sdwa s[12:13], v8, s4 src0_sel:BYTE_3 src1_sel:DWORD
	s_mov_b64 s[4:5], -1
                                        ; implicit-def: $sgpr10
	s_and_saveexec_b64 s[8:9], s[12:13]
; %bb.2266:
	s_mov_b32 s10, 0x7f800001
	s_xor_b64 s[4:5], exec, -1
; %bb.2267:
	s_or_b64 exec, exec, s[8:9]
	s_and_b64 s[4:5], s[4:5], exec
	s_or_saveexec_b64 s[6:7], s[6:7]
	v_mov_b32_e32 v2, s10
	s_xor_b64 exec, exec, s[6:7]
	s_cbranch_execz .LBB13_218
.LBB13_2268:
	v_mov_b32_e32 v2, 0
	v_cmp_ne_u16_sdwa s[8:9], v8, v2 src0_sel:BYTE_3 src1_sel:DWORD
	s_andn2_b64 s[4:5], s[4:5], exec
	s_and_b64 s[8:9], s[8:9], exec
	s_or_b64 s[4:5], s[4:5], s[8:9]
	s_or_b64 exec, exec, s[6:7]
	s_and_saveexec_b64 s[6:7], s[4:5]
	s_cbranch_execnz .LBB13_219
	s_branch .LBB13_220
.LBB13_2269:
	s_movk_i32 s4, 0x80
	v_cmp_eq_u16_sdwa s[12:13], v4, s4 src0_sel:BYTE_3 src1_sel:DWORD
	s_mov_b64 s[4:5], -1
                                        ; implicit-def: $sgpr10
	s_and_saveexec_b64 s[8:9], s[12:13]
; %bb.2270:
	s_mov_b32 s10, 0x7f800001
	s_xor_b64 s[4:5], exec, -1
; %bb.2271:
	s_or_b64 exec, exec, s[8:9]
	s_and_b64 s[4:5], s[4:5], exec
	s_or_saveexec_b64 s[6:7], s[6:7]
	v_mov_b32_e32 v3, s10
	s_xor_b64 exec, exec, s[6:7]
	s_cbranch_execz .LBB13_222
.LBB13_2272:
	v_mov_b32_e32 v3, 0
	v_cmp_ne_u16_sdwa s[8:9], v4, v3 src0_sel:BYTE_3 src1_sel:DWORD
	s_andn2_b64 s[4:5], s[4:5], exec
	s_and_b64 s[8:9], s[8:9], exec
	s_or_b64 s[4:5], s[4:5], s[8:9]
	s_or_b64 exec, exec, s[6:7]
	s_and_saveexec_b64 s[6:7], s[4:5]
	s_cbranch_execnz .LBB13_223
	s_branch .LBB13_224
.LBB13_2273:
	s_movk_i32 s4, 0x80
	v_cmp_eq_u16_sdwa s[12:13], v9, s4 src0_sel:BYTE_0 src1_sel:DWORD
	s_mov_b64 s[4:5], -1
                                        ; implicit-def: $sgpr10
	s_and_saveexec_b64 s[8:9], s[12:13]
; %bb.2274:
	s_mov_b32 s10, 0x7f800001
	s_xor_b64 s[4:5], exec, -1
; %bb.2275:
	s_or_b64 exec, exec, s[8:9]
	s_and_b64 s[4:5], s[4:5], exec
	s_or_saveexec_b64 s[6:7], s[6:7]
	v_mov_b32_e32 v2, s10
	s_xor_b64 exec, exec, s[6:7]
	s_cbranch_execz .LBB13_226
.LBB13_2276:
	v_mov_b32_e32 v2, 0
	v_cmp_ne_u16_sdwa s[8:9], v9, v2 src0_sel:BYTE_0 src1_sel:DWORD
	s_andn2_b64 s[4:5], s[4:5], exec
	s_and_b64 s[8:9], s[8:9], exec
	s_or_b64 s[4:5], s[4:5], s[8:9]
	s_or_b64 exec, exec, s[6:7]
	s_and_saveexec_b64 s[6:7], s[4:5]
	s_cbranch_execnz .LBB13_227
	s_branch .LBB13_228
.LBB13_2277:
	s_movk_i32 s4, 0x80
	v_cmp_eq_u16_sdwa s[12:13], v5, s4 src0_sel:BYTE_0 src1_sel:DWORD
	s_mov_b64 s[4:5], -1
                                        ; implicit-def: $sgpr10
	s_and_saveexec_b64 s[8:9], s[12:13]
; %bb.2278:
	s_mov_b32 s10, 0x7f800001
	s_xor_b64 s[4:5], exec, -1
; %bb.2279:
	s_or_b64 exec, exec, s[8:9]
	s_and_b64 s[4:5], s[4:5], exec
	s_or_saveexec_b64 s[6:7], s[6:7]
	v_mov_b32_e32 v3, s10
	s_xor_b64 exec, exec, s[6:7]
	s_cbranch_execz .LBB13_230
.LBB13_2280:
	v_mov_b32_e32 v3, 0
	v_cmp_ne_u16_sdwa s[8:9], v5, v3 src0_sel:BYTE_0 src1_sel:DWORD
	s_andn2_b64 s[4:5], s[4:5], exec
	s_and_b64 s[8:9], s[8:9], exec
	s_or_b64 s[4:5], s[4:5], s[8:9]
	s_or_b64 exec, exec, s[6:7]
	s_and_saveexec_b64 s[6:7], s[4:5]
	s_cbranch_execnz .LBB13_231
	s_branch .LBB13_232
.LBB13_2281:
	s_movk_i32 s4, 0x80
	v_cmp_eq_u16_sdwa s[12:13], v3, s4 src0_sel:BYTE_0 src1_sel:DWORD
	s_mov_b64 s[4:5], -1
                                        ; implicit-def: $sgpr10
	s_and_saveexec_b64 s[8:9], s[12:13]
; %bb.2282:
	s_mov_b32 s10, 0x7f800001
	s_xor_b64 s[4:5], exec, -1
; %bb.2283:
	s_or_b64 exec, exec, s[8:9]
	s_and_b64 s[4:5], s[4:5], exec
	s_or_saveexec_b64 s[6:7], s[6:7]
	v_mov_b32_e32 v2, s10
	s_xor_b64 exec, exec, s[6:7]
	s_cbranch_execz .LBB13_234
.LBB13_2284:
	v_mov_b32_e32 v2, 0
	v_cmp_ne_u16_sdwa s[8:9], v3, v2 src0_sel:BYTE_0 src1_sel:DWORD
	s_andn2_b64 s[4:5], s[4:5], exec
	s_and_b64 s[8:9], s[8:9], exec
	s_or_b64 s[4:5], s[4:5], s[8:9]
	s_or_b64 exec, exec, s[6:7]
	s_and_saveexec_b64 s[6:7], s[4:5]
	s_cbranch_execnz .LBB13_235
	s_branch .LBB13_236
.LBB13_2285:
	s_movk_i32 s4, 0x80
	v_cmp_eq_u16_sdwa s[12:13], v3, s4 src0_sel:BYTE_0 src1_sel:DWORD
	s_mov_b64 s[4:5], -1
                                        ; implicit-def: $sgpr10
	s_and_saveexec_b64 s[8:9], s[12:13]
; %bb.2286:
	s_mov_b32 s10, 0x7f800001
	s_xor_b64 s[4:5], exec, -1
; %bb.2287:
	s_or_b64 exec, exec, s[8:9]
	s_and_b64 s[4:5], s[4:5], exec
	s_or_saveexec_b64 s[6:7], s[6:7]
	v_mov_b32_e32 v4, s10
	s_xor_b64 exec, exec, s[6:7]
	s_cbranch_execz .LBB13_238
.LBB13_2288:
	v_mov_b32_e32 v4, 0
	v_cmp_ne_u16_sdwa s[8:9], v3, v4 src0_sel:BYTE_0 src1_sel:DWORD
	s_andn2_b64 s[4:5], s[4:5], exec
	s_and_b64 s[8:9], s[8:9], exec
	s_or_b64 s[4:5], s[4:5], s[8:9]
	s_or_b64 exec, exec, s[6:7]
	s_and_saveexec_b64 s[6:7], s[4:5]
	s_cbranch_execnz .LBB13_239
	s_branch .LBB13_240
.LBB13_2289:
	s_movk_i32 s4, 0x80
	v_cmp_eq_u16_e32 vcc, s4, v3
	s_mov_b64 s[4:5], -1
                                        ; implicit-def: $sgpr10
	s_and_saveexec_b64 s[8:9], vcc
; %bb.2290:
	s_mov_b32 s10, 0x7f800001
	s_xor_b64 s[4:5], exec, -1
; %bb.2291:
	s_or_b64 exec, exec, s[8:9]
	s_and_b64 s[4:5], s[4:5], exec
                                        ; implicit-def: $vgpr3
	s_or_saveexec_b64 s[6:7], s[6:7]
	v_mov_b32_e32 v2, s10
	s_xor_b64 exec, exec, s[6:7]
	s_cbranch_execz .LBB13_242
.LBB13_2292:
	v_cmp_ne_u16_e32 vcc, 0, v3
	s_andn2_b64 s[4:5], s[4:5], exec
	s_and_b64 s[8:9], vcc, exec
	v_mov_b32_e32 v2, 0
	s_or_b64 s[4:5], s[4:5], s[8:9]
	s_or_b64 exec, exec, s[6:7]
	s_and_saveexec_b64 s[6:7], s[4:5]
	s_cbranch_execnz .LBB13_243
	s_branch .LBB13_244
.LBB13_2293:
	s_movk_i32 s4, 0x80
	v_cmp_eq_u16_e32 vcc, s4, v3
	s_mov_b64 s[4:5], -1
                                        ; implicit-def: $sgpr10
	s_and_saveexec_b64 s[8:9], vcc
; %bb.2294:
	s_mov_b32 s10, 0x7f800001
	s_xor_b64 s[4:5], exec, -1
; %bb.2295:
	s_or_b64 exec, exec, s[8:9]
	s_and_b64 s[4:5], s[4:5], exec
                                        ; implicit-def: $vgpr3
	s_or_saveexec_b64 s[6:7], s[6:7]
	v_mov_b32_e32 v4, s10
	s_xor_b64 exec, exec, s[6:7]
	s_cbranch_execz .LBB13_246
.LBB13_2296:
	v_cmp_ne_u16_e32 vcc, 0, v3
	s_andn2_b64 s[4:5], s[4:5], exec
	s_and_b64 s[8:9], vcc, exec
	v_mov_b32_e32 v4, 0
	s_or_b64 s[4:5], s[4:5], s[8:9]
	s_or_b64 exec, exec, s[6:7]
	s_and_saveexec_b64 s[6:7], s[4:5]
	s_cbranch_execnz .LBB13_247
	s_branch .LBB13_248
.LBB13_2297:
	s_movk_i32 s4, 0x80
	v_cmp_eq_u16_sdwa s[12:13], v9, s4 src0_sel:BYTE_3 src1_sel:DWORD
	s_mov_b64 s[4:5], -1
                                        ; implicit-def: $sgpr10
	s_and_saveexec_b64 s[8:9], s[12:13]
; %bb.2298:
	s_mov_b32 s10, 0x7f800001
	s_xor_b64 s[4:5], exec, -1
; %bb.2299:
	s_or_b64 exec, exec, s[8:9]
	s_and_b64 s[4:5], s[4:5], exec
	s_or_saveexec_b64 s[6:7], s[6:7]
	v_mov_b32_e32 v2, s10
	s_xor_b64 exec, exec, s[6:7]
	s_cbranch_execz .LBB13_250
.LBB13_2300:
	v_mov_b32_e32 v2, 0
	v_cmp_ne_u16_sdwa s[8:9], v9, v2 src0_sel:BYTE_3 src1_sel:DWORD
	s_andn2_b64 s[4:5], s[4:5], exec
	s_and_b64 s[8:9], s[8:9], exec
	s_or_b64 s[4:5], s[4:5], s[8:9]
	s_or_b64 exec, exec, s[6:7]
	s_and_saveexec_b64 s[6:7], s[4:5]
	s_cbranch_execnz .LBB13_251
	s_branch .LBB13_252
.LBB13_2301:
	s_movk_i32 s4, 0x80
	v_cmp_eq_u16_sdwa s[12:13], v5, s4 src0_sel:BYTE_3 src1_sel:DWORD
	s_mov_b64 s[4:5], -1
                                        ; implicit-def: $sgpr10
	s_and_saveexec_b64 s[8:9], s[12:13]
; %bb.2302:
	s_mov_b32 s10, 0x7f800001
	s_xor_b64 s[4:5], exec, -1
; %bb.2303:
	s_or_b64 exec, exec, s[8:9]
	s_and_b64 s[4:5], s[4:5], exec
	s_or_saveexec_b64 s[6:7], s[6:7]
	v_mov_b32_e32 v3, s10
	s_xor_b64 exec, exec, s[6:7]
	s_cbranch_execz .LBB13_254
.LBB13_2304:
	v_mov_b32_e32 v3, 0
	v_cmp_ne_u16_sdwa s[8:9], v5, v3 src0_sel:BYTE_3 src1_sel:DWORD
	s_andn2_b64 s[4:5], s[4:5], exec
	s_and_b64 s[8:9], s[8:9], exec
	s_or_b64 s[4:5], s[4:5], s[8:9]
	s_or_b64 exec, exec, s[6:7]
	s_and_saveexec_b64 s[6:7], s[4:5]
	s_cbranch_execnz .LBB13_255
	s_branch .LBB13_256
.LBB13_2305:
	s_movk_i32 s4, 0x80
	v_cmp_eq_u16_sdwa s[12:13], v6, s4 src0_sel:BYTE_0 src1_sel:DWORD
	s_mov_b64 s[4:5], -1
                                        ; implicit-def: $sgpr10
	s_and_saveexec_b64 s[8:9], s[12:13]
; %bb.2306:
	s_mov_b32 s10, 0x7f800001
	s_xor_b64 s[4:5], exec, -1
; %bb.2307:
	s_or_b64 exec, exec, s[8:9]
	s_and_b64 s[4:5], s[4:5], exec
	s_or_saveexec_b64 s[6:7], s[6:7]
	v_mov_b32_e32 v12, s10
	s_xor_b64 exec, exec, s[6:7]
	s_cbranch_execz .LBB13_258
.LBB13_2308:
	v_mov_b32_e32 v12, 0
	v_cmp_ne_u16_sdwa s[8:9], v6, v12 src0_sel:BYTE_0 src1_sel:DWORD
	s_andn2_b64 s[4:5], s[4:5], exec
	s_and_b64 s[8:9], s[8:9], exec
	s_or_b64 s[4:5], s[4:5], s[8:9]
	s_or_b64 exec, exec, s[6:7]
	s_and_saveexec_b64 s[6:7], s[4:5]
	s_cbranch_execnz .LBB13_259
	s_branch .LBB13_260
.LBB13_2309:
	s_movk_i32 s4, 0x80
	v_cmp_eq_u16_sdwa s[12:13], v2, s4 src0_sel:BYTE_0 src1_sel:DWORD
	s_mov_b64 s[4:5], -1
                                        ; implicit-def: $sgpr10
	s_and_saveexec_b64 s[8:9], s[12:13]
; %bb.2310:
	s_mov_b32 s10, 0x7f800001
	s_xor_b64 s[4:5], exec, -1
; %bb.2311:
	s_or_b64 exec, exec, s[8:9]
	s_and_b64 s[4:5], s[4:5], exec
	s_or_saveexec_b64 s[6:7], s[6:7]
	v_mov_b32_e32 v13, s10
	s_xor_b64 exec, exec, s[6:7]
	s_cbranch_execz .LBB13_262
.LBB13_2312:
	v_mov_b32_e32 v13, 0
	v_cmp_ne_u16_sdwa s[8:9], v2, v13 src0_sel:BYTE_0 src1_sel:DWORD
	s_andn2_b64 s[4:5], s[4:5], exec
	s_and_b64 s[8:9], s[8:9], exec
	s_or_b64 s[4:5], s[4:5], s[8:9]
	s_or_b64 exec, exec, s[6:7]
	s_and_saveexec_b64 s[6:7], s[4:5]
	s_cbranch_execnz .LBB13_263
	s_branch .LBB13_264
.LBB13_2313:
	s_movk_i32 s4, 0x80
	v_cmp_eq_u16_sdwa s[12:13], v13, s4 src0_sel:BYTE_0 src1_sel:DWORD
	s_mov_b64 s[4:5], -1
                                        ; implicit-def: $sgpr10
	s_and_saveexec_b64 s[8:9], s[12:13]
; %bb.2314:
	s_mov_b32 s10, 0x7f800001
	s_xor_b64 s[4:5], exec, -1
; %bb.2315:
	s_or_b64 exec, exec, s[8:9]
	s_and_b64 s[4:5], s[4:5], exec
	s_or_saveexec_b64 s[6:7], s[6:7]
	v_mov_b32_e32 v12, s10
	s_xor_b64 exec, exec, s[6:7]
	s_cbranch_execz .LBB13_266
.LBB13_2316:
	v_mov_b32_e32 v12, 0
	v_cmp_ne_u16_sdwa s[8:9], v13, v12 src0_sel:BYTE_0 src1_sel:DWORD
	s_andn2_b64 s[4:5], s[4:5], exec
	s_and_b64 s[8:9], s[8:9], exec
	s_or_b64 s[4:5], s[4:5], s[8:9]
	s_or_b64 exec, exec, s[6:7]
	s_and_saveexec_b64 s[6:7], s[4:5]
	s_cbranch_execnz .LBB13_267
	s_branch .LBB13_268
.LBB13_2317:
	s_movk_i32 s4, 0x80
	v_cmp_eq_u16_sdwa s[12:13], v13, s4 src0_sel:BYTE_0 src1_sel:DWORD
	s_mov_b64 s[4:5], -1
                                        ; implicit-def: $sgpr10
	s_and_saveexec_b64 s[8:9], s[12:13]
; %bb.2318:
	s_mov_b32 s10, 0x7f800001
	s_xor_b64 s[4:5], exec, -1
; %bb.2319:
	s_or_b64 exec, exec, s[8:9]
	s_and_b64 s[4:5], s[4:5], exec
	s_or_saveexec_b64 s[6:7], s[6:7]
	v_mov_b32_e32 v14, s10
	s_xor_b64 exec, exec, s[6:7]
	s_cbranch_execz .LBB13_270
.LBB13_2320:
	v_mov_b32_e32 v14, 0
	v_cmp_ne_u16_sdwa s[8:9], v13, v14 src0_sel:BYTE_0 src1_sel:DWORD
	s_andn2_b64 s[4:5], s[4:5], exec
	s_and_b64 s[8:9], s[8:9], exec
	s_or_b64 s[4:5], s[4:5], s[8:9]
	s_or_b64 exec, exec, s[6:7]
	s_and_saveexec_b64 s[6:7], s[4:5]
	s_cbranch_execnz .LBB13_271
	s_branch .LBB13_272
.LBB13_2321:
	s_movk_i32 s4, 0x80
	v_cmp_eq_u16_e32 vcc, s4, v13
	s_mov_b64 s[4:5], -1
                                        ; implicit-def: $sgpr10
	s_and_saveexec_b64 s[8:9], vcc
; %bb.2322:
	s_mov_b32 s10, 0x7f800001
	s_xor_b64 s[4:5], exec, -1
; %bb.2323:
	s_or_b64 exec, exec, s[8:9]
	s_and_b64 s[4:5], s[4:5], exec
                                        ; implicit-def: $vgpr13
	s_or_saveexec_b64 s[6:7], s[6:7]
	v_mov_b32_e32 v12, s10
	s_xor_b64 exec, exec, s[6:7]
	s_cbranch_execz .LBB13_274
.LBB13_2324:
	v_cmp_ne_u16_e32 vcc, 0, v13
	s_andn2_b64 s[4:5], s[4:5], exec
	s_and_b64 s[8:9], vcc, exec
	v_mov_b32_e32 v12, 0
	s_or_b64 s[4:5], s[4:5], s[8:9]
	s_or_b64 exec, exec, s[6:7]
	s_and_saveexec_b64 s[6:7], s[4:5]
	s_cbranch_execnz .LBB13_275
	s_branch .LBB13_276
.LBB13_2325:
	s_movk_i32 s4, 0x80
	v_cmp_eq_u16_e32 vcc, s4, v13
	s_mov_b64 s[4:5], -1
                                        ; implicit-def: $sgpr10
	s_and_saveexec_b64 s[8:9], vcc
; %bb.2326:
	s_mov_b32 s10, 0x7f800001
	s_xor_b64 s[4:5], exec, -1
; %bb.2327:
	s_or_b64 exec, exec, s[8:9]
	s_and_b64 s[4:5], s[4:5], exec
                                        ; implicit-def: $vgpr13
	s_or_saveexec_b64 s[6:7], s[6:7]
	v_mov_b32_e32 v14, s10
	s_xor_b64 exec, exec, s[6:7]
	s_cbranch_execz .LBB13_278
.LBB13_2328:
	v_cmp_ne_u16_e32 vcc, 0, v13
	s_andn2_b64 s[4:5], s[4:5], exec
	s_and_b64 s[8:9], vcc, exec
	v_mov_b32_e32 v14, 0
	s_or_b64 s[4:5], s[4:5], s[8:9]
	s_or_b64 exec, exec, s[6:7]
	s_and_saveexec_b64 s[6:7], s[4:5]
	s_cbranch_execnz .LBB13_279
	s_branch .LBB13_280
.LBB13_2329:
	s_movk_i32 s4, 0x80
	v_cmp_eq_u16_sdwa s[12:13], v6, s4 src0_sel:BYTE_3 src1_sel:DWORD
	s_mov_b64 s[4:5], -1
                                        ; implicit-def: $sgpr10
	s_and_saveexec_b64 s[8:9], s[12:13]
; %bb.2330:
	s_mov_b32 s10, 0x7f800001
	s_xor_b64 s[4:5], exec, -1
; %bb.2331:
	s_or_b64 exec, exec, s[8:9]
	s_and_b64 s[4:5], s[4:5], exec
	s_or_saveexec_b64 s[6:7], s[6:7]
	v_mov_b32_e32 v12, s10
	s_xor_b64 exec, exec, s[6:7]
	s_cbranch_execz .LBB13_282
.LBB13_2332:
	v_mov_b32_e32 v12, 0
	v_cmp_ne_u16_sdwa s[8:9], v6, v12 src0_sel:BYTE_3 src1_sel:DWORD
	s_andn2_b64 s[4:5], s[4:5], exec
	s_and_b64 s[8:9], s[8:9], exec
	s_or_b64 s[4:5], s[4:5], s[8:9]
	s_or_b64 exec, exec, s[6:7]
	s_and_saveexec_b64 s[6:7], s[4:5]
	s_cbranch_execnz .LBB13_283
	s_branch .LBB13_284
.LBB13_2333:
	s_movk_i32 s4, 0x80
	v_cmp_eq_u16_sdwa s[12:13], v2, s4 src0_sel:BYTE_3 src1_sel:DWORD
	s_mov_b64 s[4:5], -1
                                        ; implicit-def: $sgpr10
	s_and_saveexec_b64 s[8:9], s[12:13]
; %bb.2334:
	s_mov_b32 s10, 0x7f800001
	s_xor_b64 s[4:5], exec, -1
; %bb.2335:
	s_or_b64 exec, exec, s[8:9]
	s_and_b64 s[4:5], s[4:5], exec
	s_or_saveexec_b64 s[6:7], s[6:7]
	v_mov_b32_e32 v6, s10
	s_xor_b64 exec, exec, s[6:7]
	s_cbranch_execz .LBB13_286
.LBB13_2336:
	v_mov_b32_e32 v6, 0
	v_cmp_ne_u16_sdwa s[8:9], v2, v6 src0_sel:BYTE_3 src1_sel:DWORD
	s_andn2_b64 s[4:5], s[4:5], exec
	s_and_b64 s[8:9], s[8:9], exec
	s_or_b64 s[4:5], s[4:5], s[8:9]
	s_or_b64 exec, exec, s[6:7]
	s_and_saveexec_b64 s[6:7], s[4:5]
	s_cbranch_execnz .LBB13_287
	s_branch .LBB13_288
.LBB13_2337:
	s_movk_i32 s4, 0x80
	v_cmp_eq_u16_sdwa s[12:13], v7, s4 src0_sel:BYTE_0 src1_sel:DWORD
	s_mov_b64 s[4:5], -1
                                        ; implicit-def: $sgpr10
	s_and_saveexec_b64 s[8:9], s[12:13]
; %bb.2338:
	s_mov_b32 s10, 0x7f800001
	s_xor_b64 s[4:5], exec, -1
; %bb.2339:
	s_or_b64 exec, exec, s[8:9]
	s_and_b64 s[4:5], s[4:5], exec
	s_or_saveexec_b64 s[6:7], s[6:7]
	v_mov_b32_e32 v2, s10
	s_xor_b64 exec, exec, s[6:7]
	s_cbranch_execz .LBB13_290
.LBB13_2340:
	v_mov_b32_e32 v2, 0
	v_cmp_ne_u16_sdwa s[8:9], v7, v2 src0_sel:BYTE_0 src1_sel:DWORD
	s_andn2_b64 s[4:5], s[4:5], exec
	s_and_b64 s[8:9], s[8:9], exec
	s_or_b64 s[4:5], s[4:5], s[8:9]
	s_or_b64 exec, exec, s[6:7]
	s_and_saveexec_b64 s[6:7], s[4:5]
	s_cbranch_execnz .LBB13_291
	s_branch .LBB13_292
.LBB13_2341:
	s_movk_i32 s4, 0x80
	v_cmp_eq_u16_sdwa s[12:13], v3, s4 src0_sel:BYTE_0 src1_sel:DWORD
	s_mov_b64 s[4:5], -1
                                        ; implicit-def: $sgpr10
	s_and_saveexec_b64 s[8:9], s[12:13]
; %bb.2342:
	s_mov_b32 s10, 0x7f800001
	s_xor_b64 s[4:5], exec, -1
; %bb.2343:
	s_or_b64 exec, exec, s[8:9]
	s_and_b64 s[4:5], s[4:5], exec
	s_or_saveexec_b64 s[6:7], s[6:7]
	v_mov_b32_e32 v6, s10
	s_xor_b64 exec, exec, s[6:7]
	s_cbranch_execz .LBB13_294
.LBB13_2344:
	v_mov_b32_e32 v6, 0
	v_cmp_ne_u16_sdwa s[8:9], v3, v6 src0_sel:BYTE_0 src1_sel:DWORD
	s_andn2_b64 s[4:5], s[4:5], exec
	s_and_b64 s[8:9], s[8:9], exec
	s_or_b64 s[4:5], s[4:5], s[8:9]
	s_or_b64 exec, exec, s[6:7]
	s_and_saveexec_b64 s[6:7], s[4:5]
	s_cbranch_execnz .LBB13_295
	s_branch .LBB13_296
.LBB13_2345:
	s_movk_i32 s4, 0x80
	v_cmp_eq_u16_sdwa s[12:13], v6, s4 src0_sel:BYTE_0 src1_sel:DWORD
	s_mov_b64 s[4:5], -1
                                        ; implicit-def: $sgpr10
	s_and_saveexec_b64 s[8:9], s[12:13]
; %bb.2346:
	s_mov_b32 s10, 0x7f800001
	s_xor_b64 s[4:5], exec, -1
; %bb.2347:
	s_or_b64 exec, exec, s[8:9]
	s_and_b64 s[4:5], s[4:5], exec
	s_or_saveexec_b64 s[6:7], s[6:7]
	v_mov_b32_e32 v2, s10
	s_xor_b64 exec, exec, s[6:7]
	s_cbranch_execz .LBB13_298
.LBB13_2348:
	v_mov_b32_e32 v2, 0
	v_cmp_ne_u16_sdwa s[8:9], v6, v2 src0_sel:BYTE_0 src1_sel:DWORD
	s_andn2_b64 s[4:5], s[4:5], exec
	s_and_b64 s[8:9], s[8:9], exec
	s_or_b64 s[4:5], s[4:5], s[8:9]
	s_or_b64 exec, exec, s[6:7]
	s_and_saveexec_b64 s[6:7], s[4:5]
	s_cbranch_execnz .LBB13_299
	s_branch .LBB13_300
.LBB13_2349:
	s_movk_i32 s4, 0x80
	v_cmp_eq_u16_sdwa s[12:13], v6, s4 src0_sel:BYTE_0 src1_sel:DWORD
	s_mov_b64 s[4:5], -1
                                        ; implicit-def: $sgpr10
	s_and_saveexec_b64 s[8:9], s[12:13]
; %bb.2350:
	s_mov_b32 s10, 0x7f800001
	s_xor_b64 s[4:5], exec, -1
; %bb.2351:
	s_or_b64 exec, exec, s[8:9]
	s_and_b64 s[4:5], s[4:5], exec
	s_or_saveexec_b64 s[6:7], s[6:7]
	v_mov_b32_e32 v12, s10
	s_xor_b64 exec, exec, s[6:7]
	s_cbranch_execz .LBB13_302
.LBB13_2352:
	v_mov_b32_e32 v12, 0
	v_cmp_ne_u16_sdwa s[8:9], v6, v12 src0_sel:BYTE_0 src1_sel:DWORD
	s_andn2_b64 s[4:5], s[4:5], exec
	s_and_b64 s[8:9], s[8:9], exec
	s_or_b64 s[4:5], s[4:5], s[8:9]
	s_or_b64 exec, exec, s[6:7]
	s_and_saveexec_b64 s[6:7], s[4:5]
	s_cbranch_execnz .LBB13_303
	s_branch .LBB13_304
.LBB13_2353:
	s_movk_i32 s4, 0x80
	v_cmp_eq_u16_e32 vcc, s4, v6
	s_mov_b64 s[4:5], -1
                                        ; implicit-def: $sgpr10
	s_and_saveexec_b64 s[8:9], vcc
; %bb.2354:
	s_mov_b32 s10, 0x7f800001
	s_xor_b64 s[4:5], exec, -1
; %bb.2355:
	s_or_b64 exec, exec, s[8:9]
	s_and_b64 s[4:5], s[4:5], exec
                                        ; implicit-def: $vgpr6
	s_or_saveexec_b64 s[6:7], s[6:7]
	v_mov_b32_e32 v2, s10
	s_xor_b64 exec, exec, s[6:7]
	s_cbranch_execz .LBB13_306
.LBB13_2356:
	v_cmp_ne_u16_e32 vcc, 0, v6
	s_andn2_b64 s[4:5], s[4:5], exec
	s_and_b64 s[8:9], vcc, exec
	v_mov_b32_e32 v2, 0
	s_or_b64 s[4:5], s[4:5], s[8:9]
	s_or_b64 exec, exec, s[6:7]
	s_and_saveexec_b64 s[6:7], s[4:5]
	s_cbranch_execnz .LBB13_307
	s_branch .LBB13_308
.LBB13_2357:
	s_movk_i32 s4, 0x80
	v_cmp_eq_u16_e32 vcc, s4, v6
	s_mov_b64 s[4:5], -1
                                        ; implicit-def: $sgpr10
	s_and_saveexec_b64 s[8:9], vcc
; %bb.2358:
	s_mov_b32 s10, 0x7f800001
	s_xor_b64 s[4:5], exec, -1
; %bb.2359:
	s_or_b64 exec, exec, s[8:9]
	s_and_b64 s[4:5], s[4:5], exec
                                        ; implicit-def: $vgpr6
	s_or_saveexec_b64 s[6:7], s[6:7]
	v_mov_b32_e32 v12, s10
	s_xor_b64 exec, exec, s[6:7]
	s_cbranch_execz .LBB13_310
.LBB13_2360:
	v_cmp_ne_u16_e32 vcc, 0, v6
	s_andn2_b64 s[4:5], s[4:5], exec
	s_and_b64 s[8:9], vcc, exec
	v_mov_b32_e32 v12, 0
	s_or_b64 s[4:5], s[4:5], s[8:9]
	s_or_b64 exec, exec, s[6:7]
	s_and_saveexec_b64 s[6:7], s[4:5]
	s_cbranch_execnz .LBB13_311
	s_branch .LBB13_312
.LBB13_2361:
	s_movk_i32 s4, 0x80
	v_cmp_eq_u16_sdwa s[12:13], v7, s4 src0_sel:BYTE_3 src1_sel:DWORD
	s_mov_b64 s[4:5], -1
                                        ; implicit-def: $sgpr10
	s_and_saveexec_b64 s[8:9], s[12:13]
; %bb.2362:
	s_mov_b32 s10, 0x7f800001
	s_xor_b64 s[4:5], exec, -1
; %bb.2363:
	s_or_b64 exec, exec, s[8:9]
	s_and_b64 s[4:5], s[4:5], exec
	s_or_saveexec_b64 s[6:7], s[6:7]
	v_mov_b32_e32 v2, s10
	s_xor_b64 exec, exec, s[6:7]
	s_cbranch_execz .LBB13_314
.LBB13_2364:
	v_mov_b32_e32 v2, 0
	v_cmp_ne_u16_sdwa s[8:9], v7, v2 src0_sel:BYTE_3 src1_sel:DWORD
	s_andn2_b64 s[4:5], s[4:5], exec
	s_and_b64 s[8:9], s[8:9], exec
	s_or_b64 s[4:5], s[4:5], s[8:9]
	s_or_b64 exec, exec, s[6:7]
	s_and_saveexec_b64 s[6:7], s[4:5]
	s_cbranch_execnz .LBB13_315
	s_branch .LBB13_316
.LBB13_2365:
	s_movk_i32 s4, 0x80
	v_cmp_eq_u16_sdwa s[12:13], v3, s4 src0_sel:BYTE_3 src1_sel:DWORD
	s_mov_b64 s[4:5], -1
                                        ; implicit-def: $sgpr10
	s_and_saveexec_b64 s[8:9], s[12:13]
; %bb.2366:
	s_mov_b32 s10, 0x7f800001
	s_xor_b64 s[4:5], exec, -1
; %bb.2367:
	s_or_b64 exec, exec, s[8:9]
	s_and_b64 s[4:5], s[4:5], exec
	s_or_saveexec_b64 s[6:7], s[6:7]
	v_mov_b32_e32 v6, s10
	s_xor_b64 exec, exec, s[6:7]
	s_cbranch_execz .LBB13_318
.LBB13_2368:
	v_mov_b32_e32 v6, 0
	v_cmp_ne_u16_sdwa s[8:9], v3, v6 src0_sel:BYTE_3 src1_sel:DWORD
	s_andn2_b64 s[4:5], s[4:5], exec
	s_and_b64 s[8:9], s[8:9], exec
	s_or_b64 s[4:5], s[4:5], s[8:9]
	s_or_b64 exec, exec, s[6:7]
	s_and_saveexec_b64 s[6:7], s[4:5]
	s_cbranch_execnz .LBB13_319
	s_branch .LBB13_320
.LBB13_2369:
	s_movk_i32 s4, 0x80
	v_cmp_eq_u16_sdwa s[12:13], v8, s4 src0_sel:BYTE_0 src1_sel:DWORD
	s_mov_b64 s[4:5], -1
                                        ; implicit-def: $sgpr10
	s_and_saveexec_b64 s[8:9], s[12:13]
; %bb.2370:
	s_mov_b32 s10, 0x7f800001
	s_xor_b64 s[4:5], exec, -1
; %bb.2371:
	s_or_b64 exec, exec, s[8:9]
	s_and_b64 s[4:5], s[4:5], exec
	s_or_saveexec_b64 s[6:7], s[6:7]
	v_mov_b32_e32 v2, s10
	s_xor_b64 exec, exec, s[6:7]
	s_cbranch_execz .LBB13_322
.LBB13_2372:
	v_mov_b32_e32 v2, 0
	v_cmp_ne_u16_sdwa s[8:9], v8, v2 src0_sel:BYTE_0 src1_sel:DWORD
	s_andn2_b64 s[4:5], s[4:5], exec
	s_and_b64 s[8:9], s[8:9], exec
	s_or_b64 s[4:5], s[4:5], s[8:9]
	s_or_b64 exec, exec, s[6:7]
	s_and_saveexec_b64 s[6:7], s[4:5]
	s_cbranch_execnz .LBB13_323
	s_branch .LBB13_324
.LBB13_2373:
	s_movk_i32 s4, 0x80
	v_cmp_eq_u16_sdwa s[12:13], v4, s4 src0_sel:BYTE_0 src1_sel:DWORD
	s_mov_b64 s[4:5], -1
                                        ; implicit-def: $sgpr10
	s_and_saveexec_b64 s[8:9], s[12:13]
; %bb.2374:
	s_mov_b32 s10, 0x7f800001
	s_xor_b64 s[4:5], exec, -1
; %bb.2375:
	s_or_b64 exec, exec, s[8:9]
	s_and_b64 s[4:5], s[4:5], exec
	s_or_saveexec_b64 s[6:7], s[6:7]
	v_mov_b32_e32 v3, s10
	s_xor_b64 exec, exec, s[6:7]
	s_cbranch_execz .LBB13_326
.LBB13_2376:
	v_mov_b32_e32 v3, 0
	v_cmp_ne_u16_sdwa s[8:9], v4, v3 src0_sel:BYTE_0 src1_sel:DWORD
	s_andn2_b64 s[4:5], s[4:5], exec
	s_and_b64 s[8:9], s[8:9], exec
	s_or_b64 s[4:5], s[4:5], s[8:9]
	s_or_b64 exec, exec, s[6:7]
	s_and_saveexec_b64 s[6:7], s[4:5]
	s_cbranch_execnz .LBB13_327
	s_branch .LBB13_328
.LBB13_2377:
	s_movk_i32 s4, 0x80
	v_cmp_eq_u16_sdwa s[12:13], v3, s4 src0_sel:BYTE_0 src1_sel:DWORD
	s_mov_b64 s[4:5], -1
                                        ; implicit-def: $sgpr10
	s_and_saveexec_b64 s[8:9], s[12:13]
; %bb.2378:
	s_mov_b32 s10, 0x7f800001
	s_xor_b64 s[4:5], exec, -1
; %bb.2379:
	s_or_b64 exec, exec, s[8:9]
	s_and_b64 s[4:5], s[4:5], exec
	s_or_saveexec_b64 s[6:7], s[6:7]
	v_mov_b32_e32 v2, s10
	s_xor_b64 exec, exec, s[6:7]
	s_cbranch_execz .LBB13_330
.LBB13_2380:
	v_mov_b32_e32 v2, 0
	v_cmp_ne_u16_sdwa s[8:9], v3, v2 src0_sel:BYTE_0 src1_sel:DWORD
	s_andn2_b64 s[4:5], s[4:5], exec
	s_and_b64 s[8:9], s[8:9], exec
	s_or_b64 s[4:5], s[4:5], s[8:9]
	s_or_b64 exec, exec, s[6:7]
	s_and_saveexec_b64 s[6:7], s[4:5]
	s_cbranch_execnz .LBB13_331
	s_branch .LBB13_332
.LBB13_2381:
	s_movk_i32 s4, 0x80
	v_cmp_eq_u16_sdwa s[12:13], v3, s4 src0_sel:BYTE_0 src1_sel:DWORD
	s_mov_b64 s[4:5], -1
                                        ; implicit-def: $sgpr10
	s_and_saveexec_b64 s[8:9], s[12:13]
; %bb.2382:
	s_mov_b32 s10, 0x7f800001
	s_xor_b64 s[4:5], exec, -1
; %bb.2383:
	s_or_b64 exec, exec, s[8:9]
	s_and_b64 s[4:5], s[4:5], exec
	s_or_saveexec_b64 s[6:7], s[6:7]
	v_mov_b32_e32 v6, s10
	s_xor_b64 exec, exec, s[6:7]
	s_cbranch_execz .LBB13_334
.LBB13_2384:
	v_mov_b32_e32 v6, 0
	v_cmp_ne_u16_sdwa s[8:9], v3, v6 src0_sel:BYTE_0 src1_sel:DWORD
	s_andn2_b64 s[4:5], s[4:5], exec
	s_and_b64 s[8:9], s[8:9], exec
	s_or_b64 s[4:5], s[4:5], s[8:9]
	s_or_b64 exec, exec, s[6:7]
	s_and_saveexec_b64 s[6:7], s[4:5]
	s_cbranch_execnz .LBB13_335
	s_branch .LBB13_336
.LBB13_2385:
	s_movk_i32 s4, 0x80
	v_cmp_eq_u16_e32 vcc, s4, v3
	s_mov_b64 s[4:5], -1
                                        ; implicit-def: $sgpr10
	s_and_saveexec_b64 s[8:9], vcc
; %bb.2386:
	s_mov_b32 s10, 0x7f800001
	s_xor_b64 s[4:5], exec, -1
; %bb.2387:
	s_or_b64 exec, exec, s[8:9]
	s_and_b64 s[4:5], s[4:5], exec
                                        ; implicit-def: $vgpr3
	s_or_saveexec_b64 s[6:7], s[6:7]
	v_mov_b32_e32 v2, s10
	s_xor_b64 exec, exec, s[6:7]
	s_cbranch_execz .LBB13_338
.LBB13_2388:
	v_cmp_ne_u16_e32 vcc, 0, v3
	s_andn2_b64 s[4:5], s[4:5], exec
	s_and_b64 s[8:9], vcc, exec
	v_mov_b32_e32 v2, 0
	s_or_b64 s[4:5], s[4:5], s[8:9]
	s_or_b64 exec, exec, s[6:7]
	s_and_saveexec_b64 s[6:7], s[4:5]
	s_cbranch_execnz .LBB13_339
	s_branch .LBB13_340
.LBB13_2389:
	s_movk_i32 s4, 0x80
	v_cmp_eq_u16_e32 vcc, s4, v3
	s_mov_b64 s[4:5], -1
                                        ; implicit-def: $sgpr10
	s_and_saveexec_b64 s[8:9], vcc
; %bb.2390:
	s_mov_b32 s10, 0x7f800001
	s_xor_b64 s[4:5], exec, -1
; %bb.2391:
	s_or_b64 exec, exec, s[8:9]
	s_and_b64 s[4:5], s[4:5], exec
                                        ; implicit-def: $vgpr3
	s_or_saveexec_b64 s[6:7], s[6:7]
	v_mov_b32_e32 v6, s10
	s_xor_b64 exec, exec, s[6:7]
	s_cbranch_execz .LBB13_342
.LBB13_2392:
	v_cmp_ne_u16_e32 vcc, 0, v3
	s_andn2_b64 s[4:5], s[4:5], exec
	s_and_b64 s[8:9], vcc, exec
	v_mov_b32_e32 v6, 0
	s_or_b64 s[4:5], s[4:5], s[8:9]
	s_or_b64 exec, exec, s[6:7]
	s_and_saveexec_b64 s[6:7], s[4:5]
	s_cbranch_execnz .LBB13_343
	s_branch .LBB13_344
.LBB13_2393:
	s_movk_i32 s4, 0x80
	v_cmp_eq_u16_sdwa s[12:13], v8, s4 src0_sel:BYTE_3 src1_sel:DWORD
	s_mov_b64 s[4:5], -1
                                        ; implicit-def: $sgpr10
	s_and_saveexec_b64 s[8:9], s[12:13]
; %bb.2394:
	s_mov_b32 s10, 0x7f800001
	s_xor_b64 s[4:5], exec, -1
; %bb.2395:
	s_or_b64 exec, exec, s[8:9]
	s_and_b64 s[4:5], s[4:5], exec
	s_or_saveexec_b64 s[6:7], s[6:7]
	v_mov_b32_e32 v2, s10
	s_xor_b64 exec, exec, s[6:7]
	s_cbranch_execz .LBB13_346
.LBB13_2396:
	v_mov_b32_e32 v2, 0
	v_cmp_ne_u16_sdwa s[8:9], v8, v2 src0_sel:BYTE_3 src1_sel:DWORD
	s_andn2_b64 s[4:5], s[4:5], exec
	s_and_b64 s[8:9], s[8:9], exec
	s_or_b64 s[4:5], s[4:5], s[8:9]
	s_or_b64 exec, exec, s[6:7]
	s_and_saveexec_b64 s[6:7], s[4:5]
	s_cbranch_execnz .LBB13_347
	s_branch .LBB13_348
.LBB13_2397:
	s_movk_i32 s4, 0x80
	v_cmp_eq_u16_sdwa s[12:13], v4, s4 src0_sel:BYTE_3 src1_sel:DWORD
	s_mov_b64 s[4:5], -1
                                        ; implicit-def: $sgpr10
	s_and_saveexec_b64 s[8:9], s[12:13]
; %bb.2398:
	s_mov_b32 s10, 0x7f800001
	s_xor_b64 s[4:5], exec, -1
; %bb.2399:
	s_or_b64 exec, exec, s[8:9]
	s_and_b64 s[4:5], s[4:5], exec
	s_or_saveexec_b64 s[6:7], s[6:7]
	v_mov_b32_e32 v3, s10
	s_xor_b64 exec, exec, s[6:7]
	s_cbranch_execz .LBB13_350
.LBB13_2400:
	v_mov_b32_e32 v3, 0
	v_cmp_ne_u16_sdwa s[8:9], v4, v3 src0_sel:BYTE_3 src1_sel:DWORD
	s_andn2_b64 s[4:5], s[4:5], exec
	s_and_b64 s[8:9], s[8:9], exec
	s_or_b64 s[4:5], s[4:5], s[8:9]
	s_or_b64 exec, exec, s[6:7]
	s_and_saveexec_b64 s[6:7], s[4:5]
	s_cbranch_execnz .LBB13_351
	s_branch .LBB13_352
.LBB13_2401:
	s_movk_i32 s4, 0x80
	v_cmp_eq_u16_sdwa s[12:13], v9, s4 src0_sel:BYTE_0 src1_sel:DWORD
	s_mov_b64 s[4:5], -1
                                        ; implicit-def: $sgpr10
	s_and_saveexec_b64 s[8:9], s[12:13]
; %bb.2402:
	s_mov_b32 s10, 0x7f800001
	s_xor_b64 s[4:5], exec, -1
; %bb.2403:
	s_or_b64 exec, exec, s[8:9]
	s_and_b64 s[4:5], s[4:5], exec
	s_or_saveexec_b64 s[6:7], s[6:7]
	v_mov_b32_e32 v2, s10
	s_xor_b64 exec, exec, s[6:7]
	s_cbranch_execz .LBB13_354
.LBB13_2404:
	v_mov_b32_e32 v2, 0
	v_cmp_ne_u16_sdwa s[8:9], v9, v2 src0_sel:BYTE_0 src1_sel:DWORD
	s_andn2_b64 s[4:5], s[4:5], exec
	s_and_b64 s[8:9], s[8:9], exec
	s_or_b64 s[4:5], s[4:5], s[8:9]
	s_or_b64 exec, exec, s[6:7]
	s_and_saveexec_b64 s[6:7], s[4:5]
	s_cbranch_execnz .LBB13_355
	s_branch .LBB13_356
.LBB13_2405:
	s_movk_i32 s4, 0x80
	v_cmp_eq_u16_sdwa s[12:13], v5, s4 src0_sel:BYTE_0 src1_sel:DWORD
	s_mov_b64 s[4:5], -1
                                        ; implicit-def: $sgpr10
	s_and_saveexec_b64 s[8:9], s[12:13]
; %bb.2406:
	s_mov_b32 s10, 0x7f800001
	s_xor_b64 s[4:5], exec, -1
; %bb.2407:
	s_or_b64 exec, exec, s[8:9]
	s_and_b64 s[4:5], s[4:5], exec
	s_or_saveexec_b64 s[6:7], s[6:7]
	v_mov_b32_e32 v3, s10
	s_xor_b64 exec, exec, s[6:7]
	s_cbranch_execz .LBB13_358
.LBB13_2408:
	v_mov_b32_e32 v3, 0
	v_cmp_ne_u16_sdwa s[8:9], v5, v3 src0_sel:BYTE_0 src1_sel:DWORD
	s_andn2_b64 s[4:5], s[4:5], exec
	s_and_b64 s[8:9], s[8:9], exec
	s_or_b64 s[4:5], s[4:5], s[8:9]
	s_or_b64 exec, exec, s[6:7]
	s_and_saveexec_b64 s[6:7], s[4:5]
	s_cbranch_execnz .LBB13_359
	s_branch .LBB13_360
.LBB13_2409:
	s_movk_i32 s4, 0x80
	v_cmp_eq_u16_sdwa s[12:13], v3, s4 src0_sel:BYTE_0 src1_sel:DWORD
	s_mov_b64 s[4:5], -1
                                        ; implicit-def: $sgpr10
	s_and_saveexec_b64 s[8:9], s[12:13]
; %bb.2410:
	s_mov_b32 s10, 0x7f800001
	s_xor_b64 s[4:5], exec, -1
; %bb.2411:
	s_or_b64 exec, exec, s[8:9]
	s_and_b64 s[4:5], s[4:5], exec
	s_or_saveexec_b64 s[6:7], s[6:7]
	v_mov_b32_e32 v2, s10
	s_xor_b64 exec, exec, s[6:7]
	s_cbranch_execz .LBB13_362
.LBB13_2412:
	v_mov_b32_e32 v2, 0
	v_cmp_ne_u16_sdwa s[8:9], v3, v2 src0_sel:BYTE_0 src1_sel:DWORD
	s_andn2_b64 s[4:5], s[4:5], exec
	s_and_b64 s[8:9], s[8:9], exec
	s_or_b64 s[4:5], s[4:5], s[8:9]
	s_or_b64 exec, exec, s[6:7]
	s_and_saveexec_b64 s[6:7], s[4:5]
	s_cbranch_execnz .LBB13_363
	s_branch .LBB13_364
.LBB13_2413:
	s_movk_i32 s4, 0x80
	v_cmp_eq_u16_sdwa s[12:13], v3, s4 src0_sel:BYTE_0 src1_sel:DWORD
	s_mov_b64 s[4:5], -1
                                        ; implicit-def: $sgpr10
	s_and_saveexec_b64 s[8:9], s[12:13]
; %bb.2414:
	s_mov_b32 s10, 0x7f800001
	s_xor_b64 s[4:5], exec, -1
; %bb.2415:
	s_or_b64 exec, exec, s[8:9]
	s_and_b64 s[4:5], s[4:5], exec
	s_or_saveexec_b64 s[6:7], s[6:7]
	v_mov_b32_e32 v4, s10
	s_xor_b64 exec, exec, s[6:7]
	s_cbranch_execz .LBB13_366
.LBB13_2416:
	v_mov_b32_e32 v4, 0
	v_cmp_ne_u16_sdwa s[8:9], v3, v4 src0_sel:BYTE_0 src1_sel:DWORD
	s_andn2_b64 s[4:5], s[4:5], exec
	s_and_b64 s[8:9], s[8:9], exec
	s_or_b64 s[4:5], s[4:5], s[8:9]
	s_or_b64 exec, exec, s[6:7]
	s_and_saveexec_b64 s[6:7], s[4:5]
	s_cbranch_execnz .LBB13_367
	s_branch .LBB13_368
.LBB13_2417:
	s_movk_i32 s4, 0x80
	v_cmp_eq_u16_e32 vcc, s4, v3
	s_mov_b64 s[4:5], -1
                                        ; implicit-def: $sgpr10
	s_and_saveexec_b64 s[8:9], vcc
; %bb.2418:
	s_mov_b32 s10, 0x7f800001
	s_xor_b64 s[4:5], exec, -1
; %bb.2419:
	s_or_b64 exec, exec, s[8:9]
	s_and_b64 s[4:5], s[4:5], exec
                                        ; implicit-def: $vgpr3
	s_or_saveexec_b64 s[6:7], s[6:7]
	v_mov_b32_e32 v2, s10
	s_xor_b64 exec, exec, s[6:7]
	s_cbranch_execz .LBB13_370
.LBB13_2420:
	v_cmp_ne_u16_e32 vcc, 0, v3
	s_andn2_b64 s[4:5], s[4:5], exec
	s_and_b64 s[8:9], vcc, exec
	v_mov_b32_e32 v2, 0
	s_or_b64 s[4:5], s[4:5], s[8:9]
	s_or_b64 exec, exec, s[6:7]
	s_and_saveexec_b64 s[6:7], s[4:5]
	s_cbranch_execnz .LBB13_371
	s_branch .LBB13_372
.LBB13_2421:
	s_movk_i32 s4, 0x80
	v_cmp_eq_u16_e32 vcc, s4, v3
	s_mov_b64 s[4:5], -1
                                        ; implicit-def: $sgpr10
	s_and_saveexec_b64 s[8:9], vcc
; %bb.2422:
	s_mov_b32 s10, 0x7f800001
	s_xor_b64 s[4:5], exec, -1
; %bb.2423:
	s_or_b64 exec, exec, s[8:9]
	s_and_b64 s[4:5], s[4:5], exec
                                        ; implicit-def: $vgpr3
	s_or_saveexec_b64 s[6:7], s[6:7]
	v_mov_b32_e32 v4, s10
	s_xor_b64 exec, exec, s[6:7]
	s_cbranch_execz .LBB13_374
.LBB13_2424:
	v_cmp_ne_u16_e32 vcc, 0, v3
	s_andn2_b64 s[4:5], s[4:5], exec
	s_and_b64 s[8:9], vcc, exec
	v_mov_b32_e32 v4, 0
	s_or_b64 s[4:5], s[4:5], s[8:9]
	s_or_b64 exec, exec, s[6:7]
	s_and_saveexec_b64 s[6:7], s[4:5]
	s_cbranch_execnz .LBB13_375
	s_branch .LBB13_376
.LBB13_2425:
	s_movk_i32 s4, 0x80
	v_cmp_eq_u16_sdwa s[12:13], v9, s4 src0_sel:BYTE_3 src1_sel:DWORD
	s_mov_b64 s[4:5], -1
                                        ; implicit-def: $sgpr10
	s_and_saveexec_b64 s[8:9], s[12:13]
; %bb.2426:
	s_mov_b32 s10, 0x7f800001
	s_xor_b64 s[4:5], exec, -1
; %bb.2427:
	s_or_b64 exec, exec, s[8:9]
	s_and_b64 s[4:5], s[4:5], exec
	s_or_saveexec_b64 s[6:7], s[6:7]
	v_mov_b32_e32 v2, s10
	s_xor_b64 exec, exec, s[6:7]
	s_cbranch_execz .LBB13_378
.LBB13_2428:
	v_mov_b32_e32 v2, 0
	v_cmp_ne_u16_sdwa s[8:9], v9, v2 src0_sel:BYTE_3 src1_sel:DWORD
	s_andn2_b64 s[4:5], s[4:5], exec
	s_and_b64 s[8:9], s[8:9], exec
	s_or_b64 s[4:5], s[4:5], s[8:9]
	s_or_b64 exec, exec, s[6:7]
	s_and_saveexec_b64 s[6:7], s[4:5]
	s_cbranch_execnz .LBB13_379
	s_branch .LBB13_380
.LBB13_2429:
	s_movk_i32 s4, 0x80
	v_cmp_eq_u16_sdwa s[12:13], v5, s4 src0_sel:BYTE_3 src1_sel:DWORD
	s_mov_b64 s[4:5], -1
                                        ; implicit-def: $sgpr10
	s_and_saveexec_b64 s[8:9], s[12:13]
; %bb.2430:
	s_mov_b32 s10, 0x7f800001
	s_xor_b64 s[4:5], exec, -1
; %bb.2431:
	s_or_b64 exec, exec, s[8:9]
	s_and_b64 s[4:5], s[4:5], exec
	s_or_saveexec_b64 s[6:7], s[6:7]
	v_mov_b32_e32 v3, s10
	s_xor_b64 exec, exec, s[6:7]
	s_cbranch_execz .LBB13_382
.LBB13_2432:
	v_mov_b32_e32 v3, 0
	v_cmp_ne_u16_sdwa s[8:9], v5, v3 src0_sel:BYTE_3 src1_sel:DWORD
	s_andn2_b64 s[4:5], s[4:5], exec
	s_and_b64 s[8:9], s[8:9], exec
	s_or_b64 s[4:5], s[4:5], s[8:9]
	s_or_b64 exec, exec, s[6:7]
	s_and_saveexec_b64 s[6:7], s[4:5]
	s_cbranch_execnz .LBB13_383
	s_branch .LBB13_384
.LBB13_2433:
	s_movk_i32 s4, 0x80
	v_cmp_eq_u16_sdwa s[12:13], v6, s4 src0_sel:BYTE_0 src1_sel:DWORD
	s_mov_b64 s[4:5], -1
                                        ; implicit-def: $sgpr10
	s_and_saveexec_b64 s[8:9], s[12:13]
; %bb.2434:
	s_mov_b32 s10, 0x7f800001
	s_xor_b64 s[4:5], exec, -1
; %bb.2435:
	s_or_b64 exec, exec, s[8:9]
	s_and_b64 s[4:5], s[4:5], exec
	s_or_saveexec_b64 s[6:7], s[6:7]
	v_mov_b32_e32 v12, s10
	s_xor_b64 exec, exec, s[6:7]
	s_cbranch_execz .LBB13_386
.LBB13_2436:
	v_mov_b32_e32 v12, 0
	v_cmp_ne_u16_sdwa s[8:9], v6, v12 src0_sel:BYTE_0 src1_sel:DWORD
	s_andn2_b64 s[4:5], s[4:5], exec
	s_and_b64 s[8:9], s[8:9], exec
	s_or_b64 s[4:5], s[4:5], s[8:9]
	s_or_b64 exec, exec, s[6:7]
	s_and_saveexec_b64 s[6:7], s[4:5]
	s_cbranch_execnz .LBB13_387
	s_branch .LBB13_388
.LBB13_2437:
	s_movk_i32 s4, 0x80
	v_cmp_eq_u16_sdwa s[12:13], v2, s4 src0_sel:BYTE_0 src1_sel:DWORD
	s_mov_b64 s[4:5], -1
                                        ; implicit-def: $sgpr10
	s_and_saveexec_b64 s[8:9], s[12:13]
; %bb.2438:
	s_mov_b32 s10, 0x7f800001
	s_xor_b64 s[4:5], exec, -1
; %bb.2439:
	s_or_b64 exec, exec, s[8:9]
	s_and_b64 s[4:5], s[4:5], exec
	s_or_saveexec_b64 s[6:7], s[6:7]
	v_mov_b32_e32 v13, s10
	s_xor_b64 exec, exec, s[6:7]
	s_cbranch_execz .LBB13_390
.LBB13_2440:
	v_mov_b32_e32 v13, 0
	v_cmp_ne_u16_sdwa s[8:9], v2, v13 src0_sel:BYTE_0 src1_sel:DWORD
	s_andn2_b64 s[4:5], s[4:5], exec
	s_and_b64 s[8:9], s[8:9], exec
	s_or_b64 s[4:5], s[4:5], s[8:9]
	s_or_b64 exec, exec, s[6:7]
	s_and_saveexec_b64 s[6:7], s[4:5]
	s_cbranch_execnz .LBB13_391
	s_branch .LBB13_392
.LBB13_2441:
	s_movk_i32 s4, 0x80
	v_cmp_eq_u16_sdwa s[12:13], v13, s4 src0_sel:BYTE_0 src1_sel:DWORD
	s_mov_b64 s[4:5], -1
                                        ; implicit-def: $sgpr10
	s_and_saveexec_b64 s[8:9], s[12:13]
; %bb.2442:
	s_mov_b32 s10, 0x7f800001
	s_xor_b64 s[4:5], exec, -1
; %bb.2443:
	s_or_b64 exec, exec, s[8:9]
	s_and_b64 s[4:5], s[4:5], exec
	s_or_saveexec_b64 s[6:7], s[6:7]
	v_mov_b32_e32 v12, s10
	s_xor_b64 exec, exec, s[6:7]
	s_cbranch_execz .LBB13_394
.LBB13_2444:
	v_mov_b32_e32 v12, 0
	v_cmp_ne_u16_sdwa s[8:9], v13, v12 src0_sel:BYTE_0 src1_sel:DWORD
	s_andn2_b64 s[4:5], s[4:5], exec
	s_and_b64 s[8:9], s[8:9], exec
	s_or_b64 s[4:5], s[4:5], s[8:9]
	s_or_b64 exec, exec, s[6:7]
	s_and_saveexec_b64 s[6:7], s[4:5]
	s_cbranch_execnz .LBB13_395
	s_branch .LBB13_396
.LBB13_2445:
	s_movk_i32 s4, 0x80
	v_cmp_eq_u16_sdwa s[12:13], v13, s4 src0_sel:BYTE_0 src1_sel:DWORD
	s_mov_b64 s[4:5], -1
                                        ; implicit-def: $sgpr10
	s_and_saveexec_b64 s[8:9], s[12:13]
; %bb.2446:
	s_mov_b32 s10, 0x7f800001
	s_xor_b64 s[4:5], exec, -1
; %bb.2447:
	s_or_b64 exec, exec, s[8:9]
	s_and_b64 s[4:5], s[4:5], exec
	s_or_saveexec_b64 s[6:7], s[6:7]
	v_mov_b32_e32 v14, s10
	s_xor_b64 exec, exec, s[6:7]
	s_cbranch_execz .LBB13_398
.LBB13_2448:
	v_mov_b32_e32 v14, 0
	v_cmp_ne_u16_sdwa s[8:9], v13, v14 src0_sel:BYTE_0 src1_sel:DWORD
	s_andn2_b64 s[4:5], s[4:5], exec
	s_and_b64 s[8:9], s[8:9], exec
	s_or_b64 s[4:5], s[4:5], s[8:9]
	s_or_b64 exec, exec, s[6:7]
	s_and_saveexec_b64 s[6:7], s[4:5]
	s_cbranch_execnz .LBB13_399
	s_branch .LBB13_400
.LBB13_2449:
	s_movk_i32 s4, 0x80
	v_cmp_eq_u16_e32 vcc, s4, v13
	s_mov_b64 s[4:5], -1
                                        ; implicit-def: $sgpr10
	s_and_saveexec_b64 s[8:9], vcc
; %bb.2450:
	s_mov_b32 s10, 0x7f800001
	s_xor_b64 s[4:5], exec, -1
; %bb.2451:
	s_or_b64 exec, exec, s[8:9]
	s_and_b64 s[4:5], s[4:5], exec
                                        ; implicit-def: $vgpr13
	s_or_saveexec_b64 s[6:7], s[6:7]
	v_mov_b32_e32 v12, s10
	s_xor_b64 exec, exec, s[6:7]
	s_cbranch_execz .LBB13_402
.LBB13_2452:
	v_cmp_ne_u16_e32 vcc, 0, v13
	s_andn2_b64 s[4:5], s[4:5], exec
	s_and_b64 s[8:9], vcc, exec
	v_mov_b32_e32 v12, 0
	s_or_b64 s[4:5], s[4:5], s[8:9]
	s_or_b64 exec, exec, s[6:7]
	s_and_saveexec_b64 s[6:7], s[4:5]
	s_cbranch_execnz .LBB13_403
	s_branch .LBB13_404
.LBB13_2453:
	s_movk_i32 s4, 0x80
	v_cmp_eq_u16_e32 vcc, s4, v13
	s_mov_b64 s[4:5], -1
                                        ; implicit-def: $sgpr10
	s_and_saveexec_b64 s[8:9], vcc
; %bb.2454:
	s_mov_b32 s10, 0x7f800001
	s_xor_b64 s[4:5], exec, -1
; %bb.2455:
	s_or_b64 exec, exec, s[8:9]
	s_and_b64 s[4:5], s[4:5], exec
                                        ; implicit-def: $vgpr13
	s_or_saveexec_b64 s[6:7], s[6:7]
	v_mov_b32_e32 v14, s10
	s_xor_b64 exec, exec, s[6:7]
	s_cbranch_execz .LBB13_406
.LBB13_2456:
	v_cmp_ne_u16_e32 vcc, 0, v13
	s_andn2_b64 s[4:5], s[4:5], exec
	s_and_b64 s[8:9], vcc, exec
	v_mov_b32_e32 v14, 0
	s_or_b64 s[4:5], s[4:5], s[8:9]
	s_or_b64 exec, exec, s[6:7]
	s_and_saveexec_b64 s[6:7], s[4:5]
	s_cbranch_execnz .LBB13_407
	s_branch .LBB13_408
.LBB13_2457:
	s_movk_i32 s4, 0x80
	v_cmp_eq_u16_sdwa s[12:13], v6, s4 src0_sel:BYTE_3 src1_sel:DWORD
	s_mov_b64 s[4:5], -1
                                        ; implicit-def: $sgpr10
	s_and_saveexec_b64 s[8:9], s[12:13]
; %bb.2458:
	s_mov_b32 s10, 0x7f800001
	s_xor_b64 s[4:5], exec, -1
; %bb.2459:
	s_or_b64 exec, exec, s[8:9]
	s_and_b64 s[4:5], s[4:5], exec
	s_or_saveexec_b64 s[6:7], s[6:7]
	v_mov_b32_e32 v12, s10
	s_xor_b64 exec, exec, s[6:7]
	s_cbranch_execz .LBB13_410
.LBB13_2460:
	v_mov_b32_e32 v12, 0
	v_cmp_ne_u16_sdwa s[8:9], v6, v12 src0_sel:BYTE_3 src1_sel:DWORD
	s_andn2_b64 s[4:5], s[4:5], exec
	s_and_b64 s[8:9], s[8:9], exec
	s_or_b64 s[4:5], s[4:5], s[8:9]
	s_or_b64 exec, exec, s[6:7]
	s_and_saveexec_b64 s[6:7], s[4:5]
	s_cbranch_execnz .LBB13_411
	s_branch .LBB13_412
.LBB13_2461:
	s_movk_i32 s4, 0x80
	v_cmp_eq_u16_sdwa s[12:13], v2, s4 src0_sel:BYTE_3 src1_sel:DWORD
	s_mov_b64 s[4:5], -1
                                        ; implicit-def: $sgpr10
	s_and_saveexec_b64 s[8:9], s[12:13]
; %bb.2462:
	s_mov_b32 s10, 0x7f800001
	s_xor_b64 s[4:5], exec, -1
; %bb.2463:
	s_or_b64 exec, exec, s[8:9]
	s_and_b64 s[4:5], s[4:5], exec
	s_or_saveexec_b64 s[6:7], s[6:7]
	v_mov_b32_e32 v6, s10
	s_xor_b64 exec, exec, s[6:7]
	s_cbranch_execz .LBB13_414
.LBB13_2464:
	v_mov_b32_e32 v6, 0
	v_cmp_ne_u16_sdwa s[8:9], v2, v6 src0_sel:BYTE_3 src1_sel:DWORD
	s_andn2_b64 s[4:5], s[4:5], exec
	s_and_b64 s[8:9], s[8:9], exec
	s_or_b64 s[4:5], s[4:5], s[8:9]
	s_or_b64 exec, exec, s[6:7]
	s_and_saveexec_b64 s[6:7], s[4:5]
	s_cbranch_execnz .LBB13_415
	s_branch .LBB13_416
.LBB13_2465:
	s_movk_i32 s4, 0x80
	v_cmp_eq_u16_sdwa s[12:13], v7, s4 src0_sel:BYTE_0 src1_sel:DWORD
	s_mov_b64 s[4:5], -1
                                        ; implicit-def: $sgpr10
	s_and_saveexec_b64 s[8:9], s[12:13]
; %bb.2466:
	s_mov_b32 s10, 0x7f800001
	s_xor_b64 s[4:5], exec, -1
; %bb.2467:
	s_or_b64 exec, exec, s[8:9]
	s_and_b64 s[4:5], s[4:5], exec
	s_or_saveexec_b64 s[6:7], s[6:7]
	v_mov_b32_e32 v2, s10
	s_xor_b64 exec, exec, s[6:7]
	s_cbranch_execz .LBB13_418
.LBB13_2468:
	v_mov_b32_e32 v2, 0
	v_cmp_ne_u16_sdwa s[8:9], v7, v2 src0_sel:BYTE_0 src1_sel:DWORD
	s_andn2_b64 s[4:5], s[4:5], exec
	s_and_b64 s[8:9], s[8:9], exec
	s_or_b64 s[4:5], s[4:5], s[8:9]
	s_or_b64 exec, exec, s[6:7]
	s_and_saveexec_b64 s[6:7], s[4:5]
	s_cbranch_execnz .LBB13_419
	s_branch .LBB13_420
.LBB13_2469:
	s_movk_i32 s4, 0x80
	v_cmp_eq_u16_sdwa s[12:13], v3, s4 src0_sel:BYTE_0 src1_sel:DWORD
	s_mov_b64 s[4:5], -1
                                        ; implicit-def: $sgpr10
	s_and_saveexec_b64 s[8:9], s[12:13]
; %bb.2470:
	s_mov_b32 s10, 0x7f800001
	s_xor_b64 s[4:5], exec, -1
; %bb.2471:
	s_or_b64 exec, exec, s[8:9]
	s_and_b64 s[4:5], s[4:5], exec
	s_or_saveexec_b64 s[6:7], s[6:7]
	v_mov_b32_e32 v6, s10
	s_xor_b64 exec, exec, s[6:7]
	s_cbranch_execz .LBB13_422
.LBB13_2472:
	v_mov_b32_e32 v6, 0
	v_cmp_ne_u16_sdwa s[8:9], v3, v6 src0_sel:BYTE_0 src1_sel:DWORD
	s_andn2_b64 s[4:5], s[4:5], exec
	s_and_b64 s[8:9], s[8:9], exec
	s_or_b64 s[4:5], s[4:5], s[8:9]
	s_or_b64 exec, exec, s[6:7]
	s_and_saveexec_b64 s[6:7], s[4:5]
	s_cbranch_execnz .LBB13_423
	s_branch .LBB13_424
.LBB13_2473:
	s_movk_i32 s4, 0x80
	v_cmp_eq_u16_sdwa s[12:13], v6, s4 src0_sel:BYTE_0 src1_sel:DWORD
	s_mov_b64 s[4:5], -1
                                        ; implicit-def: $sgpr10
	s_and_saveexec_b64 s[8:9], s[12:13]
; %bb.2474:
	s_mov_b32 s10, 0x7f800001
	s_xor_b64 s[4:5], exec, -1
; %bb.2475:
	s_or_b64 exec, exec, s[8:9]
	s_and_b64 s[4:5], s[4:5], exec
	s_or_saveexec_b64 s[6:7], s[6:7]
	v_mov_b32_e32 v2, s10
	s_xor_b64 exec, exec, s[6:7]
	s_cbranch_execz .LBB13_426
.LBB13_2476:
	v_mov_b32_e32 v2, 0
	v_cmp_ne_u16_sdwa s[8:9], v6, v2 src0_sel:BYTE_0 src1_sel:DWORD
	s_andn2_b64 s[4:5], s[4:5], exec
	s_and_b64 s[8:9], s[8:9], exec
	s_or_b64 s[4:5], s[4:5], s[8:9]
	s_or_b64 exec, exec, s[6:7]
	s_and_saveexec_b64 s[6:7], s[4:5]
	s_cbranch_execnz .LBB13_427
	s_branch .LBB13_428
.LBB13_2477:
	s_movk_i32 s4, 0x80
	v_cmp_eq_u16_sdwa s[12:13], v6, s4 src0_sel:BYTE_0 src1_sel:DWORD
	s_mov_b64 s[4:5], -1
                                        ; implicit-def: $sgpr10
	s_and_saveexec_b64 s[8:9], s[12:13]
; %bb.2478:
	s_mov_b32 s10, 0x7f800001
	s_xor_b64 s[4:5], exec, -1
; %bb.2479:
	s_or_b64 exec, exec, s[8:9]
	s_and_b64 s[4:5], s[4:5], exec
	s_or_saveexec_b64 s[6:7], s[6:7]
	v_mov_b32_e32 v12, s10
	s_xor_b64 exec, exec, s[6:7]
	s_cbranch_execz .LBB13_430
.LBB13_2480:
	v_mov_b32_e32 v12, 0
	v_cmp_ne_u16_sdwa s[8:9], v6, v12 src0_sel:BYTE_0 src1_sel:DWORD
	s_andn2_b64 s[4:5], s[4:5], exec
	s_and_b64 s[8:9], s[8:9], exec
	s_or_b64 s[4:5], s[4:5], s[8:9]
	s_or_b64 exec, exec, s[6:7]
	s_and_saveexec_b64 s[6:7], s[4:5]
	s_cbranch_execnz .LBB13_431
	s_branch .LBB13_432
.LBB13_2481:
	s_movk_i32 s4, 0x80
	v_cmp_eq_u16_e32 vcc, s4, v6
	s_mov_b64 s[4:5], -1
                                        ; implicit-def: $sgpr10
	s_and_saveexec_b64 s[8:9], vcc
; %bb.2482:
	s_mov_b32 s10, 0x7f800001
	s_xor_b64 s[4:5], exec, -1
; %bb.2483:
	s_or_b64 exec, exec, s[8:9]
	s_and_b64 s[4:5], s[4:5], exec
                                        ; implicit-def: $vgpr6
	s_or_saveexec_b64 s[6:7], s[6:7]
	v_mov_b32_e32 v2, s10
	s_xor_b64 exec, exec, s[6:7]
	s_cbranch_execz .LBB13_434
.LBB13_2484:
	v_cmp_ne_u16_e32 vcc, 0, v6
	s_andn2_b64 s[4:5], s[4:5], exec
	s_and_b64 s[8:9], vcc, exec
	v_mov_b32_e32 v2, 0
	s_or_b64 s[4:5], s[4:5], s[8:9]
	s_or_b64 exec, exec, s[6:7]
	s_and_saveexec_b64 s[6:7], s[4:5]
	s_cbranch_execnz .LBB13_435
	s_branch .LBB13_436
.LBB13_2485:
	s_movk_i32 s4, 0x80
	v_cmp_eq_u16_e32 vcc, s4, v6
	s_mov_b64 s[4:5], -1
                                        ; implicit-def: $sgpr10
	s_and_saveexec_b64 s[8:9], vcc
; %bb.2486:
	s_mov_b32 s10, 0x7f800001
	s_xor_b64 s[4:5], exec, -1
; %bb.2487:
	s_or_b64 exec, exec, s[8:9]
	s_and_b64 s[4:5], s[4:5], exec
                                        ; implicit-def: $vgpr6
	s_or_saveexec_b64 s[6:7], s[6:7]
	v_mov_b32_e32 v12, s10
	s_xor_b64 exec, exec, s[6:7]
	s_cbranch_execz .LBB13_438
.LBB13_2488:
	v_cmp_ne_u16_e32 vcc, 0, v6
	s_andn2_b64 s[4:5], s[4:5], exec
	s_and_b64 s[8:9], vcc, exec
	v_mov_b32_e32 v12, 0
	s_or_b64 s[4:5], s[4:5], s[8:9]
	s_or_b64 exec, exec, s[6:7]
	s_and_saveexec_b64 s[6:7], s[4:5]
	s_cbranch_execnz .LBB13_439
	s_branch .LBB13_440
.LBB13_2489:
	s_movk_i32 s4, 0x80
	v_cmp_eq_u16_sdwa s[12:13], v7, s4 src0_sel:BYTE_3 src1_sel:DWORD
	s_mov_b64 s[4:5], -1
                                        ; implicit-def: $sgpr10
	s_and_saveexec_b64 s[8:9], s[12:13]
; %bb.2490:
	s_mov_b32 s10, 0x7f800001
	s_xor_b64 s[4:5], exec, -1
; %bb.2491:
	s_or_b64 exec, exec, s[8:9]
	s_and_b64 s[4:5], s[4:5], exec
	s_or_saveexec_b64 s[6:7], s[6:7]
	v_mov_b32_e32 v2, s10
	s_xor_b64 exec, exec, s[6:7]
	s_cbranch_execz .LBB13_442
.LBB13_2492:
	v_mov_b32_e32 v2, 0
	v_cmp_ne_u16_sdwa s[8:9], v7, v2 src0_sel:BYTE_3 src1_sel:DWORD
	s_andn2_b64 s[4:5], s[4:5], exec
	s_and_b64 s[8:9], s[8:9], exec
	s_or_b64 s[4:5], s[4:5], s[8:9]
	s_or_b64 exec, exec, s[6:7]
	s_and_saveexec_b64 s[6:7], s[4:5]
	s_cbranch_execnz .LBB13_443
	s_branch .LBB13_444
.LBB13_2493:
	s_movk_i32 s4, 0x80
	v_cmp_eq_u16_sdwa s[12:13], v3, s4 src0_sel:BYTE_3 src1_sel:DWORD
	s_mov_b64 s[4:5], -1
                                        ; implicit-def: $sgpr10
	s_and_saveexec_b64 s[8:9], s[12:13]
; %bb.2494:
	s_mov_b32 s10, 0x7f800001
	s_xor_b64 s[4:5], exec, -1
; %bb.2495:
	s_or_b64 exec, exec, s[8:9]
	s_and_b64 s[4:5], s[4:5], exec
	s_or_saveexec_b64 s[6:7], s[6:7]
	v_mov_b32_e32 v6, s10
	s_xor_b64 exec, exec, s[6:7]
	s_cbranch_execz .LBB13_446
.LBB13_2496:
	v_mov_b32_e32 v6, 0
	v_cmp_ne_u16_sdwa s[8:9], v3, v6 src0_sel:BYTE_3 src1_sel:DWORD
	s_andn2_b64 s[4:5], s[4:5], exec
	s_and_b64 s[8:9], s[8:9], exec
	s_or_b64 s[4:5], s[4:5], s[8:9]
	s_or_b64 exec, exec, s[6:7]
	s_and_saveexec_b64 s[6:7], s[4:5]
	s_cbranch_execnz .LBB13_447
	s_branch .LBB13_448
.LBB13_2497:
	s_movk_i32 s4, 0x80
	v_cmp_eq_u16_sdwa s[12:13], v8, s4 src0_sel:BYTE_0 src1_sel:DWORD
	s_mov_b64 s[4:5], -1
                                        ; implicit-def: $sgpr10
	s_and_saveexec_b64 s[8:9], s[12:13]
; %bb.2498:
	s_mov_b32 s10, 0x7f800001
	s_xor_b64 s[4:5], exec, -1
; %bb.2499:
	s_or_b64 exec, exec, s[8:9]
	s_and_b64 s[4:5], s[4:5], exec
	s_or_saveexec_b64 s[6:7], s[6:7]
	v_mov_b32_e32 v2, s10
	s_xor_b64 exec, exec, s[6:7]
	s_cbranch_execz .LBB13_450
.LBB13_2500:
	v_mov_b32_e32 v2, 0
	v_cmp_ne_u16_sdwa s[8:9], v8, v2 src0_sel:BYTE_0 src1_sel:DWORD
	s_andn2_b64 s[4:5], s[4:5], exec
	s_and_b64 s[8:9], s[8:9], exec
	s_or_b64 s[4:5], s[4:5], s[8:9]
	s_or_b64 exec, exec, s[6:7]
	s_and_saveexec_b64 s[6:7], s[4:5]
	s_cbranch_execnz .LBB13_451
	s_branch .LBB13_452
.LBB13_2501:
	s_movk_i32 s4, 0x80
	v_cmp_eq_u16_sdwa s[12:13], v4, s4 src0_sel:BYTE_0 src1_sel:DWORD
	s_mov_b64 s[4:5], -1
                                        ; implicit-def: $sgpr10
	s_and_saveexec_b64 s[8:9], s[12:13]
; %bb.2502:
	s_mov_b32 s10, 0x7f800001
	s_xor_b64 s[4:5], exec, -1
; %bb.2503:
	s_or_b64 exec, exec, s[8:9]
	s_and_b64 s[4:5], s[4:5], exec
	s_or_saveexec_b64 s[6:7], s[6:7]
	v_mov_b32_e32 v3, s10
	s_xor_b64 exec, exec, s[6:7]
	s_cbranch_execz .LBB13_454
.LBB13_2504:
	v_mov_b32_e32 v3, 0
	v_cmp_ne_u16_sdwa s[8:9], v4, v3 src0_sel:BYTE_0 src1_sel:DWORD
	s_andn2_b64 s[4:5], s[4:5], exec
	s_and_b64 s[8:9], s[8:9], exec
	s_or_b64 s[4:5], s[4:5], s[8:9]
	s_or_b64 exec, exec, s[6:7]
	s_and_saveexec_b64 s[6:7], s[4:5]
	s_cbranch_execnz .LBB13_455
	s_branch .LBB13_456
.LBB13_2505:
	s_movk_i32 s4, 0x80
	v_cmp_eq_u16_sdwa s[12:13], v3, s4 src0_sel:BYTE_0 src1_sel:DWORD
	s_mov_b64 s[4:5], -1
                                        ; implicit-def: $sgpr10
	s_and_saveexec_b64 s[8:9], s[12:13]
; %bb.2506:
	s_mov_b32 s10, 0x7f800001
	s_xor_b64 s[4:5], exec, -1
; %bb.2507:
	s_or_b64 exec, exec, s[8:9]
	s_and_b64 s[4:5], s[4:5], exec
	s_or_saveexec_b64 s[6:7], s[6:7]
	v_mov_b32_e32 v2, s10
	s_xor_b64 exec, exec, s[6:7]
	s_cbranch_execz .LBB13_458
.LBB13_2508:
	v_mov_b32_e32 v2, 0
	v_cmp_ne_u16_sdwa s[8:9], v3, v2 src0_sel:BYTE_0 src1_sel:DWORD
	s_andn2_b64 s[4:5], s[4:5], exec
	s_and_b64 s[8:9], s[8:9], exec
	s_or_b64 s[4:5], s[4:5], s[8:9]
	s_or_b64 exec, exec, s[6:7]
	s_and_saveexec_b64 s[6:7], s[4:5]
	s_cbranch_execnz .LBB13_459
	s_branch .LBB13_460
.LBB13_2509:
	s_movk_i32 s4, 0x80
	v_cmp_eq_u16_sdwa s[12:13], v3, s4 src0_sel:BYTE_0 src1_sel:DWORD
	s_mov_b64 s[4:5], -1
                                        ; implicit-def: $sgpr10
	s_and_saveexec_b64 s[8:9], s[12:13]
; %bb.2510:
	s_mov_b32 s10, 0x7f800001
	s_xor_b64 s[4:5], exec, -1
; %bb.2511:
	s_or_b64 exec, exec, s[8:9]
	s_and_b64 s[4:5], s[4:5], exec
	s_or_saveexec_b64 s[6:7], s[6:7]
	v_mov_b32_e32 v6, s10
	s_xor_b64 exec, exec, s[6:7]
	s_cbranch_execz .LBB13_462
.LBB13_2512:
	v_mov_b32_e32 v6, 0
	v_cmp_ne_u16_sdwa s[8:9], v3, v6 src0_sel:BYTE_0 src1_sel:DWORD
	s_andn2_b64 s[4:5], s[4:5], exec
	s_and_b64 s[8:9], s[8:9], exec
	s_or_b64 s[4:5], s[4:5], s[8:9]
	s_or_b64 exec, exec, s[6:7]
	s_and_saveexec_b64 s[6:7], s[4:5]
	s_cbranch_execnz .LBB13_463
	s_branch .LBB13_464
.LBB13_2513:
	s_movk_i32 s4, 0x80
	v_cmp_eq_u16_e32 vcc, s4, v3
	s_mov_b64 s[4:5], -1
                                        ; implicit-def: $sgpr10
	s_and_saveexec_b64 s[8:9], vcc
; %bb.2514:
	s_mov_b32 s10, 0x7f800001
	s_xor_b64 s[4:5], exec, -1
; %bb.2515:
	s_or_b64 exec, exec, s[8:9]
	s_and_b64 s[4:5], s[4:5], exec
                                        ; implicit-def: $vgpr3
	s_or_saveexec_b64 s[6:7], s[6:7]
	v_mov_b32_e32 v2, s10
	s_xor_b64 exec, exec, s[6:7]
	s_cbranch_execz .LBB13_466
.LBB13_2516:
	v_cmp_ne_u16_e32 vcc, 0, v3
	s_andn2_b64 s[4:5], s[4:5], exec
	s_and_b64 s[8:9], vcc, exec
	v_mov_b32_e32 v2, 0
	s_or_b64 s[4:5], s[4:5], s[8:9]
	s_or_b64 exec, exec, s[6:7]
	s_and_saveexec_b64 s[6:7], s[4:5]
	s_cbranch_execnz .LBB13_467
	s_branch .LBB13_468
.LBB13_2517:
	s_movk_i32 s4, 0x80
	v_cmp_eq_u16_e32 vcc, s4, v3
	s_mov_b64 s[4:5], -1
                                        ; implicit-def: $sgpr10
	s_and_saveexec_b64 s[8:9], vcc
; %bb.2518:
	s_mov_b32 s10, 0x7f800001
	s_xor_b64 s[4:5], exec, -1
; %bb.2519:
	s_or_b64 exec, exec, s[8:9]
	s_and_b64 s[4:5], s[4:5], exec
                                        ; implicit-def: $vgpr3
	s_or_saveexec_b64 s[6:7], s[6:7]
	v_mov_b32_e32 v6, s10
	s_xor_b64 exec, exec, s[6:7]
	s_cbranch_execz .LBB13_470
.LBB13_2520:
	v_cmp_ne_u16_e32 vcc, 0, v3
	s_andn2_b64 s[4:5], s[4:5], exec
	s_and_b64 s[8:9], vcc, exec
	v_mov_b32_e32 v6, 0
	s_or_b64 s[4:5], s[4:5], s[8:9]
	s_or_b64 exec, exec, s[6:7]
	s_and_saveexec_b64 s[6:7], s[4:5]
	s_cbranch_execnz .LBB13_471
	s_branch .LBB13_472
.LBB13_2521:
	s_movk_i32 s4, 0x80
	v_cmp_eq_u16_sdwa s[12:13], v8, s4 src0_sel:BYTE_3 src1_sel:DWORD
	s_mov_b64 s[4:5], -1
                                        ; implicit-def: $sgpr10
	s_and_saveexec_b64 s[8:9], s[12:13]
; %bb.2522:
	s_mov_b32 s10, 0x7f800001
	s_xor_b64 s[4:5], exec, -1
; %bb.2523:
	s_or_b64 exec, exec, s[8:9]
	s_and_b64 s[4:5], s[4:5], exec
	s_or_saveexec_b64 s[6:7], s[6:7]
	v_mov_b32_e32 v2, s10
	s_xor_b64 exec, exec, s[6:7]
	s_cbranch_execz .LBB13_474
.LBB13_2524:
	v_mov_b32_e32 v2, 0
	v_cmp_ne_u16_sdwa s[8:9], v8, v2 src0_sel:BYTE_3 src1_sel:DWORD
	s_andn2_b64 s[4:5], s[4:5], exec
	s_and_b64 s[8:9], s[8:9], exec
	s_or_b64 s[4:5], s[4:5], s[8:9]
	s_or_b64 exec, exec, s[6:7]
	s_and_saveexec_b64 s[6:7], s[4:5]
	s_cbranch_execnz .LBB13_475
	s_branch .LBB13_476
.LBB13_2525:
	s_movk_i32 s4, 0x80
	v_cmp_eq_u16_sdwa s[12:13], v4, s4 src0_sel:BYTE_3 src1_sel:DWORD
	s_mov_b64 s[4:5], -1
                                        ; implicit-def: $sgpr10
	s_and_saveexec_b64 s[8:9], s[12:13]
; %bb.2526:
	s_mov_b32 s10, 0x7f800001
	s_xor_b64 s[4:5], exec, -1
; %bb.2527:
	s_or_b64 exec, exec, s[8:9]
	s_and_b64 s[4:5], s[4:5], exec
	s_or_saveexec_b64 s[6:7], s[6:7]
	v_mov_b32_e32 v3, s10
	s_xor_b64 exec, exec, s[6:7]
	s_cbranch_execz .LBB13_478
.LBB13_2528:
	v_mov_b32_e32 v3, 0
	v_cmp_ne_u16_sdwa s[8:9], v4, v3 src0_sel:BYTE_3 src1_sel:DWORD
	s_andn2_b64 s[4:5], s[4:5], exec
	s_and_b64 s[8:9], s[8:9], exec
	s_or_b64 s[4:5], s[4:5], s[8:9]
	s_or_b64 exec, exec, s[6:7]
	s_and_saveexec_b64 s[6:7], s[4:5]
	s_cbranch_execnz .LBB13_479
	s_branch .LBB13_480
.LBB13_2529:
	s_movk_i32 s4, 0x80
	v_cmp_eq_u16_sdwa s[12:13], v9, s4 src0_sel:BYTE_0 src1_sel:DWORD
	s_mov_b64 s[4:5], -1
                                        ; implicit-def: $sgpr10
	s_and_saveexec_b64 s[8:9], s[12:13]
; %bb.2530:
	s_mov_b32 s10, 0x7f800001
	s_xor_b64 s[4:5], exec, -1
; %bb.2531:
	s_or_b64 exec, exec, s[8:9]
	s_and_b64 s[4:5], s[4:5], exec
	s_or_saveexec_b64 s[6:7], s[6:7]
	v_mov_b32_e32 v2, s10
	s_xor_b64 exec, exec, s[6:7]
	s_cbranch_execz .LBB13_482
.LBB13_2532:
	v_mov_b32_e32 v2, 0
	v_cmp_ne_u16_sdwa s[8:9], v9, v2 src0_sel:BYTE_0 src1_sel:DWORD
	s_andn2_b64 s[4:5], s[4:5], exec
	s_and_b64 s[8:9], s[8:9], exec
	s_or_b64 s[4:5], s[4:5], s[8:9]
	s_or_b64 exec, exec, s[6:7]
	s_and_saveexec_b64 s[6:7], s[4:5]
	s_cbranch_execnz .LBB13_483
	s_branch .LBB13_484
.LBB13_2533:
	s_movk_i32 s4, 0x80
	v_cmp_eq_u16_sdwa s[12:13], v5, s4 src0_sel:BYTE_0 src1_sel:DWORD
	s_mov_b64 s[4:5], -1
                                        ; implicit-def: $sgpr10
	s_and_saveexec_b64 s[8:9], s[12:13]
; %bb.2534:
	s_mov_b32 s10, 0x7f800001
	s_xor_b64 s[4:5], exec, -1
; %bb.2535:
	s_or_b64 exec, exec, s[8:9]
	s_and_b64 s[4:5], s[4:5], exec
	s_or_saveexec_b64 s[6:7], s[6:7]
	v_mov_b32_e32 v3, s10
	s_xor_b64 exec, exec, s[6:7]
	s_cbranch_execz .LBB13_486
.LBB13_2536:
	v_mov_b32_e32 v3, 0
	v_cmp_ne_u16_sdwa s[8:9], v5, v3 src0_sel:BYTE_0 src1_sel:DWORD
	s_andn2_b64 s[4:5], s[4:5], exec
	s_and_b64 s[8:9], s[8:9], exec
	s_or_b64 s[4:5], s[4:5], s[8:9]
	s_or_b64 exec, exec, s[6:7]
	s_and_saveexec_b64 s[6:7], s[4:5]
	s_cbranch_execnz .LBB13_487
	s_branch .LBB13_488
.LBB13_2537:
	s_movk_i32 s4, 0x80
	v_cmp_eq_u16_sdwa s[12:13], v3, s4 src0_sel:BYTE_0 src1_sel:DWORD
	s_mov_b64 s[4:5], -1
                                        ; implicit-def: $sgpr10
	s_and_saveexec_b64 s[8:9], s[12:13]
; %bb.2538:
	s_mov_b32 s10, 0x7f800001
	s_xor_b64 s[4:5], exec, -1
; %bb.2539:
	s_or_b64 exec, exec, s[8:9]
	s_and_b64 s[4:5], s[4:5], exec
	s_or_saveexec_b64 s[6:7], s[6:7]
	v_mov_b32_e32 v2, s10
	s_xor_b64 exec, exec, s[6:7]
	s_cbranch_execz .LBB13_490
.LBB13_2540:
	v_mov_b32_e32 v2, 0
	v_cmp_ne_u16_sdwa s[8:9], v3, v2 src0_sel:BYTE_0 src1_sel:DWORD
	s_andn2_b64 s[4:5], s[4:5], exec
	s_and_b64 s[8:9], s[8:9], exec
	s_or_b64 s[4:5], s[4:5], s[8:9]
	s_or_b64 exec, exec, s[6:7]
	s_and_saveexec_b64 s[6:7], s[4:5]
	s_cbranch_execnz .LBB13_491
	s_branch .LBB13_492
.LBB13_2541:
	s_movk_i32 s4, 0x80
	v_cmp_eq_u16_sdwa s[12:13], v3, s4 src0_sel:BYTE_0 src1_sel:DWORD
	s_mov_b64 s[4:5], -1
                                        ; implicit-def: $sgpr10
	s_and_saveexec_b64 s[8:9], s[12:13]
; %bb.2542:
	s_mov_b32 s10, 0x7f800001
	s_xor_b64 s[4:5], exec, -1
; %bb.2543:
	s_or_b64 exec, exec, s[8:9]
	s_and_b64 s[4:5], s[4:5], exec
	s_or_saveexec_b64 s[6:7], s[6:7]
	v_mov_b32_e32 v4, s10
	s_xor_b64 exec, exec, s[6:7]
	s_cbranch_execz .LBB13_494
.LBB13_2544:
	v_mov_b32_e32 v4, 0
	v_cmp_ne_u16_sdwa s[8:9], v3, v4 src0_sel:BYTE_0 src1_sel:DWORD
	s_andn2_b64 s[4:5], s[4:5], exec
	s_and_b64 s[8:9], s[8:9], exec
	s_or_b64 s[4:5], s[4:5], s[8:9]
	s_or_b64 exec, exec, s[6:7]
	s_and_saveexec_b64 s[6:7], s[4:5]
	s_cbranch_execnz .LBB13_495
	s_branch .LBB13_496
.LBB13_2545:
	s_movk_i32 s4, 0x80
	v_cmp_eq_u16_e32 vcc, s4, v3
	s_mov_b64 s[4:5], -1
                                        ; implicit-def: $sgpr10
	s_and_saveexec_b64 s[8:9], vcc
; %bb.2546:
	s_mov_b32 s10, 0x7f800001
	s_xor_b64 s[4:5], exec, -1
; %bb.2547:
	s_or_b64 exec, exec, s[8:9]
	s_and_b64 s[4:5], s[4:5], exec
                                        ; implicit-def: $vgpr3
	s_or_saveexec_b64 s[6:7], s[6:7]
	v_mov_b32_e32 v2, s10
	s_xor_b64 exec, exec, s[6:7]
	s_cbranch_execz .LBB13_498
.LBB13_2548:
	v_cmp_ne_u16_e32 vcc, 0, v3
	s_andn2_b64 s[4:5], s[4:5], exec
	s_and_b64 s[8:9], vcc, exec
	v_mov_b32_e32 v2, 0
	s_or_b64 s[4:5], s[4:5], s[8:9]
	s_or_b64 exec, exec, s[6:7]
	s_and_saveexec_b64 s[6:7], s[4:5]
	s_cbranch_execnz .LBB13_499
	s_branch .LBB13_500
.LBB13_2549:
	s_movk_i32 s4, 0x80
	v_cmp_eq_u16_e32 vcc, s4, v3
	s_mov_b64 s[4:5], -1
                                        ; implicit-def: $sgpr10
	s_and_saveexec_b64 s[8:9], vcc
; %bb.2550:
	s_mov_b32 s10, 0x7f800001
	s_xor_b64 s[4:5], exec, -1
; %bb.2551:
	s_or_b64 exec, exec, s[8:9]
	s_and_b64 s[4:5], s[4:5], exec
                                        ; implicit-def: $vgpr3
	s_or_saveexec_b64 s[6:7], s[6:7]
	v_mov_b32_e32 v4, s10
	s_xor_b64 exec, exec, s[6:7]
	s_cbranch_execz .LBB13_502
.LBB13_2552:
	v_cmp_ne_u16_e32 vcc, 0, v3
	s_andn2_b64 s[4:5], s[4:5], exec
	s_and_b64 s[8:9], vcc, exec
	v_mov_b32_e32 v4, 0
	s_or_b64 s[4:5], s[4:5], s[8:9]
	s_or_b64 exec, exec, s[6:7]
	s_and_saveexec_b64 s[6:7], s[4:5]
	s_cbranch_execnz .LBB13_503
	s_branch .LBB13_504
.LBB13_2553:
	s_movk_i32 s4, 0x80
	v_cmp_eq_u16_sdwa s[12:13], v9, s4 src0_sel:BYTE_3 src1_sel:DWORD
	s_mov_b64 s[4:5], -1
                                        ; implicit-def: $sgpr10
	s_and_saveexec_b64 s[8:9], s[12:13]
; %bb.2554:
	s_mov_b32 s10, 0x7f800001
	s_xor_b64 s[4:5], exec, -1
; %bb.2555:
	s_or_b64 exec, exec, s[8:9]
	s_and_b64 s[4:5], s[4:5], exec
	s_or_saveexec_b64 s[6:7], s[6:7]
	v_mov_b32_e32 v2, s10
	s_xor_b64 exec, exec, s[6:7]
	s_cbranch_execz .LBB13_506
.LBB13_2556:
	v_mov_b32_e32 v2, 0
	v_cmp_ne_u16_sdwa s[8:9], v9, v2 src0_sel:BYTE_3 src1_sel:DWORD
	s_andn2_b64 s[4:5], s[4:5], exec
	s_and_b64 s[8:9], s[8:9], exec
	s_or_b64 s[4:5], s[4:5], s[8:9]
	s_or_b64 exec, exec, s[6:7]
	s_and_saveexec_b64 s[6:7], s[4:5]
	s_cbranch_execnz .LBB13_507
	s_branch .LBB13_508
.LBB13_2557:
	s_movk_i32 s4, 0x80
	v_cmp_eq_u16_sdwa s[12:13], v5, s4 src0_sel:BYTE_3 src1_sel:DWORD
	s_mov_b64 s[4:5], -1
                                        ; implicit-def: $sgpr10
	s_and_saveexec_b64 s[8:9], s[12:13]
; %bb.2558:
	s_mov_b32 s10, 0x7f800001
	s_xor_b64 s[4:5], exec, -1
; %bb.2559:
	s_or_b64 exec, exec, s[8:9]
	s_and_b64 s[4:5], s[4:5], exec
	s_or_saveexec_b64 s[6:7], s[6:7]
	v_mov_b32_e32 v3, s10
	s_xor_b64 exec, exec, s[6:7]
	s_cbranch_execz .LBB13_510
.LBB13_2560:
	v_mov_b32_e32 v3, 0
	v_cmp_ne_u16_sdwa s[8:9], v5, v3 src0_sel:BYTE_3 src1_sel:DWORD
	s_andn2_b64 s[4:5], s[4:5], exec
	s_and_b64 s[8:9], s[8:9], exec
	s_or_b64 s[4:5], s[4:5], s[8:9]
	s_or_b64 exec, exec, s[6:7]
	s_and_saveexec_b64 s[6:7], s[4:5]
	s_cbranch_execnz .LBB13_511
	s_branch .LBB13_512
.LBB13_2561:
	s_movk_i32 s4, 0x80
	v_cmp_eq_u16_sdwa s[12:13], v6, s4 src0_sel:BYTE_0 src1_sel:DWORD
	s_mov_b64 s[4:5], -1
                                        ; implicit-def: $sgpr10
	s_and_saveexec_b64 s[8:9], s[12:13]
; %bb.2562:
	s_mov_b32 s10, 0x7f800001
	s_xor_b64 s[4:5], exec, -1
; %bb.2563:
	s_or_b64 exec, exec, s[8:9]
	s_and_b64 s[4:5], s[4:5], exec
	s_or_saveexec_b64 s[6:7], s[6:7]
	v_mov_b32_e32 v12, s10
	s_xor_b64 exec, exec, s[6:7]
	s_cbranch_execz .LBB13_514
.LBB13_2564:
	v_mov_b32_e32 v12, 0
	v_cmp_ne_u16_sdwa s[8:9], v6, v12 src0_sel:BYTE_0 src1_sel:DWORD
	s_andn2_b64 s[4:5], s[4:5], exec
	s_and_b64 s[8:9], s[8:9], exec
	s_or_b64 s[4:5], s[4:5], s[8:9]
	s_or_b64 exec, exec, s[6:7]
	s_and_saveexec_b64 s[6:7], s[4:5]
	s_cbranch_execnz .LBB13_515
	s_branch .LBB13_516
.LBB13_2565:
	s_movk_i32 s4, 0x80
	v_cmp_eq_u16_sdwa s[12:13], v2, s4 src0_sel:BYTE_0 src1_sel:DWORD
	s_mov_b64 s[4:5], -1
                                        ; implicit-def: $sgpr10
	s_and_saveexec_b64 s[8:9], s[12:13]
; %bb.2566:
	s_mov_b32 s10, 0x7f800001
	s_xor_b64 s[4:5], exec, -1
; %bb.2567:
	s_or_b64 exec, exec, s[8:9]
	s_and_b64 s[4:5], s[4:5], exec
	s_or_saveexec_b64 s[6:7], s[6:7]
	v_mov_b32_e32 v13, s10
	s_xor_b64 exec, exec, s[6:7]
	s_cbranch_execz .LBB13_518
.LBB13_2568:
	v_mov_b32_e32 v13, 0
	v_cmp_ne_u16_sdwa s[8:9], v2, v13 src0_sel:BYTE_0 src1_sel:DWORD
	s_andn2_b64 s[4:5], s[4:5], exec
	s_and_b64 s[8:9], s[8:9], exec
	s_or_b64 s[4:5], s[4:5], s[8:9]
	s_or_b64 exec, exec, s[6:7]
	s_and_saveexec_b64 s[6:7], s[4:5]
	s_cbranch_execnz .LBB13_519
	s_branch .LBB13_520
.LBB13_2569:
	s_movk_i32 s4, 0x80
	v_cmp_eq_u16_sdwa s[12:13], v13, s4 src0_sel:BYTE_0 src1_sel:DWORD
	s_mov_b64 s[4:5], -1
                                        ; implicit-def: $sgpr10
	s_and_saveexec_b64 s[8:9], s[12:13]
; %bb.2570:
	s_mov_b32 s10, 0x7f800001
	s_xor_b64 s[4:5], exec, -1
; %bb.2571:
	s_or_b64 exec, exec, s[8:9]
	s_and_b64 s[4:5], s[4:5], exec
	s_or_saveexec_b64 s[6:7], s[6:7]
	v_mov_b32_e32 v12, s10
	s_xor_b64 exec, exec, s[6:7]
	s_cbranch_execz .LBB13_522
.LBB13_2572:
	v_mov_b32_e32 v12, 0
	v_cmp_ne_u16_sdwa s[8:9], v13, v12 src0_sel:BYTE_0 src1_sel:DWORD
	s_andn2_b64 s[4:5], s[4:5], exec
	s_and_b64 s[8:9], s[8:9], exec
	s_or_b64 s[4:5], s[4:5], s[8:9]
	s_or_b64 exec, exec, s[6:7]
	s_and_saveexec_b64 s[6:7], s[4:5]
	s_cbranch_execnz .LBB13_523
	s_branch .LBB13_524
.LBB13_2573:
	s_movk_i32 s4, 0x80
	v_cmp_eq_u16_sdwa s[12:13], v13, s4 src0_sel:BYTE_0 src1_sel:DWORD
	s_mov_b64 s[4:5], -1
                                        ; implicit-def: $sgpr10
	s_and_saveexec_b64 s[8:9], s[12:13]
; %bb.2574:
	s_mov_b32 s10, 0x7f800001
	s_xor_b64 s[4:5], exec, -1
; %bb.2575:
	s_or_b64 exec, exec, s[8:9]
	s_and_b64 s[4:5], s[4:5], exec
	s_or_saveexec_b64 s[6:7], s[6:7]
	v_mov_b32_e32 v14, s10
	s_xor_b64 exec, exec, s[6:7]
	s_cbranch_execz .LBB13_526
.LBB13_2576:
	v_mov_b32_e32 v14, 0
	v_cmp_ne_u16_sdwa s[8:9], v13, v14 src0_sel:BYTE_0 src1_sel:DWORD
	s_andn2_b64 s[4:5], s[4:5], exec
	s_and_b64 s[8:9], s[8:9], exec
	s_or_b64 s[4:5], s[4:5], s[8:9]
	s_or_b64 exec, exec, s[6:7]
	s_and_saveexec_b64 s[6:7], s[4:5]
	s_cbranch_execnz .LBB13_527
	s_branch .LBB13_528
.LBB13_2577:
	s_movk_i32 s4, 0x80
	v_cmp_eq_u16_e32 vcc, s4, v13
	s_mov_b64 s[4:5], -1
                                        ; implicit-def: $sgpr10
	s_and_saveexec_b64 s[8:9], vcc
; %bb.2578:
	s_mov_b32 s10, 0x7f800001
	s_xor_b64 s[4:5], exec, -1
; %bb.2579:
	s_or_b64 exec, exec, s[8:9]
	s_and_b64 s[4:5], s[4:5], exec
                                        ; implicit-def: $vgpr13
	s_or_saveexec_b64 s[6:7], s[6:7]
	v_mov_b32_e32 v12, s10
	s_xor_b64 exec, exec, s[6:7]
	s_cbranch_execz .LBB13_530
.LBB13_2580:
	v_cmp_ne_u16_e32 vcc, 0, v13
	s_andn2_b64 s[4:5], s[4:5], exec
	s_and_b64 s[8:9], vcc, exec
	v_mov_b32_e32 v12, 0
	s_or_b64 s[4:5], s[4:5], s[8:9]
	s_or_b64 exec, exec, s[6:7]
	s_and_saveexec_b64 s[6:7], s[4:5]
	s_cbranch_execnz .LBB13_531
	s_branch .LBB13_532
.LBB13_2581:
	s_movk_i32 s4, 0x80
	v_cmp_eq_u16_e32 vcc, s4, v13
	s_mov_b64 s[4:5], -1
                                        ; implicit-def: $sgpr10
	s_and_saveexec_b64 s[8:9], vcc
; %bb.2582:
	s_mov_b32 s10, 0x7f800001
	s_xor_b64 s[4:5], exec, -1
; %bb.2583:
	s_or_b64 exec, exec, s[8:9]
	s_and_b64 s[4:5], s[4:5], exec
                                        ; implicit-def: $vgpr13
	s_or_saveexec_b64 s[6:7], s[6:7]
	v_mov_b32_e32 v14, s10
	s_xor_b64 exec, exec, s[6:7]
	s_cbranch_execz .LBB13_534
.LBB13_2584:
	v_cmp_ne_u16_e32 vcc, 0, v13
	s_andn2_b64 s[4:5], s[4:5], exec
	s_and_b64 s[8:9], vcc, exec
	v_mov_b32_e32 v14, 0
	s_or_b64 s[4:5], s[4:5], s[8:9]
	s_or_b64 exec, exec, s[6:7]
	s_and_saveexec_b64 s[6:7], s[4:5]
	s_cbranch_execnz .LBB13_535
	s_branch .LBB13_536
.LBB13_2585:
	s_movk_i32 s4, 0x80
	v_cmp_eq_u16_sdwa s[12:13], v6, s4 src0_sel:BYTE_3 src1_sel:DWORD
	s_mov_b64 s[4:5], -1
                                        ; implicit-def: $sgpr10
	s_and_saveexec_b64 s[8:9], s[12:13]
; %bb.2586:
	s_mov_b32 s10, 0x7f800001
	s_xor_b64 s[4:5], exec, -1
; %bb.2587:
	s_or_b64 exec, exec, s[8:9]
	s_and_b64 s[4:5], s[4:5], exec
	s_or_saveexec_b64 s[6:7], s[6:7]
	v_mov_b32_e32 v12, s10
	s_xor_b64 exec, exec, s[6:7]
	s_cbranch_execz .LBB13_538
.LBB13_2588:
	v_mov_b32_e32 v12, 0
	v_cmp_ne_u16_sdwa s[8:9], v6, v12 src0_sel:BYTE_3 src1_sel:DWORD
	s_andn2_b64 s[4:5], s[4:5], exec
	s_and_b64 s[8:9], s[8:9], exec
	s_or_b64 s[4:5], s[4:5], s[8:9]
	s_or_b64 exec, exec, s[6:7]
	s_and_saveexec_b64 s[6:7], s[4:5]
	s_cbranch_execnz .LBB13_539
	s_branch .LBB13_540
.LBB13_2589:
	s_movk_i32 s4, 0x80
	v_cmp_eq_u16_sdwa s[12:13], v2, s4 src0_sel:BYTE_3 src1_sel:DWORD
	s_mov_b64 s[4:5], -1
                                        ; implicit-def: $sgpr10
	s_and_saveexec_b64 s[8:9], s[12:13]
; %bb.2590:
	s_mov_b32 s10, 0x7f800001
	s_xor_b64 s[4:5], exec, -1
; %bb.2591:
	s_or_b64 exec, exec, s[8:9]
	s_and_b64 s[4:5], s[4:5], exec
	s_or_saveexec_b64 s[6:7], s[6:7]
	v_mov_b32_e32 v6, s10
	s_xor_b64 exec, exec, s[6:7]
	s_cbranch_execz .LBB13_542
.LBB13_2592:
	v_mov_b32_e32 v6, 0
	v_cmp_ne_u16_sdwa s[8:9], v2, v6 src0_sel:BYTE_3 src1_sel:DWORD
	s_andn2_b64 s[4:5], s[4:5], exec
	s_and_b64 s[8:9], s[8:9], exec
	s_or_b64 s[4:5], s[4:5], s[8:9]
	s_or_b64 exec, exec, s[6:7]
	s_and_saveexec_b64 s[6:7], s[4:5]
	s_cbranch_execnz .LBB13_543
	s_branch .LBB13_544
.LBB13_2593:
	s_movk_i32 s4, 0x80
	v_cmp_eq_u16_sdwa s[12:13], v7, s4 src0_sel:BYTE_0 src1_sel:DWORD
	s_mov_b64 s[4:5], -1
                                        ; implicit-def: $sgpr10
	s_and_saveexec_b64 s[8:9], s[12:13]
; %bb.2594:
	s_mov_b32 s10, 0x7f800001
	s_xor_b64 s[4:5], exec, -1
; %bb.2595:
	s_or_b64 exec, exec, s[8:9]
	s_and_b64 s[4:5], s[4:5], exec
	s_or_saveexec_b64 s[6:7], s[6:7]
	v_mov_b32_e32 v2, s10
	s_xor_b64 exec, exec, s[6:7]
	s_cbranch_execz .LBB13_546
.LBB13_2596:
	v_mov_b32_e32 v2, 0
	v_cmp_ne_u16_sdwa s[8:9], v7, v2 src0_sel:BYTE_0 src1_sel:DWORD
	s_andn2_b64 s[4:5], s[4:5], exec
	s_and_b64 s[8:9], s[8:9], exec
	s_or_b64 s[4:5], s[4:5], s[8:9]
	s_or_b64 exec, exec, s[6:7]
	s_and_saveexec_b64 s[6:7], s[4:5]
	s_cbranch_execnz .LBB13_547
	s_branch .LBB13_548
.LBB13_2597:
	s_movk_i32 s4, 0x80
	v_cmp_eq_u16_sdwa s[12:13], v3, s4 src0_sel:BYTE_0 src1_sel:DWORD
	s_mov_b64 s[4:5], -1
                                        ; implicit-def: $sgpr10
	s_and_saveexec_b64 s[8:9], s[12:13]
; %bb.2598:
	s_mov_b32 s10, 0x7f800001
	s_xor_b64 s[4:5], exec, -1
; %bb.2599:
	s_or_b64 exec, exec, s[8:9]
	s_and_b64 s[4:5], s[4:5], exec
	s_or_saveexec_b64 s[6:7], s[6:7]
	v_mov_b32_e32 v6, s10
	s_xor_b64 exec, exec, s[6:7]
	s_cbranch_execz .LBB13_550
.LBB13_2600:
	v_mov_b32_e32 v6, 0
	v_cmp_ne_u16_sdwa s[8:9], v3, v6 src0_sel:BYTE_0 src1_sel:DWORD
	s_andn2_b64 s[4:5], s[4:5], exec
	s_and_b64 s[8:9], s[8:9], exec
	s_or_b64 s[4:5], s[4:5], s[8:9]
	s_or_b64 exec, exec, s[6:7]
	s_and_saveexec_b64 s[6:7], s[4:5]
	s_cbranch_execnz .LBB13_551
	s_branch .LBB13_552
.LBB13_2601:
	s_movk_i32 s4, 0x80
	v_cmp_eq_u16_sdwa s[12:13], v6, s4 src0_sel:BYTE_0 src1_sel:DWORD
	s_mov_b64 s[4:5], -1
                                        ; implicit-def: $sgpr10
	s_and_saveexec_b64 s[8:9], s[12:13]
; %bb.2602:
	s_mov_b32 s10, 0x7f800001
	s_xor_b64 s[4:5], exec, -1
; %bb.2603:
	s_or_b64 exec, exec, s[8:9]
	s_and_b64 s[4:5], s[4:5], exec
	s_or_saveexec_b64 s[6:7], s[6:7]
	v_mov_b32_e32 v2, s10
	s_xor_b64 exec, exec, s[6:7]
	s_cbranch_execz .LBB13_554
.LBB13_2604:
	v_mov_b32_e32 v2, 0
	v_cmp_ne_u16_sdwa s[8:9], v6, v2 src0_sel:BYTE_0 src1_sel:DWORD
	s_andn2_b64 s[4:5], s[4:5], exec
	s_and_b64 s[8:9], s[8:9], exec
	s_or_b64 s[4:5], s[4:5], s[8:9]
	s_or_b64 exec, exec, s[6:7]
	s_and_saveexec_b64 s[6:7], s[4:5]
	s_cbranch_execnz .LBB13_555
	s_branch .LBB13_556
.LBB13_2605:
	s_movk_i32 s4, 0x80
	v_cmp_eq_u16_sdwa s[12:13], v6, s4 src0_sel:BYTE_0 src1_sel:DWORD
	s_mov_b64 s[4:5], -1
                                        ; implicit-def: $sgpr10
	s_and_saveexec_b64 s[8:9], s[12:13]
; %bb.2606:
	s_mov_b32 s10, 0x7f800001
	s_xor_b64 s[4:5], exec, -1
; %bb.2607:
	s_or_b64 exec, exec, s[8:9]
	s_and_b64 s[4:5], s[4:5], exec
	s_or_saveexec_b64 s[6:7], s[6:7]
	v_mov_b32_e32 v12, s10
	s_xor_b64 exec, exec, s[6:7]
	s_cbranch_execz .LBB13_558
.LBB13_2608:
	v_mov_b32_e32 v12, 0
	v_cmp_ne_u16_sdwa s[8:9], v6, v12 src0_sel:BYTE_0 src1_sel:DWORD
	s_andn2_b64 s[4:5], s[4:5], exec
	s_and_b64 s[8:9], s[8:9], exec
	s_or_b64 s[4:5], s[4:5], s[8:9]
	s_or_b64 exec, exec, s[6:7]
	s_and_saveexec_b64 s[6:7], s[4:5]
	s_cbranch_execnz .LBB13_559
	s_branch .LBB13_560
.LBB13_2609:
	s_movk_i32 s4, 0x80
	v_cmp_eq_u16_e32 vcc, s4, v6
	s_mov_b64 s[4:5], -1
                                        ; implicit-def: $sgpr10
	s_and_saveexec_b64 s[8:9], vcc
; %bb.2610:
	s_mov_b32 s10, 0x7f800001
	s_xor_b64 s[4:5], exec, -1
; %bb.2611:
	s_or_b64 exec, exec, s[8:9]
	s_and_b64 s[4:5], s[4:5], exec
                                        ; implicit-def: $vgpr6
	s_or_saveexec_b64 s[6:7], s[6:7]
	v_mov_b32_e32 v2, s10
	s_xor_b64 exec, exec, s[6:7]
	s_cbranch_execz .LBB13_562
.LBB13_2612:
	v_cmp_ne_u16_e32 vcc, 0, v6
	s_andn2_b64 s[4:5], s[4:5], exec
	s_and_b64 s[8:9], vcc, exec
	v_mov_b32_e32 v2, 0
	s_or_b64 s[4:5], s[4:5], s[8:9]
	s_or_b64 exec, exec, s[6:7]
	s_and_saveexec_b64 s[6:7], s[4:5]
	s_cbranch_execnz .LBB13_563
	s_branch .LBB13_564
.LBB13_2613:
	s_movk_i32 s4, 0x80
	v_cmp_eq_u16_e32 vcc, s4, v6
	s_mov_b64 s[4:5], -1
                                        ; implicit-def: $sgpr10
	s_and_saveexec_b64 s[8:9], vcc
; %bb.2614:
	s_mov_b32 s10, 0x7f800001
	s_xor_b64 s[4:5], exec, -1
; %bb.2615:
	s_or_b64 exec, exec, s[8:9]
	s_and_b64 s[4:5], s[4:5], exec
                                        ; implicit-def: $vgpr6
	s_or_saveexec_b64 s[6:7], s[6:7]
	v_mov_b32_e32 v12, s10
	s_xor_b64 exec, exec, s[6:7]
	s_cbranch_execz .LBB13_566
.LBB13_2616:
	v_cmp_ne_u16_e32 vcc, 0, v6
	s_andn2_b64 s[4:5], s[4:5], exec
	s_and_b64 s[8:9], vcc, exec
	v_mov_b32_e32 v12, 0
	s_or_b64 s[4:5], s[4:5], s[8:9]
	s_or_b64 exec, exec, s[6:7]
	s_and_saveexec_b64 s[6:7], s[4:5]
	s_cbranch_execnz .LBB13_567
	s_branch .LBB13_568
.LBB13_2617:
	s_movk_i32 s4, 0x80
	v_cmp_eq_u16_sdwa s[12:13], v7, s4 src0_sel:BYTE_3 src1_sel:DWORD
	s_mov_b64 s[4:5], -1
                                        ; implicit-def: $sgpr10
	s_and_saveexec_b64 s[8:9], s[12:13]
; %bb.2618:
	s_mov_b32 s10, 0x7f800001
	s_xor_b64 s[4:5], exec, -1
; %bb.2619:
	s_or_b64 exec, exec, s[8:9]
	s_and_b64 s[4:5], s[4:5], exec
	s_or_saveexec_b64 s[6:7], s[6:7]
	v_mov_b32_e32 v2, s10
	s_xor_b64 exec, exec, s[6:7]
	s_cbranch_execz .LBB13_570
.LBB13_2620:
	v_mov_b32_e32 v2, 0
	v_cmp_ne_u16_sdwa s[8:9], v7, v2 src0_sel:BYTE_3 src1_sel:DWORD
	s_andn2_b64 s[4:5], s[4:5], exec
	s_and_b64 s[8:9], s[8:9], exec
	s_or_b64 s[4:5], s[4:5], s[8:9]
	s_or_b64 exec, exec, s[6:7]
	s_and_saveexec_b64 s[6:7], s[4:5]
	s_cbranch_execnz .LBB13_571
	s_branch .LBB13_572
.LBB13_2621:
	s_movk_i32 s4, 0x80
	v_cmp_eq_u16_sdwa s[12:13], v3, s4 src0_sel:BYTE_3 src1_sel:DWORD
	s_mov_b64 s[4:5], -1
                                        ; implicit-def: $sgpr10
	s_and_saveexec_b64 s[8:9], s[12:13]
; %bb.2622:
	s_mov_b32 s10, 0x7f800001
	s_xor_b64 s[4:5], exec, -1
; %bb.2623:
	s_or_b64 exec, exec, s[8:9]
	s_and_b64 s[4:5], s[4:5], exec
	s_or_saveexec_b64 s[6:7], s[6:7]
	v_mov_b32_e32 v6, s10
	s_xor_b64 exec, exec, s[6:7]
	s_cbranch_execz .LBB13_574
.LBB13_2624:
	v_mov_b32_e32 v6, 0
	v_cmp_ne_u16_sdwa s[8:9], v3, v6 src0_sel:BYTE_3 src1_sel:DWORD
	s_andn2_b64 s[4:5], s[4:5], exec
	s_and_b64 s[8:9], s[8:9], exec
	s_or_b64 s[4:5], s[4:5], s[8:9]
	s_or_b64 exec, exec, s[6:7]
	s_and_saveexec_b64 s[6:7], s[4:5]
	s_cbranch_execnz .LBB13_575
	s_branch .LBB13_576
.LBB13_2625:
	s_movk_i32 s4, 0x80
	v_cmp_eq_u16_sdwa s[12:13], v8, s4 src0_sel:BYTE_0 src1_sel:DWORD
	s_mov_b64 s[4:5], -1
                                        ; implicit-def: $sgpr10
	s_and_saveexec_b64 s[8:9], s[12:13]
; %bb.2626:
	s_mov_b32 s10, 0x7f800001
	s_xor_b64 s[4:5], exec, -1
; %bb.2627:
	s_or_b64 exec, exec, s[8:9]
	s_and_b64 s[4:5], s[4:5], exec
	s_or_saveexec_b64 s[6:7], s[6:7]
	v_mov_b32_e32 v2, s10
	s_xor_b64 exec, exec, s[6:7]
	s_cbranch_execz .LBB13_578
.LBB13_2628:
	v_mov_b32_e32 v2, 0
	v_cmp_ne_u16_sdwa s[8:9], v8, v2 src0_sel:BYTE_0 src1_sel:DWORD
	s_andn2_b64 s[4:5], s[4:5], exec
	s_and_b64 s[8:9], s[8:9], exec
	s_or_b64 s[4:5], s[4:5], s[8:9]
	s_or_b64 exec, exec, s[6:7]
	s_and_saveexec_b64 s[6:7], s[4:5]
	s_cbranch_execnz .LBB13_579
	s_branch .LBB13_580
.LBB13_2629:
	s_movk_i32 s4, 0x80
	v_cmp_eq_u16_sdwa s[12:13], v4, s4 src0_sel:BYTE_0 src1_sel:DWORD
	s_mov_b64 s[4:5], -1
                                        ; implicit-def: $sgpr10
	s_and_saveexec_b64 s[8:9], s[12:13]
; %bb.2630:
	s_mov_b32 s10, 0x7f800001
	s_xor_b64 s[4:5], exec, -1
; %bb.2631:
	s_or_b64 exec, exec, s[8:9]
	s_and_b64 s[4:5], s[4:5], exec
	s_or_saveexec_b64 s[6:7], s[6:7]
	v_mov_b32_e32 v3, s10
	s_xor_b64 exec, exec, s[6:7]
	s_cbranch_execz .LBB13_582
.LBB13_2632:
	v_mov_b32_e32 v3, 0
	v_cmp_ne_u16_sdwa s[8:9], v4, v3 src0_sel:BYTE_0 src1_sel:DWORD
	s_andn2_b64 s[4:5], s[4:5], exec
	s_and_b64 s[8:9], s[8:9], exec
	s_or_b64 s[4:5], s[4:5], s[8:9]
	s_or_b64 exec, exec, s[6:7]
	s_and_saveexec_b64 s[6:7], s[4:5]
	s_cbranch_execnz .LBB13_583
	s_branch .LBB13_584
.LBB13_2633:
	s_movk_i32 s4, 0x80
	v_cmp_eq_u16_sdwa s[12:13], v3, s4 src0_sel:BYTE_0 src1_sel:DWORD
	s_mov_b64 s[4:5], -1
                                        ; implicit-def: $sgpr10
	s_and_saveexec_b64 s[8:9], s[12:13]
; %bb.2634:
	s_mov_b32 s10, 0x7f800001
	s_xor_b64 s[4:5], exec, -1
; %bb.2635:
	s_or_b64 exec, exec, s[8:9]
	s_and_b64 s[4:5], s[4:5], exec
	s_or_saveexec_b64 s[6:7], s[6:7]
	v_mov_b32_e32 v2, s10
	s_xor_b64 exec, exec, s[6:7]
	s_cbranch_execz .LBB13_586
.LBB13_2636:
	v_mov_b32_e32 v2, 0
	v_cmp_ne_u16_sdwa s[8:9], v3, v2 src0_sel:BYTE_0 src1_sel:DWORD
	s_andn2_b64 s[4:5], s[4:5], exec
	s_and_b64 s[8:9], s[8:9], exec
	s_or_b64 s[4:5], s[4:5], s[8:9]
	s_or_b64 exec, exec, s[6:7]
	s_and_saveexec_b64 s[6:7], s[4:5]
	s_cbranch_execnz .LBB13_587
	s_branch .LBB13_588
.LBB13_2637:
	s_movk_i32 s4, 0x80
	v_cmp_eq_u16_sdwa s[12:13], v3, s4 src0_sel:BYTE_0 src1_sel:DWORD
	s_mov_b64 s[4:5], -1
                                        ; implicit-def: $sgpr10
	s_and_saveexec_b64 s[8:9], s[12:13]
; %bb.2638:
	s_mov_b32 s10, 0x7f800001
	s_xor_b64 s[4:5], exec, -1
; %bb.2639:
	s_or_b64 exec, exec, s[8:9]
	s_and_b64 s[4:5], s[4:5], exec
	s_or_saveexec_b64 s[6:7], s[6:7]
	v_mov_b32_e32 v6, s10
	s_xor_b64 exec, exec, s[6:7]
	s_cbranch_execz .LBB13_590
.LBB13_2640:
	v_mov_b32_e32 v6, 0
	v_cmp_ne_u16_sdwa s[8:9], v3, v6 src0_sel:BYTE_0 src1_sel:DWORD
	s_andn2_b64 s[4:5], s[4:5], exec
	s_and_b64 s[8:9], s[8:9], exec
	s_or_b64 s[4:5], s[4:5], s[8:9]
	s_or_b64 exec, exec, s[6:7]
	s_and_saveexec_b64 s[6:7], s[4:5]
	s_cbranch_execnz .LBB13_591
	s_branch .LBB13_592
.LBB13_2641:
	s_movk_i32 s4, 0x80
	v_cmp_eq_u16_e32 vcc, s4, v3
	s_mov_b64 s[4:5], -1
                                        ; implicit-def: $sgpr10
	s_and_saveexec_b64 s[8:9], vcc
; %bb.2642:
	s_mov_b32 s10, 0x7f800001
	s_xor_b64 s[4:5], exec, -1
; %bb.2643:
	s_or_b64 exec, exec, s[8:9]
	s_and_b64 s[4:5], s[4:5], exec
                                        ; implicit-def: $vgpr3
	s_or_saveexec_b64 s[6:7], s[6:7]
	v_mov_b32_e32 v2, s10
	s_xor_b64 exec, exec, s[6:7]
	s_cbranch_execz .LBB13_594
.LBB13_2644:
	v_cmp_ne_u16_e32 vcc, 0, v3
	s_andn2_b64 s[4:5], s[4:5], exec
	s_and_b64 s[8:9], vcc, exec
	v_mov_b32_e32 v2, 0
	s_or_b64 s[4:5], s[4:5], s[8:9]
	s_or_b64 exec, exec, s[6:7]
	s_and_saveexec_b64 s[6:7], s[4:5]
	s_cbranch_execnz .LBB13_595
	s_branch .LBB13_596
.LBB13_2645:
	s_movk_i32 s4, 0x80
	v_cmp_eq_u16_e32 vcc, s4, v3
	s_mov_b64 s[4:5], -1
                                        ; implicit-def: $sgpr10
	s_and_saveexec_b64 s[8:9], vcc
; %bb.2646:
	s_mov_b32 s10, 0x7f800001
	s_xor_b64 s[4:5], exec, -1
; %bb.2647:
	s_or_b64 exec, exec, s[8:9]
	s_and_b64 s[4:5], s[4:5], exec
                                        ; implicit-def: $vgpr3
	s_or_saveexec_b64 s[6:7], s[6:7]
	v_mov_b32_e32 v6, s10
	s_xor_b64 exec, exec, s[6:7]
	s_cbranch_execz .LBB13_598
.LBB13_2648:
	v_cmp_ne_u16_e32 vcc, 0, v3
	s_andn2_b64 s[4:5], s[4:5], exec
	s_and_b64 s[8:9], vcc, exec
	v_mov_b32_e32 v6, 0
	s_or_b64 s[4:5], s[4:5], s[8:9]
	s_or_b64 exec, exec, s[6:7]
	s_and_saveexec_b64 s[6:7], s[4:5]
	s_cbranch_execnz .LBB13_599
	s_branch .LBB13_600
.LBB13_2649:
	s_movk_i32 s4, 0x80
	v_cmp_eq_u16_sdwa s[12:13], v8, s4 src0_sel:BYTE_3 src1_sel:DWORD
	s_mov_b64 s[4:5], -1
                                        ; implicit-def: $sgpr10
	s_and_saveexec_b64 s[8:9], s[12:13]
; %bb.2650:
	s_mov_b32 s10, 0x7f800001
	s_xor_b64 s[4:5], exec, -1
; %bb.2651:
	s_or_b64 exec, exec, s[8:9]
	s_and_b64 s[4:5], s[4:5], exec
	s_or_saveexec_b64 s[6:7], s[6:7]
	v_mov_b32_e32 v2, s10
	s_xor_b64 exec, exec, s[6:7]
	s_cbranch_execz .LBB13_602
.LBB13_2652:
	v_mov_b32_e32 v2, 0
	v_cmp_ne_u16_sdwa s[8:9], v8, v2 src0_sel:BYTE_3 src1_sel:DWORD
	s_andn2_b64 s[4:5], s[4:5], exec
	s_and_b64 s[8:9], s[8:9], exec
	s_or_b64 s[4:5], s[4:5], s[8:9]
	s_or_b64 exec, exec, s[6:7]
	s_and_saveexec_b64 s[6:7], s[4:5]
	s_cbranch_execnz .LBB13_603
	s_branch .LBB13_604
.LBB13_2653:
	s_movk_i32 s4, 0x80
	v_cmp_eq_u16_sdwa s[12:13], v4, s4 src0_sel:BYTE_3 src1_sel:DWORD
	s_mov_b64 s[4:5], -1
                                        ; implicit-def: $sgpr10
	s_and_saveexec_b64 s[8:9], s[12:13]
; %bb.2654:
	s_mov_b32 s10, 0x7f800001
	s_xor_b64 s[4:5], exec, -1
; %bb.2655:
	s_or_b64 exec, exec, s[8:9]
	s_and_b64 s[4:5], s[4:5], exec
	s_or_saveexec_b64 s[6:7], s[6:7]
	v_mov_b32_e32 v3, s10
	s_xor_b64 exec, exec, s[6:7]
	s_cbranch_execz .LBB13_606
.LBB13_2656:
	v_mov_b32_e32 v3, 0
	v_cmp_ne_u16_sdwa s[8:9], v4, v3 src0_sel:BYTE_3 src1_sel:DWORD
	s_andn2_b64 s[4:5], s[4:5], exec
	s_and_b64 s[8:9], s[8:9], exec
	s_or_b64 s[4:5], s[4:5], s[8:9]
	s_or_b64 exec, exec, s[6:7]
	s_and_saveexec_b64 s[6:7], s[4:5]
	s_cbranch_execnz .LBB13_607
	s_branch .LBB13_608
.LBB13_2657:
	s_movk_i32 s4, 0x80
	v_cmp_eq_u16_sdwa s[12:13], v9, s4 src0_sel:BYTE_0 src1_sel:DWORD
	s_mov_b64 s[4:5], -1
                                        ; implicit-def: $sgpr10
	s_and_saveexec_b64 s[8:9], s[12:13]
; %bb.2658:
	s_mov_b32 s10, 0x7f800001
	s_xor_b64 s[4:5], exec, -1
; %bb.2659:
	s_or_b64 exec, exec, s[8:9]
	s_and_b64 s[4:5], s[4:5], exec
	s_or_saveexec_b64 s[6:7], s[6:7]
	v_mov_b32_e32 v2, s10
	s_xor_b64 exec, exec, s[6:7]
	s_cbranch_execz .LBB13_610
.LBB13_2660:
	v_mov_b32_e32 v2, 0
	v_cmp_ne_u16_sdwa s[8:9], v9, v2 src0_sel:BYTE_0 src1_sel:DWORD
	s_andn2_b64 s[4:5], s[4:5], exec
	s_and_b64 s[8:9], s[8:9], exec
	s_or_b64 s[4:5], s[4:5], s[8:9]
	s_or_b64 exec, exec, s[6:7]
	s_and_saveexec_b64 s[6:7], s[4:5]
	s_cbranch_execnz .LBB13_611
	s_branch .LBB13_612
.LBB13_2661:
	s_movk_i32 s4, 0x80
	v_cmp_eq_u16_sdwa s[12:13], v5, s4 src0_sel:BYTE_0 src1_sel:DWORD
	s_mov_b64 s[4:5], -1
                                        ; implicit-def: $sgpr10
	s_and_saveexec_b64 s[8:9], s[12:13]
; %bb.2662:
	s_mov_b32 s10, 0x7f800001
	s_xor_b64 s[4:5], exec, -1
; %bb.2663:
	s_or_b64 exec, exec, s[8:9]
	s_and_b64 s[4:5], s[4:5], exec
	s_or_saveexec_b64 s[6:7], s[6:7]
	v_mov_b32_e32 v3, s10
	s_xor_b64 exec, exec, s[6:7]
	s_cbranch_execz .LBB13_614
.LBB13_2664:
	v_mov_b32_e32 v3, 0
	v_cmp_ne_u16_sdwa s[8:9], v5, v3 src0_sel:BYTE_0 src1_sel:DWORD
	s_andn2_b64 s[4:5], s[4:5], exec
	s_and_b64 s[8:9], s[8:9], exec
	s_or_b64 s[4:5], s[4:5], s[8:9]
	s_or_b64 exec, exec, s[6:7]
	s_and_saveexec_b64 s[6:7], s[4:5]
	s_cbranch_execnz .LBB13_615
	s_branch .LBB13_616
.LBB13_2665:
	s_movk_i32 s4, 0x80
	v_cmp_eq_u16_sdwa s[12:13], v3, s4 src0_sel:BYTE_0 src1_sel:DWORD
	s_mov_b64 s[4:5], -1
                                        ; implicit-def: $sgpr10
	s_and_saveexec_b64 s[8:9], s[12:13]
; %bb.2666:
	s_mov_b32 s10, 0x7f800001
	s_xor_b64 s[4:5], exec, -1
; %bb.2667:
	s_or_b64 exec, exec, s[8:9]
	s_and_b64 s[4:5], s[4:5], exec
	s_or_saveexec_b64 s[6:7], s[6:7]
	v_mov_b32_e32 v2, s10
	s_xor_b64 exec, exec, s[6:7]
	s_cbranch_execz .LBB13_618
.LBB13_2668:
	v_mov_b32_e32 v2, 0
	v_cmp_ne_u16_sdwa s[8:9], v3, v2 src0_sel:BYTE_0 src1_sel:DWORD
	s_andn2_b64 s[4:5], s[4:5], exec
	s_and_b64 s[8:9], s[8:9], exec
	s_or_b64 s[4:5], s[4:5], s[8:9]
	s_or_b64 exec, exec, s[6:7]
	s_and_saveexec_b64 s[6:7], s[4:5]
	s_cbranch_execnz .LBB13_619
	s_branch .LBB13_620
.LBB13_2669:
	s_movk_i32 s4, 0x80
	v_cmp_eq_u16_sdwa s[12:13], v3, s4 src0_sel:BYTE_0 src1_sel:DWORD
	s_mov_b64 s[4:5], -1
                                        ; implicit-def: $sgpr10
	s_and_saveexec_b64 s[8:9], s[12:13]
; %bb.2670:
	s_mov_b32 s10, 0x7f800001
	s_xor_b64 s[4:5], exec, -1
; %bb.2671:
	s_or_b64 exec, exec, s[8:9]
	s_and_b64 s[4:5], s[4:5], exec
	s_or_saveexec_b64 s[6:7], s[6:7]
	v_mov_b32_e32 v4, s10
	s_xor_b64 exec, exec, s[6:7]
	s_cbranch_execz .LBB13_622
.LBB13_2672:
	v_mov_b32_e32 v4, 0
	v_cmp_ne_u16_sdwa s[8:9], v3, v4 src0_sel:BYTE_0 src1_sel:DWORD
	s_andn2_b64 s[4:5], s[4:5], exec
	s_and_b64 s[8:9], s[8:9], exec
	s_or_b64 s[4:5], s[4:5], s[8:9]
	s_or_b64 exec, exec, s[6:7]
	s_and_saveexec_b64 s[6:7], s[4:5]
	s_cbranch_execnz .LBB13_623
	s_branch .LBB13_624
.LBB13_2673:
	s_movk_i32 s4, 0x80
	v_cmp_eq_u16_e32 vcc, s4, v3
	s_mov_b64 s[4:5], -1
                                        ; implicit-def: $sgpr10
	s_and_saveexec_b64 s[8:9], vcc
; %bb.2674:
	s_mov_b32 s10, 0x7f800001
	s_xor_b64 s[4:5], exec, -1
; %bb.2675:
	s_or_b64 exec, exec, s[8:9]
	s_and_b64 s[4:5], s[4:5], exec
                                        ; implicit-def: $vgpr3
	s_or_saveexec_b64 s[6:7], s[6:7]
	v_mov_b32_e32 v2, s10
	s_xor_b64 exec, exec, s[6:7]
	s_cbranch_execz .LBB13_626
.LBB13_2676:
	v_cmp_ne_u16_e32 vcc, 0, v3
	s_andn2_b64 s[4:5], s[4:5], exec
	s_and_b64 s[8:9], vcc, exec
	v_mov_b32_e32 v2, 0
	s_or_b64 s[4:5], s[4:5], s[8:9]
	s_or_b64 exec, exec, s[6:7]
	s_and_saveexec_b64 s[6:7], s[4:5]
	s_cbranch_execnz .LBB13_627
	s_branch .LBB13_628
.LBB13_2677:
	s_movk_i32 s4, 0x80
	v_cmp_eq_u16_e32 vcc, s4, v3
	s_mov_b64 s[4:5], -1
                                        ; implicit-def: $sgpr10
	s_and_saveexec_b64 s[8:9], vcc
; %bb.2678:
	s_mov_b32 s10, 0x7f800001
	s_xor_b64 s[4:5], exec, -1
; %bb.2679:
	s_or_b64 exec, exec, s[8:9]
	s_and_b64 s[4:5], s[4:5], exec
                                        ; implicit-def: $vgpr3
	s_or_saveexec_b64 s[6:7], s[6:7]
	v_mov_b32_e32 v4, s10
	s_xor_b64 exec, exec, s[6:7]
	s_cbranch_execz .LBB13_630
.LBB13_2680:
	v_cmp_ne_u16_e32 vcc, 0, v3
	s_andn2_b64 s[4:5], s[4:5], exec
	s_and_b64 s[8:9], vcc, exec
	v_mov_b32_e32 v4, 0
	s_or_b64 s[4:5], s[4:5], s[8:9]
	s_or_b64 exec, exec, s[6:7]
	s_and_saveexec_b64 s[6:7], s[4:5]
	s_cbranch_execnz .LBB13_631
	s_branch .LBB13_632
.LBB13_2681:
	s_movk_i32 s4, 0x80
	v_cmp_eq_u16_sdwa s[12:13], v9, s4 src0_sel:BYTE_3 src1_sel:DWORD
	s_mov_b64 s[4:5], -1
                                        ; implicit-def: $sgpr10
	s_and_saveexec_b64 s[8:9], s[12:13]
; %bb.2682:
	s_mov_b32 s10, 0x7f800001
	s_xor_b64 s[4:5], exec, -1
; %bb.2683:
	s_or_b64 exec, exec, s[8:9]
	s_and_b64 s[4:5], s[4:5], exec
	s_or_saveexec_b64 s[6:7], s[6:7]
	v_mov_b32_e32 v2, s10
	s_xor_b64 exec, exec, s[6:7]
	s_cbranch_execz .LBB13_634
.LBB13_2684:
	v_mov_b32_e32 v2, 0
	v_cmp_ne_u16_sdwa s[8:9], v9, v2 src0_sel:BYTE_3 src1_sel:DWORD
	s_andn2_b64 s[4:5], s[4:5], exec
	s_and_b64 s[8:9], s[8:9], exec
	s_or_b64 s[4:5], s[4:5], s[8:9]
	s_or_b64 exec, exec, s[6:7]
	s_and_saveexec_b64 s[6:7], s[4:5]
	s_cbranch_execnz .LBB13_635
	s_branch .LBB13_636
.LBB13_2685:
	s_movk_i32 s4, 0x80
	v_cmp_eq_u16_sdwa s[12:13], v5, s4 src0_sel:BYTE_3 src1_sel:DWORD
	s_mov_b64 s[4:5], -1
                                        ; implicit-def: $sgpr10
	s_and_saveexec_b64 s[8:9], s[12:13]
; %bb.2686:
	s_mov_b32 s10, 0x7f800001
	s_xor_b64 s[4:5], exec, -1
; %bb.2687:
	s_or_b64 exec, exec, s[8:9]
	s_and_b64 s[4:5], s[4:5], exec
	s_or_saveexec_b64 s[6:7], s[6:7]
	v_mov_b32_e32 v3, s10
	s_xor_b64 exec, exec, s[6:7]
	s_cbranch_execz .LBB13_638
.LBB13_2688:
	v_mov_b32_e32 v3, 0
	v_cmp_ne_u16_sdwa s[8:9], v5, v3 src0_sel:BYTE_3 src1_sel:DWORD
	s_andn2_b64 s[4:5], s[4:5], exec
	s_and_b64 s[8:9], s[8:9], exec
	s_or_b64 s[4:5], s[4:5], s[8:9]
	s_or_b64 exec, exec, s[6:7]
	s_and_saveexec_b64 s[6:7], s[4:5]
	s_cbranch_execnz .LBB13_639
	s_branch .LBB13_640
.LBB13_2689:
	s_movk_i32 s4, 0x80
	v_cmp_eq_u16_sdwa s[12:13], v6, s4 src0_sel:BYTE_0 src1_sel:DWORD
	s_mov_b64 s[4:5], -1
                                        ; implicit-def: $sgpr10
	s_and_saveexec_b64 s[8:9], s[12:13]
; %bb.2690:
	s_mov_b32 s10, 0x7f800001
	s_xor_b64 s[4:5], exec, -1
; %bb.2691:
	s_or_b64 exec, exec, s[8:9]
	s_and_b64 s[4:5], s[4:5], exec
	s_or_saveexec_b64 s[6:7], s[6:7]
	v_mov_b32_e32 v12, s10
	s_xor_b64 exec, exec, s[6:7]
	s_cbranch_execz .LBB13_642
.LBB13_2692:
	v_mov_b32_e32 v12, 0
	v_cmp_ne_u16_sdwa s[8:9], v6, v12 src0_sel:BYTE_0 src1_sel:DWORD
	s_andn2_b64 s[4:5], s[4:5], exec
	s_and_b64 s[8:9], s[8:9], exec
	s_or_b64 s[4:5], s[4:5], s[8:9]
	s_or_b64 exec, exec, s[6:7]
	s_and_saveexec_b64 s[6:7], s[4:5]
	s_cbranch_execnz .LBB13_643
	s_branch .LBB13_644
.LBB13_2693:
	s_movk_i32 s4, 0x80
	v_cmp_eq_u16_sdwa s[12:13], v2, s4 src0_sel:BYTE_0 src1_sel:DWORD
	s_mov_b64 s[4:5], -1
                                        ; implicit-def: $sgpr10
	s_and_saveexec_b64 s[8:9], s[12:13]
; %bb.2694:
	s_mov_b32 s10, 0x7f800001
	s_xor_b64 s[4:5], exec, -1
; %bb.2695:
	s_or_b64 exec, exec, s[8:9]
	s_and_b64 s[4:5], s[4:5], exec
	s_or_saveexec_b64 s[6:7], s[6:7]
	v_mov_b32_e32 v13, s10
	s_xor_b64 exec, exec, s[6:7]
	s_cbranch_execz .LBB13_646
.LBB13_2696:
	v_mov_b32_e32 v13, 0
	v_cmp_ne_u16_sdwa s[8:9], v2, v13 src0_sel:BYTE_0 src1_sel:DWORD
	s_andn2_b64 s[4:5], s[4:5], exec
	s_and_b64 s[8:9], s[8:9], exec
	s_or_b64 s[4:5], s[4:5], s[8:9]
	s_or_b64 exec, exec, s[6:7]
	s_and_saveexec_b64 s[6:7], s[4:5]
	s_cbranch_execnz .LBB13_647
	s_branch .LBB13_648
.LBB13_2697:
	s_movk_i32 s4, 0x80
	v_cmp_eq_u16_sdwa s[12:13], v13, s4 src0_sel:BYTE_0 src1_sel:DWORD
	s_mov_b64 s[4:5], -1
                                        ; implicit-def: $sgpr10
	s_and_saveexec_b64 s[8:9], s[12:13]
; %bb.2698:
	s_mov_b32 s10, 0x7f800001
	s_xor_b64 s[4:5], exec, -1
; %bb.2699:
	s_or_b64 exec, exec, s[8:9]
	s_and_b64 s[4:5], s[4:5], exec
	s_or_saveexec_b64 s[6:7], s[6:7]
	v_mov_b32_e32 v12, s10
	s_xor_b64 exec, exec, s[6:7]
	s_cbranch_execz .LBB13_650
.LBB13_2700:
	v_mov_b32_e32 v12, 0
	v_cmp_ne_u16_sdwa s[8:9], v13, v12 src0_sel:BYTE_0 src1_sel:DWORD
	s_andn2_b64 s[4:5], s[4:5], exec
	s_and_b64 s[8:9], s[8:9], exec
	s_or_b64 s[4:5], s[4:5], s[8:9]
	s_or_b64 exec, exec, s[6:7]
	s_and_saveexec_b64 s[6:7], s[4:5]
	s_cbranch_execnz .LBB13_651
	s_branch .LBB13_652
.LBB13_2701:
	s_movk_i32 s4, 0x80
	v_cmp_eq_u16_sdwa s[12:13], v13, s4 src0_sel:BYTE_0 src1_sel:DWORD
	s_mov_b64 s[4:5], -1
                                        ; implicit-def: $sgpr10
	s_and_saveexec_b64 s[8:9], s[12:13]
; %bb.2702:
	s_mov_b32 s10, 0x7f800001
	s_xor_b64 s[4:5], exec, -1
; %bb.2703:
	s_or_b64 exec, exec, s[8:9]
	s_and_b64 s[4:5], s[4:5], exec
	s_or_saveexec_b64 s[6:7], s[6:7]
	v_mov_b32_e32 v14, s10
	s_xor_b64 exec, exec, s[6:7]
	s_cbranch_execz .LBB13_654
.LBB13_2704:
	v_mov_b32_e32 v14, 0
	v_cmp_ne_u16_sdwa s[8:9], v13, v14 src0_sel:BYTE_0 src1_sel:DWORD
	s_andn2_b64 s[4:5], s[4:5], exec
	s_and_b64 s[8:9], s[8:9], exec
	s_or_b64 s[4:5], s[4:5], s[8:9]
	s_or_b64 exec, exec, s[6:7]
	s_and_saveexec_b64 s[6:7], s[4:5]
	s_cbranch_execnz .LBB13_655
	s_branch .LBB13_656
.LBB13_2705:
	s_movk_i32 s4, 0x80
	v_cmp_eq_u16_e32 vcc, s4, v13
	s_mov_b64 s[4:5], -1
                                        ; implicit-def: $sgpr10
	s_and_saveexec_b64 s[8:9], vcc
; %bb.2706:
	s_mov_b32 s10, 0x7f800001
	s_xor_b64 s[4:5], exec, -1
; %bb.2707:
	s_or_b64 exec, exec, s[8:9]
	s_and_b64 s[4:5], s[4:5], exec
                                        ; implicit-def: $vgpr13
	s_or_saveexec_b64 s[6:7], s[6:7]
	v_mov_b32_e32 v12, s10
	s_xor_b64 exec, exec, s[6:7]
	s_cbranch_execz .LBB13_658
.LBB13_2708:
	v_cmp_ne_u16_e32 vcc, 0, v13
	s_andn2_b64 s[4:5], s[4:5], exec
	s_and_b64 s[8:9], vcc, exec
	v_mov_b32_e32 v12, 0
	s_or_b64 s[4:5], s[4:5], s[8:9]
	s_or_b64 exec, exec, s[6:7]
	s_and_saveexec_b64 s[6:7], s[4:5]
	s_cbranch_execnz .LBB13_659
	s_branch .LBB13_660
.LBB13_2709:
	s_movk_i32 s4, 0x80
	v_cmp_eq_u16_e32 vcc, s4, v13
	s_mov_b64 s[4:5], -1
                                        ; implicit-def: $sgpr10
	s_and_saveexec_b64 s[8:9], vcc
; %bb.2710:
	s_mov_b32 s10, 0x7f800001
	s_xor_b64 s[4:5], exec, -1
; %bb.2711:
	s_or_b64 exec, exec, s[8:9]
	s_and_b64 s[4:5], s[4:5], exec
                                        ; implicit-def: $vgpr13
	s_or_saveexec_b64 s[6:7], s[6:7]
	v_mov_b32_e32 v14, s10
	s_xor_b64 exec, exec, s[6:7]
	s_cbranch_execz .LBB13_662
.LBB13_2712:
	v_cmp_ne_u16_e32 vcc, 0, v13
	s_andn2_b64 s[4:5], s[4:5], exec
	s_and_b64 s[8:9], vcc, exec
	v_mov_b32_e32 v14, 0
	s_or_b64 s[4:5], s[4:5], s[8:9]
	s_or_b64 exec, exec, s[6:7]
	s_and_saveexec_b64 s[6:7], s[4:5]
	s_cbranch_execnz .LBB13_663
	s_branch .LBB13_664
.LBB13_2713:
	s_movk_i32 s4, 0x80
	v_cmp_eq_u16_sdwa s[12:13], v6, s4 src0_sel:BYTE_3 src1_sel:DWORD
	s_mov_b64 s[4:5], -1
                                        ; implicit-def: $sgpr10
	s_and_saveexec_b64 s[8:9], s[12:13]
; %bb.2714:
	s_mov_b32 s10, 0x7f800001
	s_xor_b64 s[4:5], exec, -1
; %bb.2715:
	s_or_b64 exec, exec, s[8:9]
	s_and_b64 s[4:5], s[4:5], exec
	s_or_saveexec_b64 s[6:7], s[6:7]
	v_mov_b32_e32 v12, s10
	s_xor_b64 exec, exec, s[6:7]
	s_cbranch_execz .LBB13_666
.LBB13_2716:
	v_mov_b32_e32 v12, 0
	v_cmp_ne_u16_sdwa s[8:9], v6, v12 src0_sel:BYTE_3 src1_sel:DWORD
	s_andn2_b64 s[4:5], s[4:5], exec
	s_and_b64 s[8:9], s[8:9], exec
	s_or_b64 s[4:5], s[4:5], s[8:9]
	s_or_b64 exec, exec, s[6:7]
	s_and_saveexec_b64 s[6:7], s[4:5]
	s_cbranch_execnz .LBB13_667
	s_branch .LBB13_668
.LBB13_2717:
	s_movk_i32 s4, 0x80
	v_cmp_eq_u16_sdwa s[12:13], v2, s4 src0_sel:BYTE_3 src1_sel:DWORD
	s_mov_b64 s[4:5], -1
                                        ; implicit-def: $sgpr10
	s_and_saveexec_b64 s[8:9], s[12:13]
; %bb.2718:
	s_mov_b32 s10, 0x7f800001
	s_xor_b64 s[4:5], exec, -1
; %bb.2719:
	s_or_b64 exec, exec, s[8:9]
	s_and_b64 s[4:5], s[4:5], exec
	s_or_saveexec_b64 s[6:7], s[6:7]
	v_mov_b32_e32 v6, s10
	s_xor_b64 exec, exec, s[6:7]
	s_cbranch_execz .LBB13_670
.LBB13_2720:
	v_mov_b32_e32 v6, 0
	v_cmp_ne_u16_sdwa s[8:9], v2, v6 src0_sel:BYTE_3 src1_sel:DWORD
	s_andn2_b64 s[4:5], s[4:5], exec
	s_and_b64 s[8:9], s[8:9], exec
	s_or_b64 s[4:5], s[4:5], s[8:9]
	s_or_b64 exec, exec, s[6:7]
	s_and_saveexec_b64 s[6:7], s[4:5]
	s_cbranch_execnz .LBB13_671
	s_branch .LBB13_672
.LBB13_2721:
	s_movk_i32 s4, 0x80
	v_cmp_eq_u16_sdwa s[12:13], v7, s4 src0_sel:BYTE_0 src1_sel:DWORD
	s_mov_b64 s[4:5], -1
                                        ; implicit-def: $sgpr10
	s_and_saveexec_b64 s[8:9], s[12:13]
; %bb.2722:
	s_mov_b32 s10, 0x7f800001
	s_xor_b64 s[4:5], exec, -1
; %bb.2723:
	s_or_b64 exec, exec, s[8:9]
	s_and_b64 s[4:5], s[4:5], exec
	s_or_saveexec_b64 s[6:7], s[6:7]
	v_mov_b32_e32 v2, s10
	s_xor_b64 exec, exec, s[6:7]
	s_cbranch_execz .LBB13_674
.LBB13_2724:
	v_mov_b32_e32 v2, 0
	v_cmp_ne_u16_sdwa s[8:9], v7, v2 src0_sel:BYTE_0 src1_sel:DWORD
	s_andn2_b64 s[4:5], s[4:5], exec
	s_and_b64 s[8:9], s[8:9], exec
	s_or_b64 s[4:5], s[4:5], s[8:9]
	s_or_b64 exec, exec, s[6:7]
	s_and_saveexec_b64 s[6:7], s[4:5]
	s_cbranch_execnz .LBB13_675
	s_branch .LBB13_676
.LBB13_2725:
	s_movk_i32 s4, 0x80
	v_cmp_eq_u16_sdwa s[12:13], v3, s4 src0_sel:BYTE_0 src1_sel:DWORD
	s_mov_b64 s[4:5], -1
                                        ; implicit-def: $sgpr10
	s_and_saveexec_b64 s[8:9], s[12:13]
; %bb.2726:
	s_mov_b32 s10, 0x7f800001
	s_xor_b64 s[4:5], exec, -1
; %bb.2727:
	s_or_b64 exec, exec, s[8:9]
	s_and_b64 s[4:5], s[4:5], exec
	s_or_saveexec_b64 s[6:7], s[6:7]
	v_mov_b32_e32 v6, s10
	s_xor_b64 exec, exec, s[6:7]
	s_cbranch_execz .LBB13_678
.LBB13_2728:
	v_mov_b32_e32 v6, 0
	v_cmp_ne_u16_sdwa s[8:9], v3, v6 src0_sel:BYTE_0 src1_sel:DWORD
	s_andn2_b64 s[4:5], s[4:5], exec
	s_and_b64 s[8:9], s[8:9], exec
	s_or_b64 s[4:5], s[4:5], s[8:9]
	s_or_b64 exec, exec, s[6:7]
	s_and_saveexec_b64 s[6:7], s[4:5]
	s_cbranch_execnz .LBB13_679
	s_branch .LBB13_680
.LBB13_2729:
	s_movk_i32 s4, 0x80
	v_cmp_eq_u16_sdwa s[12:13], v6, s4 src0_sel:BYTE_0 src1_sel:DWORD
	s_mov_b64 s[4:5], -1
                                        ; implicit-def: $sgpr10
	s_and_saveexec_b64 s[8:9], s[12:13]
; %bb.2730:
	s_mov_b32 s10, 0x7f800001
	s_xor_b64 s[4:5], exec, -1
; %bb.2731:
	s_or_b64 exec, exec, s[8:9]
	s_and_b64 s[4:5], s[4:5], exec
	s_or_saveexec_b64 s[6:7], s[6:7]
	v_mov_b32_e32 v2, s10
	s_xor_b64 exec, exec, s[6:7]
	s_cbranch_execz .LBB13_682
.LBB13_2732:
	v_mov_b32_e32 v2, 0
	v_cmp_ne_u16_sdwa s[8:9], v6, v2 src0_sel:BYTE_0 src1_sel:DWORD
	s_andn2_b64 s[4:5], s[4:5], exec
	s_and_b64 s[8:9], s[8:9], exec
	s_or_b64 s[4:5], s[4:5], s[8:9]
	s_or_b64 exec, exec, s[6:7]
	s_and_saveexec_b64 s[6:7], s[4:5]
	s_cbranch_execnz .LBB13_683
	s_branch .LBB13_684
.LBB13_2733:
	s_movk_i32 s4, 0x80
	v_cmp_eq_u16_sdwa s[12:13], v6, s4 src0_sel:BYTE_0 src1_sel:DWORD
	s_mov_b64 s[4:5], -1
                                        ; implicit-def: $sgpr10
	s_and_saveexec_b64 s[8:9], s[12:13]
; %bb.2734:
	s_mov_b32 s10, 0x7f800001
	s_xor_b64 s[4:5], exec, -1
; %bb.2735:
	s_or_b64 exec, exec, s[8:9]
	s_and_b64 s[4:5], s[4:5], exec
	s_or_saveexec_b64 s[6:7], s[6:7]
	v_mov_b32_e32 v12, s10
	s_xor_b64 exec, exec, s[6:7]
	s_cbranch_execz .LBB13_686
.LBB13_2736:
	v_mov_b32_e32 v12, 0
	v_cmp_ne_u16_sdwa s[8:9], v6, v12 src0_sel:BYTE_0 src1_sel:DWORD
	s_andn2_b64 s[4:5], s[4:5], exec
	s_and_b64 s[8:9], s[8:9], exec
	s_or_b64 s[4:5], s[4:5], s[8:9]
	s_or_b64 exec, exec, s[6:7]
	s_and_saveexec_b64 s[6:7], s[4:5]
	s_cbranch_execnz .LBB13_687
	s_branch .LBB13_688
.LBB13_2737:
	s_movk_i32 s4, 0x80
	v_cmp_eq_u16_e32 vcc, s4, v6
	s_mov_b64 s[4:5], -1
                                        ; implicit-def: $sgpr10
	s_and_saveexec_b64 s[8:9], vcc
; %bb.2738:
	s_mov_b32 s10, 0x7f800001
	s_xor_b64 s[4:5], exec, -1
; %bb.2739:
	s_or_b64 exec, exec, s[8:9]
	s_and_b64 s[4:5], s[4:5], exec
                                        ; implicit-def: $vgpr6
	s_or_saveexec_b64 s[6:7], s[6:7]
	v_mov_b32_e32 v2, s10
	s_xor_b64 exec, exec, s[6:7]
	s_cbranch_execz .LBB13_690
.LBB13_2740:
	v_cmp_ne_u16_e32 vcc, 0, v6
	s_andn2_b64 s[4:5], s[4:5], exec
	s_and_b64 s[8:9], vcc, exec
	v_mov_b32_e32 v2, 0
	s_or_b64 s[4:5], s[4:5], s[8:9]
	s_or_b64 exec, exec, s[6:7]
	s_and_saveexec_b64 s[6:7], s[4:5]
	s_cbranch_execnz .LBB13_691
	s_branch .LBB13_692
.LBB13_2741:
	s_movk_i32 s4, 0x80
	v_cmp_eq_u16_e32 vcc, s4, v6
	s_mov_b64 s[4:5], -1
                                        ; implicit-def: $sgpr10
	s_and_saveexec_b64 s[8:9], vcc
; %bb.2742:
	s_mov_b32 s10, 0x7f800001
	s_xor_b64 s[4:5], exec, -1
; %bb.2743:
	s_or_b64 exec, exec, s[8:9]
	s_and_b64 s[4:5], s[4:5], exec
                                        ; implicit-def: $vgpr6
	s_or_saveexec_b64 s[6:7], s[6:7]
	v_mov_b32_e32 v12, s10
	s_xor_b64 exec, exec, s[6:7]
	s_cbranch_execz .LBB13_694
.LBB13_2744:
	v_cmp_ne_u16_e32 vcc, 0, v6
	s_andn2_b64 s[4:5], s[4:5], exec
	s_and_b64 s[8:9], vcc, exec
	v_mov_b32_e32 v12, 0
	s_or_b64 s[4:5], s[4:5], s[8:9]
	s_or_b64 exec, exec, s[6:7]
	s_and_saveexec_b64 s[6:7], s[4:5]
	s_cbranch_execnz .LBB13_695
	s_branch .LBB13_696
.LBB13_2745:
	s_movk_i32 s4, 0x80
	v_cmp_eq_u16_sdwa s[12:13], v7, s4 src0_sel:BYTE_3 src1_sel:DWORD
	s_mov_b64 s[4:5], -1
                                        ; implicit-def: $sgpr10
	s_and_saveexec_b64 s[8:9], s[12:13]
; %bb.2746:
	s_mov_b32 s10, 0x7f800001
	s_xor_b64 s[4:5], exec, -1
; %bb.2747:
	s_or_b64 exec, exec, s[8:9]
	s_and_b64 s[4:5], s[4:5], exec
	s_or_saveexec_b64 s[6:7], s[6:7]
	v_mov_b32_e32 v2, s10
	s_xor_b64 exec, exec, s[6:7]
	s_cbranch_execz .LBB13_698
.LBB13_2748:
	v_mov_b32_e32 v2, 0
	v_cmp_ne_u16_sdwa s[8:9], v7, v2 src0_sel:BYTE_3 src1_sel:DWORD
	s_andn2_b64 s[4:5], s[4:5], exec
	s_and_b64 s[8:9], s[8:9], exec
	s_or_b64 s[4:5], s[4:5], s[8:9]
	s_or_b64 exec, exec, s[6:7]
	s_and_saveexec_b64 s[6:7], s[4:5]
	s_cbranch_execnz .LBB13_699
	s_branch .LBB13_700
.LBB13_2749:
	s_movk_i32 s4, 0x80
	v_cmp_eq_u16_sdwa s[12:13], v3, s4 src0_sel:BYTE_3 src1_sel:DWORD
	s_mov_b64 s[4:5], -1
                                        ; implicit-def: $sgpr10
	s_and_saveexec_b64 s[8:9], s[12:13]
; %bb.2750:
	s_mov_b32 s10, 0x7f800001
	s_xor_b64 s[4:5], exec, -1
; %bb.2751:
	s_or_b64 exec, exec, s[8:9]
	s_and_b64 s[4:5], s[4:5], exec
	s_or_saveexec_b64 s[6:7], s[6:7]
	v_mov_b32_e32 v6, s10
	s_xor_b64 exec, exec, s[6:7]
	s_cbranch_execz .LBB13_702
.LBB13_2752:
	v_mov_b32_e32 v6, 0
	v_cmp_ne_u16_sdwa s[8:9], v3, v6 src0_sel:BYTE_3 src1_sel:DWORD
	s_andn2_b64 s[4:5], s[4:5], exec
	s_and_b64 s[8:9], s[8:9], exec
	s_or_b64 s[4:5], s[4:5], s[8:9]
	s_or_b64 exec, exec, s[6:7]
	s_and_saveexec_b64 s[6:7], s[4:5]
	s_cbranch_execnz .LBB13_703
	s_branch .LBB13_704
.LBB13_2753:
	s_movk_i32 s4, 0x80
	v_cmp_eq_u16_sdwa s[12:13], v8, s4 src0_sel:BYTE_0 src1_sel:DWORD
	s_mov_b64 s[4:5], -1
                                        ; implicit-def: $sgpr10
	s_and_saveexec_b64 s[8:9], s[12:13]
; %bb.2754:
	s_mov_b32 s10, 0x7f800001
	s_xor_b64 s[4:5], exec, -1
; %bb.2755:
	s_or_b64 exec, exec, s[8:9]
	s_and_b64 s[4:5], s[4:5], exec
	s_or_saveexec_b64 s[6:7], s[6:7]
	v_mov_b32_e32 v2, s10
	s_xor_b64 exec, exec, s[6:7]
	s_cbranch_execz .LBB13_706
.LBB13_2756:
	v_mov_b32_e32 v2, 0
	v_cmp_ne_u16_sdwa s[8:9], v8, v2 src0_sel:BYTE_0 src1_sel:DWORD
	s_andn2_b64 s[4:5], s[4:5], exec
	s_and_b64 s[8:9], s[8:9], exec
	s_or_b64 s[4:5], s[4:5], s[8:9]
	s_or_b64 exec, exec, s[6:7]
	s_and_saveexec_b64 s[6:7], s[4:5]
	s_cbranch_execnz .LBB13_707
	s_branch .LBB13_708
.LBB13_2757:
	s_movk_i32 s4, 0x80
	v_cmp_eq_u16_sdwa s[12:13], v4, s4 src0_sel:BYTE_0 src1_sel:DWORD
	s_mov_b64 s[4:5], -1
                                        ; implicit-def: $sgpr10
	s_and_saveexec_b64 s[8:9], s[12:13]
; %bb.2758:
	s_mov_b32 s10, 0x7f800001
	s_xor_b64 s[4:5], exec, -1
; %bb.2759:
	s_or_b64 exec, exec, s[8:9]
	s_and_b64 s[4:5], s[4:5], exec
	s_or_saveexec_b64 s[6:7], s[6:7]
	v_mov_b32_e32 v3, s10
	s_xor_b64 exec, exec, s[6:7]
	s_cbranch_execz .LBB13_710
.LBB13_2760:
	v_mov_b32_e32 v3, 0
	v_cmp_ne_u16_sdwa s[8:9], v4, v3 src0_sel:BYTE_0 src1_sel:DWORD
	s_andn2_b64 s[4:5], s[4:5], exec
	s_and_b64 s[8:9], s[8:9], exec
	s_or_b64 s[4:5], s[4:5], s[8:9]
	s_or_b64 exec, exec, s[6:7]
	s_and_saveexec_b64 s[6:7], s[4:5]
	s_cbranch_execnz .LBB13_711
	s_branch .LBB13_712
.LBB13_2761:
	s_movk_i32 s4, 0x80
	v_cmp_eq_u16_sdwa s[12:13], v3, s4 src0_sel:BYTE_0 src1_sel:DWORD
	s_mov_b64 s[4:5], -1
                                        ; implicit-def: $sgpr10
	s_and_saveexec_b64 s[8:9], s[12:13]
; %bb.2762:
	s_mov_b32 s10, 0x7f800001
	s_xor_b64 s[4:5], exec, -1
; %bb.2763:
	s_or_b64 exec, exec, s[8:9]
	s_and_b64 s[4:5], s[4:5], exec
	s_or_saveexec_b64 s[6:7], s[6:7]
	v_mov_b32_e32 v2, s10
	s_xor_b64 exec, exec, s[6:7]
	s_cbranch_execz .LBB13_714
.LBB13_2764:
	v_mov_b32_e32 v2, 0
	v_cmp_ne_u16_sdwa s[8:9], v3, v2 src0_sel:BYTE_0 src1_sel:DWORD
	s_andn2_b64 s[4:5], s[4:5], exec
	s_and_b64 s[8:9], s[8:9], exec
	s_or_b64 s[4:5], s[4:5], s[8:9]
	s_or_b64 exec, exec, s[6:7]
	s_and_saveexec_b64 s[6:7], s[4:5]
	s_cbranch_execnz .LBB13_715
	s_branch .LBB13_716
.LBB13_2765:
	s_movk_i32 s4, 0x80
	v_cmp_eq_u16_sdwa s[12:13], v3, s4 src0_sel:BYTE_0 src1_sel:DWORD
	s_mov_b64 s[4:5], -1
                                        ; implicit-def: $sgpr10
	s_and_saveexec_b64 s[8:9], s[12:13]
; %bb.2766:
	s_mov_b32 s10, 0x7f800001
	s_xor_b64 s[4:5], exec, -1
; %bb.2767:
	s_or_b64 exec, exec, s[8:9]
	s_and_b64 s[4:5], s[4:5], exec
	s_or_saveexec_b64 s[6:7], s[6:7]
	v_mov_b32_e32 v6, s10
	s_xor_b64 exec, exec, s[6:7]
	s_cbranch_execz .LBB13_718
.LBB13_2768:
	v_mov_b32_e32 v6, 0
	v_cmp_ne_u16_sdwa s[8:9], v3, v6 src0_sel:BYTE_0 src1_sel:DWORD
	s_andn2_b64 s[4:5], s[4:5], exec
	s_and_b64 s[8:9], s[8:9], exec
	s_or_b64 s[4:5], s[4:5], s[8:9]
	s_or_b64 exec, exec, s[6:7]
	s_and_saveexec_b64 s[6:7], s[4:5]
	s_cbranch_execnz .LBB13_719
	s_branch .LBB13_720
.LBB13_2769:
	s_movk_i32 s4, 0x80
	v_cmp_eq_u16_e32 vcc, s4, v3
	s_mov_b64 s[4:5], -1
                                        ; implicit-def: $sgpr10
	s_and_saveexec_b64 s[8:9], vcc
; %bb.2770:
	s_mov_b32 s10, 0x7f800001
	s_xor_b64 s[4:5], exec, -1
; %bb.2771:
	s_or_b64 exec, exec, s[8:9]
	s_and_b64 s[4:5], s[4:5], exec
                                        ; implicit-def: $vgpr3
	s_or_saveexec_b64 s[6:7], s[6:7]
	v_mov_b32_e32 v2, s10
	s_xor_b64 exec, exec, s[6:7]
	s_cbranch_execz .LBB13_722
.LBB13_2772:
	v_cmp_ne_u16_e32 vcc, 0, v3
	s_andn2_b64 s[4:5], s[4:5], exec
	s_and_b64 s[8:9], vcc, exec
	v_mov_b32_e32 v2, 0
	s_or_b64 s[4:5], s[4:5], s[8:9]
	s_or_b64 exec, exec, s[6:7]
	s_and_saveexec_b64 s[6:7], s[4:5]
	s_cbranch_execnz .LBB13_723
	s_branch .LBB13_724
.LBB13_2773:
	s_movk_i32 s4, 0x80
	v_cmp_eq_u16_e32 vcc, s4, v3
	s_mov_b64 s[4:5], -1
                                        ; implicit-def: $sgpr10
	s_and_saveexec_b64 s[8:9], vcc
; %bb.2774:
	s_mov_b32 s10, 0x7f800001
	s_xor_b64 s[4:5], exec, -1
; %bb.2775:
	s_or_b64 exec, exec, s[8:9]
	s_and_b64 s[4:5], s[4:5], exec
                                        ; implicit-def: $vgpr3
	s_or_saveexec_b64 s[6:7], s[6:7]
	v_mov_b32_e32 v6, s10
	s_xor_b64 exec, exec, s[6:7]
	s_cbranch_execz .LBB13_726
.LBB13_2776:
	v_cmp_ne_u16_e32 vcc, 0, v3
	s_andn2_b64 s[4:5], s[4:5], exec
	s_and_b64 s[8:9], vcc, exec
	v_mov_b32_e32 v6, 0
	s_or_b64 s[4:5], s[4:5], s[8:9]
	s_or_b64 exec, exec, s[6:7]
	s_and_saveexec_b64 s[6:7], s[4:5]
	s_cbranch_execnz .LBB13_727
	s_branch .LBB13_728
.LBB13_2777:
	s_movk_i32 s4, 0x80
	v_cmp_eq_u16_sdwa s[12:13], v8, s4 src0_sel:BYTE_3 src1_sel:DWORD
	s_mov_b64 s[4:5], -1
                                        ; implicit-def: $sgpr10
	s_and_saveexec_b64 s[8:9], s[12:13]
; %bb.2778:
	s_mov_b32 s10, 0x7f800001
	s_xor_b64 s[4:5], exec, -1
; %bb.2779:
	s_or_b64 exec, exec, s[8:9]
	s_and_b64 s[4:5], s[4:5], exec
	s_or_saveexec_b64 s[6:7], s[6:7]
	v_mov_b32_e32 v2, s10
	s_xor_b64 exec, exec, s[6:7]
	s_cbranch_execz .LBB13_730
.LBB13_2780:
	v_mov_b32_e32 v2, 0
	v_cmp_ne_u16_sdwa s[8:9], v8, v2 src0_sel:BYTE_3 src1_sel:DWORD
	s_andn2_b64 s[4:5], s[4:5], exec
	s_and_b64 s[8:9], s[8:9], exec
	s_or_b64 s[4:5], s[4:5], s[8:9]
	s_or_b64 exec, exec, s[6:7]
	s_and_saveexec_b64 s[6:7], s[4:5]
	s_cbranch_execnz .LBB13_731
	s_branch .LBB13_732
.LBB13_2781:
	s_movk_i32 s4, 0x80
	v_cmp_eq_u16_sdwa s[12:13], v4, s4 src0_sel:BYTE_3 src1_sel:DWORD
	s_mov_b64 s[4:5], -1
                                        ; implicit-def: $sgpr10
	s_and_saveexec_b64 s[8:9], s[12:13]
; %bb.2782:
	s_mov_b32 s10, 0x7f800001
	s_xor_b64 s[4:5], exec, -1
; %bb.2783:
	s_or_b64 exec, exec, s[8:9]
	s_and_b64 s[4:5], s[4:5], exec
	s_or_saveexec_b64 s[6:7], s[6:7]
	v_mov_b32_e32 v3, s10
	s_xor_b64 exec, exec, s[6:7]
	s_cbranch_execz .LBB13_734
.LBB13_2784:
	v_mov_b32_e32 v3, 0
	v_cmp_ne_u16_sdwa s[8:9], v4, v3 src0_sel:BYTE_3 src1_sel:DWORD
	s_andn2_b64 s[4:5], s[4:5], exec
	s_and_b64 s[8:9], s[8:9], exec
	s_or_b64 s[4:5], s[4:5], s[8:9]
	s_or_b64 exec, exec, s[6:7]
	s_and_saveexec_b64 s[6:7], s[4:5]
	s_cbranch_execnz .LBB13_735
	s_branch .LBB13_736
.LBB13_2785:
	s_movk_i32 s4, 0x80
	v_cmp_eq_u16_sdwa s[12:13], v9, s4 src0_sel:BYTE_0 src1_sel:DWORD
	s_mov_b64 s[4:5], -1
                                        ; implicit-def: $sgpr10
	s_and_saveexec_b64 s[8:9], s[12:13]
; %bb.2786:
	s_mov_b32 s10, 0x7f800001
	s_xor_b64 s[4:5], exec, -1
; %bb.2787:
	s_or_b64 exec, exec, s[8:9]
	s_and_b64 s[4:5], s[4:5], exec
	s_or_saveexec_b64 s[6:7], s[6:7]
	v_mov_b32_e32 v2, s10
	s_xor_b64 exec, exec, s[6:7]
	s_cbranch_execz .LBB13_738
.LBB13_2788:
	v_mov_b32_e32 v2, 0
	v_cmp_ne_u16_sdwa s[8:9], v9, v2 src0_sel:BYTE_0 src1_sel:DWORD
	s_andn2_b64 s[4:5], s[4:5], exec
	s_and_b64 s[8:9], s[8:9], exec
	s_or_b64 s[4:5], s[4:5], s[8:9]
	s_or_b64 exec, exec, s[6:7]
	s_and_saveexec_b64 s[6:7], s[4:5]
	s_cbranch_execnz .LBB13_739
	s_branch .LBB13_740
.LBB13_2789:
	s_movk_i32 s4, 0x80
	v_cmp_eq_u16_sdwa s[12:13], v5, s4 src0_sel:BYTE_0 src1_sel:DWORD
	s_mov_b64 s[4:5], -1
                                        ; implicit-def: $sgpr10
	s_and_saveexec_b64 s[8:9], s[12:13]
; %bb.2790:
	s_mov_b32 s10, 0x7f800001
	s_xor_b64 s[4:5], exec, -1
; %bb.2791:
	s_or_b64 exec, exec, s[8:9]
	s_and_b64 s[4:5], s[4:5], exec
	s_or_saveexec_b64 s[6:7], s[6:7]
	v_mov_b32_e32 v3, s10
	s_xor_b64 exec, exec, s[6:7]
	s_cbranch_execz .LBB13_742
.LBB13_2792:
	v_mov_b32_e32 v3, 0
	v_cmp_ne_u16_sdwa s[8:9], v5, v3 src0_sel:BYTE_0 src1_sel:DWORD
	s_andn2_b64 s[4:5], s[4:5], exec
	s_and_b64 s[8:9], s[8:9], exec
	s_or_b64 s[4:5], s[4:5], s[8:9]
	s_or_b64 exec, exec, s[6:7]
	s_and_saveexec_b64 s[6:7], s[4:5]
	s_cbranch_execnz .LBB13_743
	s_branch .LBB13_744
.LBB13_2793:
	s_movk_i32 s4, 0x80
	v_cmp_eq_u16_sdwa s[12:13], v3, s4 src0_sel:BYTE_0 src1_sel:DWORD
	s_mov_b64 s[4:5], -1
                                        ; implicit-def: $sgpr10
	s_and_saveexec_b64 s[8:9], s[12:13]
; %bb.2794:
	s_mov_b32 s10, 0x7f800001
	s_xor_b64 s[4:5], exec, -1
; %bb.2795:
	s_or_b64 exec, exec, s[8:9]
	s_and_b64 s[4:5], s[4:5], exec
	s_or_saveexec_b64 s[6:7], s[6:7]
	v_mov_b32_e32 v2, s10
	s_xor_b64 exec, exec, s[6:7]
	s_cbranch_execz .LBB13_746
.LBB13_2796:
	v_mov_b32_e32 v2, 0
	v_cmp_ne_u16_sdwa s[8:9], v3, v2 src0_sel:BYTE_0 src1_sel:DWORD
	s_andn2_b64 s[4:5], s[4:5], exec
	s_and_b64 s[8:9], s[8:9], exec
	s_or_b64 s[4:5], s[4:5], s[8:9]
	s_or_b64 exec, exec, s[6:7]
	s_and_saveexec_b64 s[6:7], s[4:5]
	s_cbranch_execnz .LBB13_747
	s_branch .LBB13_748
.LBB13_2797:
	s_movk_i32 s4, 0x80
	v_cmp_eq_u16_sdwa s[12:13], v3, s4 src0_sel:BYTE_0 src1_sel:DWORD
	s_mov_b64 s[4:5], -1
                                        ; implicit-def: $sgpr10
	s_and_saveexec_b64 s[8:9], s[12:13]
; %bb.2798:
	s_mov_b32 s10, 0x7f800001
	s_xor_b64 s[4:5], exec, -1
; %bb.2799:
	s_or_b64 exec, exec, s[8:9]
	s_and_b64 s[4:5], s[4:5], exec
	s_or_saveexec_b64 s[6:7], s[6:7]
	v_mov_b32_e32 v4, s10
	s_xor_b64 exec, exec, s[6:7]
	s_cbranch_execz .LBB13_750
.LBB13_2800:
	v_mov_b32_e32 v4, 0
	v_cmp_ne_u16_sdwa s[8:9], v3, v4 src0_sel:BYTE_0 src1_sel:DWORD
	s_andn2_b64 s[4:5], s[4:5], exec
	s_and_b64 s[8:9], s[8:9], exec
	s_or_b64 s[4:5], s[4:5], s[8:9]
	s_or_b64 exec, exec, s[6:7]
	s_and_saveexec_b64 s[6:7], s[4:5]
	s_cbranch_execnz .LBB13_751
	s_branch .LBB13_752
.LBB13_2801:
	s_movk_i32 s4, 0x80
	v_cmp_eq_u16_e32 vcc, s4, v3
	s_mov_b64 s[4:5], -1
                                        ; implicit-def: $sgpr10
	s_and_saveexec_b64 s[8:9], vcc
; %bb.2802:
	s_mov_b32 s10, 0x7f800001
	s_xor_b64 s[4:5], exec, -1
; %bb.2803:
	s_or_b64 exec, exec, s[8:9]
	s_and_b64 s[4:5], s[4:5], exec
                                        ; implicit-def: $vgpr3
	s_or_saveexec_b64 s[6:7], s[6:7]
	v_mov_b32_e32 v2, s10
	s_xor_b64 exec, exec, s[6:7]
	s_cbranch_execz .LBB13_754
.LBB13_2804:
	v_cmp_ne_u16_e32 vcc, 0, v3
	s_andn2_b64 s[4:5], s[4:5], exec
	s_and_b64 s[8:9], vcc, exec
	v_mov_b32_e32 v2, 0
	s_or_b64 s[4:5], s[4:5], s[8:9]
	s_or_b64 exec, exec, s[6:7]
	s_and_saveexec_b64 s[6:7], s[4:5]
	s_cbranch_execnz .LBB13_755
	s_branch .LBB13_756
.LBB13_2805:
	s_movk_i32 s4, 0x80
	v_cmp_eq_u16_e32 vcc, s4, v3
	s_mov_b64 s[4:5], -1
                                        ; implicit-def: $sgpr10
	s_and_saveexec_b64 s[8:9], vcc
; %bb.2806:
	s_mov_b32 s10, 0x7f800001
	s_xor_b64 s[4:5], exec, -1
; %bb.2807:
	s_or_b64 exec, exec, s[8:9]
	s_and_b64 s[4:5], s[4:5], exec
                                        ; implicit-def: $vgpr3
	s_or_saveexec_b64 s[6:7], s[6:7]
	v_mov_b32_e32 v4, s10
	s_xor_b64 exec, exec, s[6:7]
	s_cbranch_execz .LBB13_758
.LBB13_2808:
	v_cmp_ne_u16_e32 vcc, 0, v3
	s_andn2_b64 s[4:5], s[4:5], exec
	s_and_b64 s[8:9], vcc, exec
	v_mov_b32_e32 v4, 0
	s_or_b64 s[4:5], s[4:5], s[8:9]
	s_or_b64 exec, exec, s[6:7]
	s_and_saveexec_b64 s[6:7], s[4:5]
	s_cbranch_execnz .LBB13_759
	s_branch .LBB13_760
.LBB13_2809:
	s_movk_i32 s4, 0x80
	v_cmp_eq_u16_sdwa s[12:13], v9, s4 src0_sel:BYTE_3 src1_sel:DWORD
	s_mov_b64 s[4:5], -1
                                        ; implicit-def: $sgpr10
	s_and_saveexec_b64 s[8:9], s[12:13]
; %bb.2810:
	s_mov_b32 s10, 0x7f800001
	s_xor_b64 s[4:5], exec, -1
; %bb.2811:
	s_or_b64 exec, exec, s[8:9]
	s_and_b64 s[4:5], s[4:5], exec
	s_or_saveexec_b64 s[6:7], s[6:7]
	v_mov_b32_e32 v2, s10
	s_xor_b64 exec, exec, s[6:7]
	s_cbranch_execz .LBB13_762
.LBB13_2812:
	v_mov_b32_e32 v2, 0
	v_cmp_ne_u16_sdwa s[8:9], v9, v2 src0_sel:BYTE_3 src1_sel:DWORD
	s_andn2_b64 s[4:5], s[4:5], exec
	s_and_b64 s[8:9], s[8:9], exec
	s_or_b64 s[4:5], s[4:5], s[8:9]
	s_or_b64 exec, exec, s[6:7]
	s_and_saveexec_b64 s[6:7], s[4:5]
	s_cbranch_execnz .LBB13_763
	s_branch .LBB13_764
.LBB13_2813:
	s_movk_i32 s4, 0x80
	v_cmp_eq_u16_sdwa s[12:13], v5, s4 src0_sel:BYTE_3 src1_sel:DWORD
	s_mov_b64 s[4:5], -1
                                        ; implicit-def: $sgpr10
	s_and_saveexec_b64 s[8:9], s[12:13]
; %bb.2814:
	s_mov_b32 s10, 0x7f800001
	s_xor_b64 s[4:5], exec, -1
; %bb.2815:
	s_or_b64 exec, exec, s[8:9]
	s_and_b64 s[4:5], s[4:5], exec
	s_or_saveexec_b64 s[6:7], s[6:7]
	v_mov_b32_e32 v3, s10
	s_xor_b64 exec, exec, s[6:7]
	s_cbranch_execz .LBB13_766
.LBB13_2816:
	v_mov_b32_e32 v3, 0
	v_cmp_ne_u16_sdwa s[8:9], v5, v3 src0_sel:BYTE_3 src1_sel:DWORD
	s_andn2_b64 s[4:5], s[4:5], exec
	s_and_b64 s[8:9], s[8:9], exec
	s_or_b64 s[4:5], s[4:5], s[8:9]
	s_or_b64 exec, exec, s[6:7]
	s_and_saveexec_b64 s[6:7], s[4:5]
	s_cbranch_execnz .LBB13_767
	s_branch .LBB13_768
.LBB13_2817:
	s_movk_i32 s4, 0x80
	v_cmp_eq_u16_sdwa s[12:13], v6, s4 src0_sel:BYTE_0 src1_sel:DWORD
	s_mov_b64 s[4:5], -1
                                        ; implicit-def: $sgpr10
	s_and_saveexec_b64 s[8:9], s[12:13]
; %bb.2818:
	s_mov_b32 s10, 0x7f800001
	s_xor_b64 s[4:5], exec, -1
; %bb.2819:
	s_or_b64 exec, exec, s[8:9]
	s_and_b64 s[4:5], s[4:5], exec
	s_or_saveexec_b64 s[6:7], s[6:7]
	v_mov_b32_e32 v12, s10
	s_xor_b64 exec, exec, s[6:7]
	s_cbranch_execz .LBB13_770
.LBB13_2820:
	v_mov_b32_e32 v12, 0
	v_cmp_ne_u16_sdwa s[8:9], v6, v12 src0_sel:BYTE_0 src1_sel:DWORD
	s_andn2_b64 s[4:5], s[4:5], exec
	s_and_b64 s[8:9], s[8:9], exec
	s_or_b64 s[4:5], s[4:5], s[8:9]
	s_or_b64 exec, exec, s[6:7]
	s_and_saveexec_b64 s[6:7], s[4:5]
	s_cbranch_execnz .LBB13_771
	s_branch .LBB13_772
.LBB13_2821:
	s_movk_i32 s4, 0x80
	v_cmp_eq_u16_sdwa s[12:13], v2, s4 src0_sel:BYTE_0 src1_sel:DWORD
	s_mov_b64 s[4:5], -1
                                        ; implicit-def: $sgpr10
	s_and_saveexec_b64 s[8:9], s[12:13]
; %bb.2822:
	s_mov_b32 s10, 0x7f800001
	s_xor_b64 s[4:5], exec, -1
; %bb.2823:
	s_or_b64 exec, exec, s[8:9]
	s_and_b64 s[4:5], s[4:5], exec
	s_or_saveexec_b64 s[6:7], s[6:7]
	v_mov_b32_e32 v13, s10
	s_xor_b64 exec, exec, s[6:7]
	s_cbranch_execz .LBB13_774
.LBB13_2824:
	v_mov_b32_e32 v13, 0
	v_cmp_ne_u16_sdwa s[8:9], v2, v13 src0_sel:BYTE_0 src1_sel:DWORD
	s_andn2_b64 s[4:5], s[4:5], exec
	s_and_b64 s[8:9], s[8:9], exec
	s_or_b64 s[4:5], s[4:5], s[8:9]
	s_or_b64 exec, exec, s[6:7]
	s_and_saveexec_b64 s[6:7], s[4:5]
	s_cbranch_execnz .LBB13_775
	s_branch .LBB13_776
.LBB13_2825:
	s_movk_i32 s4, 0x80
	v_cmp_eq_u16_sdwa s[12:13], v13, s4 src0_sel:BYTE_0 src1_sel:DWORD
	s_mov_b64 s[4:5], -1
                                        ; implicit-def: $sgpr10
	s_and_saveexec_b64 s[8:9], s[12:13]
; %bb.2826:
	s_mov_b32 s10, 0x7f800001
	s_xor_b64 s[4:5], exec, -1
; %bb.2827:
	s_or_b64 exec, exec, s[8:9]
	s_and_b64 s[4:5], s[4:5], exec
	s_or_saveexec_b64 s[6:7], s[6:7]
	v_mov_b32_e32 v12, s10
	s_xor_b64 exec, exec, s[6:7]
	s_cbranch_execz .LBB13_778
.LBB13_2828:
	v_mov_b32_e32 v12, 0
	v_cmp_ne_u16_sdwa s[8:9], v13, v12 src0_sel:BYTE_0 src1_sel:DWORD
	s_andn2_b64 s[4:5], s[4:5], exec
	s_and_b64 s[8:9], s[8:9], exec
	s_or_b64 s[4:5], s[4:5], s[8:9]
	s_or_b64 exec, exec, s[6:7]
	s_and_saveexec_b64 s[6:7], s[4:5]
	s_cbranch_execnz .LBB13_779
	s_branch .LBB13_780
.LBB13_2829:
	s_movk_i32 s4, 0x80
	v_cmp_eq_u16_sdwa s[12:13], v13, s4 src0_sel:BYTE_0 src1_sel:DWORD
	s_mov_b64 s[4:5], -1
                                        ; implicit-def: $sgpr10
	s_and_saveexec_b64 s[8:9], s[12:13]
; %bb.2830:
	s_mov_b32 s10, 0x7f800001
	s_xor_b64 s[4:5], exec, -1
; %bb.2831:
	s_or_b64 exec, exec, s[8:9]
	s_and_b64 s[4:5], s[4:5], exec
	s_or_saveexec_b64 s[6:7], s[6:7]
	v_mov_b32_e32 v14, s10
	s_xor_b64 exec, exec, s[6:7]
	s_cbranch_execz .LBB13_782
.LBB13_2832:
	v_mov_b32_e32 v14, 0
	v_cmp_ne_u16_sdwa s[8:9], v13, v14 src0_sel:BYTE_0 src1_sel:DWORD
	s_andn2_b64 s[4:5], s[4:5], exec
	s_and_b64 s[8:9], s[8:9], exec
	s_or_b64 s[4:5], s[4:5], s[8:9]
	s_or_b64 exec, exec, s[6:7]
	s_and_saveexec_b64 s[6:7], s[4:5]
	s_cbranch_execnz .LBB13_783
	s_branch .LBB13_784
.LBB13_2833:
	s_movk_i32 s4, 0x80
	v_cmp_eq_u16_e32 vcc, s4, v13
	s_mov_b64 s[4:5], -1
                                        ; implicit-def: $sgpr10
	s_and_saveexec_b64 s[8:9], vcc
; %bb.2834:
	s_mov_b32 s10, 0x7f800001
	s_xor_b64 s[4:5], exec, -1
; %bb.2835:
	s_or_b64 exec, exec, s[8:9]
	s_and_b64 s[4:5], s[4:5], exec
                                        ; implicit-def: $vgpr13
	s_or_saveexec_b64 s[6:7], s[6:7]
	v_mov_b32_e32 v12, s10
	s_xor_b64 exec, exec, s[6:7]
	s_cbranch_execz .LBB13_786
.LBB13_2836:
	v_cmp_ne_u16_e32 vcc, 0, v13
	s_andn2_b64 s[4:5], s[4:5], exec
	s_and_b64 s[8:9], vcc, exec
	v_mov_b32_e32 v12, 0
	s_or_b64 s[4:5], s[4:5], s[8:9]
	s_or_b64 exec, exec, s[6:7]
	s_and_saveexec_b64 s[6:7], s[4:5]
	s_cbranch_execnz .LBB13_787
	s_branch .LBB13_788
.LBB13_2837:
	s_movk_i32 s4, 0x80
	v_cmp_eq_u16_e32 vcc, s4, v13
	s_mov_b64 s[4:5], -1
                                        ; implicit-def: $sgpr10
	s_and_saveexec_b64 s[8:9], vcc
; %bb.2838:
	s_mov_b32 s10, 0x7f800001
	s_xor_b64 s[4:5], exec, -1
; %bb.2839:
	s_or_b64 exec, exec, s[8:9]
	s_and_b64 s[4:5], s[4:5], exec
                                        ; implicit-def: $vgpr13
	s_or_saveexec_b64 s[6:7], s[6:7]
	v_mov_b32_e32 v14, s10
	s_xor_b64 exec, exec, s[6:7]
	s_cbranch_execz .LBB13_790
.LBB13_2840:
	v_cmp_ne_u16_e32 vcc, 0, v13
	s_andn2_b64 s[4:5], s[4:5], exec
	s_and_b64 s[8:9], vcc, exec
	v_mov_b32_e32 v14, 0
	s_or_b64 s[4:5], s[4:5], s[8:9]
	s_or_b64 exec, exec, s[6:7]
	s_and_saveexec_b64 s[6:7], s[4:5]
	s_cbranch_execnz .LBB13_791
	s_branch .LBB13_792
.LBB13_2841:
	s_movk_i32 s4, 0x80
	v_cmp_eq_u16_sdwa s[12:13], v6, s4 src0_sel:BYTE_3 src1_sel:DWORD
	s_mov_b64 s[4:5], -1
                                        ; implicit-def: $sgpr10
	s_and_saveexec_b64 s[8:9], s[12:13]
; %bb.2842:
	s_mov_b32 s10, 0x7f800001
	s_xor_b64 s[4:5], exec, -1
; %bb.2843:
	s_or_b64 exec, exec, s[8:9]
	s_and_b64 s[4:5], s[4:5], exec
	s_or_saveexec_b64 s[6:7], s[6:7]
	v_mov_b32_e32 v12, s10
	s_xor_b64 exec, exec, s[6:7]
	s_cbranch_execz .LBB13_794
.LBB13_2844:
	v_mov_b32_e32 v12, 0
	v_cmp_ne_u16_sdwa s[8:9], v6, v12 src0_sel:BYTE_3 src1_sel:DWORD
	s_andn2_b64 s[4:5], s[4:5], exec
	s_and_b64 s[8:9], s[8:9], exec
	s_or_b64 s[4:5], s[4:5], s[8:9]
	s_or_b64 exec, exec, s[6:7]
	s_and_saveexec_b64 s[6:7], s[4:5]
	s_cbranch_execnz .LBB13_795
	s_branch .LBB13_796
.LBB13_2845:
	s_movk_i32 s4, 0x80
	v_cmp_eq_u16_sdwa s[12:13], v2, s4 src0_sel:BYTE_3 src1_sel:DWORD
	s_mov_b64 s[4:5], -1
                                        ; implicit-def: $sgpr10
	s_and_saveexec_b64 s[8:9], s[12:13]
; %bb.2846:
	s_mov_b32 s10, 0x7f800001
	s_xor_b64 s[4:5], exec, -1
; %bb.2847:
	s_or_b64 exec, exec, s[8:9]
	s_and_b64 s[4:5], s[4:5], exec
	s_or_saveexec_b64 s[6:7], s[6:7]
	v_mov_b32_e32 v6, s10
	s_xor_b64 exec, exec, s[6:7]
	s_cbranch_execz .LBB13_798
.LBB13_2848:
	v_mov_b32_e32 v6, 0
	v_cmp_ne_u16_sdwa s[8:9], v2, v6 src0_sel:BYTE_3 src1_sel:DWORD
	s_andn2_b64 s[4:5], s[4:5], exec
	s_and_b64 s[8:9], s[8:9], exec
	s_or_b64 s[4:5], s[4:5], s[8:9]
	s_or_b64 exec, exec, s[6:7]
	s_and_saveexec_b64 s[6:7], s[4:5]
	s_cbranch_execnz .LBB13_799
	s_branch .LBB13_800
.LBB13_2849:
	s_movk_i32 s4, 0x80
	v_cmp_eq_u16_sdwa s[12:13], v7, s4 src0_sel:BYTE_0 src1_sel:DWORD
	s_mov_b64 s[4:5], -1
                                        ; implicit-def: $sgpr10
	s_and_saveexec_b64 s[8:9], s[12:13]
; %bb.2850:
	s_mov_b32 s10, 0x7f800001
	s_xor_b64 s[4:5], exec, -1
; %bb.2851:
	s_or_b64 exec, exec, s[8:9]
	s_and_b64 s[4:5], s[4:5], exec
	s_or_saveexec_b64 s[6:7], s[6:7]
	v_mov_b32_e32 v2, s10
	s_xor_b64 exec, exec, s[6:7]
	s_cbranch_execz .LBB13_802
.LBB13_2852:
	v_mov_b32_e32 v2, 0
	v_cmp_ne_u16_sdwa s[8:9], v7, v2 src0_sel:BYTE_0 src1_sel:DWORD
	s_andn2_b64 s[4:5], s[4:5], exec
	s_and_b64 s[8:9], s[8:9], exec
	s_or_b64 s[4:5], s[4:5], s[8:9]
	s_or_b64 exec, exec, s[6:7]
	s_and_saveexec_b64 s[6:7], s[4:5]
	s_cbranch_execnz .LBB13_803
	s_branch .LBB13_804
.LBB13_2853:
	s_movk_i32 s4, 0x80
	v_cmp_eq_u16_sdwa s[12:13], v3, s4 src0_sel:BYTE_0 src1_sel:DWORD
	s_mov_b64 s[4:5], -1
                                        ; implicit-def: $sgpr10
	s_and_saveexec_b64 s[8:9], s[12:13]
; %bb.2854:
	s_mov_b32 s10, 0x7f800001
	s_xor_b64 s[4:5], exec, -1
; %bb.2855:
	s_or_b64 exec, exec, s[8:9]
	s_and_b64 s[4:5], s[4:5], exec
	s_or_saveexec_b64 s[6:7], s[6:7]
	v_mov_b32_e32 v6, s10
	s_xor_b64 exec, exec, s[6:7]
	s_cbranch_execz .LBB13_806
.LBB13_2856:
	v_mov_b32_e32 v6, 0
	v_cmp_ne_u16_sdwa s[8:9], v3, v6 src0_sel:BYTE_0 src1_sel:DWORD
	s_andn2_b64 s[4:5], s[4:5], exec
	s_and_b64 s[8:9], s[8:9], exec
	s_or_b64 s[4:5], s[4:5], s[8:9]
	s_or_b64 exec, exec, s[6:7]
	s_and_saveexec_b64 s[6:7], s[4:5]
	s_cbranch_execnz .LBB13_807
	s_branch .LBB13_808
.LBB13_2857:
	s_movk_i32 s4, 0x80
	v_cmp_eq_u16_sdwa s[12:13], v6, s4 src0_sel:BYTE_0 src1_sel:DWORD
	s_mov_b64 s[4:5], -1
                                        ; implicit-def: $sgpr10
	s_and_saveexec_b64 s[8:9], s[12:13]
; %bb.2858:
	s_mov_b32 s10, 0x7f800001
	s_xor_b64 s[4:5], exec, -1
; %bb.2859:
	s_or_b64 exec, exec, s[8:9]
	s_and_b64 s[4:5], s[4:5], exec
	s_or_saveexec_b64 s[6:7], s[6:7]
	v_mov_b32_e32 v2, s10
	s_xor_b64 exec, exec, s[6:7]
	s_cbranch_execz .LBB13_810
.LBB13_2860:
	v_mov_b32_e32 v2, 0
	v_cmp_ne_u16_sdwa s[8:9], v6, v2 src0_sel:BYTE_0 src1_sel:DWORD
	s_andn2_b64 s[4:5], s[4:5], exec
	s_and_b64 s[8:9], s[8:9], exec
	s_or_b64 s[4:5], s[4:5], s[8:9]
	s_or_b64 exec, exec, s[6:7]
	s_and_saveexec_b64 s[6:7], s[4:5]
	s_cbranch_execnz .LBB13_811
	s_branch .LBB13_812
.LBB13_2861:
	s_movk_i32 s4, 0x80
	v_cmp_eq_u16_sdwa s[12:13], v6, s4 src0_sel:BYTE_0 src1_sel:DWORD
	s_mov_b64 s[4:5], -1
                                        ; implicit-def: $sgpr10
	s_and_saveexec_b64 s[8:9], s[12:13]
; %bb.2862:
	s_mov_b32 s10, 0x7f800001
	s_xor_b64 s[4:5], exec, -1
; %bb.2863:
	s_or_b64 exec, exec, s[8:9]
	s_and_b64 s[4:5], s[4:5], exec
	s_or_saveexec_b64 s[6:7], s[6:7]
	v_mov_b32_e32 v12, s10
	s_xor_b64 exec, exec, s[6:7]
	s_cbranch_execz .LBB13_814
.LBB13_2864:
	v_mov_b32_e32 v12, 0
	v_cmp_ne_u16_sdwa s[8:9], v6, v12 src0_sel:BYTE_0 src1_sel:DWORD
	s_andn2_b64 s[4:5], s[4:5], exec
	s_and_b64 s[8:9], s[8:9], exec
	s_or_b64 s[4:5], s[4:5], s[8:9]
	s_or_b64 exec, exec, s[6:7]
	s_and_saveexec_b64 s[6:7], s[4:5]
	s_cbranch_execnz .LBB13_815
	s_branch .LBB13_816
.LBB13_2865:
	s_movk_i32 s4, 0x80
	v_cmp_eq_u16_e32 vcc, s4, v6
	s_mov_b64 s[4:5], -1
                                        ; implicit-def: $sgpr10
	s_and_saveexec_b64 s[8:9], vcc
; %bb.2866:
	s_mov_b32 s10, 0x7f800001
	s_xor_b64 s[4:5], exec, -1
; %bb.2867:
	s_or_b64 exec, exec, s[8:9]
	s_and_b64 s[4:5], s[4:5], exec
                                        ; implicit-def: $vgpr6
	s_or_saveexec_b64 s[6:7], s[6:7]
	v_mov_b32_e32 v2, s10
	s_xor_b64 exec, exec, s[6:7]
	s_cbranch_execz .LBB13_818
.LBB13_2868:
	v_cmp_ne_u16_e32 vcc, 0, v6
	s_andn2_b64 s[4:5], s[4:5], exec
	s_and_b64 s[8:9], vcc, exec
	v_mov_b32_e32 v2, 0
	s_or_b64 s[4:5], s[4:5], s[8:9]
	s_or_b64 exec, exec, s[6:7]
	s_and_saveexec_b64 s[6:7], s[4:5]
	s_cbranch_execnz .LBB13_819
	s_branch .LBB13_820
.LBB13_2869:
	s_movk_i32 s4, 0x80
	v_cmp_eq_u16_e32 vcc, s4, v6
	s_mov_b64 s[4:5], -1
                                        ; implicit-def: $sgpr10
	s_and_saveexec_b64 s[8:9], vcc
; %bb.2870:
	s_mov_b32 s10, 0x7f800001
	s_xor_b64 s[4:5], exec, -1
; %bb.2871:
	s_or_b64 exec, exec, s[8:9]
	s_and_b64 s[4:5], s[4:5], exec
                                        ; implicit-def: $vgpr6
	s_or_saveexec_b64 s[6:7], s[6:7]
	v_mov_b32_e32 v12, s10
	s_xor_b64 exec, exec, s[6:7]
	s_cbranch_execz .LBB13_822
.LBB13_2872:
	v_cmp_ne_u16_e32 vcc, 0, v6
	s_andn2_b64 s[4:5], s[4:5], exec
	s_and_b64 s[8:9], vcc, exec
	v_mov_b32_e32 v12, 0
	s_or_b64 s[4:5], s[4:5], s[8:9]
	s_or_b64 exec, exec, s[6:7]
	s_and_saveexec_b64 s[6:7], s[4:5]
	s_cbranch_execnz .LBB13_823
	s_branch .LBB13_824
.LBB13_2873:
	s_movk_i32 s4, 0x80
	v_cmp_eq_u16_sdwa s[12:13], v7, s4 src0_sel:BYTE_3 src1_sel:DWORD
	s_mov_b64 s[4:5], -1
                                        ; implicit-def: $sgpr10
	s_and_saveexec_b64 s[8:9], s[12:13]
; %bb.2874:
	s_mov_b32 s10, 0x7f800001
	s_xor_b64 s[4:5], exec, -1
; %bb.2875:
	s_or_b64 exec, exec, s[8:9]
	s_and_b64 s[4:5], s[4:5], exec
	s_or_saveexec_b64 s[6:7], s[6:7]
	v_mov_b32_e32 v2, s10
	s_xor_b64 exec, exec, s[6:7]
	s_cbranch_execz .LBB13_826
.LBB13_2876:
	v_mov_b32_e32 v2, 0
	v_cmp_ne_u16_sdwa s[8:9], v7, v2 src0_sel:BYTE_3 src1_sel:DWORD
	s_andn2_b64 s[4:5], s[4:5], exec
	s_and_b64 s[8:9], s[8:9], exec
	s_or_b64 s[4:5], s[4:5], s[8:9]
	s_or_b64 exec, exec, s[6:7]
	s_and_saveexec_b64 s[6:7], s[4:5]
	s_cbranch_execnz .LBB13_827
	s_branch .LBB13_828
.LBB13_2877:
	s_movk_i32 s4, 0x80
	v_cmp_eq_u16_sdwa s[12:13], v3, s4 src0_sel:BYTE_3 src1_sel:DWORD
	s_mov_b64 s[4:5], -1
                                        ; implicit-def: $sgpr10
	s_and_saveexec_b64 s[8:9], s[12:13]
; %bb.2878:
	s_mov_b32 s10, 0x7f800001
	s_xor_b64 s[4:5], exec, -1
; %bb.2879:
	s_or_b64 exec, exec, s[8:9]
	s_and_b64 s[4:5], s[4:5], exec
	s_or_saveexec_b64 s[6:7], s[6:7]
	v_mov_b32_e32 v6, s10
	s_xor_b64 exec, exec, s[6:7]
	s_cbranch_execz .LBB13_830
.LBB13_2880:
	v_mov_b32_e32 v6, 0
	v_cmp_ne_u16_sdwa s[8:9], v3, v6 src0_sel:BYTE_3 src1_sel:DWORD
	s_andn2_b64 s[4:5], s[4:5], exec
	s_and_b64 s[8:9], s[8:9], exec
	s_or_b64 s[4:5], s[4:5], s[8:9]
	s_or_b64 exec, exec, s[6:7]
	s_and_saveexec_b64 s[6:7], s[4:5]
	s_cbranch_execnz .LBB13_831
	s_branch .LBB13_832
.LBB13_2881:
	s_movk_i32 s4, 0x80
	v_cmp_eq_u16_sdwa s[12:13], v8, s4 src0_sel:BYTE_0 src1_sel:DWORD
	s_mov_b64 s[4:5], -1
                                        ; implicit-def: $sgpr10
	s_and_saveexec_b64 s[8:9], s[12:13]
; %bb.2882:
	s_mov_b32 s10, 0x7f800001
	s_xor_b64 s[4:5], exec, -1
; %bb.2883:
	s_or_b64 exec, exec, s[8:9]
	s_and_b64 s[4:5], s[4:5], exec
	s_or_saveexec_b64 s[6:7], s[6:7]
	v_mov_b32_e32 v2, s10
	s_xor_b64 exec, exec, s[6:7]
	s_cbranch_execz .LBB13_834
.LBB13_2884:
	v_mov_b32_e32 v2, 0
	v_cmp_ne_u16_sdwa s[8:9], v8, v2 src0_sel:BYTE_0 src1_sel:DWORD
	s_andn2_b64 s[4:5], s[4:5], exec
	s_and_b64 s[8:9], s[8:9], exec
	s_or_b64 s[4:5], s[4:5], s[8:9]
	s_or_b64 exec, exec, s[6:7]
	s_and_saveexec_b64 s[6:7], s[4:5]
	s_cbranch_execnz .LBB13_835
	s_branch .LBB13_836
.LBB13_2885:
	s_movk_i32 s4, 0x80
	v_cmp_eq_u16_sdwa s[12:13], v4, s4 src0_sel:BYTE_0 src1_sel:DWORD
	s_mov_b64 s[4:5], -1
                                        ; implicit-def: $sgpr10
	s_and_saveexec_b64 s[8:9], s[12:13]
; %bb.2886:
	s_mov_b32 s10, 0x7f800001
	s_xor_b64 s[4:5], exec, -1
; %bb.2887:
	s_or_b64 exec, exec, s[8:9]
	s_and_b64 s[4:5], s[4:5], exec
	s_or_saveexec_b64 s[6:7], s[6:7]
	v_mov_b32_e32 v3, s10
	s_xor_b64 exec, exec, s[6:7]
	s_cbranch_execz .LBB13_838
.LBB13_2888:
	v_mov_b32_e32 v3, 0
	v_cmp_ne_u16_sdwa s[8:9], v4, v3 src0_sel:BYTE_0 src1_sel:DWORD
	s_andn2_b64 s[4:5], s[4:5], exec
	s_and_b64 s[8:9], s[8:9], exec
	s_or_b64 s[4:5], s[4:5], s[8:9]
	s_or_b64 exec, exec, s[6:7]
	s_and_saveexec_b64 s[6:7], s[4:5]
	s_cbranch_execnz .LBB13_839
	s_branch .LBB13_840
.LBB13_2889:
	s_movk_i32 s4, 0x80
	v_cmp_eq_u16_sdwa s[12:13], v3, s4 src0_sel:BYTE_0 src1_sel:DWORD
	s_mov_b64 s[4:5], -1
                                        ; implicit-def: $sgpr10
	s_and_saveexec_b64 s[8:9], s[12:13]
; %bb.2890:
	s_mov_b32 s10, 0x7f800001
	s_xor_b64 s[4:5], exec, -1
; %bb.2891:
	s_or_b64 exec, exec, s[8:9]
	s_and_b64 s[4:5], s[4:5], exec
	s_or_saveexec_b64 s[6:7], s[6:7]
	v_mov_b32_e32 v2, s10
	s_xor_b64 exec, exec, s[6:7]
	s_cbranch_execz .LBB13_842
.LBB13_2892:
	v_mov_b32_e32 v2, 0
	v_cmp_ne_u16_sdwa s[8:9], v3, v2 src0_sel:BYTE_0 src1_sel:DWORD
	s_andn2_b64 s[4:5], s[4:5], exec
	s_and_b64 s[8:9], s[8:9], exec
	s_or_b64 s[4:5], s[4:5], s[8:9]
	s_or_b64 exec, exec, s[6:7]
	s_and_saveexec_b64 s[6:7], s[4:5]
	s_cbranch_execnz .LBB13_843
	s_branch .LBB13_844
.LBB13_2893:
	s_movk_i32 s4, 0x80
	v_cmp_eq_u16_sdwa s[12:13], v3, s4 src0_sel:BYTE_0 src1_sel:DWORD
	s_mov_b64 s[4:5], -1
                                        ; implicit-def: $sgpr10
	s_and_saveexec_b64 s[8:9], s[12:13]
; %bb.2894:
	s_mov_b32 s10, 0x7f800001
	s_xor_b64 s[4:5], exec, -1
; %bb.2895:
	s_or_b64 exec, exec, s[8:9]
	s_and_b64 s[4:5], s[4:5], exec
	s_or_saveexec_b64 s[6:7], s[6:7]
	v_mov_b32_e32 v6, s10
	s_xor_b64 exec, exec, s[6:7]
	s_cbranch_execz .LBB13_846
.LBB13_2896:
	v_mov_b32_e32 v6, 0
	v_cmp_ne_u16_sdwa s[8:9], v3, v6 src0_sel:BYTE_0 src1_sel:DWORD
	s_andn2_b64 s[4:5], s[4:5], exec
	s_and_b64 s[8:9], s[8:9], exec
	s_or_b64 s[4:5], s[4:5], s[8:9]
	s_or_b64 exec, exec, s[6:7]
	s_and_saveexec_b64 s[6:7], s[4:5]
	s_cbranch_execnz .LBB13_847
	s_branch .LBB13_848
.LBB13_2897:
	s_movk_i32 s4, 0x80
	v_cmp_eq_u16_e32 vcc, s4, v3
	s_mov_b64 s[4:5], -1
                                        ; implicit-def: $sgpr10
	s_and_saveexec_b64 s[8:9], vcc
; %bb.2898:
	s_mov_b32 s10, 0x7f800001
	s_xor_b64 s[4:5], exec, -1
; %bb.2899:
	s_or_b64 exec, exec, s[8:9]
	s_and_b64 s[4:5], s[4:5], exec
                                        ; implicit-def: $vgpr3
	s_or_saveexec_b64 s[6:7], s[6:7]
	v_mov_b32_e32 v2, s10
	s_xor_b64 exec, exec, s[6:7]
	s_cbranch_execz .LBB13_850
.LBB13_2900:
	v_cmp_ne_u16_e32 vcc, 0, v3
	s_andn2_b64 s[4:5], s[4:5], exec
	s_and_b64 s[8:9], vcc, exec
	v_mov_b32_e32 v2, 0
	s_or_b64 s[4:5], s[4:5], s[8:9]
	s_or_b64 exec, exec, s[6:7]
	s_and_saveexec_b64 s[6:7], s[4:5]
	s_cbranch_execnz .LBB13_851
	s_branch .LBB13_852
.LBB13_2901:
	s_movk_i32 s4, 0x80
	v_cmp_eq_u16_e32 vcc, s4, v3
	s_mov_b64 s[4:5], -1
                                        ; implicit-def: $sgpr10
	s_and_saveexec_b64 s[8:9], vcc
; %bb.2902:
	s_mov_b32 s10, 0x7f800001
	s_xor_b64 s[4:5], exec, -1
; %bb.2903:
	s_or_b64 exec, exec, s[8:9]
	s_and_b64 s[4:5], s[4:5], exec
                                        ; implicit-def: $vgpr3
	s_or_saveexec_b64 s[6:7], s[6:7]
	v_mov_b32_e32 v6, s10
	s_xor_b64 exec, exec, s[6:7]
	s_cbranch_execz .LBB13_854
.LBB13_2904:
	v_cmp_ne_u16_e32 vcc, 0, v3
	s_andn2_b64 s[4:5], s[4:5], exec
	s_and_b64 s[8:9], vcc, exec
	v_mov_b32_e32 v6, 0
	s_or_b64 s[4:5], s[4:5], s[8:9]
	s_or_b64 exec, exec, s[6:7]
	s_and_saveexec_b64 s[6:7], s[4:5]
	s_cbranch_execnz .LBB13_855
	s_branch .LBB13_856
.LBB13_2905:
	s_movk_i32 s4, 0x80
	v_cmp_eq_u16_sdwa s[12:13], v8, s4 src0_sel:BYTE_3 src1_sel:DWORD
	s_mov_b64 s[4:5], -1
                                        ; implicit-def: $sgpr10
	s_and_saveexec_b64 s[8:9], s[12:13]
; %bb.2906:
	s_mov_b32 s10, 0x7f800001
	s_xor_b64 s[4:5], exec, -1
; %bb.2907:
	s_or_b64 exec, exec, s[8:9]
	s_and_b64 s[4:5], s[4:5], exec
	s_or_saveexec_b64 s[6:7], s[6:7]
	v_mov_b32_e32 v2, s10
	s_xor_b64 exec, exec, s[6:7]
	s_cbranch_execz .LBB13_858
.LBB13_2908:
	v_mov_b32_e32 v2, 0
	v_cmp_ne_u16_sdwa s[8:9], v8, v2 src0_sel:BYTE_3 src1_sel:DWORD
	s_andn2_b64 s[4:5], s[4:5], exec
	s_and_b64 s[8:9], s[8:9], exec
	s_or_b64 s[4:5], s[4:5], s[8:9]
	s_or_b64 exec, exec, s[6:7]
	s_and_saveexec_b64 s[6:7], s[4:5]
	s_cbranch_execnz .LBB13_859
	s_branch .LBB13_860
.LBB13_2909:
	s_movk_i32 s4, 0x80
	v_cmp_eq_u16_sdwa s[12:13], v4, s4 src0_sel:BYTE_3 src1_sel:DWORD
	s_mov_b64 s[4:5], -1
                                        ; implicit-def: $sgpr10
	s_and_saveexec_b64 s[8:9], s[12:13]
; %bb.2910:
	s_mov_b32 s10, 0x7f800001
	s_xor_b64 s[4:5], exec, -1
; %bb.2911:
	s_or_b64 exec, exec, s[8:9]
	s_and_b64 s[4:5], s[4:5], exec
	s_or_saveexec_b64 s[6:7], s[6:7]
	v_mov_b32_e32 v3, s10
	s_xor_b64 exec, exec, s[6:7]
	s_cbranch_execz .LBB13_862
.LBB13_2912:
	v_mov_b32_e32 v3, 0
	v_cmp_ne_u16_sdwa s[8:9], v4, v3 src0_sel:BYTE_3 src1_sel:DWORD
	s_andn2_b64 s[4:5], s[4:5], exec
	s_and_b64 s[8:9], s[8:9], exec
	s_or_b64 s[4:5], s[4:5], s[8:9]
	s_or_b64 exec, exec, s[6:7]
	s_and_saveexec_b64 s[6:7], s[4:5]
	s_cbranch_execnz .LBB13_863
	s_branch .LBB13_864
.LBB13_2913:
	s_movk_i32 s4, 0x80
	v_cmp_eq_u16_sdwa s[12:13], v9, s4 src0_sel:BYTE_0 src1_sel:DWORD
	s_mov_b64 s[4:5], -1
                                        ; implicit-def: $sgpr10
	s_and_saveexec_b64 s[8:9], s[12:13]
; %bb.2914:
	s_mov_b32 s10, 0x7f800001
	s_xor_b64 s[4:5], exec, -1
; %bb.2915:
	s_or_b64 exec, exec, s[8:9]
	s_and_b64 s[4:5], s[4:5], exec
	s_or_saveexec_b64 s[6:7], s[6:7]
	v_mov_b32_e32 v2, s10
	s_xor_b64 exec, exec, s[6:7]
	s_cbranch_execz .LBB13_866
.LBB13_2916:
	v_mov_b32_e32 v2, 0
	v_cmp_ne_u16_sdwa s[8:9], v9, v2 src0_sel:BYTE_0 src1_sel:DWORD
	s_andn2_b64 s[4:5], s[4:5], exec
	s_and_b64 s[8:9], s[8:9], exec
	s_or_b64 s[4:5], s[4:5], s[8:9]
	s_or_b64 exec, exec, s[6:7]
	s_and_saveexec_b64 s[6:7], s[4:5]
	s_cbranch_execnz .LBB13_867
	s_branch .LBB13_868
.LBB13_2917:
	s_movk_i32 s4, 0x80
	v_cmp_eq_u16_sdwa s[12:13], v5, s4 src0_sel:BYTE_0 src1_sel:DWORD
	s_mov_b64 s[4:5], -1
                                        ; implicit-def: $sgpr10
	s_and_saveexec_b64 s[8:9], s[12:13]
; %bb.2918:
	s_mov_b32 s10, 0x7f800001
	s_xor_b64 s[4:5], exec, -1
; %bb.2919:
	s_or_b64 exec, exec, s[8:9]
	s_and_b64 s[4:5], s[4:5], exec
	s_or_saveexec_b64 s[6:7], s[6:7]
	v_mov_b32_e32 v3, s10
	s_xor_b64 exec, exec, s[6:7]
	s_cbranch_execz .LBB13_870
.LBB13_2920:
	v_mov_b32_e32 v3, 0
	v_cmp_ne_u16_sdwa s[8:9], v5, v3 src0_sel:BYTE_0 src1_sel:DWORD
	s_andn2_b64 s[4:5], s[4:5], exec
	s_and_b64 s[8:9], s[8:9], exec
	s_or_b64 s[4:5], s[4:5], s[8:9]
	s_or_b64 exec, exec, s[6:7]
	s_and_saveexec_b64 s[6:7], s[4:5]
	s_cbranch_execnz .LBB13_871
	s_branch .LBB13_872
.LBB13_2921:
	s_movk_i32 s4, 0x80
	v_cmp_eq_u16_sdwa s[12:13], v3, s4 src0_sel:BYTE_0 src1_sel:DWORD
	s_mov_b64 s[4:5], -1
                                        ; implicit-def: $sgpr10
	s_and_saveexec_b64 s[8:9], s[12:13]
; %bb.2922:
	s_mov_b32 s10, 0x7f800001
	s_xor_b64 s[4:5], exec, -1
; %bb.2923:
	s_or_b64 exec, exec, s[8:9]
	s_and_b64 s[4:5], s[4:5], exec
	s_or_saveexec_b64 s[6:7], s[6:7]
	v_mov_b32_e32 v2, s10
	s_xor_b64 exec, exec, s[6:7]
	s_cbranch_execz .LBB13_874
.LBB13_2924:
	v_mov_b32_e32 v2, 0
	v_cmp_ne_u16_sdwa s[8:9], v3, v2 src0_sel:BYTE_0 src1_sel:DWORD
	s_andn2_b64 s[4:5], s[4:5], exec
	s_and_b64 s[8:9], s[8:9], exec
	s_or_b64 s[4:5], s[4:5], s[8:9]
	s_or_b64 exec, exec, s[6:7]
	s_and_saveexec_b64 s[6:7], s[4:5]
	s_cbranch_execnz .LBB13_875
	s_branch .LBB13_876
.LBB13_2925:
	s_movk_i32 s4, 0x80
	v_cmp_eq_u16_sdwa s[12:13], v3, s4 src0_sel:BYTE_0 src1_sel:DWORD
	s_mov_b64 s[4:5], -1
                                        ; implicit-def: $sgpr10
	s_and_saveexec_b64 s[8:9], s[12:13]
; %bb.2926:
	s_mov_b32 s10, 0x7f800001
	s_xor_b64 s[4:5], exec, -1
; %bb.2927:
	s_or_b64 exec, exec, s[8:9]
	s_and_b64 s[4:5], s[4:5], exec
	s_or_saveexec_b64 s[6:7], s[6:7]
	v_mov_b32_e32 v4, s10
	s_xor_b64 exec, exec, s[6:7]
	s_cbranch_execz .LBB13_878
.LBB13_2928:
	v_mov_b32_e32 v4, 0
	v_cmp_ne_u16_sdwa s[8:9], v3, v4 src0_sel:BYTE_0 src1_sel:DWORD
	s_andn2_b64 s[4:5], s[4:5], exec
	s_and_b64 s[8:9], s[8:9], exec
	s_or_b64 s[4:5], s[4:5], s[8:9]
	s_or_b64 exec, exec, s[6:7]
	s_and_saveexec_b64 s[6:7], s[4:5]
	s_cbranch_execnz .LBB13_879
	s_branch .LBB13_880
.LBB13_2929:
	s_movk_i32 s4, 0x80
	v_cmp_eq_u16_e32 vcc, s4, v3
	s_mov_b64 s[4:5], -1
                                        ; implicit-def: $sgpr10
	s_and_saveexec_b64 s[8:9], vcc
; %bb.2930:
	s_mov_b32 s10, 0x7f800001
	s_xor_b64 s[4:5], exec, -1
; %bb.2931:
	s_or_b64 exec, exec, s[8:9]
	s_and_b64 s[4:5], s[4:5], exec
                                        ; implicit-def: $vgpr3
	s_or_saveexec_b64 s[6:7], s[6:7]
	v_mov_b32_e32 v2, s10
	s_xor_b64 exec, exec, s[6:7]
	s_cbranch_execz .LBB13_882
.LBB13_2932:
	v_cmp_ne_u16_e32 vcc, 0, v3
	s_andn2_b64 s[4:5], s[4:5], exec
	s_and_b64 s[8:9], vcc, exec
	v_mov_b32_e32 v2, 0
	s_or_b64 s[4:5], s[4:5], s[8:9]
	s_or_b64 exec, exec, s[6:7]
	s_and_saveexec_b64 s[6:7], s[4:5]
	s_cbranch_execnz .LBB13_883
	s_branch .LBB13_884
.LBB13_2933:
	s_movk_i32 s4, 0x80
	v_cmp_eq_u16_e32 vcc, s4, v3
	s_mov_b64 s[4:5], -1
                                        ; implicit-def: $sgpr10
	s_and_saveexec_b64 s[8:9], vcc
; %bb.2934:
	s_mov_b32 s10, 0x7f800001
	s_xor_b64 s[4:5], exec, -1
; %bb.2935:
	s_or_b64 exec, exec, s[8:9]
	s_and_b64 s[4:5], s[4:5], exec
                                        ; implicit-def: $vgpr3
	s_or_saveexec_b64 s[6:7], s[6:7]
	v_mov_b32_e32 v4, s10
	s_xor_b64 exec, exec, s[6:7]
	s_cbranch_execz .LBB13_886
.LBB13_2936:
	v_cmp_ne_u16_e32 vcc, 0, v3
	s_andn2_b64 s[4:5], s[4:5], exec
	s_and_b64 s[8:9], vcc, exec
	v_mov_b32_e32 v4, 0
	s_or_b64 s[4:5], s[4:5], s[8:9]
	s_or_b64 exec, exec, s[6:7]
	s_and_saveexec_b64 s[6:7], s[4:5]
	s_cbranch_execnz .LBB13_887
	s_branch .LBB13_888
.LBB13_2937:
	s_movk_i32 s4, 0x80
	v_cmp_eq_u16_sdwa s[12:13], v9, s4 src0_sel:BYTE_3 src1_sel:DWORD
	s_mov_b64 s[4:5], -1
                                        ; implicit-def: $sgpr10
	s_and_saveexec_b64 s[8:9], s[12:13]
; %bb.2938:
	s_mov_b32 s10, 0x7f800001
	s_xor_b64 s[4:5], exec, -1
; %bb.2939:
	s_or_b64 exec, exec, s[8:9]
	s_and_b64 s[4:5], s[4:5], exec
	s_or_saveexec_b64 s[6:7], s[6:7]
	v_mov_b32_e32 v2, s10
	s_xor_b64 exec, exec, s[6:7]
	s_cbranch_execz .LBB13_890
.LBB13_2940:
	v_mov_b32_e32 v2, 0
	v_cmp_ne_u16_sdwa s[8:9], v9, v2 src0_sel:BYTE_3 src1_sel:DWORD
	s_andn2_b64 s[4:5], s[4:5], exec
	s_and_b64 s[8:9], s[8:9], exec
	s_or_b64 s[4:5], s[4:5], s[8:9]
	s_or_b64 exec, exec, s[6:7]
	s_and_saveexec_b64 s[6:7], s[4:5]
	s_cbranch_execnz .LBB13_891
	s_branch .LBB13_892
.LBB13_2941:
	s_movk_i32 s4, 0x80
	v_cmp_eq_u16_sdwa s[12:13], v5, s4 src0_sel:BYTE_3 src1_sel:DWORD
	s_mov_b64 s[4:5], -1
                                        ; implicit-def: $sgpr10
	s_and_saveexec_b64 s[8:9], s[12:13]
; %bb.2942:
	s_mov_b32 s10, 0x7f800001
	s_xor_b64 s[4:5], exec, -1
; %bb.2943:
	s_or_b64 exec, exec, s[8:9]
	s_and_b64 s[4:5], s[4:5], exec
	s_or_saveexec_b64 s[6:7], s[6:7]
	v_mov_b32_e32 v3, s10
	s_xor_b64 exec, exec, s[6:7]
	s_cbranch_execz .LBB13_894
.LBB13_2944:
	v_mov_b32_e32 v3, 0
	v_cmp_ne_u16_sdwa s[8:9], v5, v3 src0_sel:BYTE_3 src1_sel:DWORD
	s_andn2_b64 s[4:5], s[4:5], exec
	s_and_b64 s[8:9], s[8:9], exec
	s_or_b64 s[4:5], s[4:5], s[8:9]
	s_or_b64 exec, exec, s[6:7]
	s_and_saveexec_b64 s[6:7], s[4:5]
	s_cbranch_execnz .LBB13_895
	s_branch .LBB13_896
.LBB13_2945:
	s_movk_i32 s4, 0x80
	v_cmp_eq_u16_sdwa s[12:13], v6, s4 src0_sel:BYTE_0 src1_sel:DWORD
	s_mov_b64 s[4:5], -1
                                        ; implicit-def: $sgpr10
	s_and_saveexec_b64 s[8:9], s[12:13]
; %bb.2946:
	s_mov_b32 s10, 0x7f800001
	s_xor_b64 s[4:5], exec, -1
; %bb.2947:
	s_or_b64 exec, exec, s[8:9]
	s_and_b64 s[4:5], s[4:5], exec
	s_or_saveexec_b64 s[6:7], s[6:7]
	v_mov_b32_e32 v12, s10
	s_xor_b64 exec, exec, s[6:7]
	s_cbranch_execz .LBB13_898
.LBB13_2948:
	v_mov_b32_e32 v12, 0
	v_cmp_ne_u16_sdwa s[8:9], v6, v12 src0_sel:BYTE_0 src1_sel:DWORD
	s_andn2_b64 s[4:5], s[4:5], exec
	s_and_b64 s[8:9], s[8:9], exec
	s_or_b64 s[4:5], s[4:5], s[8:9]
	s_or_b64 exec, exec, s[6:7]
	s_and_saveexec_b64 s[6:7], s[4:5]
	s_cbranch_execnz .LBB13_899
	s_branch .LBB13_900
.LBB13_2949:
	s_movk_i32 s4, 0x80
	v_cmp_eq_u16_sdwa s[12:13], v2, s4 src0_sel:BYTE_0 src1_sel:DWORD
	s_mov_b64 s[4:5], -1
                                        ; implicit-def: $sgpr10
	s_and_saveexec_b64 s[8:9], s[12:13]
; %bb.2950:
	s_mov_b32 s10, 0x7f800001
	s_xor_b64 s[4:5], exec, -1
; %bb.2951:
	s_or_b64 exec, exec, s[8:9]
	s_and_b64 s[4:5], s[4:5], exec
	s_or_saveexec_b64 s[6:7], s[6:7]
	v_mov_b32_e32 v13, s10
	s_xor_b64 exec, exec, s[6:7]
	s_cbranch_execz .LBB13_902
.LBB13_2952:
	v_mov_b32_e32 v13, 0
	v_cmp_ne_u16_sdwa s[8:9], v2, v13 src0_sel:BYTE_0 src1_sel:DWORD
	s_andn2_b64 s[4:5], s[4:5], exec
	s_and_b64 s[8:9], s[8:9], exec
	s_or_b64 s[4:5], s[4:5], s[8:9]
	s_or_b64 exec, exec, s[6:7]
	s_and_saveexec_b64 s[6:7], s[4:5]
	s_cbranch_execnz .LBB13_903
	s_branch .LBB13_904
.LBB13_2953:
	s_movk_i32 s4, 0x80
	v_cmp_eq_u16_sdwa s[12:13], v13, s4 src0_sel:BYTE_0 src1_sel:DWORD
	s_mov_b64 s[4:5], -1
                                        ; implicit-def: $sgpr10
	s_and_saveexec_b64 s[8:9], s[12:13]
; %bb.2954:
	s_mov_b32 s10, 0x7f800001
	s_xor_b64 s[4:5], exec, -1
; %bb.2955:
	s_or_b64 exec, exec, s[8:9]
	s_and_b64 s[4:5], s[4:5], exec
	s_or_saveexec_b64 s[6:7], s[6:7]
	v_mov_b32_e32 v12, s10
	s_xor_b64 exec, exec, s[6:7]
	s_cbranch_execz .LBB13_906
.LBB13_2956:
	v_mov_b32_e32 v12, 0
	v_cmp_ne_u16_sdwa s[8:9], v13, v12 src0_sel:BYTE_0 src1_sel:DWORD
	s_andn2_b64 s[4:5], s[4:5], exec
	s_and_b64 s[8:9], s[8:9], exec
	s_or_b64 s[4:5], s[4:5], s[8:9]
	s_or_b64 exec, exec, s[6:7]
	s_and_saveexec_b64 s[6:7], s[4:5]
	s_cbranch_execnz .LBB13_907
	s_branch .LBB13_908
.LBB13_2957:
	s_movk_i32 s4, 0x80
	v_cmp_eq_u16_sdwa s[12:13], v13, s4 src0_sel:BYTE_0 src1_sel:DWORD
	s_mov_b64 s[4:5], -1
                                        ; implicit-def: $sgpr10
	s_and_saveexec_b64 s[8:9], s[12:13]
; %bb.2958:
	s_mov_b32 s10, 0x7f800001
	s_xor_b64 s[4:5], exec, -1
; %bb.2959:
	s_or_b64 exec, exec, s[8:9]
	s_and_b64 s[4:5], s[4:5], exec
	s_or_saveexec_b64 s[6:7], s[6:7]
	v_mov_b32_e32 v14, s10
	s_xor_b64 exec, exec, s[6:7]
	s_cbranch_execz .LBB13_910
.LBB13_2960:
	v_mov_b32_e32 v14, 0
	v_cmp_ne_u16_sdwa s[8:9], v13, v14 src0_sel:BYTE_0 src1_sel:DWORD
	s_andn2_b64 s[4:5], s[4:5], exec
	s_and_b64 s[8:9], s[8:9], exec
	s_or_b64 s[4:5], s[4:5], s[8:9]
	s_or_b64 exec, exec, s[6:7]
	s_and_saveexec_b64 s[6:7], s[4:5]
	s_cbranch_execnz .LBB13_911
	s_branch .LBB13_912
.LBB13_2961:
	s_movk_i32 s4, 0x80
	v_cmp_eq_u16_e32 vcc, s4, v13
	s_mov_b64 s[4:5], -1
                                        ; implicit-def: $sgpr10
	s_and_saveexec_b64 s[8:9], vcc
; %bb.2962:
	s_mov_b32 s10, 0x7f800001
	s_xor_b64 s[4:5], exec, -1
; %bb.2963:
	s_or_b64 exec, exec, s[8:9]
	s_and_b64 s[4:5], s[4:5], exec
                                        ; implicit-def: $vgpr13
	s_or_saveexec_b64 s[6:7], s[6:7]
	v_mov_b32_e32 v12, s10
	s_xor_b64 exec, exec, s[6:7]
	s_cbranch_execz .LBB13_914
.LBB13_2964:
	v_cmp_ne_u16_e32 vcc, 0, v13
	s_andn2_b64 s[4:5], s[4:5], exec
	s_and_b64 s[8:9], vcc, exec
	v_mov_b32_e32 v12, 0
	s_or_b64 s[4:5], s[4:5], s[8:9]
	s_or_b64 exec, exec, s[6:7]
	s_and_saveexec_b64 s[6:7], s[4:5]
	s_cbranch_execnz .LBB13_915
	s_branch .LBB13_916
.LBB13_2965:
	s_movk_i32 s4, 0x80
	v_cmp_eq_u16_e32 vcc, s4, v13
	s_mov_b64 s[4:5], -1
                                        ; implicit-def: $sgpr10
	s_and_saveexec_b64 s[8:9], vcc
; %bb.2966:
	s_mov_b32 s10, 0x7f800001
	s_xor_b64 s[4:5], exec, -1
; %bb.2967:
	s_or_b64 exec, exec, s[8:9]
	s_and_b64 s[4:5], s[4:5], exec
                                        ; implicit-def: $vgpr13
	s_or_saveexec_b64 s[6:7], s[6:7]
	v_mov_b32_e32 v14, s10
	s_xor_b64 exec, exec, s[6:7]
	s_cbranch_execz .LBB13_918
.LBB13_2968:
	v_cmp_ne_u16_e32 vcc, 0, v13
	s_andn2_b64 s[4:5], s[4:5], exec
	s_and_b64 s[8:9], vcc, exec
	v_mov_b32_e32 v14, 0
	s_or_b64 s[4:5], s[4:5], s[8:9]
	s_or_b64 exec, exec, s[6:7]
	s_and_saveexec_b64 s[6:7], s[4:5]
	s_cbranch_execnz .LBB13_919
	s_branch .LBB13_920
.LBB13_2969:
	s_movk_i32 s4, 0x80
	v_cmp_eq_u16_sdwa s[12:13], v6, s4 src0_sel:BYTE_3 src1_sel:DWORD
	s_mov_b64 s[4:5], -1
                                        ; implicit-def: $sgpr10
	s_and_saveexec_b64 s[8:9], s[12:13]
; %bb.2970:
	s_mov_b32 s10, 0x7f800001
	s_xor_b64 s[4:5], exec, -1
; %bb.2971:
	s_or_b64 exec, exec, s[8:9]
	s_and_b64 s[4:5], s[4:5], exec
	s_or_saveexec_b64 s[6:7], s[6:7]
	v_mov_b32_e32 v12, s10
	s_xor_b64 exec, exec, s[6:7]
	s_cbranch_execz .LBB13_922
.LBB13_2972:
	v_mov_b32_e32 v12, 0
	v_cmp_ne_u16_sdwa s[8:9], v6, v12 src0_sel:BYTE_3 src1_sel:DWORD
	s_andn2_b64 s[4:5], s[4:5], exec
	s_and_b64 s[8:9], s[8:9], exec
	s_or_b64 s[4:5], s[4:5], s[8:9]
	s_or_b64 exec, exec, s[6:7]
	s_and_saveexec_b64 s[6:7], s[4:5]
	s_cbranch_execnz .LBB13_923
	s_branch .LBB13_924
.LBB13_2973:
	s_movk_i32 s4, 0x80
	v_cmp_eq_u16_sdwa s[12:13], v2, s4 src0_sel:BYTE_3 src1_sel:DWORD
	s_mov_b64 s[4:5], -1
                                        ; implicit-def: $sgpr10
	s_and_saveexec_b64 s[8:9], s[12:13]
; %bb.2974:
	s_mov_b32 s10, 0x7f800001
	s_xor_b64 s[4:5], exec, -1
; %bb.2975:
	s_or_b64 exec, exec, s[8:9]
	s_and_b64 s[4:5], s[4:5], exec
	s_or_saveexec_b64 s[6:7], s[6:7]
	v_mov_b32_e32 v6, s10
	s_xor_b64 exec, exec, s[6:7]
	s_cbranch_execz .LBB13_926
.LBB13_2976:
	v_mov_b32_e32 v6, 0
	v_cmp_ne_u16_sdwa s[8:9], v2, v6 src0_sel:BYTE_3 src1_sel:DWORD
	s_andn2_b64 s[4:5], s[4:5], exec
	s_and_b64 s[8:9], s[8:9], exec
	s_or_b64 s[4:5], s[4:5], s[8:9]
	s_or_b64 exec, exec, s[6:7]
	s_and_saveexec_b64 s[6:7], s[4:5]
	s_cbranch_execnz .LBB13_927
	s_branch .LBB13_928
.LBB13_2977:
	s_movk_i32 s4, 0x80
	v_cmp_eq_u16_sdwa s[12:13], v7, s4 src0_sel:BYTE_0 src1_sel:DWORD
	s_mov_b64 s[4:5], -1
                                        ; implicit-def: $sgpr10
	s_and_saveexec_b64 s[8:9], s[12:13]
; %bb.2978:
	s_mov_b32 s10, 0x7f800001
	s_xor_b64 s[4:5], exec, -1
; %bb.2979:
	s_or_b64 exec, exec, s[8:9]
	s_and_b64 s[4:5], s[4:5], exec
	s_or_saveexec_b64 s[6:7], s[6:7]
	v_mov_b32_e32 v2, s10
	s_xor_b64 exec, exec, s[6:7]
	s_cbranch_execz .LBB13_930
.LBB13_2980:
	v_mov_b32_e32 v2, 0
	v_cmp_ne_u16_sdwa s[8:9], v7, v2 src0_sel:BYTE_0 src1_sel:DWORD
	s_andn2_b64 s[4:5], s[4:5], exec
	s_and_b64 s[8:9], s[8:9], exec
	s_or_b64 s[4:5], s[4:5], s[8:9]
	s_or_b64 exec, exec, s[6:7]
	s_and_saveexec_b64 s[6:7], s[4:5]
	s_cbranch_execnz .LBB13_931
	s_branch .LBB13_932
.LBB13_2981:
	s_movk_i32 s4, 0x80
	v_cmp_eq_u16_sdwa s[12:13], v3, s4 src0_sel:BYTE_0 src1_sel:DWORD
	s_mov_b64 s[4:5], -1
                                        ; implicit-def: $sgpr10
	s_and_saveexec_b64 s[8:9], s[12:13]
; %bb.2982:
	s_mov_b32 s10, 0x7f800001
	s_xor_b64 s[4:5], exec, -1
; %bb.2983:
	s_or_b64 exec, exec, s[8:9]
	s_and_b64 s[4:5], s[4:5], exec
	s_or_saveexec_b64 s[6:7], s[6:7]
	v_mov_b32_e32 v6, s10
	s_xor_b64 exec, exec, s[6:7]
	s_cbranch_execz .LBB13_934
.LBB13_2984:
	v_mov_b32_e32 v6, 0
	v_cmp_ne_u16_sdwa s[8:9], v3, v6 src0_sel:BYTE_0 src1_sel:DWORD
	s_andn2_b64 s[4:5], s[4:5], exec
	s_and_b64 s[8:9], s[8:9], exec
	s_or_b64 s[4:5], s[4:5], s[8:9]
	s_or_b64 exec, exec, s[6:7]
	s_and_saveexec_b64 s[6:7], s[4:5]
	s_cbranch_execnz .LBB13_935
	s_branch .LBB13_936
.LBB13_2985:
	s_movk_i32 s4, 0x80
	v_cmp_eq_u16_sdwa s[12:13], v6, s4 src0_sel:BYTE_0 src1_sel:DWORD
	s_mov_b64 s[4:5], -1
                                        ; implicit-def: $sgpr10
	s_and_saveexec_b64 s[8:9], s[12:13]
; %bb.2986:
	s_mov_b32 s10, 0x7f800001
	s_xor_b64 s[4:5], exec, -1
; %bb.2987:
	s_or_b64 exec, exec, s[8:9]
	s_and_b64 s[4:5], s[4:5], exec
	s_or_saveexec_b64 s[6:7], s[6:7]
	v_mov_b32_e32 v2, s10
	s_xor_b64 exec, exec, s[6:7]
	s_cbranch_execz .LBB13_938
.LBB13_2988:
	v_mov_b32_e32 v2, 0
	v_cmp_ne_u16_sdwa s[8:9], v6, v2 src0_sel:BYTE_0 src1_sel:DWORD
	s_andn2_b64 s[4:5], s[4:5], exec
	s_and_b64 s[8:9], s[8:9], exec
	s_or_b64 s[4:5], s[4:5], s[8:9]
	s_or_b64 exec, exec, s[6:7]
	s_and_saveexec_b64 s[6:7], s[4:5]
	s_cbranch_execnz .LBB13_939
	s_branch .LBB13_940
.LBB13_2989:
	s_movk_i32 s4, 0x80
	v_cmp_eq_u16_sdwa s[12:13], v6, s4 src0_sel:BYTE_0 src1_sel:DWORD
	s_mov_b64 s[4:5], -1
                                        ; implicit-def: $sgpr10
	s_and_saveexec_b64 s[8:9], s[12:13]
; %bb.2990:
	s_mov_b32 s10, 0x7f800001
	s_xor_b64 s[4:5], exec, -1
; %bb.2991:
	s_or_b64 exec, exec, s[8:9]
	s_and_b64 s[4:5], s[4:5], exec
	s_or_saveexec_b64 s[6:7], s[6:7]
	v_mov_b32_e32 v12, s10
	s_xor_b64 exec, exec, s[6:7]
	s_cbranch_execz .LBB13_942
.LBB13_2992:
	v_mov_b32_e32 v12, 0
	v_cmp_ne_u16_sdwa s[8:9], v6, v12 src0_sel:BYTE_0 src1_sel:DWORD
	s_andn2_b64 s[4:5], s[4:5], exec
	s_and_b64 s[8:9], s[8:9], exec
	s_or_b64 s[4:5], s[4:5], s[8:9]
	s_or_b64 exec, exec, s[6:7]
	s_and_saveexec_b64 s[6:7], s[4:5]
	s_cbranch_execnz .LBB13_943
	s_branch .LBB13_944
.LBB13_2993:
	s_movk_i32 s4, 0x80
	v_cmp_eq_u16_e32 vcc, s4, v6
	s_mov_b64 s[4:5], -1
                                        ; implicit-def: $sgpr10
	s_and_saveexec_b64 s[8:9], vcc
; %bb.2994:
	s_mov_b32 s10, 0x7f800001
	s_xor_b64 s[4:5], exec, -1
; %bb.2995:
	s_or_b64 exec, exec, s[8:9]
	s_and_b64 s[4:5], s[4:5], exec
                                        ; implicit-def: $vgpr6
	s_or_saveexec_b64 s[6:7], s[6:7]
	v_mov_b32_e32 v2, s10
	s_xor_b64 exec, exec, s[6:7]
	s_cbranch_execz .LBB13_946
.LBB13_2996:
	v_cmp_ne_u16_e32 vcc, 0, v6
	s_andn2_b64 s[4:5], s[4:5], exec
	s_and_b64 s[8:9], vcc, exec
	v_mov_b32_e32 v2, 0
	s_or_b64 s[4:5], s[4:5], s[8:9]
	s_or_b64 exec, exec, s[6:7]
	s_and_saveexec_b64 s[6:7], s[4:5]
	s_cbranch_execnz .LBB13_947
	s_branch .LBB13_948
.LBB13_2997:
	s_movk_i32 s4, 0x80
	v_cmp_eq_u16_e32 vcc, s4, v6
	s_mov_b64 s[4:5], -1
                                        ; implicit-def: $sgpr10
	s_and_saveexec_b64 s[8:9], vcc
; %bb.2998:
	s_mov_b32 s10, 0x7f800001
	s_xor_b64 s[4:5], exec, -1
; %bb.2999:
	s_or_b64 exec, exec, s[8:9]
	s_and_b64 s[4:5], s[4:5], exec
                                        ; implicit-def: $vgpr6
	s_or_saveexec_b64 s[6:7], s[6:7]
	v_mov_b32_e32 v12, s10
	s_xor_b64 exec, exec, s[6:7]
	s_cbranch_execz .LBB13_950
.LBB13_3000:
	v_cmp_ne_u16_e32 vcc, 0, v6
	s_andn2_b64 s[4:5], s[4:5], exec
	s_and_b64 s[8:9], vcc, exec
	v_mov_b32_e32 v12, 0
	s_or_b64 s[4:5], s[4:5], s[8:9]
	s_or_b64 exec, exec, s[6:7]
	s_and_saveexec_b64 s[6:7], s[4:5]
	s_cbranch_execnz .LBB13_951
	s_branch .LBB13_952
.LBB13_3001:
	s_movk_i32 s4, 0x80
	v_cmp_eq_u16_sdwa s[12:13], v7, s4 src0_sel:BYTE_3 src1_sel:DWORD
	s_mov_b64 s[4:5], -1
                                        ; implicit-def: $sgpr10
	s_and_saveexec_b64 s[8:9], s[12:13]
; %bb.3002:
	s_mov_b32 s10, 0x7f800001
	s_xor_b64 s[4:5], exec, -1
; %bb.3003:
	s_or_b64 exec, exec, s[8:9]
	s_and_b64 s[4:5], s[4:5], exec
	s_or_saveexec_b64 s[6:7], s[6:7]
	v_mov_b32_e32 v2, s10
	s_xor_b64 exec, exec, s[6:7]
	s_cbranch_execz .LBB13_954
.LBB13_3004:
	v_mov_b32_e32 v2, 0
	v_cmp_ne_u16_sdwa s[8:9], v7, v2 src0_sel:BYTE_3 src1_sel:DWORD
	s_andn2_b64 s[4:5], s[4:5], exec
	s_and_b64 s[8:9], s[8:9], exec
	s_or_b64 s[4:5], s[4:5], s[8:9]
	s_or_b64 exec, exec, s[6:7]
	s_and_saveexec_b64 s[6:7], s[4:5]
	s_cbranch_execnz .LBB13_955
	s_branch .LBB13_956
.LBB13_3005:
	s_movk_i32 s4, 0x80
	v_cmp_eq_u16_sdwa s[12:13], v3, s4 src0_sel:BYTE_3 src1_sel:DWORD
	s_mov_b64 s[4:5], -1
                                        ; implicit-def: $sgpr10
	s_and_saveexec_b64 s[8:9], s[12:13]
; %bb.3006:
	s_mov_b32 s10, 0x7f800001
	s_xor_b64 s[4:5], exec, -1
; %bb.3007:
	s_or_b64 exec, exec, s[8:9]
	s_and_b64 s[4:5], s[4:5], exec
	s_or_saveexec_b64 s[6:7], s[6:7]
	v_mov_b32_e32 v6, s10
	s_xor_b64 exec, exec, s[6:7]
	s_cbranch_execz .LBB13_958
.LBB13_3008:
	v_mov_b32_e32 v6, 0
	v_cmp_ne_u16_sdwa s[8:9], v3, v6 src0_sel:BYTE_3 src1_sel:DWORD
	s_andn2_b64 s[4:5], s[4:5], exec
	s_and_b64 s[8:9], s[8:9], exec
	s_or_b64 s[4:5], s[4:5], s[8:9]
	s_or_b64 exec, exec, s[6:7]
	s_and_saveexec_b64 s[6:7], s[4:5]
	s_cbranch_execnz .LBB13_959
	s_branch .LBB13_960
.LBB13_3009:
	s_movk_i32 s4, 0x80
	v_cmp_eq_u16_sdwa s[12:13], v8, s4 src0_sel:BYTE_0 src1_sel:DWORD
	s_mov_b64 s[4:5], -1
                                        ; implicit-def: $sgpr10
	s_and_saveexec_b64 s[8:9], s[12:13]
; %bb.3010:
	s_mov_b32 s10, 0x7f800001
	s_xor_b64 s[4:5], exec, -1
; %bb.3011:
	s_or_b64 exec, exec, s[8:9]
	s_and_b64 s[4:5], s[4:5], exec
	s_or_saveexec_b64 s[6:7], s[6:7]
	v_mov_b32_e32 v2, s10
	s_xor_b64 exec, exec, s[6:7]
	s_cbranch_execz .LBB13_962
.LBB13_3012:
	v_mov_b32_e32 v2, 0
	v_cmp_ne_u16_sdwa s[8:9], v8, v2 src0_sel:BYTE_0 src1_sel:DWORD
	s_andn2_b64 s[4:5], s[4:5], exec
	s_and_b64 s[8:9], s[8:9], exec
	s_or_b64 s[4:5], s[4:5], s[8:9]
	s_or_b64 exec, exec, s[6:7]
	s_and_saveexec_b64 s[6:7], s[4:5]
	s_cbranch_execnz .LBB13_963
	s_branch .LBB13_964
.LBB13_3013:
	s_movk_i32 s4, 0x80
	v_cmp_eq_u16_sdwa s[12:13], v4, s4 src0_sel:BYTE_0 src1_sel:DWORD
	s_mov_b64 s[4:5], -1
                                        ; implicit-def: $sgpr10
	s_and_saveexec_b64 s[8:9], s[12:13]
; %bb.3014:
	s_mov_b32 s10, 0x7f800001
	s_xor_b64 s[4:5], exec, -1
; %bb.3015:
	s_or_b64 exec, exec, s[8:9]
	s_and_b64 s[4:5], s[4:5], exec
	s_or_saveexec_b64 s[6:7], s[6:7]
	v_mov_b32_e32 v3, s10
	s_xor_b64 exec, exec, s[6:7]
	s_cbranch_execz .LBB13_966
.LBB13_3016:
	v_mov_b32_e32 v3, 0
	v_cmp_ne_u16_sdwa s[8:9], v4, v3 src0_sel:BYTE_0 src1_sel:DWORD
	s_andn2_b64 s[4:5], s[4:5], exec
	s_and_b64 s[8:9], s[8:9], exec
	s_or_b64 s[4:5], s[4:5], s[8:9]
	s_or_b64 exec, exec, s[6:7]
	s_and_saveexec_b64 s[6:7], s[4:5]
	s_cbranch_execnz .LBB13_967
	s_branch .LBB13_968
.LBB13_3017:
	s_movk_i32 s4, 0x80
	v_cmp_eq_u16_sdwa s[12:13], v3, s4 src0_sel:BYTE_0 src1_sel:DWORD
	s_mov_b64 s[4:5], -1
                                        ; implicit-def: $sgpr10
	s_and_saveexec_b64 s[8:9], s[12:13]
; %bb.3018:
	s_mov_b32 s10, 0x7f800001
	s_xor_b64 s[4:5], exec, -1
; %bb.3019:
	s_or_b64 exec, exec, s[8:9]
	s_and_b64 s[4:5], s[4:5], exec
	s_or_saveexec_b64 s[6:7], s[6:7]
	v_mov_b32_e32 v2, s10
	s_xor_b64 exec, exec, s[6:7]
	s_cbranch_execz .LBB13_970
.LBB13_3020:
	v_mov_b32_e32 v2, 0
	v_cmp_ne_u16_sdwa s[8:9], v3, v2 src0_sel:BYTE_0 src1_sel:DWORD
	s_andn2_b64 s[4:5], s[4:5], exec
	s_and_b64 s[8:9], s[8:9], exec
	s_or_b64 s[4:5], s[4:5], s[8:9]
	s_or_b64 exec, exec, s[6:7]
	s_and_saveexec_b64 s[6:7], s[4:5]
	s_cbranch_execnz .LBB13_971
	s_branch .LBB13_972
.LBB13_3021:
	s_movk_i32 s4, 0x80
	v_cmp_eq_u16_sdwa s[12:13], v3, s4 src0_sel:BYTE_0 src1_sel:DWORD
	s_mov_b64 s[4:5], -1
                                        ; implicit-def: $sgpr10
	s_and_saveexec_b64 s[8:9], s[12:13]
; %bb.3022:
	s_mov_b32 s10, 0x7f800001
	s_xor_b64 s[4:5], exec, -1
; %bb.3023:
	s_or_b64 exec, exec, s[8:9]
	s_and_b64 s[4:5], s[4:5], exec
	s_or_saveexec_b64 s[6:7], s[6:7]
	v_mov_b32_e32 v6, s10
	s_xor_b64 exec, exec, s[6:7]
	s_cbranch_execz .LBB13_974
.LBB13_3024:
	v_mov_b32_e32 v6, 0
	v_cmp_ne_u16_sdwa s[8:9], v3, v6 src0_sel:BYTE_0 src1_sel:DWORD
	s_andn2_b64 s[4:5], s[4:5], exec
	s_and_b64 s[8:9], s[8:9], exec
	s_or_b64 s[4:5], s[4:5], s[8:9]
	s_or_b64 exec, exec, s[6:7]
	s_and_saveexec_b64 s[6:7], s[4:5]
	s_cbranch_execnz .LBB13_975
	s_branch .LBB13_976
.LBB13_3025:
	s_movk_i32 s4, 0x80
	v_cmp_eq_u16_e32 vcc, s4, v3
	s_mov_b64 s[4:5], -1
                                        ; implicit-def: $sgpr10
	s_and_saveexec_b64 s[8:9], vcc
; %bb.3026:
	s_mov_b32 s10, 0x7f800001
	s_xor_b64 s[4:5], exec, -1
; %bb.3027:
	s_or_b64 exec, exec, s[8:9]
	s_and_b64 s[4:5], s[4:5], exec
                                        ; implicit-def: $vgpr3
	s_or_saveexec_b64 s[6:7], s[6:7]
	v_mov_b32_e32 v2, s10
	s_xor_b64 exec, exec, s[6:7]
	s_cbranch_execz .LBB13_978
.LBB13_3028:
	v_cmp_ne_u16_e32 vcc, 0, v3
	s_andn2_b64 s[4:5], s[4:5], exec
	s_and_b64 s[8:9], vcc, exec
	v_mov_b32_e32 v2, 0
	s_or_b64 s[4:5], s[4:5], s[8:9]
	s_or_b64 exec, exec, s[6:7]
	s_and_saveexec_b64 s[6:7], s[4:5]
	s_cbranch_execnz .LBB13_979
	s_branch .LBB13_980
.LBB13_3029:
	s_movk_i32 s4, 0x80
	v_cmp_eq_u16_e32 vcc, s4, v3
	s_mov_b64 s[4:5], -1
                                        ; implicit-def: $sgpr10
	s_and_saveexec_b64 s[8:9], vcc
; %bb.3030:
	s_mov_b32 s10, 0x7f800001
	s_xor_b64 s[4:5], exec, -1
; %bb.3031:
	s_or_b64 exec, exec, s[8:9]
	s_and_b64 s[4:5], s[4:5], exec
                                        ; implicit-def: $vgpr3
	s_or_saveexec_b64 s[6:7], s[6:7]
	v_mov_b32_e32 v6, s10
	s_xor_b64 exec, exec, s[6:7]
	s_cbranch_execz .LBB13_982
.LBB13_3032:
	v_cmp_ne_u16_e32 vcc, 0, v3
	s_andn2_b64 s[4:5], s[4:5], exec
	s_and_b64 s[8:9], vcc, exec
	v_mov_b32_e32 v6, 0
	s_or_b64 s[4:5], s[4:5], s[8:9]
	s_or_b64 exec, exec, s[6:7]
	s_and_saveexec_b64 s[6:7], s[4:5]
	s_cbranch_execnz .LBB13_983
	s_branch .LBB13_984
.LBB13_3033:
	s_movk_i32 s4, 0x80
	v_cmp_eq_u16_sdwa s[12:13], v8, s4 src0_sel:BYTE_3 src1_sel:DWORD
	s_mov_b64 s[4:5], -1
                                        ; implicit-def: $sgpr10
	s_and_saveexec_b64 s[8:9], s[12:13]
; %bb.3034:
	s_mov_b32 s10, 0x7f800001
	s_xor_b64 s[4:5], exec, -1
; %bb.3035:
	s_or_b64 exec, exec, s[8:9]
	s_and_b64 s[4:5], s[4:5], exec
	s_or_saveexec_b64 s[6:7], s[6:7]
	v_mov_b32_e32 v2, s10
	s_xor_b64 exec, exec, s[6:7]
	s_cbranch_execz .LBB13_986
.LBB13_3036:
	v_mov_b32_e32 v2, 0
	v_cmp_ne_u16_sdwa s[8:9], v8, v2 src0_sel:BYTE_3 src1_sel:DWORD
	s_andn2_b64 s[4:5], s[4:5], exec
	s_and_b64 s[8:9], s[8:9], exec
	s_or_b64 s[4:5], s[4:5], s[8:9]
	s_or_b64 exec, exec, s[6:7]
	s_and_saveexec_b64 s[6:7], s[4:5]
	s_cbranch_execnz .LBB13_987
	s_branch .LBB13_988
.LBB13_3037:
	s_movk_i32 s4, 0x80
	v_cmp_eq_u16_sdwa s[12:13], v4, s4 src0_sel:BYTE_3 src1_sel:DWORD
	s_mov_b64 s[4:5], -1
                                        ; implicit-def: $sgpr10
	s_and_saveexec_b64 s[8:9], s[12:13]
; %bb.3038:
	s_mov_b32 s10, 0x7f800001
	s_xor_b64 s[4:5], exec, -1
; %bb.3039:
	s_or_b64 exec, exec, s[8:9]
	s_and_b64 s[4:5], s[4:5], exec
	s_or_saveexec_b64 s[6:7], s[6:7]
	v_mov_b32_e32 v3, s10
	s_xor_b64 exec, exec, s[6:7]
	s_cbranch_execz .LBB13_990
.LBB13_3040:
	v_mov_b32_e32 v3, 0
	v_cmp_ne_u16_sdwa s[8:9], v4, v3 src0_sel:BYTE_3 src1_sel:DWORD
	s_andn2_b64 s[4:5], s[4:5], exec
	s_and_b64 s[8:9], s[8:9], exec
	s_or_b64 s[4:5], s[4:5], s[8:9]
	s_or_b64 exec, exec, s[6:7]
	s_and_saveexec_b64 s[6:7], s[4:5]
	s_cbranch_execnz .LBB13_991
	s_branch .LBB13_992
.LBB13_3041:
	s_movk_i32 s4, 0x80
	v_cmp_eq_u16_sdwa s[12:13], v9, s4 src0_sel:BYTE_0 src1_sel:DWORD
	s_mov_b64 s[4:5], -1
                                        ; implicit-def: $sgpr10
	s_and_saveexec_b64 s[8:9], s[12:13]
; %bb.3042:
	s_mov_b32 s10, 0x7f800001
	s_xor_b64 s[4:5], exec, -1
; %bb.3043:
	s_or_b64 exec, exec, s[8:9]
	s_and_b64 s[4:5], s[4:5], exec
	s_or_saveexec_b64 s[6:7], s[6:7]
	v_mov_b32_e32 v2, s10
	s_xor_b64 exec, exec, s[6:7]
	s_cbranch_execz .LBB13_994
.LBB13_3044:
	v_mov_b32_e32 v2, 0
	v_cmp_ne_u16_sdwa s[8:9], v9, v2 src0_sel:BYTE_0 src1_sel:DWORD
	s_andn2_b64 s[4:5], s[4:5], exec
	s_and_b64 s[8:9], s[8:9], exec
	s_or_b64 s[4:5], s[4:5], s[8:9]
	s_or_b64 exec, exec, s[6:7]
	s_and_saveexec_b64 s[6:7], s[4:5]
	s_cbranch_execnz .LBB13_995
	s_branch .LBB13_996
.LBB13_3045:
	s_movk_i32 s4, 0x80
	v_cmp_eq_u16_sdwa s[12:13], v5, s4 src0_sel:BYTE_0 src1_sel:DWORD
	s_mov_b64 s[4:5], -1
                                        ; implicit-def: $sgpr10
	s_and_saveexec_b64 s[8:9], s[12:13]
; %bb.3046:
	s_mov_b32 s10, 0x7f800001
	s_xor_b64 s[4:5], exec, -1
; %bb.3047:
	s_or_b64 exec, exec, s[8:9]
	s_and_b64 s[4:5], s[4:5], exec
	s_or_saveexec_b64 s[6:7], s[6:7]
	v_mov_b32_e32 v3, s10
	s_xor_b64 exec, exec, s[6:7]
	s_cbranch_execz .LBB13_998
.LBB13_3048:
	v_mov_b32_e32 v3, 0
	v_cmp_ne_u16_sdwa s[8:9], v5, v3 src0_sel:BYTE_0 src1_sel:DWORD
	s_andn2_b64 s[4:5], s[4:5], exec
	s_and_b64 s[8:9], s[8:9], exec
	s_or_b64 s[4:5], s[4:5], s[8:9]
	s_or_b64 exec, exec, s[6:7]
	s_and_saveexec_b64 s[6:7], s[4:5]
	s_cbranch_execnz .LBB13_999
	s_branch .LBB13_1000
.LBB13_3049:
	s_movk_i32 s4, 0x80
	v_cmp_eq_u16_sdwa s[12:13], v3, s4 src0_sel:BYTE_0 src1_sel:DWORD
	s_mov_b64 s[4:5], -1
                                        ; implicit-def: $sgpr10
	s_and_saveexec_b64 s[8:9], s[12:13]
; %bb.3050:
	s_mov_b32 s10, 0x7f800001
	s_xor_b64 s[4:5], exec, -1
; %bb.3051:
	s_or_b64 exec, exec, s[8:9]
	s_and_b64 s[4:5], s[4:5], exec
	s_or_saveexec_b64 s[6:7], s[6:7]
	v_mov_b32_e32 v2, s10
	s_xor_b64 exec, exec, s[6:7]
	s_cbranch_execz .LBB13_1002
.LBB13_3052:
	v_mov_b32_e32 v2, 0
	v_cmp_ne_u16_sdwa s[8:9], v3, v2 src0_sel:BYTE_0 src1_sel:DWORD
	s_andn2_b64 s[4:5], s[4:5], exec
	s_and_b64 s[8:9], s[8:9], exec
	s_or_b64 s[4:5], s[4:5], s[8:9]
	s_or_b64 exec, exec, s[6:7]
	s_and_saveexec_b64 s[6:7], s[4:5]
	s_cbranch_execnz .LBB13_1003
	s_branch .LBB13_1004
.LBB13_3053:
	s_movk_i32 s4, 0x80
	v_cmp_eq_u16_sdwa s[12:13], v3, s4 src0_sel:BYTE_0 src1_sel:DWORD
	s_mov_b64 s[4:5], -1
                                        ; implicit-def: $sgpr10
	s_and_saveexec_b64 s[8:9], s[12:13]
; %bb.3054:
	s_mov_b32 s10, 0x7f800001
	s_xor_b64 s[4:5], exec, -1
; %bb.3055:
	s_or_b64 exec, exec, s[8:9]
	s_and_b64 s[4:5], s[4:5], exec
	s_or_saveexec_b64 s[6:7], s[6:7]
	v_mov_b32_e32 v4, s10
	s_xor_b64 exec, exec, s[6:7]
	s_cbranch_execz .LBB13_1006
.LBB13_3056:
	v_mov_b32_e32 v4, 0
	v_cmp_ne_u16_sdwa s[8:9], v3, v4 src0_sel:BYTE_0 src1_sel:DWORD
	s_andn2_b64 s[4:5], s[4:5], exec
	s_and_b64 s[8:9], s[8:9], exec
	s_or_b64 s[4:5], s[4:5], s[8:9]
	s_or_b64 exec, exec, s[6:7]
	s_and_saveexec_b64 s[6:7], s[4:5]
	s_cbranch_execnz .LBB13_1007
	s_branch .LBB13_1008
.LBB13_3057:
	s_movk_i32 s4, 0x80
	v_cmp_eq_u16_e32 vcc, s4, v3
	s_mov_b64 s[4:5], -1
                                        ; implicit-def: $sgpr10
	s_and_saveexec_b64 s[8:9], vcc
; %bb.3058:
	s_mov_b32 s10, 0x7f800001
	s_xor_b64 s[4:5], exec, -1
; %bb.3059:
	s_or_b64 exec, exec, s[8:9]
	s_and_b64 s[4:5], s[4:5], exec
                                        ; implicit-def: $vgpr3
	s_or_saveexec_b64 s[6:7], s[6:7]
	v_mov_b32_e32 v2, s10
	s_xor_b64 exec, exec, s[6:7]
	s_cbranch_execz .LBB13_1010
.LBB13_3060:
	v_cmp_ne_u16_e32 vcc, 0, v3
	s_andn2_b64 s[4:5], s[4:5], exec
	s_and_b64 s[8:9], vcc, exec
	v_mov_b32_e32 v2, 0
	s_or_b64 s[4:5], s[4:5], s[8:9]
	s_or_b64 exec, exec, s[6:7]
	s_and_saveexec_b64 s[6:7], s[4:5]
	s_cbranch_execnz .LBB13_1011
	s_branch .LBB13_1012
.LBB13_3061:
	s_movk_i32 s4, 0x80
	v_cmp_eq_u16_e32 vcc, s4, v3
	s_mov_b64 s[4:5], -1
                                        ; implicit-def: $sgpr10
	s_and_saveexec_b64 s[8:9], vcc
; %bb.3062:
	s_mov_b32 s10, 0x7f800001
	s_xor_b64 s[4:5], exec, -1
; %bb.3063:
	s_or_b64 exec, exec, s[8:9]
	s_and_b64 s[4:5], s[4:5], exec
                                        ; implicit-def: $vgpr3
	s_or_saveexec_b64 s[6:7], s[6:7]
	v_mov_b32_e32 v4, s10
	s_xor_b64 exec, exec, s[6:7]
	s_cbranch_execz .LBB13_1014
.LBB13_3064:
	v_cmp_ne_u16_e32 vcc, 0, v3
	s_andn2_b64 s[4:5], s[4:5], exec
	s_and_b64 s[8:9], vcc, exec
	v_mov_b32_e32 v4, 0
	s_or_b64 s[4:5], s[4:5], s[8:9]
	s_or_b64 exec, exec, s[6:7]
	s_and_saveexec_b64 s[6:7], s[4:5]
	s_cbranch_execnz .LBB13_1015
	s_branch .LBB13_1016
.LBB13_3065:
	s_movk_i32 s4, 0x80
	v_cmp_eq_u16_sdwa s[12:13], v9, s4 src0_sel:BYTE_3 src1_sel:DWORD
	s_mov_b64 s[4:5], -1
                                        ; implicit-def: $sgpr10
	s_and_saveexec_b64 s[8:9], s[12:13]
; %bb.3066:
	s_mov_b32 s10, 0x7f800001
	s_xor_b64 s[4:5], exec, -1
; %bb.3067:
	s_or_b64 exec, exec, s[8:9]
	s_and_b64 s[4:5], s[4:5], exec
	s_or_saveexec_b64 s[6:7], s[6:7]
	v_mov_b32_e32 v2, s10
	s_xor_b64 exec, exec, s[6:7]
	s_cbranch_execz .LBB13_1018
.LBB13_3068:
	v_mov_b32_e32 v2, 0
	v_cmp_ne_u16_sdwa s[8:9], v9, v2 src0_sel:BYTE_3 src1_sel:DWORD
	s_andn2_b64 s[4:5], s[4:5], exec
	s_and_b64 s[8:9], s[8:9], exec
	s_or_b64 s[4:5], s[4:5], s[8:9]
	s_or_b64 exec, exec, s[6:7]
	s_and_saveexec_b64 s[6:7], s[4:5]
	s_cbranch_execnz .LBB13_1019
	s_branch .LBB13_1020
.LBB13_3069:
	s_movk_i32 s4, 0x80
	v_cmp_eq_u16_sdwa s[12:13], v5, s4 src0_sel:BYTE_3 src1_sel:DWORD
	s_mov_b64 s[4:5], -1
                                        ; implicit-def: $sgpr10
	s_and_saveexec_b64 s[8:9], s[12:13]
; %bb.3070:
	s_mov_b32 s10, 0x7f800001
	s_xor_b64 s[4:5], exec, -1
; %bb.3071:
	s_or_b64 exec, exec, s[8:9]
	s_and_b64 s[4:5], s[4:5], exec
	s_or_saveexec_b64 s[6:7], s[6:7]
	v_mov_b32_e32 v3, s10
	s_xor_b64 exec, exec, s[6:7]
	s_cbranch_execz .LBB13_1022
.LBB13_3072:
	v_mov_b32_e32 v3, 0
	v_cmp_ne_u16_sdwa s[8:9], v5, v3 src0_sel:BYTE_3 src1_sel:DWORD
	s_andn2_b64 s[4:5], s[4:5], exec
	s_and_b64 s[8:9], s[8:9], exec
	s_or_b64 s[4:5], s[4:5], s[8:9]
	s_or_b64 exec, exec, s[6:7]
	s_and_saveexec_b64 s[6:7], s[4:5]
	s_cbranch_execnz .LBB13_1023
	s_branch .LBB13_1024
.LBB13_3073:
	s_movk_i32 s4, 0x80
	v_cmp_eq_u16_sdwa s[12:13], v6, s4 src0_sel:BYTE_0 src1_sel:DWORD
	s_mov_b64 s[4:5], -1
                                        ; implicit-def: $sgpr10
	s_and_saveexec_b64 s[8:9], s[12:13]
; %bb.3074:
	s_mov_b32 s10, 0x7f800001
	s_xor_b64 s[4:5], exec, -1
; %bb.3075:
	s_or_b64 exec, exec, s[8:9]
	s_and_b64 s[4:5], s[4:5], exec
	s_or_saveexec_b64 s[6:7], s[6:7]
	v_mov_b32_e32 v12, s10
	s_xor_b64 exec, exec, s[6:7]
	s_cbranch_execz .LBB13_1026
.LBB13_3076:
	v_mov_b32_e32 v12, 0
	v_cmp_ne_u16_sdwa s[8:9], v6, v12 src0_sel:BYTE_0 src1_sel:DWORD
	s_andn2_b64 s[4:5], s[4:5], exec
	s_and_b64 s[8:9], s[8:9], exec
	s_or_b64 s[4:5], s[4:5], s[8:9]
	s_or_b64 exec, exec, s[6:7]
	s_and_saveexec_b64 s[6:7], s[4:5]
	s_cbranch_execnz .LBB13_1027
	s_branch .LBB13_1028
.LBB13_3077:
	s_movk_i32 s4, 0x80
	v_cmp_eq_u16_sdwa s[12:13], v2, s4 src0_sel:BYTE_0 src1_sel:DWORD
	s_mov_b64 s[4:5], -1
                                        ; implicit-def: $sgpr10
	s_and_saveexec_b64 s[8:9], s[12:13]
; %bb.3078:
	s_mov_b32 s10, 0x7f800001
	s_xor_b64 s[4:5], exec, -1
; %bb.3079:
	s_or_b64 exec, exec, s[8:9]
	s_and_b64 s[4:5], s[4:5], exec
	s_or_saveexec_b64 s[6:7], s[6:7]
	v_mov_b32_e32 v13, s10
	s_xor_b64 exec, exec, s[6:7]
	s_cbranch_execz .LBB13_1030
.LBB13_3080:
	v_mov_b32_e32 v13, 0
	v_cmp_ne_u16_sdwa s[8:9], v2, v13 src0_sel:BYTE_0 src1_sel:DWORD
	s_andn2_b64 s[4:5], s[4:5], exec
	s_and_b64 s[8:9], s[8:9], exec
	s_or_b64 s[4:5], s[4:5], s[8:9]
	s_or_b64 exec, exec, s[6:7]
	s_and_saveexec_b64 s[6:7], s[4:5]
	s_cbranch_execnz .LBB13_1031
	s_branch .LBB13_1032
.LBB13_3081:
	s_movk_i32 s4, 0x80
	v_cmp_eq_u16_sdwa s[12:13], v13, s4 src0_sel:BYTE_0 src1_sel:DWORD
	s_mov_b64 s[4:5], -1
                                        ; implicit-def: $sgpr10
	s_and_saveexec_b64 s[8:9], s[12:13]
; %bb.3082:
	s_mov_b32 s10, 0x7f800001
	s_xor_b64 s[4:5], exec, -1
; %bb.3083:
	s_or_b64 exec, exec, s[8:9]
	s_and_b64 s[4:5], s[4:5], exec
	s_or_saveexec_b64 s[6:7], s[6:7]
	v_mov_b32_e32 v12, s10
	s_xor_b64 exec, exec, s[6:7]
	s_cbranch_execz .LBB13_1034
.LBB13_3084:
	v_mov_b32_e32 v12, 0
	v_cmp_ne_u16_sdwa s[8:9], v13, v12 src0_sel:BYTE_0 src1_sel:DWORD
	s_andn2_b64 s[4:5], s[4:5], exec
	s_and_b64 s[8:9], s[8:9], exec
	s_or_b64 s[4:5], s[4:5], s[8:9]
	s_or_b64 exec, exec, s[6:7]
	s_and_saveexec_b64 s[6:7], s[4:5]
	s_cbranch_execnz .LBB13_1035
	s_branch .LBB13_1036
.LBB13_3085:
	s_movk_i32 s4, 0x80
	v_cmp_eq_u16_sdwa s[12:13], v13, s4 src0_sel:BYTE_0 src1_sel:DWORD
	s_mov_b64 s[4:5], -1
                                        ; implicit-def: $sgpr10
	s_and_saveexec_b64 s[8:9], s[12:13]
; %bb.3086:
	s_mov_b32 s10, 0x7f800001
	s_xor_b64 s[4:5], exec, -1
; %bb.3087:
	s_or_b64 exec, exec, s[8:9]
	s_and_b64 s[4:5], s[4:5], exec
	s_or_saveexec_b64 s[6:7], s[6:7]
	v_mov_b32_e32 v14, s10
	s_xor_b64 exec, exec, s[6:7]
	s_cbranch_execz .LBB13_1038
.LBB13_3088:
	v_mov_b32_e32 v14, 0
	v_cmp_ne_u16_sdwa s[8:9], v13, v14 src0_sel:BYTE_0 src1_sel:DWORD
	s_andn2_b64 s[4:5], s[4:5], exec
	s_and_b64 s[8:9], s[8:9], exec
	s_or_b64 s[4:5], s[4:5], s[8:9]
	s_or_b64 exec, exec, s[6:7]
	s_and_saveexec_b64 s[6:7], s[4:5]
	s_cbranch_execnz .LBB13_1039
	s_branch .LBB13_1040
.LBB13_3089:
	s_movk_i32 s4, 0x80
	v_cmp_eq_u16_e32 vcc, s4, v13
	s_mov_b64 s[4:5], -1
                                        ; implicit-def: $sgpr10
	s_and_saveexec_b64 s[8:9], vcc
; %bb.3090:
	s_mov_b32 s10, 0x7f800001
	s_xor_b64 s[4:5], exec, -1
; %bb.3091:
	s_or_b64 exec, exec, s[8:9]
	s_and_b64 s[4:5], s[4:5], exec
                                        ; implicit-def: $vgpr13
	s_or_saveexec_b64 s[6:7], s[6:7]
	v_mov_b32_e32 v12, s10
	s_xor_b64 exec, exec, s[6:7]
	s_cbranch_execz .LBB13_1042
.LBB13_3092:
	v_cmp_ne_u16_e32 vcc, 0, v13
	s_andn2_b64 s[4:5], s[4:5], exec
	s_and_b64 s[8:9], vcc, exec
	v_mov_b32_e32 v12, 0
	s_or_b64 s[4:5], s[4:5], s[8:9]
	s_or_b64 exec, exec, s[6:7]
	s_and_saveexec_b64 s[6:7], s[4:5]
	s_cbranch_execnz .LBB13_1043
	s_branch .LBB13_1044
.LBB13_3093:
	s_movk_i32 s4, 0x80
	v_cmp_eq_u16_e32 vcc, s4, v13
	s_mov_b64 s[4:5], -1
                                        ; implicit-def: $sgpr10
	s_and_saveexec_b64 s[8:9], vcc
; %bb.3094:
	s_mov_b32 s10, 0x7f800001
	s_xor_b64 s[4:5], exec, -1
; %bb.3095:
	s_or_b64 exec, exec, s[8:9]
	s_and_b64 s[4:5], s[4:5], exec
                                        ; implicit-def: $vgpr13
	s_or_saveexec_b64 s[6:7], s[6:7]
	v_mov_b32_e32 v14, s10
	s_xor_b64 exec, exec, s[6:7]
	s_cbranch_execz .LBB13_1046
.LBB13_3096:
	v_cmp_ne_u16_e32 vcc, 0, v13
	s_andn2_b64 s[4:5], s[4:5], exec
	s_and_b64 s[8:9], vcc, exec
	v_mov_b32_e32 v14, 0
	s_or_b64 s[4:5], s[4:5], s[8:9]
	s_or_b64 exec, exec, s[6:7]
	s_and_saveexec_b64 s[6:7], s[4:5]
	s_cbranch_execnz .LBB13_1047
	s_branch .LBB13_1048
.LBB13_3097:
	s_movk_i32 s4, 0x80
	v_cmp_eq_u16_sdwa s[12:13], v6, s4 src0_sel:BYTE_3 src1_sel:DWORD
	s_mov_b64 s[4:5], -1
                                        ; implicit-def: $sgpr10
	s_and_saveexec_b64 s[8:9], s[12:13]
; %bb.3098:
	s_mov_b32 s10, 0x7f800001
	s_xor_b64 s[4:5], exec, -1
; %bb.3099:
	s_or_b64 exec, exec, s[8:9]
	s_and_b64 s[4:5], s[4:5], exec
	s_or_saveexec_b64 s[6:7], s[6:7]
	v_mov_b32_e32 v12, s10
	s_xor_b64 exec, exec, s[6:7]
	s_cbranch_execz .LBB13_1050
.LBB13_3100:
	v_mov_b32_e32 v12, 0
	v_cmp_ne_u16_sdwa s[8:9], v6, v12 src0_sel:BYTE_3 src1_sel:DWORD
	s_andn2_b64 s[4:5], s[4:5], exec
	s_and_b64 s[8:9], s[8:9], exec
	s_or_b64 s[4:5], s[4:5], s[8:9]
	s_or_b64 exec, exec, s[6:7]
	s_and_saveexec_b64 s[6:7], s[4:5]
	s_cbranch_execnz .LBB13_1051
	s_branch .LBB13_1052
.LBB13_3101:
	s_movk_i32 s4, 0x80
	v_cmp_eq_u16_sdwa s[12:13], v2, s4 src0_sel:BYTE_3 src1_sel:DWORD
	s_mov_b64 s[4:5], -1
                                        ; implicit-def: $sgpr10
	s_and_saveexec_b64 s[8:9], s[12:13]
; %bb.3102:
	s_mov_b32 s10, 0x7f800001
	s_xor_b64 s[4:5], exec, -1
; %bb.3103:
	s_or_b64 exec, exec, s[8:9]
	s_and_b64 s[4:5], s[4:5], exec
	s_or_saveexec_b64 s[6:7], s[6:7]
	v_mov_b32_e32 v6, s10
	s_xor_b64 exec, exec, s[6:7]
	s_cbranch_execz .LBB13_1054
.LBB13_3104:
	v_mov_b32_e32 v6, 0
	v_cmp_ne_u16_sdwa s[8:9], v2, v6 src0_sel:BYTE_3 src1_sel:DWORD
	s_andn2_b64 s[4:5], s[4:5], exec
	s_and_b64 s[8:9], s[8:9], exec
	s_or_b64 s[4:5], s[4:5], s[8:9]
	s_or_b64 exec, exec, s[6:7]
	s_and_saveexec_b64 s[6:7], s[4:5]
	s_cbranch_execnz .LBB13_1055
	s_branch .LBB13_1056
.LBB13_3105:
	s_movk_i32 s4, 0x80
	v_cmp_eq_u16_sdwa s[12:13], v7, s4 src0_sel:BYTE_0 src1_sel:DWORD
	s_mov_b64 s[4:5], -1
                                        ; implicit-def: $sgpr10
	s_and_saveexec_b64 s[8:9], s[12:13]
; %bb.3106:
	s_mov_b32 s10, 0x7f800001
	s_xor_b64 s[4:5], exec, -1
; %bb.3107:
	s_or_b64 exec, exec, s[8:9]
	s_and_b64 s[4:5], s[4:5], exec
	s_or_saveexec_b64 s[6:7], s[6:7]
	v_mov_b32_e32 v2, s10
	s_xor_b64 exec, exec, s[6:7]
	s_cbranch_execz .LBB13_1058
.LBB13_3108:
	v_mov_b32_e32 v2, 0
	v_cmp_ne_u16_sdwa s[8:9], v7, v2 src0_sel:BYTE_0 src1_sel:DWORD
	s_andn2_b64 s[4:5], s[4:5], exec
	s_and_b64 s[8:9], s[8:9], exec
	s_or_b64 s[4:5], s[4:5], s[8:9]
	s_or_b64 exec, exec, s[6:7]
	s_and_saveexec_b64 s[6:7], s[4:5]
	s_cbranch_execnz .LBB13_1059
	s_branch .LBB13_1060
.LBB13_3109:
	s_movk_i32 s4, 0x80
	v_cmp_eq_u16_sdwa s[12:13], v3, s4 src0_sel:BYTE_0 src1_sel:DWORD
	s_mov_b64 s[4:5], -1
                                        ; implicit-def: $sgpr10
	s_and_saveexec_b64 s[8:9], s[12:13]
; %bb.3110:
	s_mov_b32 s10, 0x7f800001
	s_xor_b64 s[4:5], exec, -1
; %bb.3111:
	s_or_b64 exec, exec, s[8:9]
	s_and_b64 s[4:5], s[4:5], exec
	s_or_saveexec_b64 s[6:7], s[6:7]
	v_mov_b32_e32 v6, s10
	s_xor_b64 exec, exec, s[6:7]
	s_cbranch_execz .LBB13_1062
.LBB13_3112:
	v_mov_b32_e32 v6, 0
	v_cmp_ne_u16_sdwa s[8:9], v3, v6 src0_sel:BYTE_0 src1_sel:DWORD
	s_andn2_b64 s[4:5], s[4:5], exec
	s_and_b64 s[8:9], s[8:9], exec
	s_or_b64 s[4:5], s[4:5], s[8:9]
	s_or_b64 exec, exec, s[6:7]
	s_and_saveexec_b64 s[6:7], s[4:5]
	s_cbranch_execnz .LBB13_1063
	s_branch .LBB13_1064
.LBB13_3113:
	s_movk_i32 s4, 0x80
	v_cmp_eq_u16_sdwa s[12:13], v6, s4 src0_sel:BYTE_0 src1_sel:DWORD
	s_mov_b64 s[4:5], -1
                                        ; implicit-def: $sgpr10
	s_and_saveexec_b64 s[8:9], s[12:13]
; %bb.3114:
	s_mov_b32 s10, 0x7f800001
	s_xor_b64 s[4:5], exec, -1
; %bb.3115:
	s_or_b64 exec, exec, s[8:9]
	s_and_b64 s[4:5], s[4:5], exec
	s_or_saveexec_b64 s[6:7], s[6:7]
	v_mov_b32_e32 v2, s10
	s_xor_b64 exec, exec, s[6:7]
	s_cbranch_execz .LBB13_1066
.LBB13_3116:
	v_mov_b32_e32 v2, 0
	v_cmp_ne_u16_sdwa s[8:9], v6, v2 src0_sel:BYTE_0 src1_sel:DWORD
	s_andn2_b64 s[4:5], s[4:5], exec
	s_and_b64 s[8:9], s[8:9], exec
	s_or_b64 s[4:5], s[4:5], s[8:9]
	s_or_b64 exec, exec, s[6:7]
	s_and_saveexec_b64 s[6:7], s[4:5]
	s_cbranch_execnz .LBB13_1067
	s_branch .LBB13_1068
.LBB13_3117:
	s_movk_i32 s4, 0x80
	v_cmp_eq_u16_sdwa s[12:13], v6, s4 src0_sel:BYTE_0 src1_sel:DWORD
	s_mov_b64 s[4:5], -1
                                        ; implicit-def: $sgpr10
	s_and_saveexec_b64 s[8:9], s[12:13]
; %bb.3118:
	s_mov_b32 s10, 0x7f800001
	s_xor_b64 s[4:5], exec, -1
; %bb.3119:
	s_or_b64 exec, exec, s[8:9]
	s_and_b64 s[4:5], s[4:5], exec
	s_or_saveexec_b64 s[6:7], s[6:7]
	v_mov_b32_e32 v12, s10
	s_xor_b64 exec, exec, s[6:7]
	s_cbranch_execz .LBB13_1070
.LBB13_3120:
	v_mov_b32_e32 v12, 0
	v_cmp_ne_u16_sdwa s[8:9], v6, v12 src0_sel:BYTE_0 src1_sel:DWORD
	s_andn2_b64 s[4:5], s[4:5], exec
	s_and_b64 s[8:9], s[8:9], exec
	s_or_b64 s[4:5], s[4:5], s[8:9]
	s_or_b64 exec, exec, s[6:7]
	s_and_saveexec_b64 s[6:7], s[4:5]
	s_cbranch_execnz .LBB13_1071
	s_branch .LBB13_1072
.LBB13_3121:
	s_movk_i32 s4, 0x80
	v_cmp_eq_u16_e32 vcc, s4, v6
	s_mov_b64 s[4:5], -1
                                        ; implicit-def: $sgpr10
	s_and_saveexec_b64 s[8:9], vcc
; %bb.3122:
	s_mov_b32 s10, 0x7f800001
	s_xor_b64 s[4:5], exec, -1
; %bb.3123:
	s_or_b64 exec, exec, s[8:9]
	s_and_b64 s[4:5], s[4:5], exec
                                        ; implicit-def: $vgpr6
	s_or_saveexec_b64 s[6:7], s[6:7]
	v_mov_b32_e32 v2, s10
	s_xor_b64 exec, exec, s[6:7]
	s_cbranch_execz .LBB13_1074
.LBB13_3124:
	v_cmp_ne_u16_e32 vcc, 0, v6
	s_andn2_b64 s[4:5], s[4:5], exec
	s_and_b64 s[8:9], vcc, exec
	v_mov_b32_e32 v2, 0
	s_or_b64 s[4:5], s[4:5], s[8:9]
	s_or_b64 exec, exec, s[6:7]
	s_and_saveexec_b64 s[6:7], s[4:5]
	s_cbranch_execnz .LBB13_1075
	s_branch .LBB13_1076
.LBB13_3125:
	s_movk_i32 s4, 0x80
	v_cmp_eq_u16_e32 vcc, s4, v6
	s_mov_b64 s[4:5], -1
                                        ; implicit-def: $sgpr10
	s_and_saveexec_b64 s[8:9], vcc
; %bb.3126:
	s_mov_b32 s10, 0x7f800001
	s_xor_b64 s[4:5], exec, -1
; %bb.3127:
	s_or_b64 exec, exec, s[8:9]
	s_and_b64 s[4:5], s[4:5], exec
                                        ; implicit-def: $vgpr6
	s_or_saveexec_b64 s[6:7], s[6:7]
	v_mov_b32_e32 v12, s10
	s_xor_b64 exec, exec, s[6:7]
	s_cbranch_execz .LBB13_1078
.LBB13_3128:
	v_cmp_ne_u16_e32 vcc, 0, v6
	s_andn2_b64 s[4:5], s[4:5], exec
	s_and_b64 s[8:9], vcc, exec
	v_mov_b32_e32 v12, 0
	s_or_b64 s[4:5], s[4:5], s[8:9]
	s_or_b64 exec, exec, s[6:7]
	s_and_saveexec_b64 s[6:7], s[4:5]
	s_cbranch_execnz .LBB13_1079
	s_branch .LBB13_1080
.LBB13_3129:
	s_movk_i32 s4, 0x80
	v_cmp_eq_u16_sdwa s[12:13], v7, s4 src0_sel:BYTE_3 src1_sel:DWORD
	s_mov_b64 s[4:5], -1
                                        ; implicit-def: $sgpr10
	s_and_saveexec_b64 s[8:9], s[12:13]
; %bb.3130:
	s_mov_b32 s10, 0x7f800001
	s_xor_b64 s[4:5], exec, -1
; %bb.3131:
	s_or_b64 exec, exec, s[8:9]
	s_and_b64 s[4:5], s[4:5], exec
	s_or_saveexec_b64 s[6:7], s[6:7]
	v_mov_b32_e32 v2, s10
	s_xor_b64 exec, exec, s[6:7]
	s_cbranch_execz .LBB13_1082
.LBB13_3132:
	v_mov_b32_e32 v2, 0
	v_cmp_ne_u16_sdwa s[8:9], v7, v2 src0_sel:BYTE_3 src1_sel:DWORD
	s_andn2_b64 s[4:5], s[4:5], exec
	s_and_b64 s[8:9], s[8:9], exec
	s_or_b64 s[4:5], s[4:5], s[8:9]
	s_or_b64 exec, exec, s[6:7]
	s_and_saveexec_b64 s[6:7], s[4:5]
	s_cbranch_execnz .LBB13_1083
	s_branch .LBB13_1084
.LBB13_3133:
	s_movk_i32 s4, 0x80
	v_cmp_eq_u16_sdwa s[12:13], v3, s4 src0_sel:BYTE_3 src1_sel:DWORD
	s_mov_b64 s[4:5], -1
                                        ; implicit-def: $sgpr10
	s_and_saveexec_b64 s[8:9], s[12:13]
; %bb.3134:
	s_mov_b32 s10, 0x7f800001
	s_xor_b64 s[4:5], exec, -1
; %bb.3135:
	s_or_b64 exec, exec, s[8:9]
	s_and_b64 s[4:5], s[4:5], exec
	s_or_saveexec_b64 s[6:7], s[6:7]
	v_mov_b32_e32 v6, s10
	s_xor_b64 exec, exec, s[6:7]
	s_cbranch_execz .LBB13_1086
.LBB13_3136:
	v_mov_b32_e32 v6, 0
	v_cmp_ne_u16_sdwa s[8:9], v3, v6 src0_sel:BYTE_3 src1_sel:DWORD
	s_andn2_b64 s[4:5], s[4:5], exec
	s_and_b64 s[8:9], s[8:9], exec
	s_or_b64 s[4:5], s[4:5], s[8:9]
	s_or_b64 exec, exec, s[6:7]
	s_and_saveexec_b64 s[6:7], s[4:5]
	s_cbranch_execnz .LBB13_1087
	s_branch .LBB13_1088
.LBB13_3137:
	s_movk_i32 s4, 0x80
	v_cmp_eq_u16_sdwa s[12:13], v8, s4 src0_sel:BYTE_0 src1_sel:DWORD
	s_mov_b64 s[4:5], -1
                                        ; implicit-def: $sgpr10
	s_and_saveexec_b64 s[8:9], s[12:13]
; %bb.3138:
	s_mov_b32 s10, 0x7f800001
	s_xor_b64 s[4:5], exec, -1
; %bb.3139:
	s_or_b64 exec, exec, s[8:9]
	s_and_b64 s[4:5], s[4:5], exec
	s_or_saveexec_b64 s[6:7], s[6:7]
	v_mov_b32_e32 v2, s10
	s_xor_b64 exec, exec, s[6:7]
	s_cbranch_execz .LBB13_1090
.LBB13_3140:
	v_mov_b32_e32 v2, 0
	v_cmp_ne_u16_sdwa s[8:9], v8, v2 src0_sel:BYTE_0 src1_sel:DWORD
	s_andn2_b64 s[4:5], s[4:5], exec
	s_and_b64 s[8:9], s[8:9], exec
	s_or_b64 s[4:5], s[4:5], s[8:9]
	s_or_b64 exec, exec, s[6:7]
	s_and_saveexec_b64 s[6:7], s[4:5]
	s_cbranch_execnz .LBB13_1091
	s_branch .LBB13_1092
.LBB13_3141:
	s_movk_i32 s4, 0x80
	v_cmp_eq_u16_sdwa s[12:13], v4, s4 src0_sel:BYTE_0 src1_sel:DWORD
	s_mov_b64 s[4:5], -1
                                        ; implicit-def: $sgpr10
	s_and_saveexec_b64 s[8:9], s[12:13]
; %bb.3142:
	s_mov_b32 s10, 0x7f800001
	s_xor_b64 s[4:5], exec, -1
; %bb.3143:
	s_or_b64 exec, exec, s[8:9]
	s_and_b64 s[4:5], s[4:5], exec
	s_or_saveexec_b64 s[6:7], s[6:7]
	v_mov_b32_e32 v3, s10
	s_xor_b64 exec, exec, s[6:7]
	s_cbranch_execz .LBB13_1094
.LBB13_3144:
	v_mov_b32_e32 v3, 0
	v_cmp_ne_u16_sdwa s[8:9], v4, v3 src0_sel:BYTE_0 src1_sel:DWORD
	s_andn2_b64 s[4:5], s[4:5], exec
	s_and_b64 s[8:9], s[8:9], exec
	s_or_b64 s[4:5], s[4:5], s[8:9]
	s_or_b64 exec, exec, s[6:7]
	s_and_saveexec_b64 s[6:7], s[4:5]
	s_cbranch_execnz .LBB13_1095
	s_branch .LBB13_1096
.LBB13_3145:
	s_movk_i32 s4, 0x80
	v_cmp_eq_u16_sdwa s[12:13], v3, s4 src0_sel:BYTE_0 src1_sel:DWORD
	s_mov_b64 s[4:5], -1
                                        ; implicit-def: $sgpr10
	s_and_saveexec_b64 s[8:9], s[12:13]
; %bb.3146:
	s_mov_b32 s10, 0x7f800001
	s_xor_b64 s[4:5], exec, -1
; %bb.3147:
	s_or_b64 exec, exec, s[8:9]
	s_and_b64 s[4:5], s[4:5], exec
	s_or_saveexec_b64 s[6:7], s[6:7]
	v_mov_b32_e32 v2, s10
	s_xor_b64 exec, exec, s[6:7]
	s_cbranch_execz .LBB13_1098
.LBB13_3148:
	v_mov_b32_e32 v2, 0
	v_cmp_ne_u16_sdwa s[8:9], v3, v2 src0_sel:BYTE_0 src1_sel:DWORD
	s_andn2_b64 s[4:5], s[4:5], exec
	s_and_b64 s[8:9], s[8:9], exec
	s_or_b64 s[4:5], s[4:5], s[8:9]
	s_or_b64 exec, exec, s[6:7]
	s_and_saveexec_b64 s[6:7], s[4:5]
	s_cbranch_execnz .LBB13_1099
	s_branch .LBB13_1100
.LBB13_3149:
	s_movk_i32 s4, 0x80
	v_cmp_eq_u16_sdwa s[12:13], v3, s4 src0_sel:BYTE_0 src1_sel:DWORD
	s_mov_b64 s[4:5], -1
                                        ; implicit-def: $sgpr10
	s_and_saveexec_b64 s[8:9], s[12:13]
; %bb.3150:
	s_mov_b32 s10, 0x7f800001
	s_xor_b64 s[4:5], exec, -1
; %bb.3151:
	s_or_b64 exec, exec, s[8:9]
	s_and_b64 s[4:5], s[4:5], exec
	s_or_saveexec_b64 s[6:7], s[6:7]
	v_mov_b32_e32 v6, s10
	s_xor_b64 exec, exec, s[6:7]
	s_cbranch_execz .LBB13_1102
.LBB13_3152:
	v_mov_b32_e32 v6, 0
	v_cmp_ne_u16_sdwa s[8:9], v3, v6 src0_sel:BYTE_0 src1_sel:DWORD
	s_andn2_b64 s[4:5], s[4:5], exec
	s_and_b64 s[8:9], s[8:9], exec
	s_or_b64 s[4:5], s[4:5], s[8:9]
	s_or_b64 exec, exec, s[6:7]
	s_and_saveexec_b64 s[6:7], s[4:5]
	s_cbranch_execnz .LBB13_1103
	s_branch .LBB13_1104
.LBB13_3153:
	s_movk_i32 s4, 0x80
	v_cmp_eq_u16_e32 vcc, s4, v3
	s_mov_b64 s[4:5], -1
                                        ; implicit-def: $sgpr10
	s_and_saveexec_b64 s[8:9], vcc
; %bb.3154:
	s_mov_b32 s10, 0x7f800001
	s_xor_b64 s[4:5], exec, -1
; %bb.3155:
	s_or_b64 exec, exec, s[8:9]
	s_and_b64 s[4:5], s[4:5], exec
                                        ; implicit-def: $vgpr3
	s_or_saveexec_b64 s[6:7], s[6:7]
	v_mov_b32_e32 v2, s10
	s_xor_b64 exec, exec, s[6:7]
	s_cbranch_execz .LBB13_1106
.LBB13_3156:
	v_cmp_ne_u16_e32 vcc, 0, v3
	s_andn2_b64 s[4:5], s[4:5], exec
	s_and_b64 s[8:9], vcc, exec
	v_mov_b32_e32 v2, 0
	s_or_b64 s[4:5], s[4:5], s[8:9]
	s_or_b64 exec, exec, s[6:7]
	s_and_saveexec_b64 s[6:7], s[4:5]
	s_cbranch_execnz .LBB13_1107
	s_branch .LBB13_1108
.LBB13_3157:
	s_movk_i32 s4, 0x80
	v_cmp_eq_u16_e32 vcc, s4, v3
	s_mov_b64 s[4:5], -1
                                        ; implicit-def: $sgpr10
	s_and_saveexec_b64 s[8:9], vcc
; %bb.3158:
	s_mov_b32 s10, 0x7f800001
	s_xor_b64 s[4:5], exec, -1
; %bb.3159:
	s_or_b64 exec, exec, s[8:9]
	s_and_b64 s[4:5], s[4:5], exec
                                        ; implicit-def: $vgpr3
	s_or_saveexec_b64 s[6:7], s[6:7]
	v_mov_b32_e32 v6, s10
	s_xor_b64 exec, exec, s[6:7]
	s_cbranch_execz .LBB13_1110
.LBB13_3160:
	v_cmp_ne_u16_e32 vcc, 0, v3
	s_andn2_b64 s[4:5], s[4:5], exec
	s_and_b64 s[8:9], vcc, exec
	v_mov_b32_e32 v6, 0
	s_or_b64 s[4:5], s[4:5], s[8:9]
	s_or_b64 exec, exec, s[6:7]
	s_and_saveexec_b64 s[6:7], s[4:5]
	s_cbranch_execnz .LBB13_1111
	s_branch .LBB13_1112
.LBB13_3161:
	s_movk_i32 s4, 0x80
	v_cmp_eq_u16_sdwa s[12:13], v8, s4 src0_sel:BYTE_3 src1_sel:DWORD
	s_mov_b64 s[4:5], -1
                                        ; implicit-def: $sgpr10
	s_and_saveexec_b64 s[8:9], s[12:13]
; %bb.3162:
	s_mov_b32 s10, 0x7f800001
	s_xor_b64 s[4:5], exec, -1
; %bb.3163:
	s_or_b64 exec, exec, s[8:9]
	s_and_b64 s[4:5], s[4:5], exec
	s_or_saveexec_b64 s[6:7], s[6:7]
	v_mov_b32_e32 v2, s10
	s_xor_b64 exec, exec, s[6:7]
	s_cbranch_execz .LBB13_1114
.LBB13_3164:
	v_mov_b32_e32 v2, 0
	v_cmp_ne_u16_sdwa s[8:9], v8, v2 src0_sel:BYTE_3 src1_sel:DWORD
	s_andn2_b64 s[4:5], s[4:5], exec
	s_and_b64 s[8:9], s[8:9], exec
	s_or_b64 s[4:5], s[4:5], s[8:9]
	s_or_b64 exec, exec, s[6:7]
	s_and_saveexec_b64 s[6:7], s[4:5]
	s_cbranch_execnz .LBB13_1115
	s_branch .LBB13_1116
.LBB13_3165:
	s_movk_i32 s4, 0x80
	v_cmp_eq_u16_sdwa s[12:13], v4, s4 src0_sel:BYTE_3 src1_sel:DWORD
	s_mov_b64 s[4:5], -1
                                        ; implicit-def: $sgpr10
	s_and_saveexec_b64 s[8:9], s[12:13]
; %bb.3166:
	s_mov_b32 s10, 0x7f800001
	s_xor_b64 s[4:5], exec, -1
; %bb.3167:
	s_or_b64 exec, exec, s[8:9]
	s_and_b64 s[4:5], s[4:5], exec
	s_or_saveexec_b64 s[6:7], s[6:7]
	v_mov_b32_e32 v3, s10
	s_xor_b64 exec, exec, s[6:7]
	s_cbranch_execz .LBB13_1118
.LBB13_3168:
	v_mov_b32_e32 v3, 0
	v_cmp_ne_u16_sdwa s[8:9], v4, v3 src0_sel:BYTE_3 src1_sel:DWORD
	s_andn2_b64 s[4:5], s[4:5], exec
	s_and_b64 s[8:9], s[8:9], exec
	s_or_b64 s[4:5], s[4:5], s[8:9]
	s_or_b64 exec, exec, s[6:7]
	s_and_saveexec_b64 s[6:7], s[4:5]
	s_cbranch_execnz .LBB13_1119
	s_branch .LBB13_1120
.LBB13_3169:
	s_movk_i32 s4, 0x80
	v_cmp_eq_u16_sdwa s[12:13], v9, s4 src0_sel:BYTE_0 src1_sel:DWORD
	s_mov_b64 s[4:5], -1
                                        ; implicit-def: $sgpr10
	s_and_saveexec_b64 s[8:9], s[12:13]
; %bb.3170:
	s_mov_b32 s10, 0x7f800001
	s_xor_b64 s[4:5], exec, -1
; %bb.3171:
	s_or_b64 exec, exec, s[8:9]
	s_and_b64 s[4:5], s[4:5], exec
	s_or_saveexec_b64 s[6:7], s[6:7]
	v_mov_b32_e32 v2, s10
	s_xor_b64 exec, exec, s[6:7]
	s_cbranch_execz .LBB13_1122
.LBB13_3172:
	v_mov_b32_e32 v2, 0
	v_cmp_ne_u16_sdwa s[8:9], v9, v2 src0_sel:BYTE_0 src1_sel:DWORD
	s_andn2_b64 s[4:5], s[4:5], exec
	s_and_b64 s[8:9], s[8:9], exec
	s_or_b64 s[4:5], s[4:5], s[8:9]
	s_or_b64 exec, exec, s[6:7]
	s_and_saveexec_b64 s[6:7], s[4:5]
	s_cbranch_execnz .LBB13_1123
	s_branch .LBB13_1124
.LBB13_3173:
	s_movk_i32 s4, 0x80
	v_cmp_eq_u16_sdwa s[12:13], v5, s4 src0_sel:BYTE_0 src1_sel:DWORD
	s_mov_b64 s[4:5], -1
                                        ; implicit-def: $sgpr10
	s_and_saveexec_b64 s[8:9], s[12:13]
; %bb.3174:
	s_mov_b32 s10, 0x7f800001
	s_xor_b64 s[4:5], exec, -1
; %bb.3175:
	s_or_b64 exec, exec, s[8:9]
	s_and_b64 s[4:5], s[4:5], exec
	s_or_saveexec_b64 s[6:7], s[6:7]
	v_mov_b32_e32 v3, s10
	s_xor_b64 exec, exec, s[6:7]
	s_cbranch_execz .LBB13_1126
.LBB13_3176:
	v_mov_b32_e32 v3, 0
	v_cmp_ne_u16_sdwa s[8:9], v5, v3 src0_sel:BYTE_0 src1_sel:DWORD
	s_andn2_b64 s[4:5], s[4:5], exec
	s_and_b64 s[8:9], s[8:9], exec
	s_or_b64 s[4:5], s[4:5], s[8:9]
	s_or_b64 exec, exec, s[6:7]
	s_and_saveexec_b64 s[6:7], s[4:5]
	s_cbranch_execnz .LBB13_1127
	s_branch .LBB13_1128
.LBB13_3177:
	s_movk_i32 s4, 0x80
	v_cmp_eq_u16_sdwa s[12:13], v3, s4 src0_sel:BYTE_0 src1_sel:DWORD
	s_mov_b64 s[4:5], -1
                                        ; implicit-def: $sgpr10
	s_and_saveexec_b64 s[8:9], s[12:13]
; %bb.3178:
	s_mov_b32 s10, 0x7f800001
	s_xor_b64 s[4:5], exec, -1
; %bb.3179:
	s_or_b64 exec, exec, s[8:9]
	s_and_b64 s[4:5], s[4:5], exec
	s_or_saveexec_b64 s[6:7], s[6:7]
	v_mov_b32_e32 v2, s10
	s_xor_b64 exec, exec, s[6:7]
	s_cbranch_execz .LBB13_1130
.LBB13_3180:
	v_mov_b32_e32 v2, 0
	v_cmp_ne_u16_sdwa s[8:9], v3, v2 src0_sel:BYTE_0 src1_sel:DWORD
	s_andn2_b64 s[4:5], s[4:5], exec
	s_and_b64 s[8:9], s[8:9], exec
	s_or_b64 s[4:5], s[4:5], s[8:9]
	s_or_b64 exec, exec, s[6:7]
	s_and_saveexec_b64 s[6:7], s[4:5]
	s_cbranch_execnz .LBB13_1131
	s_branch .LBB13_1132
.LBB13_3181:
	s_movk_i32 s4, 0x80
	v_cmp_eq_u16_sdwa s[12:13], v3, s4 src0_sel:BYTE_0 src1_sel:DWORD
	s_mov_b64 s[4:5], -1
                                        ; implicit-def: $sgpr10
	s_and_saveexec_b64 s[8:9], s[12:13]
; %bb.3182:
	s_mov_b32 s10, 0x7f800001
	s_xor_b64 s[4:5], exec, -1
; %bb.3183:
	s_or_b64 exec, exec, s[8:9]
	s_and_b64 s[4:5], s[4:5], exec
	s_or_saveexec_b64 s[6:7], s[6:7]
	v_mov_b32_e32 v4, s10
	s_xor_b64 exec, exec, s[6:7]
	s_cbranch_execz .LBB13_1134
.LBB13_3184:
	v_mov_b32_e32 v4, 0
	v_cmp_ne_u16_sdwa s[8:9], v3, v4 src0_sel:BYTE_0 src1_sel:DWORD
	s_andn2_b64 s[4:5], s[4:5], exec
	s_and_b64 s[8:9], s[8:9], exec
	s_or_b64 s[4:5], s[4:5], s[8:9]
	s_or_b64 exec, exec, s[6:7]
	s_and_saveexec_b64 s[6:7], s[4:5]
	s_cbranch_execnz .LBB13_1135
	s_branch .LBB13_1136
.LBB13_3185:
	s_movk_i32 s4, 0x80
	v_cmp_eq_u16_e32 vcc, s4, v3
	s_mov_b64 s[4:5], -1
                                        ; implicit-def: $sgpr10
	s_and_saveexec_b64 s[8:9], vcc
; %bb.3186:
	s_mov_b32 s10, 0x7f800001
	s_xor_b64 s[4:5], exec, -1
; %bb.3187:
	s_or_b64 exec, exec, s[8:9]
	s_and_b64 s[4:5], s[4:5], exec
                                        ; implicit-def: $vgpr3
	s_or_saveexec_b64 s[6:7], s[6:7]
	v_mov_b32_e32 v2, s10
	s_xor_b64 exec, exec, s[6:7]
	s_cbranch_execz .LBB13_1138
.LBB13_3188:
	v_cmp_ne_u16_e32 vcc, 0, v3
	s_andn2_b64 s[4:5], s[4:5], exec
	s_and_b64 s[8:9], vcc, exec
	v_mov_b32_e32 v2, 0
	s_or_b64 s[4:5], s[4:5], s[8:9]
	s_or_b64 exec, exec, s[6:7]
	s_and_saveexec_b64 s[6:7], s[4:5]
	s_cbranch_execnz .LBB13_1139
	s_branch .LBB13_1140
.LBB13_3189:
	s_movk_i32 s4, 0x80
	v_cmp_eq_u16_e32 vcc, s4, v3
	s_mov_b64 s[4:5], -1
                                        ; implicit-def: $sgpr10
	s_and_saveexec_b64 s[8:9], vcc
; %bb.3190:
	s_mov_b32 s10, 0x7f800001
	s_xor_b64 s[4:5], exec, -1
; %bb.3191:
	s_or_b64 exec, exec, s[8:9]
	s_and_b64 s[4:5], s[4:5], exec
                                        ; implicit-def: $vgpr3
	s_or_saveexec_b64 s[6:7], s[6:7]
	v_mov_b32_e32 v4, s10
	s_xor_b64 exec, exec, s[6:7]
	s_cbranch_execz .LBB13_1142
.LBB13_3192:
	v_cmp_ne_u16_e32 vcc, 0, v3
	s_andn2_b64 s[4:5], s[4:5], exec
	s_and_b64 s[8:9], vcc, exec
	v_mov_b32_e32 v4, 0
	s_or_b64 s[4:5], s[4:5], s[8:9]
	s_or_b64 exec, exec, s[6:7]
	s_and_saveexec_b64 s[6:7], s[4:5]
	s_cbranch_execnz .LBB13_1143
	s_branch .LBB13_1144
.LBB13_3193:
	s_movk_i32 s4, 0x80
	v_cmp_eq_u16_sdwa s[12:13], v9, s4 src0_sel:BYTE_3 src1_sel:DWORD
	s_mov_b64 s[4:5], -1
                                        ; implicit-def: $sgpr10
	s_and_saveexec_b64 s[8:9], s[12:13]
; %bb.3194:
	s_mov_b32 s10, 0x7f800001
	s_xor_b64 s[4:5], exec, -1
; %bb.3195:
	s_or_b64 exec, exec, s[8:9]
	s_and_b64 s[4:5], s[4:5], exec
	s_or_saveexec_b64 s[6:7], s[6:7]
	v_mov_b32_e32 v2, s10
	s_xor_b64 exec, exec, s[6:7]
	s_cbranch_execz .LBB13_1146
.LBB13_3196:
	v_mov_b32_e32 v2, 0
	v_cmp_ne_u16_sdwa s[8:9], v9, v2 src0_sel:BYTE_3 src1_sel:DWORD
	s_andn2_b64 s[4:5], s[4:5], exec
	s_and_b64 s[8:9], s[8:9], exec
	s_or_b64 s[4:5], s[4:5], s[8:9]
	s_or_b64 exec, exec, s[6:7]
	s_and_saveexec_b64 s[6:7], s[4:5]
	s_cbranch_execnz .LBB13_1147
	s_branch .LBB13_1148
.LBB13_3197:
	s_movk_i32 s4, 0x80
	v_cmp_eq_u16_sdwa s[12:13], v5, s4 src0_sel:BYTE_3 src1_sel:DWORD
	s_mov_b64 s[4:5], -1
                                        ; implicit-def: $sgpr10
	s_and_saveexec_b64 s[8:9], s[12:13]
; %bb.3198:
	s_mov_b32 s10, 0x7f800001
	s_xor_b64 s[4:5], exec, -1
; %bb.3199:
	s_or_b64 exec, exec, s[8:9]
	s_and_b64 s[4:5], s[4:5], exec
	s_or_saveexec_b64 s[6:7], s[6:7]
	v_mov_b32_e32 v3, s10
	s_xor_b64 exec, exec, s[6:7]
	s_cbranch_execz .LBB13_1150
.LBB13_3200:
	v_mov_b32_e32 v3, 0
	v_cmp_ne_u16_sdwa s[8:9], v5, v3 src0_sel:BYTE_3 src1_sel:DWORD
	s_andn2_b64 s[4:5], s[4:5], exec
	s_and_b64 s[8:9], s[8:9], exec
	s_or_b64 s[4:5], s[4:5], s[8:9]
	s_or_b64 exec, exec, s[6:7]
	s_and_saveexec_b64 s[6:7], s[4:5]
	s_cbranch_execnz .LBB13_1151
	s_branch .LBB13_1152
.LBB13_3201:
	s_movk_i32 s4, 0x80
	v_cmp_eq_u16_sdwa s[12:13], v6, s4 src0_sel:BYTE_0 src1_sel:DWORD
	s_mov_b64 s[4:5], -1
                                        ; implicit-def: $sgpr10
	s_and_saveexec_b64 s[8:9], s[12:13]
; %bb.3202:
	s_mov_b32 s10, 0x7f800001
	s_xor_b64 s[4:5], exec, -1
; %bb.3203:
	s_or_b64 exec, exec, s[8:9]
	s_and_b64 s[4:5], s[4:5], exec
	s_or_saveexec_b64 s[6:7], s[6:7]
	v_mov_b32_e32 v12, s10
	s_xor_b64 exec, exec, s[6:7]
	s_cbranch_execz .LBB13_1154
.LBB13_3204:
	v_mov_b32_e32 v12, 0
	v_cmp_ne_u16_sdwa s[8:9], v6, v12 src0_sel:BYTE_0 src1_sel:DWORD
	s_andn2_b64 s[4:5], s[4:5], exec
	s_and_b64 s[8:9], s[8:9], exec
	s_or_b64 s[4:5], s[4:5], s[8:9]
	s_or_b64 exec, exec, s[6:7]
	s_and_saveexec_b64 s[6:7], s[4:5]
	s_cbranch_execnz .LBB13_1155
	s_branch .LBB13_1156
.LBB13_3205:
	s_movk_i32 s4, 0x80
	v_cmp_eq_u16_sdwa s[12:13], v2, s4 src0_sel:BYTE_0 src1_sel:DWORD
	s_mov_b64 s[4:5], -1
                                        ; implicit-def: $sgpr10
	s_and_saveexec_b64 s[8:9], s[12:13]
; %bb.3206:
	s_mov_b32 s10, 0x7f800001
	s_xor_b64 s[4:5], exec, -1
; %bb.3207:
	s_or_b64 exec, exec, s[8:9]
	s_and_b64 s[4:5], s[4:5], exec
	s_or_saveexec_b64 s[6:7], s[6:7]
	v_mov_b32_e32 v13, s10
	s_xor_b64 exec, exec, s[6:7]
	s_cbranch_execz .LBB13_1158
.LBB13_3208:
	v_mov_b32_e32 v13, 0
	v_cmp_ne_u16_sdwa s[8:9], v2, v13 src0_sel:BYTE_0 src1_sel:DWORD
	s_andn2_b64 s[4:5], s[4:5], exec
	s_and_b64 s[8:9], s[8:9], exec
	s_or_b64 s[4:5], s[4:5], s[8:9]
	s_or_b64 exec, exec, s[6:7]
	s_and_saveexec_b64 s[6:7], s[4:5]
	s_cbranch_execnz .LBB13_1159
	s_branch .LBB13_1160
.LBB13_3209:
	s_movk_i32 s4, 0x80
	v_cmp_eq_u16_sdwa s[12:13], v13, s4 src0_sel:BYTE_0 src1_sel:DWORD
	s_mov_b64 s[4:5], -1
                                        ; implicit-def: $sgpr10
	s_and_saveexec_b64 s[8:9], s[12:13]
; %bb.3210:
	s_mov_b32 s10, 0x7f800001
	s_xor_b64 s[4:5], exec, -1
; %bb.3211:
	s_or_b64 exec, exec, s[8:9]
	s_and_b64 s[4:5], s[4:5], exec
	s_or_saveexec_b64 s[6:7], s[6:7]
	v_mov_b32_e32 v12, s10
	s_xor_b64 exec, exec, s[6:7]
	s_cbranch_execz .LBB13_1162
.LBB13_3212:
	v_mov_b32_e32 v12, 0
	v_cmp_ne_u16_sdwa s[8:9], v13, v12 src0_sel:BYTE_0 src1_sel:DWORD
	s_andn2_b64 s[4:5], s[4:5], exec
	s_and_b64 s[8:9], s[8:9], exec
	s_or_b64 s[4:5], s[4:5], s[8:9]
	s_or_b64 exec, exec, s[6:7]
	s_and_saveexec_b64 s[6:7], s[4:5]
	s_cbranch_execnz .LBB13_1163
	s_branch .LBB13_1164
.LBB13_3213:
	s_movk_i32 s4, 0x80
	v_cmp_eq_u16_sdwa s[12:13], v13, s4 src0_sel:BYTE_0 src1_sel:DWORD
	s_mov_b64 s[4:5], -1
                                        ; implicit-def: $sgpr10
	s_and_saveexec_b64 s[8:9], s[12:13]
; %bb.3214:
	s_mov_b32 s10, 0x7f800001
	s_xor_b64 s[4:5], exec, -1
; %bb.3215:
	s_or_b64 exec, exec, s[8:9]
	s_and_b64 s[4:5], s[4:5], exec
	s_or_saveexec_b64 s[6:7], s[6:7]
	v_mov_b32_e32 v14, s10
	s_xor_b64 exec, exec, s[6:7]
	s_cbranch_execz .LBB13_1166
.LBB13_3216:
	v_mov_b32_e32 v14, 0
	v_cmp_ne_u16_sdwa s[8:9], v13, v14 src0_sel:BYTE_0 src1_sel:DWORD
	s_andn2_b64 s[4:5], s[4:5], exec
	s_and_b64 s[8:9], s[8:9], exec
	s_or_b64 s[4:5], s[4:5], s[8:9]
	s_or_b64 exec, exec, s[6:7]
	s_and_saveexec_b64 s[6:7], s[4:5]
	s_cbranch_execnz .LBB13_1167
	s_branch .LBB13_1168
.LBB13_3217:
	s_movk_i32 s4, 0x80
	v_cmp_eq_u16_e32 vcc, s4, v13
	s_mov_b64 s[4:5], -1
                                        ; implicit-def: $sgpr10
	s_and_saveexec_b64 s[8:9], vcc
; %bb.3218:
	s_mov_b32 s10, 0x7f800001
	s_xor_b64 s[4:5], exec, -1
; %bb.3219:
	s_or_b64 exec, exec, s[8:9]
	s_and_b64 s[4:5], s[4:5], exec
                                        ; implicit-def: $vgpr13
	s_or_saveexec_b64 s[6:7], s[6:7]
	v_mov_b32_e32 v12, s10
	s_xor_b64 exec, exec, s[6:7]
	s_cbranch_execz .LBB13_1170
.LBB13_3220:
	v_cmp_ne_u16_e32 vcc, 0, v13
	s_andn2_b64 s[4:5], s[4:5], exec
	s_and_b64 s[8:9], vcc, exec
	v_mov_b32_e32 v12, 0
	s_or_b64 s[4:5], s[4:5], s[8:9]
	s_or_b64 exec, exec, s[6:7]
	s_and_saveexec_b64 s[6:7], s[4:5]
	s_cbranch_execnz .LBB13_1171
	s_branch .LBB13_1172
.LBB13_3221:
	s_movk_i32 s4, 0x80
	v_cmp_eq_u16_e32 vcc, s4, v13
	s_mov_b64 s[4:5], -1
                                        ; implicit-def: $sgpr10
	s_and_saveexec_b64 s[8:9], vcc
; %bb.3222:
	s_mov_b32 s10, 0x7f800001
	s_xor_b64 s[4:5], exec, -1
; %bb.3223:
	s_or_b64 exec, exec, s[8:9]
	s_and_b64 s[4:5], s[4:5], exec
                                        ; implicit-def: $vgpr13
	s_or_saveexec_b64 s[6:7], s[6:7]
	v_mov_b32_e32 v14, s10
	s_xor_b64 exec, exec, s[6:7]
	s_cbranch_execz .LBB13_1174
.LBB13_3224:
	v_cmp_ne_u16_e32 vcc, 0, v13
	s_andn2_b64 s[4:5], s[4:5], exec
	s_and_b64 s[8:9], vcc, exec
	v_mov_b32_e32 v14, 0
	s_or_b64 s[4:5], s[4:5], s[8:9]
	s_or_b64 exec, exec, s[6:7]
	s_and_saveexec_b64 s[6:7], s[4:5]
	s_cbranch_execnz .LBB13_1175
	s_branch .LBB13_1176
.LBB13_3225:
	s_movk_i32 s4, 0x80
	v_cmp_eq_u16_sdwa s[12:13], v6, s4 src0_sel:BYTE_3 src1_sel:DWORD
	s_mov_b64 s[4:5], -1
                                        ; implicit-def: $sgpr10
	s_and_saveexec_b64 s[8:9], s[12:13]
; %bb.3226:
	s_mov_b32 s10, 0x7f800001
	s_xor_b64 s[4:5], exec, -1
; %bb.3227:
	s_or_b64 exec, exec, s[8:9]
	s_and_b64 s[4:5], s[4:5], exec
	s_or_saveexec_b64 s[6:7], s[6:7]
	v_mov_b32_e32 v12, s10
	s_xor_b64 exec, exec, s[6:7]
	s_cbranch_execz .LBB13_1178
.LBB13_3228:
	v_mov_b32_e32 v12, 0
	v_cmp_ne_u16_sdwa s[8:9], v6, v12 src0_sel:BYTE_3 src1_sel:DWORD
	s_andn2_b64 s[4:5], s[4:5], exec
	s_and_b64 s[8:9], s[8:9], exec
	s_or_b64 s[4:5], s[4:5], s[8:9]
	s_or_b64 exec, exec, s[6:7]
	s_and_saveexec_b64 s[6:7], s[4:5]
	s_cbranch_execnz .LBB13_1179
	s_branch .LBB13_1180
.LBB13_3229:
	s_movk_i32 s4, 0x80
	v_cmp_eq_u16_sdwa s[12:13], v2, s4 src0_sel:BYTE_3 src1_sel:DWORD
	s_mov_b64 s[4:5], -1
                                        ; implicit-def: $sgpr10
	s_and_saveexec_b64 s[8:9], s[12:13]
; %bb.3230:
	s_mov_b32 s10, 0x7f800001
	s_xor_b64 s[4:5], exec, -1
; %bb.3231:
	s_or_b64 exec, exec, s[8:9]
	s_and_b64 s[4:5], s[4:5], exec
	s_or_saveexec_b64 s[6:7], s[6:7]
	v_mov_b32_e32 v6, s10
	s_xor_b64 exec, exec, s[6:7]
	s_cbranch_execz .LBB13_1182
.LBB13_3232:
	v_mov_b32_e32 v6, 0
	v_cmp_ne_u16_sdwa s[8:9], v2, v6 src0_sel:BYTE_3 src1_sel:DWORD
	s_andn2_b64 s[4:5], s[4:5], exec
	s_and_b64 s[8:9], s[8:9], exec
	s_or_b64 s[4:5], s[4:5], s[8:9]
	s_or_b64 exec, exec, s[6:7]
	s_and_saveexec_b64 s[6:7], s[4:5]
	s_cbranch_execnz .LBB13_1183
	s_branch .LBB13_1184
.LBB13_3233:
	s_movk_i32 s4, 0x80
	v_cmp_eq_u16_sdwa s[12:13], v7, s4 src0_sel:BYTE_0 src1_sel:DWORD
	s_mov_b64 s[4:5], -1
                                        ; implicit-def: $sgpr10
	s_and_saveexec_b64 s[8:9], s[12:13]
; %bb.3234:
	s_mov_b32 s10, 0x7f800001
	s_xor_b64 s[4:5], exec, -1
; %bb.3235:
	s_or_b64 exec, exec, s[8:9]
	s_and_b64 s[4:5], s[4:5], exec
	s_or_saveexec_b64 s[6:7], s[6:7]
	v_mov_b32_e32 v2, s10
	s_xor_b64 exec, exec, s[6:7]
	s_cbranch_execz .LBB13_1186
.LBB13_3236:
	v_mov_b32_e32 v2, 0
	v_cmp_ne_u16_sdwa s[8:9], v7, v2 src0_sel:BYTE_0 src1_sel:DWORD
	s_andn2_b64 s[4:5], s[4:5], exec
	s_and_b64 s[8:9], s[8:9], exec
	s_or_b64 s[4:5], s[4:5], s[8:9]
	s_or_b64 exec, exec, s[6:7]
	s_and_saveexec_b64 s[6:7], s[4:5]
	s_cbranch_execnz .LBB13_1187
	s_branch .LBB13_1188
.LBB13_3237:
	s_movk_i32 s4, 0x80
	v_cmp_eq_u16_sdwa s[12:13], v3, s4 src0_sel:BYTE_0 src1_sel:DWORD
	s_mov_b64 s[4:5], -1
                                        ; implicit-def: $sgpr10
	s_and_saveexec_b64 s[8:9], s[12:13]
; %bb.3238:
	s_mov_b32 s10, 0x7f800001
	s_xor_b64 s[4:5], exec, -1
; %bb.3239:
	s_or_b64 exec, exec, s[8:9]
	s_and_b64 s[4:5], s[4:5], exec
	s_or_saveexec_b64 s[6:7], s[6:7]
	v_mov_b32_e32 v6, s10
	s_xor_b64 exec, exec, s[6:7]
	s_cbranch_execz .LBB13_1190
.LBB13_3240:
	v_mov_b32_e32 v6, 0
	v_cmp_ne_u16_sdwa s[8:9], v3, v6 src0_sel:BYTE_0 src1_sel:DWORD
	s_andn2_b64 s[4:5], s[4:5], exec
	s_and_b64 s[8:9], s[8:9], exec
	s_or_b64 s[4:5], s[4:5], s[8:9]
	s_or_b64 exec, exec, s[6:7]
	s_and_saveexec_b64 s[6:7], s[4:5]
	s_cbranch_execnz .LBB13_1191
	s_branch .LBB13_1192
.LBB13_3241:
	s_movk_i32 s4, 0x80
	v_cmp_eq_u16_sdwa s[12:13], v6, s4 src0_sel:BYTE_0 src1_sel:DWORD
	s_mov_b64 s[4:5], -1
                                        ; implicit-def: $sgpr10
	s_and_saveexec_b64 s[8:9], s[12:13]
; %bb.3242:
	s_mov_b32 s10, 0x7f800001
	s_xor_b64 s[4:5], exec, -1
; %bb.3243:
	s_or_b64 exec, exec, s[8:9]
	s_and_b64 s[4:5], s[4:5], exec
	s_or_saveexec_b64 s[6:7], s[6:7]
	v_mov_b32_e32 v2, s10
	s_xor_b64 exec, exec, s[6:7]
	s_cbranch_execz .LBB13_1194
.LBB13_3244:
	v_mov_b32_e32 v2, 0
	v_cmp_ne_u16_sdwa s[8:9], v6, v2 src0_sel:BYTE_0 src1_sel:DWORD
	s_andn2_b64 s[4:5], s[4:5], exec
	s_and_b64 s[8:9], s[8:9], exec
	s_or_b64 s[4:5], s[4:5], s[8:9]
	s_or_b64 exec, exec, s[6:7]
	s_and_saveexec_b64 s[6:7], s[4:5]
	s_cbranch_execnz .LBB13_1195
	s_branch .LBB13_1196
.LBB13_3245:
	s_movk_i32 s4, 0x80
	v_cmp_eq_u16_sdwa s[12:13], v6, s4 src0_sel:BYTE_0 src1_sel:DWORD
	s_mov_b64 s[4:5], -1
                                        ; implicit-def: $sgpr10
	s_and_saveexec_b64 s[8:9], s[12:13]
; %bb.3246:
	s_mov_b32 s10, 0x7f800001
	s_xor_b64 s[4:5], exec, -1
; %bb.3247:
	s_or_b64 exec, exec, s[8:9]
	s_and_b64 s[4:5], s[4:5], exec
	s_or_saveexec_b64 s[6:7], s[6:7]
	v_mov_b32_e32 v12, s10
	s_xor_b64 exec, exec, s[6:7]
	s_cbranch_execz .LBB13_1198
.LBB13_3248:
	v_mov_b32_e32 v12, 0
	v_cmp_ne_u16_sdwa s[8:9], v6, v12 src0_sel:BYTE_0 src1_sel:DWORD
	s_andn2_b64 s[4:5], s[4:5], exec
	s_and_b64 s[8:9], s[8:9], exec
	s_or_b64 s[4:5], s[4:5], s[8:9]
	s_or_b64 exec, exec, s[6:7]
	s_and_saveexec_b64 s[6:7], s[4:5]
	s_cbranch_execnz .LBB13_1199
	s_branch .LBB13_1200
.LBB13_3249:
	s_movk_i32 s4, 0x80
	v_cmp_eq_u16_e32 vcc, s4, v6
	s_mov_b64 s[4:5], -1
                                        ; implicit-def: $sgpr10
	s_and_saveexec_b64 s[8:9], vcc
; %bb.3250:
	s_mov_b32 s10, 0x7f800001
	s_xor_b64 s[4:5], exec, -1
; %bb.3251:
	s_or_b64 exec, exec, s[8:9]
	s_and_b64 s[4:5], s[4:5], exec
                                        ; implicit-def: $vgpr6
	s_or_saveexec_b64 s[6:7], s[6:7]
	v_mov_b32_e32 v2, s10
	s_xor_b64 exec, exec, s[6:7]
	s_cbranch_execz .LBB13_1202
.LBB13_3252:
	v_cmp_ne_u16_e32 vcc, 0, v6
	s_andn2_b64 s[4:5], s[4:5], exec
	s_and_b64 s[8:9], vcc, exec
	v_mov_b32_e32 v2, 0
	s_or_b64 s[4:5], s[4:5], s[8:9]
	s_or_b64 exec, exec, s[6:7]
	s_and_saveexec_b64 s[6:7], s[4:5]
	s_cbranch_execnz .LBB13_1203
	s_branch .LBB13_1204
.LBB13_3253:
	s_movk_i32 s4, 0x80
	v_cmp_eq_u16_e32 vcc, s4, v6
	s_mov_b64 s[4:5], -1
                                        ; implicit-def: $sgpr10
	s_and_saveexec_b64 s[8:9], vcc
; %bb.3254:
	s_mov_b32 s10, 0x7f800001
	s_xor_b64 s[4:5], exec, -1
; %bb.3255:
	s_or_b64 exec, exec, s[8:9]
	s_and_b64 s[4:5], s[4:5], exec
                                        ; implicit-def: $vgpr6
	s_or_saveexec_b64 s[6:7], s[6:7]
	v_mov_b32_e32 v12, s10
	s_xor_b64 exec, exec, s[6:7]
	s_cbranch_execz .LBB13_1206
.LBB13_3256:
	v_cmp_ne_u16_e32 vcc, 0, v6
	s_andn2_b64 s[4:5], s[4:5], exec
	s_and_b64 s[8:9], vcc, exec
	v_mov_b32_e32 v12, 0
	s_or_b64 s[4:5], s[4:5], s[8:9]
	s_or_b64 exec, exec, s[6:7]
	s_and_saveexec_b64 s[6:7], s[4:5]
	s_cbranch_execnz .LBB13_1207
	s_branch .LBB13_1208
.LBB13_3257:
	s_movk_i32 s4, 0x80
	v_cmp_eq_u16_sdwa s[12:13], v7, s4 src0_sel:BYTE_3 src1_sel:DWORD
	s_mov_b64 s[4:5], -1
                                        ; implicit-def: $sgpr10
	s_and_saveexec_b64 s[8:9], s[12:13]
; %bb.3258:
	s_mov_b32 s10, 0x7f800001
	s_xor_b64 s[4:5], exec, -1
; %bb.3259:
	s_or_b64 exec, exec, s[8:9]
	s_and_b64 s[4:5], s[4:5], exec
	s_or_saveexec_b64 s[6:7], s[6:7]
	v_mov_b32_e32 v2, s10
	s_xor_b64 exec, exec, s[6:7]
	s_cbranch_execz .LBB13_1210
.LBB13_3260:
	v_mov_b32_e32 v2, 0
	v_cmp_ne_u16_sdwa s[8:9], v7, v2 src0_sel:BYTE_3 src1_sel:DWORD
	s_andn2_b64 s[4:5], s[4:5], exec
	s_and_b64 s[8:9], s[8:9], exec
	s_or_b64 s[4:5], s[4:5], s[8:9]
	s_or_b64 exec, exec, s[6:7]
	s_and_saveexec_b64 s[6:7], s[4:5]
	s_cbranch_execnz .LBB13_1211
	s_branch .LBB13_1212
.LBB13_3261:
	s_movk_i32 s4, 0x80
	v_cmp_eq_u16_sdwa s[12:13], v3, s4 src0_sel:BYTE_3 src1_sel:DWORD
	s_mov_b64 s[4:5], -1
                                        ; implicit-def: $sgpr10
	s_and_saveexec_b64 s[8:9], s[12:13]
; %bb.3262:
	s_mov_b32 s10, 0x7f800001
	s_xor_b64 s[4:5], exec, -1
; %bb.3263:
	s_or_b64 exec, exec, s[8:9]
	s_and_b64 s[4:5], s[4:5], exec
	s_or_saveexec_b64 s[6:7], s[6:7]
	v_mov_b32_e32 v6, s10
	s_xor_b64 exec, exec, s[6:7]
	s_cbranch_execz .LBB13_1214
.LBB13_3264:
	v_mov_b32_e32 v6, 0
	v_cmp_ne_u16_sdwa s[8:9], v3, v6 src0_sel:BYTE_3 src1_sel:DWORD
	s_andn2_b64 s[4:5], s[4:5], exec
	s_and_b64 s[8:9], s[8:9], exec
	s_or_b64 s[4:5], s[4:5], s[8:9]
	s_or_b64 exec, exec, s[6:7]
	s_and_saveexec_b64 s[6:7], s[4:5]
	s_cbranch_execnz .LBB13_1215
	s_branch .LBB13_1216
.LBB13_3265:
	s_movk_i32 s4, 0x80
	v_cmp_eq_u16_sdwa s[12:13], v8, s4 src0_sel:BYTE_0 src1_sel:DWORD
	s_mov_b64 s[4:5], -1
                                        ; implicit-def: $sgpr10
	s_and_saveexec_b64 s[8:9], s[12:13]
; %bb.3266:
	s_mov_b32 s10, 0x7f800001
	s_xor_b64 s[4:5], exec, -1
; %bb.3267:
	s_or_b64 exec, exec, s[8:9]
	s_and_b64 s[4:5], s[4:5], exec
	s_or_saveexec_b64 s[6:7], s[6:7]
	v_mov_b32_e32 v2, s10
	s_xor_b64 exec, exec, s[6:7]
	s_cbranch_execz .LBB13_1218
.LBB13_3268:
	v_mov_b32_e32 v2, 0
	v_cmp_ne_u16_sdwa s[8:9], v8, v2 src0_sel:BYTE_0 src1_sel:DWORD
	s_andn2_b64 s[4:5], s[4:5], exec
	s_and_b64 s[8:9], s[8:9], exec
	s_or_b64 s[4:5], s[4:5], s[8:9]
	s_or_b64 exec, exec, s[6:7]
	s_and_saveexec_b64 s[6:7], s[4:5]
	s_cbranch_execnz .LBB13_1219
	s_branch .LBB13_1220
.LBB13_3269:
	s_movk_i32 s4, 0x80
	v_cmp_eq_u16_sdwa s[12:13], v4, s4 src0_sel:BYTE_0 src1_sel:DWORD
	s_mov_b64 s[4:5], -1
                                        ; implicit-def: $sgpr10
	s_and_saveexec_b64 s[8:9], s[12:13]
; %bb.3270:
	s_mov_b32 s10, 0x7f800001
	s_xor_b64 s[4:5], exec, -1
; %bb.3271:
	s_or_b64 exec, exec, s[8:9]
	s_and_b64 s[4:5], s[4:5], exec
	s_or_saveexec_b64 s[6:7], s[6:7]
	v_mov_b32_e32 v3, s10
	s_xor_b64 exec, exec, s[6:7]
	s_cbranch_execz .LBB13_1222
.LBB13_3272:
	v_mov_b32_e32 v3, 0
	v_cmp_ne_u16_sdwa s[8:9], v4, v3 src0_sel:BYTE_0 src1_sel:DWORD
	s_andn2_b64 s[4:5], s[4:5], exec
	s_and_b64 s[8:9], s[8:9], exec
	s_or_b64 s[4:5], s[4:5], s[8:9]
	s_or_b64 exec, exec, s[6:7]
	s_and_saveexec_b64 s[6:7], s[4:5]
	s_cbranch_execnz .LBB13_1223
	s_branch .LBB13_1224
.LBB13_3273:
	s_movk_i32 s4, 0x80
	v_cmp_eq_u16_sdwa s[12:13], v3, s4 src0_sel:BYTE_0 src1_sel:DWORD
	s_mov_b64 s[4:5], -1
                                        ; implicit-def: $sgpr10
	s_and_saveexec_b64 s[8:9], s[12:13]
; %bb.3274:
	s_mov_b32 s10, 0x7f800001
	s_xor_b64 s[4:5], exec, -1
; %bb.3275:
	s_or_b64 exec, exec, s[8:9]
	s_and_b64 s[4:5], s[4:5], exec
	s_or_saveexec_b64 s[6:7], s[6:7]
	v_mov_b32_e32 v2, s10
	s_xor_b64 exec, exec, s[6:7]
	s_cbranch_execz .LBB13_1226
.LBB13_3276:
	v_mov_b32_e32 v2, 0
	v_cmp_ne_u16_sdwa s[8:9], v3, v2 src0_sel:BYTE_0 src1_sel:DWORD
	s_andn2_b64 s[4:5], s[4:5], exec
	s_and_b64 s[8:9], s[8:9], exec
	s_or_b64 s[4:5], s[4:5], s[8:9]
	s_or_b64 exec, exec, s[6:7]
	s_and_saveexec_b64 s[6:7], s[4:5]
	s_cbranch_execnz .LBB13_1227
	s_branch .LBB13_1228
.LBB13_3277:
	s_movk_i32 s4, 0x80
	v_cmp_eq_u16_sdwa s[12:13], v3, s4 src0_sel:BYTE_0 src1_sel:DWORD
	s_mov_b64 s[4:5], -1
                                        ; implicit-def: $sgpr10
	s_and_saveexec_b64 s[8:9], s[12:13]
; %bb.3278:
	s_mov_b32 s10, 0x7f800001
	s_xor_b64 s[4:5], exec, -1
; %bb.3279:
	s_or_b64 exec, exec, s[8:9]
	s_and_b64 s[4:5], s[4:5], exec
	s_or_saveexec_b64 s[6:7], s[6:7]
	v_mov_b32_e32 v6, s10
	s_xor_b64 exec, exec, s[6:7]
	s_cbranch_execz .LBB13_1230
.LBB13_3280:
	v_mov_b32_e32 v6, 0
	v_cmp_ne_u16_sdwa s[8:9], v3, v6 src0_sel:BYTE_0 src1_sel:DWORD
	s_andn2_b64 s[4:5], s[4:5], exec
	s_and_b64 s[8:9], s[8:9], exec
	s_or_b64 s[4:5], s[4:5], s[8:9]
	s_or_b64 exec, exec, s[6:7]
	s_and_saveexec_b64 s[6:7], s[4:5]
	s_cbranch_execnz .LBB13_1231
	s_branch .LBB13_1232
.LBB13_3281:
	s_movk_i32 s4, 0x80
	v_cmp_eq_u16_e32 vcc, s4, v3
	s_mov_b64 s[4:5], -1
                                        ; implicit-def: $sgpr10
	s_and_saveexec_b64 s[8:9], vcc
; %bb.3282:
	s_mov_b32 s10, 0x7f800001
	s_xor_b64 s[4:5], exec, -1
; %bb.3283:
	s_or_b64 exec, exec, s[8:9]
	s_and_b64 s[4:5], s[4:5], exec
                                        ; implicit-def: $vgpr3
	s_or_saveexec_b64 s[6:7], s[6:7]
	v_mov_b32_e32 v2, s10
	s_xor_b64 exec, exec, s[6:7]
	s_cbranch_execz .LBB13_1234
.LBB13_3284:
	v_cmp_ne_u16_e32 vcc, 0, v3
	s_andn2_b64 s[4:5], s[4:5], exec
	s_and_b64 s[8:9], vcc, exec
	v_mov_b32_e32 v2, 0
	s_or_b64 s[4:5], s[4:5], s[8:9]
	s_or_b64 exec, exec, s[6:7]
	s_and_saveexec_b64 s[6:7], s[4:5]
	s_cbranch_execnz .LBB13_1235
	s_branch .LBB13_1236
.LBB13_3285:
	s_movk_i32 s4, 0x80
	v_cmp_eq_u16_e32 vcc, s4, v3
	s_mov_b64 s[4:5], -1
                                        ; implicit-def: $sgpr10
	s_and_saveexec_b64 s[8:9], vcc
; %bb.3286:
	s_mov_b32 s10, 0x7f800001
	s_xor_b64 s[4:5], exec, -1
; %bb.3287:
	s_or_b64 exec, exec, s[8:9]
	s_and_b64 s[4:5], s[4:5], exec
                                        ; implicit-def: $vgpr3
	s_or_saveexec_b64 s[6:7], s[6:7]
	v_mov_b32_e32 v6, s10
	s_xor_b64 exec, exec, s[6:7]
	s_cbranch_execz .LBB13_1238
.LBB13_3288:
	v_cmp_ne_u16_e32 vcc, 0, v3
	s_andn2_b64 s[4:5], s[4:5], exec
	s_and_b64 s[8:9], vcc, exec
	v_mov_b32_e32 v6, 0
	s_or_b64 s[4:5], s[4:5], s[8:9]
	s_or_b64 exec, exec, s[6:7]
	s_and_saveexec_b64 s[6:7], s[4:5]
	s_cbranch_execnz .LBB13_1239
	s_branch .LBB13_1240
.LBB13_3289:
	s_movk_i32 s4, 0x80
	v_cmp_eq_u16_sdwa s[12:13], v8, s4 src0_sel:BYTE_3 src1_sel:DWORD
	s_mov_b64 s[4:5], -1
                                        ; implicit-def: $sgpr10
	s_and_saveexec_b64 s[8:9], s[12:13]
; %bb.3290:
	s_mov_b32 s10, 0x7f800001
	s_xor_b64 s[4:5], exec, -1
; %bb.3291:
	s_or_b64 exec, exec, s[8:9]
	s_and_b64 s[4:5], s[4:5], exec
	s_or_saveexec_b64 s[6:7], s[6:7]
	v_mov_b32_e32 v2, s10
	s_xor_b64 exec, exec, s[6:7]
	s_cbranch_execz .LBB13_1242
.LBB13_3292:
	v_mov_b32_e32 v2, 0
	v_cmp_ne_u16_sdwa s[8:9], v8, v2 src0_sel:BYTE_3 src1_sel:DWORD
	s_andn2_b64 s[4:5], s[4:5], exec
	s_and_b64 s[8:9], s[8:9], exec
	s_or_b64 s[4:5], s[4:5], s[8:9]
	s_or_b64 exec, exec, s[6:7]
	s_and_saveexec_b64 s[6:7], s[4:5]
	s_cbranch_execnz .LBB13_1243
	s_branch .LBB13_1244
.LBB13_3293:
	s_movk_i32 s4, 0x80
	v_cmp_eq_u16_sdwa s[12:13], v4, s4 src0_sel:BYTE_3 src1_sel:DWORD
	s_mov_b64 s[4:5], -1
                                        ; implicit-def: $sgpr10
	s_and_saveexec_b64 s[8:9], s[12:13]
; %bb.3294:
	s_mov_b32 s10, 0x7f800001
	s_xor_b64 s[4:5], exec, -1
; %bb.3295:
	s_or_b64 exec, exec, s[8:9]
	s_and_b64 s[4:5], s[4:5], exec
	s_or_saveexec_b64 s[6:7], s[6:7]
	v_mov_b32_e32 v3, s10
	s_xor_b64 exec, exec, s[6:7]
	s_cbranch_execz .LBB13_1246
.LBB13_3296:
	v_mov_b32_e32 v3, 0
	v_cmp_ne_u16_sdwa s[8:9], v4, v3 src0_sel:BYTE_3 src1_sel:DWORD
	s_andn2_b64 s[4:5], s[4:5], exec
	s_and_b64 s[8:9], s[8:9], exec
	s_or_b64 s[4:5], s[4:5], s[8:9]
	s_or_b64 exec, exec, s[6:7]
	s_and_saveexec_b64 s[6:7], s[4:5]
	s_cbranch_execnz .LBB13_1247
	s_branch .LBB13_1248
.LBB13_3297:
	s_movk_i32 s4, 0x80
	v_cmp_eq_u16_sdwa s[12:13], v9, s4 src0_sel:BYTE_0 src1_sel:DWORD
	s_mov_b64 s[4:5], -1
                                        ; implicit-def: $sgpr10
	s_and_saveexec_b64 s[8:9], s[12:13]
; %bb.3298:
	s_mov_b32 s10, 0x7f800001
	s_xor_b64 s[4:5], exec, -1
; %bb.3299:
	s_or_b64 exec, exec, s[8:9]
	s_and_b64 s[4:5], s[4:5], exec
	s_or_saveexec_b64 s[6:7], s[6:7]
	v_mov_b32_e32 v2, s10
	s_xor_b64 exec, exec, s[6:7]
	s_cbranch_execz .LBB13_1250
.LBB13_3300:
	v_mov_b32_e32 v2, 0
	v_cmp_ne_u16_sdwa s[8:9], v9, v2 src0_sel:BYTE_0 src1_sel:DWORD
	s_andn2_b64 s[4:5], s[4:5], exec
	s_and_b64 s[8:9], s[8:9], exec
	s_or_b64 s[4:5], s[4:5], s[8:9]
	s_or_b64 exec, exec, s[6:7]
	s_and_saveexec_b64 s[6:7], s[4:5]
	s_cbranch_execnz .LBB13_1251
	s_branch .LBB13_1252
.LBB13_3301:
	s_movk_i32 s4, 0x80
	v_cmp_eq_u16_sdwa s[12:13], v5, s4 src0_sel:BYTE_0 src1_sel:DWORD
	s_mov_b64 s[4:5], -1
                                        ; implicit-def: $sgpr10
	s_and_saveexec_b64 s[8:9], s[12:13]
; %bb.3302:
	s_mov_b32 s10, 0x7f800001
	s_xor_b64 s[4:5], exec, -1
; %bb.3303:
	s_or_b64 exec, exec, s[8:9]
	s_and_b64 s[4:5], s[4:5], exec
	s_or_saveexec_b64 s[6:7], s[6:7]
	v_mov_b32_e32 v3, s10
	s_xor_b64 exec, exec, s[6:7]
	s_cbranch_execz .LBB13_1254
.LBB13_3304:
	v_mov_b32_e32 v3, 0
	v_cmp_ne_u16_sdwa s[8:9], v5, v3 src0_sel:BYTE_0 src1_sel:DWORD
	s_andn2_b64 s[4:5], s[4:5], exec
	s_and_b64 s[8:9], s[8:9], exec
	s_or_b64 s[4:5], s[4:5], s[8:9]
	s_or_b64 exec, exec, s[6:7]
	s_and_saveexec_b64 s[6:7], s[4:5]
	s_cbranch_execnz .LBB13_1255
	s_branch .LBB13_1256
.LBB13_3305:
	s_movk_i32 s4, 0x80
	v_cmp_eq_u16_sdwa s[12:13], v3, s4 src0_sel:BYTE_0 src1_sel:DWORD
	s_mov_b64 s[4:5], -1
                                        ; implicit-def: $sgpr10
	s_and_saveexec_b64 s[8:9], s[12:13]
; %bb.3306:
	s_mov_b32 s10, 0x7f800001
	s_xor_b64 s[4:5], exec, -1
; %bb.3307:
	s_or_b64 exec, exec, s[8:9]
	s_and_b64 s[4:5], s[4:5], exec
	s_or_saveexec_b64 s[6:7], s[6:7]
	v_mov_b32_e32 v2, s10
	s_xor_b64 exec, exec, s[6:7]
	s_cbranch_execz .LBB13_1258
.LBB13_3308:
	v_mov_b32_e32 v2, 0
	v_cmp_ne_u16_sdwa s[8:9], v3, v2 src0_sel:BYTE_0 src1_sel:DWORD
	s_andn2_b64 s[4:5], s[4:5], exec
	s_and_b64 s[8:9], s[8:9], exec
	s_or_b64 s[4:5], s[4:5], s[8:9]
	s_or_b64 exec, exec, s[6:7]
	s_and_saveexec_b64 s[6:7], s[4:5]
	s_cbranch_execnz .LBB13_1259
	s_branch .LBB13_1260
.LBB13_3309:
	s_movk_i32 s4, 0x80
	v_cmp_eq_u16_sdwa s[12:13], v3, s4 src0_sel:BYTE_0 src1_sel:DWORD
	s_mov_b64 s[4:5], -1
                                        ; implicit-def: $sgpr10
	s_and_saveexec_b64 s[8:9], s[12:13]
; %bb.3310:
	s_mov_b32 s10, 0x7f800001
	s_xor_b64 s[4:5], exec, -1
; %bb.3311:
	s_or_b64 exec, exec, s[8:9]
	s_and_b64 s[4:5], s[4:5], exec
	s_or_saveexec_b64 s[6:7], s[6:7]
	v_mov_b32_e32 v4, s10
	s_xor_b64 exec, exec, s[6:7]
	s_cbranch_execz .LBB13_1262
.LBB13_3312:
	v_mov_b32_e32 v4, 0
	v_cmp_ne_u16_sdwa s[8:9], v3, v4 src0_sel:BYTE_0 src1_sel:DWORD
	s_andn2_b64 s[4:5], s[4:5], exec
	s_and_b64 s[8:9], s[8:9], exec
	s_or_b64 s[4:5], s[4:5], s[8:9]
	s_or_b64 exec, exec, s[6:7]
	s_and_saveexec_b64 s[6:7], s[4:5]
	s_cbranch_execnz .LBB13_1263
	s_branch .LBB13_1264
.LBB13_3313:
	s_movk_i32 s4, 0x80
	v_cmp_eq_u16_e32 vcc, s4, v3
	s_mov_b64 s[4:5], -1
                                        ; implicit-def: $sgpr10
	s_and_saveexec_b64 s[8:9], vcc
; %bb.3314:
	s_mov_b32 s10, 0x7f800001
	s_xor_b64 s[4:5], exec, -1
; %bb.3315:
	s_or_b64 exec, exec, s[8:9]
	s_and_b64 s[4:5], s[4:5], exec
                                        ; implicit-def: $vgpr3
	s_or_saveexec_b64 s[6:7], s[6:7]
	v_mov_b32_e32 v2, s10
	s_xor_b64 exec, exec, s[6:7]
	s_cbranch_execz .LBB13_1266
.LBB13_3316:
	v_cmp_ne_u16_e32 vcc, 0, v3
	s_andn2_b64 s[4:5], s[4:5], exec
	s_and_b64 s[8:9], vcc, exec
	v_mov_b32_e32 v2, 0
	s_or_b64 s[4:5], s[4:5], s[8:9]
	s_or_b64 exec, exec, s[6:7]
	s_and_saveexec_b64 s[6:7], s[4:5]
	s_cbranch_execnz .LBB13_1267
	s_branch .LBB13_1268
.LBB13_3317:
	s_movk_i32 s4, 0x80
	v_cmp_eq_u16_e32 vcc, s4, v3
	s_mov_b64 s[4:5], -1
                                        ; implicit-def: $sgpr10
	s_and_saveexec_b64 s[8:9], vcc
; %bb.3318:
	s_mov_b32 s10, 0x7f800001
	s_xor_b64 s[4:5], exec, -1
; %bb.3319:
	s_or_b64 exec, exec, s[8:9]
	s_and_b64 s[4:5], s[4:5], exec
                                        ; implicit-def: $vgpr3
	s_or_saveexec_b64 s[6:7], s[6:7]
	v_mov_b32_e32 v4, s10
	s_xor_b64 exec, exec, s[6:7]
	s_cbranch_execz .LBB13_1270
.LBB13_3320:
	v_cmp_ne_u16_e32 vcc, 0, v3
	s_andn2_b64 s[4:5], s[4:5], exec
	s_and_b64 s[8:9], vcc, exec
	v_mov_b32_e32 v4, 0
	s_or_b64 s[4:5], s[4:5], s[8:9]
	s_or_b64 exec, exec, s[6:7]
	s_and_saveexec_b64 s[6:7], s[4:5]
	s_cbranch_execnz .LBB13_1271
	s_branch .LBB13_1272
.LBB13_3321:
	s_movk_i32 s4, 0x80
	v_cmp_eq_u16_sdwa s[12:13], v9, s4 src0_sel:BYTE_3 src1_sel:DWORD
	s_mov_b64 s[4:5], -1
                                        ; implicit-def: $sgpr10
	s_and_saveexec_b64 s[8:9], s[12:13]
; %bb.3322:
	s_mov_b32 s10, 0x7f800001
	s_xor_b64 s[4:5], exec, -1
; %bb.3323:
	s_or_b64 exec, exec, s[8:9]
	s_and_b64 s[4:5], s[4:5], exec
	s_or_saveexec_b64 s[6:7], s[6:7]
	v_mov_b32_e32 v2, s10
	s_xor_b64 exec, exec, s[6:7]
	s_cbranch_execz .LBB13_1274
.LBB13_3324:
	v_mov_b32_e32 v2, 0
	v_cmp_ne_u16_sdwa s[8:9], v9, v2 src0_sel:BYTE_3 src1_sel:DWORD
	s_andn2_b64 s[4:5], s[4:5], exec
	s_and_b64 s[8:9], s[8:9], exec
	s_or_b64 s[4:5], s[4:5], s[8:9]
	s_or_b64 exec, exec, s[6:7]
	s_and_saveexec_b64 s[6:7], s[4:5]
	s_cbranch_execnz .LBB13_1275
	s_branch .LBB13_1276
.LBB13_3325:
	s_movk_i32 s4, 0x80
	v_cmp_eq_u16_sdwa s[12:13], v5, s4 src0_sel:BYTE_3 src1_sel:DWORD
	s_mov_b64 s[4:5], -1
                                        ; implicit-def: $sgpr10
	s_and_saveexec_b64 s[8:9], s[12:13]
; %bb.3326:
	s_mov_b32 s10, 0x7f800001
	s_xor_b64 s[4:5], exec, -1
; %bb.3327:
	s_or_b64 exec, exec, s[8:9]
	s_and_b64 s[4:5], s[4:5], exec
	s_or_saveexec_b64 s[6:7], s[6:7]
	v_mov_b32_e32 v3, s10
	s_xor_b64 exec, exec, s[6:7]
	s_cbranch_execz .LBB13_1278
.LBB13_3328:
	v_mov_b32_e32 v3, 0
	v_cmp_ne_u16_sdwa s[8:9], v5, v3 src0_sel:BYTE_3 src1_sel:DWORD
	s_andn2_b64 s[4:5], s[4:5], exec
	s_and_b64 s[8:9], s[8:9], exec
	s_or_b64 s[4:5], s[4:5], s[8:9]
	s_or_b64 exec, exec, s[6:7]
	s_and_saveexec_b64 s[6:7], s[4:5]
	s_cbranch_execnz .LBB13_1279
	s_branch .LBB13_1280
.LBB13_3329:
	s_movk_i32 s4, 0x80
	v_cmp_eq_u16_sdwa s[12:13], v6, s4 src0_sel:BYTE_0 src1_sel:DWORD
	s_mov_b64 s[4:5], -1
                                        ; implicit-def: $sgpr10
	s_and_saveexec_b64 s[8:9], s[12:13]
; %bb.3330:
	s_mov_b32 s10, 0x7f800001
	s_xor_b64 s[4:5], exec, -1
; %bb.3331:
	s_or_b64 exec, exec, s[8:9]
	s_and_b64 s[4:5], s[4:5], exec
	s_or_saveexec_b64 s[6:7], s[6:7]
	v_mov_b32_e32 v12, s10
	s_xor_b64 exec, exec, s[6:7]
	s_cbranch_execz .LBB13_1282
.LBB13_3332:
	v_mov_b32_e32 v12, 0
	v_cmp_ne_u16_sdwa s[8:9], v6, v12 src0_sel:BYTE_0 src1_sel:DWORD
	s_andn2_b64 s[4:5], s[4:5], exec
	s_and_b64 s[8:9], s[8:9], exec
	s_or_b64 s[4:5], s[4:5], s[8:9]
	s_or_b64 exec, exec, s[6:7]
	s_and_saveexec_b64 s[6:7], s[4:5]
	s_cbranch_execnz .LBB13_1283
	s_branch .LBB13_1284
.LBB13_3333:
	s_movk_i32 s4, 0x80
	v_cmp_eq_u16_sdwa s[12:13], v2, s4 src0_sel:BYTE_0 src1_sel:DWORD
	s_mov_b64 s[4:5], -1
                                        ; implicit-def: $sgpr10
	s_and_saveexec_b64 s[8:9], s[12:13]
; %bb.3334:
	s_mov_b32 s10, 0x7f800001
	s_xor_b64 s[4:5], exec, -1
; %bb.3335:
	s_or_b64 exec, exec, s[8:9]
	s_and_b64 s[4:5], s[4:5], exec
	s_or_saveexec_b64 s[6:7], s[6:7]
	v_mov_b32_e32 v13, s10
	s_xor_b64 exec, exec, s[6:7]
	s_cbranch_execz .LBB13_1286
.LBB13_3336:
	v_mov_b32_e32 v13, 0
	v_cmp_ne_u16_sdwa s[8:9], v2, v13 src0_sel:BYTE_0 src1_sel:DWORD
	s_andn2_b64 s[4:5], s[4:5], exec
	s_and_b64 s[8:9], s[8:9], exec
	s_or_b64 s[4:5], s[4:5], s[8:9]
	s_or_b64 exec, exec, s[6:7]
	s_and_saveexec_b64 s[6:7], s[4:5]
	s_cbranch_execnz .LBB13_1287
	s_branch .LBB13_1288
.LBB13_3337:
	s_movk_i32 s4, 0x80
	v_cmp_eq_u16_sdwa s[12:13], v13, s4 src0_sel:BYTE_0 src1_sel:DWORD
	s_mov_b64 s[4:5], -1
                                        ; implicit-def: $sgpr10
	s_and_saveexec_b64 s[8:9], s[12:13]
; %bb.3338:
	s_mov_b32 s10, 0x7f800001
	s_xor_b64 s[4:5], exec, -1
; %bb.3339:
	s_or_b64 exec, exec, s[8:9]
	s_and_b64 s[4:5], s[4:5], exec
	s_or_saveexec_b64 s[6:7], s[6:7]
	v_mov_b32_e32 v12, s10
	s_xor_b64 exec, exec, s[6:7]
	s_cbranch_execz .LBB13_1290
.LBB13_3340:
	v_mov_b32_e32 v12, 0
	v_cmp_ne_u16_sdwa s[8:9], v13, v12 src0_sel:BYTE_0 src1_sel:DWORD
	s_andn2_b64 s[4:5], s[4:5], exec
	s_and_b64 s[8:9], s[8:9], exec
	s_or_b64 s[4:5], s[4:5], s[8:9]
	s_or_b64 exec, exec, s[6:7]
	s_and_saveexec_b64 s[6:7], s[4:5]
	s_cbranch_execnz .LBB13_1291
	s_branch .LBB13_1292
.LBB13_3341:
	s_movk_i32 s4, 0x80
	v_cmp_eq_u16_sdwa s[12:13], v13, s4 src0_sel:BYTE_0 src1_sel:DWORD
	s_mov_b64 s[4:5], -1
                                        ; implicit-def: $sgpr10
	s_and_saveexec_b64 s[8:9], s[12:13]
; %bb.3342:
	s_mov_b32 s10, 0x7f800001
	s_xor_b64 s[4:5], exec, -1
; %bb.3343:
	s_or_b64 exec, exec, s[8:9]
	s_and_b64 s[4:5], s[4:5], exec
	s_or_saveexec_b64 s[6:7], s[6:7]
	v_mov_b32_e32 v14, s10
	s_xor_b64 exec, exec, s[6:7]
	s_cbranch_execz .LBB13_1294
.LBB13_3344:
	v_mov_b32_e32 v14, 0
	v_cmp_ne_u16_sdwa s[8:9], v13, v14 src0_sel:BYTE_0 src1_sel:DWORD
	s_andn2_b64 s[4:5], s[4:5], exec
	s_and_b64 s[8:9], s[8:9], exec
	s_or_b64 s[4:5], s[4:5], s[8:9]
	s_or_b64 exec, exec, s[6:7]
	s_and_saveexec_b64 s[6:7], s[4:5]
	s_cbranch_execnz .LBB13_1295
	s_branch .LBB13_1296
.LBB13_3345:
	s_movk_i32 s4, 0x80
	v_cmp_eq_u16_e32 vcc, s4, v13
	s_mov_b64 s[4:5], -1
                                        ; implicit-def: $sgpr10
	s_and_saveexec_b64 s[8:9], vcc
; %bb.3346:
	s_mov_b32 s10, 0x7f800001
	s_xor_b64 s[4:5], exec, -1
; %bb.3347:
	s_or_b64 exec, exec, s[8:9]
	s_and_b64 s[4:5], s[4:5], exec
                                        ; implicit-def: $vgpr13
	s_or_saveexec_b64 s[6:7], s[6:7]
	v_mov_b32_e32 v12, s10
	s_xor_b64 exec, exec, s[6:7]
	s_cbranch_execz .LBB13_1298
.LBB13_3348:
	v_cmp_ne_u16_e32 vcc, 0, v13
	s_andn2_b64 s[4:5], s[4:5], exec
	s_and_b64 s[8:9], vcc, exec
	v_mov_b32_e32 v12, 0
	s_or_b64 s[4:5], s[4:5], s[8:9]
	s_or_b64 exec, exec, s[6:7]
	s_and_saveexec_b64 s[6:7], s[4:5]
	s_cbranch_execnz .LBB13_1299
	s_branch .LBB13_1300
.LBB13_3349:
	s_movk_i32 s4, 0x80
	v_cmp_eq_u16_e32 vcc, s4, v13
	s_mov_b64 s[4:5], -1
                                        ; implicit-def: $sgpr10
	s_and_saveexec_b64 s[8:9], vcc
; %bb.3350:
	s_mov_b32 s10, 0x7f800001
	s_xor_b64 s[4:5], exec, -1
; %bb.3351:
	s_or_b64 exec, exec, s[8:9]
	s_and_b64 s[4:5], s[4:5], exec
                                        ; implicit-def: $vgpr13
	s_or_saveexec_b64 s[6:7], s[6:7]
	v_mov_b32_e32 v14, s10
	s_xor_b64 exec, exec, s[6:7]
	s_cbranch_execz .LBB13_1302
.LBB13_3352:
	v_cmp_ne_u16_e32 vcc, 0, v13
	s_andn2_b64 s[4:5], s[4:5], exec
	s_and_b64 s[8:9], vcc, exec
	v_mov_b32_e32 v14, 0
	s_or_b64 s[4:5], s[4:5], s[8:9]
	s_or_b64 exec, exec, s[6:7]
	s_and_saveexec_b64 s[6:7], s[4:5]
	s_cbranch_execnz .LBB13_1303
	s_branch .LBB13_1304
.LBB13_3353:
	s_movk_i32 s4, 0x80
	v_cmp_eq_u16_sdwa s[12:13], v6, s4 src0_sel:BYTE_3 src1_sel:DWORD
	s_mov_b64 s[4:5], -1
                                        ; implicit-def: $sgpr10
	s_and_saveexec_b64 s[8:9], s[12:13]
; %bb.3354:
	s_mov_b32 s10, 0x7f800001
	s_xor_b64 s[4:5], exec, -1
; %bb.3355:
	s_or_b64 exec, exec, s[8:9]
	s_and_b64 s[4:5], s[4:5], exec
	s_or_saveexec_b64 s[6:7], s[6:7]
	v_mov_b32_e32 v12, s10
	s_xor_b64 exec, exec, s[6:7]
	s_cbranch_execz .LBB13_1306
.LBB13_3356:
	v_mov_b32_e32 v12, 0
	v_cmp_ne_u16_sdwa s[8:9], v6, v12 src0_sel:BYTE_3 src1_sel:DWORD
	s_andn2_b64 s[4:5], s[4:5], exec
	s_and_b64 s[8:9], s[8:9], exec
	s_or_b64 s[4:5], s[4:5], s[8:9]
	s_or_b64 exec, exec, s[6:7]
	s_and_saveexec_b64 s[6:7], s[4:5]
	s_cbranch_execnz .LBB13_1307
	s_branch .LBB13_1308
.LBB13_3357:
	s_movk_i32 s4, 0x80
	v_cmp_eq_u16_sdwa s[12:13], v2, s4 src0_sel:BYTE_3 src1_sel:DWORD
	s_mov_b64 s[4:5], -1
                                        ; implicit-def: $sgpr10
	s_and_saveexec_b64 s[8:9], s[12:13]
; %bb.3358:
	s_mov_b32 s10, 0x7f800001
	s_xor_b64 s[4:5], exec, -1
; %bb.3359:
	s_or_b64 exec, exec, s[8:9]
	s_and_b64 s[4:5], s[4:5], exec
	s_or_saveexec_b64 s[6:7], s[6:7]
	v_mov_b32_e32 v6, s10
	s_xor_b64 exec, exec, s[6:7]
	s_cbranch_execz .LBB13_1310
.LBB13_3360:
	v_mov_b32_e32 v6, 0
	v_cmp_ne_u16_sdwa s[8:9], v2, v6 src0_sel:BYTE_3 src1_sel:DWORD
	s_andn2_b64 s[4:5], s[4:5], exec
	s_and_b64 s[8:9], s[8:9], exec
	s_or_b64 s[4:5], s[4:5], s[8:9]
	s_or_b64 exec, exec, s[6:7]
	s_and_saveexec_b64 s[6:7], s[4:5]
	s_cbranch_execnz .LBB13_1311
	s_branch .LBB13_1312
.LBB13_3361:
	s_movk_i32 s4, 0x80
	v_cmp_eq_u16_sdwa s[12:13], v7, s4 src0_sel:BYTE_0 src1_sel:DWORD
	s_mov_b64 s[4:5], -1
                                        ; implicit-def: $sgpr10
	s_and_saveexec_b64 s[8:9], s[12:13]
; %bb.3362:
	s_mov_b32 s10, 0x7f800001
	s_xor_b64 s[4:5], exec, -1
; %bb.3363:
	s_or_b64 exec, exec, s[8:9]
	s_and_b64 s[4:5], s[4:5], exec
	s_or_saveexec_b64 s[6:7], s[6:7]
	v_mov_b32_e32 v2, s10
	s_xor_b64 exec, exec, s[6:7]
	s_cbranch_execz .LBB13_1314
.LBB13_3364:
	v_mov_b32_e32 v2, 0
	v_cmp_ne_u16_sdwa s[8:9], v7, v2 src0_sel:BYTE_0 src1_sel:DWORD
	s_andn2_b64 s[4:5], s[4:5], exec
	s_and_b64 s[8:9], s[8:9], exec
	s_or_b64 s[4:5], s[4:5], s[8:9]
	s_or_b64 exec, exec, s[6:7]
	s_and_saveexec_b64 s[6:7], s[4:5]
	s_cbranch_execnz .LBB13_1315
	s_branch .LBB13_1316
.LBB13_3365:
	s_movk_i32 s4, 0x80
	v_cmp_eq_u16_sdwa s[12:13], v3, s4 src0_sel:BYTE_0 src1_sel:DWORD
	s_mov_b64 s[4:5], -1
                                        ; implicit-def: $sgpr10
	s_and_saveexec_b64 s[8:9], s[12:13]
; %bb.3366:
	s_mov_b32 s10, 0x7f800001
	s_xor_b64 s[4:5], exec, -1
; %bb.3367:
	s_or_b64 exec, exec, s[8:9]
	s_and_b64 s[4:5], s[4:5], exec
	s_or_saveexec_b64 s[6:7], s[6:7]
	v_mov_b32_e32 v6, s10
	s_xor_b64 exec, exec, s[6:7]
	s_cbranch_execz .LBB13_1318
.LBB13_3368:
	v_mov_b32_e32 v6, 0
	v_cmp_ne_u16_sdwa s[8:9], v3, v6 src0_sel:BYTE_0 src1_sel:DWORD
	s_andn2_b64 s[4:5], s[4:5], exec
	s_and_b64 s[8:9], s[8:9], exec
	s_or_b64 s[4:5], s[4:5], s[8:9]
	s_or_b64 exec, exec, s[6:7]
	s_and_saveexec_b64 s[6:7], s[4:5]
	s_cbranch_execnz .LBB13_1319
	s_branch .LBB13_1320
.LBB13_3369:
	s_movk_i32 s4, 0x80
	v_cmp_eq_u16_sdwa s[12:13], v6, s4 src0_sel:BYTE_0 src1_sel:DWORD
	s_mov_b64 s[4:5], -1
                                        ; implicit-def: $sgpr10
	s_and_saveexec_b64 s[8:9], s[12:13]
; %bb.3370:
	s_mov_b32 s10, 0x7f800001
	s_xor_b64 s[4:5], exec, -1
; %bb.3371:
	s_or_b64 exec, exec, s[8:9]
	s_and_b64 s[4:5], s[4:5], exec
	s_or_saveexec_b64 s[6:7], s[6:7]
	v_mov_b32_e32 v2, s10
	s_xor_b64 exec, exec, s[6:7]
	s_cbranch_execz .LBB13_1322
.LBB13_3372:
	v_mov_b32_e32 v2, 0
	v_cmp_ne_u16_sdwa s[8:9], v6, v2 src0_sel:BYTE_0 src1_sel:DWORD
	s_andn2_b64 s[4:5], s[4:5], exec
	s_and_b64 s[8:9], s[8:9], exec
	s_or_b64 s[4:5], s[4:5], s[8:9]
	s_or_b64 exec, exec, s[6:7]
	s_and_saveexec_b64 s[6:7], s[4:5]
	s_cbranch_execnz .LBB13_1323
	s_branch .LBB13_1324
.LBB13_3373:
	s_movk_i32 s4, 0x80
	v_cmp_eq_u16_sdwa s[12:13], v6, s4 src0_sel:BYTE_0 src1_sel:DWORD
	s_mov_b64 s[4:5], -1
                                        ; implicit-def: $sgpr10
	s_and_saveexec_b64 s[8:9], s[12:13]
; %bb.3374:
	s_mov_b32 s10, 0x7f800001
	s_xor_b64 s[4:5], exec, -1
; %bb.3375:
	s_or_b64 exec, exec, s[8:9]
	s_and_b64 s[4:5], s[4:5], exec
	s_or_saveexec_b64 s[6:7], s[6:7]
	v_mov_b32_e32 v12, s10
	s_xor_b64 exec, exec, s[6:7]
	s_cbranch_execz .LBB13_1326
.LBB13_3376:
	v_mov_b32_e32 v12, 0
	v_cmp_ne_u16_sdwa s[8:9], v6, v12 src0_sel:BYTE_0 src1_sel:DWORD
	s_andn2_b64 s[4:5], s[4:5], exec
	s_and_b64 s[8:9], s[8:9], exec
	s_or_b64 s[4:5], s[4:5], s[8:9]
	s_or_b64 exec, exec, s[6:7]
	s_and_saveexec_b64 s[6:7], s[4:5]
	s_cbranch_execnz .LBB13_1327
	s_branch .LBB13_1328
.LBB13_3377:
	s_movk_i32 s4, 0x80
	v_cmp_eq_u16_e32 vcc, s4, v6
	s_mov_b64 s[4:5], -1
                                        ; implicit-def: $sgpr10
	s_and_saveexec_b64 s[8:9], vcc
; %bb.3378:
	s_mov_b32 s10, 0x7f800001
	s_xor_b64 s[4:5], exec, -1
; %bb.3379:
	s_or_b64 exec, exec, s[8:9]
	s_and_b64 s[4:5], s[4:5], exec
                                        ; implicit-def: $vgpr6
	s_or_saveexec_b64 s[6:7], s[6:7]
	v_mov_b32_e32 v2, s10
	s_xor_b64 exec, exec, s[6:7]
	s_cbranch_execz .LBB13_1330
.LBB13_3380:
	v_cmp_ne_u16_e32 vcc, 0, v6
	s_andn2_b64 s[4:5], s[4:5], exec
	s_and_b64 s[8:9], vcc, exec
	v_mov_b32_e32 v2, 0
	s_or_b64 s[4:5], s[4:5], s[8:9]
	s_or_b64 exec, exec, s[6:7]
	s_and_saveexec_b64 s[6:7], s[4:5]
	s_cbranch_execnz .LBB13_1331
	s_branch .LBB13_1332
.LBB13_3381:
	s_movk_i32 s4, 0x80
	v_cmp_eq_u16_e32 vcc, s4, v6
	s_mov_b64 s[4:5], -1
                                        ; implicit-def: $sgpr10
	s_and_saveexec_b64 s[8:9], vcc
; %bb.3382:
	s_mov_b32 s10, 0x7f800001
	s_xor_b64 s[4:5], exec, -1
; %bb.3383:
	s_or_b64 exec, exec, s[8:9]
	s_and_b64 s[4:5], s[4:5], exec
                                        ; implicit-def: $vgpr6
	s_or_saveexec_b64 s[6:7], s[6:7]
	v_mov_b32_e32 v12, s10
	s_xor_b64 exec, exec, s[6:7]
	s_cbranch_execz .LBB13_1334
.LBB13_3384:
	v_cmp_ne_u16_e32 vcc, 0, v6
	s_andn2_b64 s[4:5], s[4:5], exec
	s_and_b64 s[8:9], vcc, exec
	v_mov_b32_e32 v12, 0
	s_or_b64 s[4:5], s[4:5], s[8:9]
	s_or_b64 exec, exec, s[6:7]
	s_and_saveexec_b64 s[6:7], s[4:5]
	s_cbranch_execnz .LBB13_1335
	s_branch .LBB13_1336
.LBB13_3385:
	s_movk_i32 s4, 0x80
	v_cmp_eq_u16_sdwa s[12:13], v7, s4 src0_sel:BYTE_3 src1_sel:DWORD
	s_mov_b64 s[4:5], -1
                                        ; implicit-def: $sgpr10
	s_and_saveexec_b64 s[8:9], s[12:13]
; %bb.3386:
	s_mov_b32 s10, 0x7f800001
	s_xor_b64 s[4:5], exec, -1
; %bb.3387:
	s_or_b64 exec, exec, s[8:9]
	s_and_b64 s[4:5], s[4:5], exec
	s_or_saveexec_b64 s[6:7], s[6:7]
	v_mov_b32_e32 v2, s10
	s_xor_b64 exec, exec, s[6:7]
	s_cbranch_execz .LBB13_1338
.LBB13_3388:
	v_mov_b32_e32 v2, 0
	v_cmp_ne_u16_sdwa s[8:9], v7, v2 src0_sel:BYTE_3 src1_sel:DWORD
	s_andn2_b64 s[4:5], s[4:5], exec
	s_and_b64 s[8:9], s[8:9], exec
	s_or_b64 s[4:5], s[4:5], s[8:9]
	s_or_b64 exec, exec, s[6:7]
	s_and_saveexec_b64 s[6:7], s[4:5]
	s_cbranch_execnz .LBB13_1339
	s_branch .LBB13_1340
.LBB13_3389:
	s_movk_i32 s4, 0x80
	v_cmp_eq_u16_sdwa s[12:13], v3, s4 src0_sel:BYTE_3 src1_sel:DWORD
	s_mov_b64 s[4:5], -1
                                        ; implicit-def: $sgpr10
	s_and_saveexec_b64 s[8:9], s[12:13]
; %bb.3390:
	s_mov_b32 s10, 0x7f800001
	s_xor_b64 s[4:5], exec, -1
; %bb.3391:
	s_or_b64 exec, exec, s[8:9]
	s_and_b64 s[4:5], s[4:5], exec
	s_or_saveexec_b64 s[6:7], s[6:7]
	v_mov_b32_e32 v6, s10
	s_xor_b64 exec, exec, s[6:7]
	s_cbranch_execz .LBB13_1342
.LBB13_3392:
	v_mov_b32_e32 v6, 0
	v_cmp_ne_u16_sdwa s[8:9], v3, v6 src0_sel:BYTE_3 src1_sel:DWORD
	s_andn2_b64 s[4:5], s[4:5], exec
	s_and_b64 s[8:9], s[8:9], exec
	s_or_b64 s[4:5], s[4:5], s[8:9]
	s_or_b64 exec, exec, s[6:7]
	s_and_saveexec_b64 s[6:7], s[4:5]
	s_cbranch_execnz .LBB13_1343
	s_branch .LBB13_1344
.LBB13_3393:
	s_movk_i32 s4, 0x80
	v_cmp_eq_u16_sdwa s[12:13], v8, s4 src0_sel:BYTE_0 src1_sel:DWORD
	s_mov_b64 s[4:5], -1
                                        ; implicit-def: $sgpr10
	s_and_saveexec_b64 s[8:9], s[12:13]
; %bb.3394:
	s_mov_b32 s10, 0x7f800001
	s_xor_b64 s[4:5], exec, -1
; %bb.3395:
	s_or_b64 exec, exec, s[8:9]
	s_and_b64 s[4:5], s[4:5], exec
	s_or_saveexec_b64 s[6:7], s[6:7]
	v_mov_b32_e32 v2, s10
	s_xor_b64 exec, exec, s[6:7]
	s_cbranch_execz .LBB13_1346
.LBB13_3396:
	v_mov_b32_e32 v2, 0
	v_cmp_ne_u16_sdwa s[8:9], v8, v2 src0_sel:BYTE_0 src1_sel:DWORD
	s_andn2_b64 s[4:5], s[4:5], exec
	s_and_b64 s[8:9], s[8:9], exec
	s_or_b64 s[4:5], s[4:5], s[8:9]
	s_or_b64 exec, exec, s[6:7]
	s_and_saveexec_b64 s[6:7], s[4:5]
	s_cbranch_execnz .LBB13_1347
	s_branch .LBB13_1348
.LBB13_3397:
	s_movk_i32 s4, 0x80
	v_cmp_eq_u16_sdwa s[12:13], v4, s4 src0_sel:BYTE_0 src1_sel:DWORD
	s_mov_b64 s[4:5], -1
                                        ; implicit-def: $sgpr10
	s_and_saveexec_b64 s[8:9], s[12:13]
; %bb.3398:
	s_mov_b32 s10, 0x7f800001
	s_xor_b64 s[4:5], exec, -1
; %bb.3399:
	s_or_b64 exec, exec, s[8:9]
	s_and_b64 s[4:5], s[4:5], exec
	s_or_saveexec_b64 s[6:7], s[6:7]
	v_mov_b32_e32 v3, s10
	s_xor_b64 exec, exec, s[6:7]
	s_cbranch_execz .LBB13_1350
.LBB13_3400:
	v_mov_b32_e32 v3, 0
	v_cmp_ne_u16_sdwa s[8:9], v4, v3 src0_sel:BYTE_0 src1_sel:DWORD
	s_andn2_b64 s[4:5], s[4:5], exec
	s_and_b64 s[8:9], s[8:9], exec
	s_or_b64 s[4:5], s[4:5], s[8:9]
	s_or_b64 exec, exec, s[6:7]
	s_and_saveexec_b64 s[6:7], s[4:5]
	s_cbranch_execnz .LBB13_1351
	s_branch .LBB13_1352
.LBB13_3401:
	s_movk_i32 s4, 0x80
	v_cmp_eq_u16_sdwa s[12:13], v3, s4 src0_sel:BYTE_0 src1_sel:DWORD
	s_mov_b64 s[4:5], -1
                                        ; implicit-def: $sgpr10
	s_and_saveexec_b64 s[8:9], s[12:13]
; %bb.3402:
	s_mov_b32 s10, 0x7f800001
	s_xor_b64 s[4:5], exec, -1
; %bb.3403:
	s_or_b64 exec, exec, s[8:9]
	s_and_b64 s[4:5], s[4:5], exec
	s_or_saveexec_b64 s[6:7], s[6:7]
	v_mov_b32_e32 v2, s10
	s_xor_b64 exec, exec, s[6:7]
	s_cbranch_execz .LBB13_1354
.LBB13_3404:
	v_mov_b32_e32 v2, 0
	v_cmp_ne_u16_sdwa s[8:9], v3, v2 src0_sel:BYTE_0 src1_sel:DWORD
	s_andn2_b64 s[4:5], s[4:5], exec
	s_and_b64 s[8:9], s[8:9], exec
	s_or_b64 s[4:5], s[4:5], s[8:9]
	s_or_b64 exec, exec, s[6:7]
	s_and_saveexec_b64 s[6:7], s[4:5]
	s_cbranch_execnz .LBB13_1355
	s_branch .LBB13_1356
.LBB13_3405:
	s_movk_i32 s4, 0x80
	v_cmp_eq_u16_sdwa s[12:13], v3, s4 src0_sel:BYTE_0 src1_sel:DWORD
	s_mov_b64 s[4:5], -1
                                        ; implicit-def: $sgpr10
	s_and_saveexec_b64 s[8:9], s[12:13]
; %bb.3406:
	s_mov_b32 s10, 0x7f800001
	s_xor_b64 s[4:5], exec, -1
; %bb.3407:
	s_or_b64 exec, exec, s[8:9]
	s_and_b64 s[4:5], s[4:5], exec
	s_or_saveexec_b64 s[6:7], s[6:7]
	v_mov_b32_e32 v6, s10
	s_xor_b64 exec, exec, s[6:7]
	s_cbranch_execz .LBB13_1358
.LBB13_3408:
	v_mov_b32_e32 v6, 0
	v_cmp_ne_u16_sdwa s[8:9], v3, v6 src0_sel:BYTE_0 src1_sel:DWORD
	s_andn2_b64 s[4:5], s[4:5], exec
	s_and_b64 s[8:9], s[8:9], exec
	s_or_b64 s[4:5], s[4:5], s[8:9]
	s_or_b64 exec, exec, s[6:7]
	s_and_saveexec_b64 s[6:7], s[4:5]
	s_cbranch_execnz .LBB13_1359
	s_branch .LBB13_1360
.LBB13_3409:
	s_movk_i32 s4, 0x80
	v_cmp_eq_u16_e32 vcc, s4, v3
	s_mov_b64 s[4:5], -1
                                        ; implicit-def: $sgpr10
	s_and_saveexec_b64 s[8:9], vcc
; %bb.3410:
	s_mov_b32 s10, 0x7f800001
	s_xor_b64 s[4:5], exec, -1
; %bb.3411:
	s_or_b64 exec, exec, s[8:9]
	s_and_b64 s[4:5], s[4:5], exec
                                        ; implicit-def: $vgpr3
	s_or_saveexec_b64 s[6:7], s[6:7]
	v_mov_b32_e32 v2, s10
	s_xor_b64 exec, exec, s[6:7]
	s_cbranch_execz .LBB13_1362
.LBB13_3412:
	v_cmp_ne_u16_e32 vcc, 0, v3
	s_andn2_b64 s[4:5], s[4:5], exec
	s_and_b64 s[8:9], vcc, exec
	v_mov_b32_e32 v2, 0
	s_or_b64 s[4:5], s[4:5], s[8:9]
	s_or_b64 exec, exec, s[6:7]
	s_and_saveexec_b64 s[6:7], s[4:5]
	s_cbranch_execnz .LBB13_1363
	s_branch .LBB13_1364
.LBB13_3413:
	s_movk_i32 s4, 0x80
	v_cmp_eq_u16_e32 vcc, s4, v3
	s_mov_b64 s[4:5], -1
                                        ; implicit-def: $sgpr10
	s_and_saveexec_b64 s[8:9], vcc
; %bb.3414:
	s_mov_b32 s10, 0x7f800001
	s_xor_b64 s[4:5], exec, -1
; %bb.3415:
	s_or_b64 exec, exec, s[8:9]
	s_and_b64 s[4:5], s[4:5], exec
                                        ; implicit-def: $vgpr3
	s_or_saveexec_b64 s[6:7], s[6:7]
	v_mov_b32_e32 v6, s10
	s_xor_b64 exec, exec, s[6:7]
	s_cbranch_execz .LBB13_1366
.LBB13_3416:
	v_cmp_ne_u16_e32 vcc, 0, v3
	s_andn2_b64 s[4:5], s[4:5], exec
	s_and_b64 s[8:9], vcc, exec
	v_mov_b32_e32 v6, 0
	s_or_b64 s[4:5], s[4:5], s[8:9]
	s_or_b64 exec, exec, s[6:7]
	s_and_saveexec_b64 s[6:7], s[4:5]
	s_cbranch_execnz .LBB13_1367
	s_branch .LBB13_1368
.LBB13_3417:
	s_movk_i32 s4, 0x80
	v_cmp_eq_u16_sdwa s[12:13], v8, s4 src0_sel:BYTE_3 src1_sel:DWORD
	s_mov_b64 s[4:5], -1
                                        ; implicit-def: $sgpr10
	s_and_saveexec_b64 s[8:9], s[12:13]
; %bb.3418:
	s_mov_b32 s10, 0x7f800001
	s_xor_b64 s[4:5], exec, -1
; %bb.3419:
	s_or_b64 exec, exec, s[8:9]
	s_and_b64 s[4:5], s[4:5], exec
	s_or_saveexec_b64 s[6:7], s[6:7]
	v_mov_b32_e32 v2, s10
	s_xor_b64 exec, exec, s[6:7]
	s_cbranch_execz .LBB13_1370
.LBB13_3420:
	v_mov_b32_e32 v2, 0
	v_cmp_ne_u16_sdwa s[8:9], v8, v2 src0_sel:BYTE_3 src1_sel:DWORD
	s_andn2_b64 s[4:5], s[4:5], exec
	s_and_b64 s[8:9], s[8:9], exec
	s_or_b64 s[4:5], s[4:5], s[8:9]
	s_or_b64 exec, exec, s[6:7]
	s_and_saveexec_b64 s[6:7], s[4:5]
	s_cbranch_execnz .LBB13_1371
	s_branch .LBB13_1372
.LBB13_3421:
	s_movk_i32 s4, 0x80
	v_cmp_eq_u16_sdwa s[12:13], v4, s4 src0_sel:BYTE_3 src1_sel:DWORD
	s_mov_b64 s[4:5], -1
                                        ; implicit-def: $sgpr10
	s_and_saveexec_b64 s[8:9], s[12:13]
; %bb.3422:
	s_mov_b32 s10, 0x7f800001
	s_xor_b64 s[4:5], exec, -1
; %bb.3423:
	s_or_b64 exec, exec, s[8:9]
	s_and_b64 s[4:5], s[4:5], exec
	s_or_saveexec_b64 s[6:7], s[6:7]
	v_mov_b32_e32 v3, s10
	s_xor_b64 exec, exec, s[6:7]
	s_cbranch_execz .LBB13_1374
.LBB13_3424:
	v_mov_b32_e32 v3, 0
	v_cmp_ne_u16_sdwa s[8:9], v4, v3 src0_sel:BYTE_3 src1_sel:DWORD
	s_andn2_b64 s[4:5], s[4:5], exec
	s_and_b64 s[8:9], s[8:9], exec
	s_or_b64 s[4:5], s[4:5], s[8:9]
	s_or_b64 exec, exec, s[6:7]
	s_and_saveexec_b64 s[6:7], s[4:5]
	s_cbranch_execnz .LBB13_1375
	s_branch .LBB13_1376
.LBB13_3425:
	s_movk_i32 s4, 0x80
	v_cmp_eq_u16_sdwa s[12:13], v9, s4 src0_sel:BYTE_0 src1_sel:DWORD
	s_mov_b64 s[4:5], -1
                                        ; implicit-def: $sgpr10
	s_and_saveexec_b64 s[8:9], s[12:13]
; %bb.3426:
	s_mov_b32 s10, 0x7f800001
	s_xor_b64 s[4:5], exec, -1
; %bb.3427:
	s_or_b64 exec, exec, s[8:9]
	s_and_b64 s[4:5], s[4:5], exec
	s_or_saveexec_b64 s[6:7], s[6:7]
	v_mov_b32_e32 v2, s10
	s_xor_b64 exec, exec, s[6:7]
	s_cbranch_execz .LBB13_1378
.LBB13_3428:
	v_mov_b32_e32 v2, 0
	v_cmp_ne_u16_sdwa s[8:9], v9, v2 src0_sel:BYTE_0 src1_sel:DWORD
	s_andn2_b64 s[4:5], s[4:5], exec
	s_and_b64 s[8:9], s[8:9], exec
	s_or_b64 s[4:5], s[4:5], s[8:9]
	s_or_b64 exec, exec, s[6:7]
	s_and_saveexec_b64 s[6:7], s[4:5]
	s_cbranch_execnz .LBB13_1379
	s_branch .LBB13_1380
.LBB13_3429:
	s_movk_i32 s4, 0x80
	v_cmp_eq_u16_sdwa s[12:13], v5, s4 src0_sel:BYTE_0 src1_sel:DWORD
	s_mov_b64 s[4:5], -1
                                        ; implicit-def: $sgpr10
	s_and_saveexec_b64 s[8:9], s[12:13]
; %bb.3430:
	s_mov_b32 s10, 0x7f800001
	s_xor_b64 s[4:5], exec, -1
; %bb.3431:
	s_or_b64 exec, exec, s[8:9]
	s_and_b64 s[4:5], s[4:5], exec
	s_or_saveexec_b64 s[6:7], s[6:7]
	v_mov_b32_e32 v3, s10
	s_xor_b64 exec, exec, s[6:7]
	s_cbranch_execz .LBB13_1382
.LBB13_3432:
	v_mov_b32_e32 v3, 0
	v_cmp_ne_u16_sdwa s[8:9], v5, v3 src0_sel:BYTE_0 src1_sel:DWORD
	s_andn2_b64 s[4:5], s[4:5], exec
	s_and_b64 s[8:9], s[8:9], exec
	s_or_b64 s[4:5], s[4:5], s[8:9]
	s_or_b64 exec, exec, s[6:7]
	s_and_saveexec_b64 s[6:7], s[4:5]
	s_cbranch_execnz .LBB13_1383
	s_branch .LBB13_1384
.LBB13_3433:
	s_movk_i32 s4, 0x80
	v_cmp_eq_u16_sdwa s[12:13], v3, s4 src0_sel:BYTE_0 src1_sel:DWORD
	s_mov_b64 s[4:5], -1
                                        ; implicit-def: $sgpr10
	s_and_saveexec_b64 s[8:9], s[12:13]
; %bb.3434:
	s_mov_b32 s10, 0x7f800001
	s_xor_b64 s[4:5], exec, -1
; %bb.3435:
	s_or_b64 exec, exec, s[8:9]
	s_and_b64 s[4:5], s[4:5], exec
	s_or_saveexec_b64 s[6:7], s[6:7]
	v_mov_b32_e32 v2, s10
	s_xor_b64 exec, exec, s[6:7]
	s_cbranch_execz .LBB13_1386
.LBB13_3436:
	v_mov_b32_e32 v2, 0
	v_cmp_ne_u16_sdwa s[8:9], v3, v2 src0_sel:BYTE_0 src1_sel:DWORD
	s_andn2_b64 s[4:5], s[4:5], exec
	s_and_b64 s[8:9], s[8:9], exec
	s_or_b64 s[4:5], s[4:5], s[8:9]
	s_or_b64 exec, exec, s[6:7]
	s_and_saveexec_b64 s[6:7], s[4:5]
	s_cbranch_execnz .LBB13_1387
	s_branch .LBB13_1388
.LBB13_3437:
	s_movk_i32 s4, 0x80
	v_cmp_eq_u16_sdwa s[12:13], v3, s4 src0_sel:BYTE_0 src1_sel:DWORD
	s_mov_b64 s[4:5], -1
                                        ; implicit-def: $sgpr10
	s_and_saveexec_b64 s[8:9], s[12:13]
; %bb.3438:
	s_mov_b32 s10, 0x7f800001
	s_xor_b64 s[4:5], exec, -1
; %bb.3439:
	s_or_b64 exec, exec, s[8:9]
	s_and_b64 s[4:5], s[4:5], exec
	s_or_saveexec_b64 s[6:7], s[6:7]
	v_mov_b32_e32 v4, s10
	s_xor_b64 exec, exec, s[6:7]
	s_cbranch_execz .LBB13_1390
.LBB13_3440:
	v_mov_b32_e32 v4, 0
	v_cmp_ne_u16_sdwa s[8:9], v3, v4 src0_sel:BYTE_0 src1_sel:DWORD
	s_andn2_b64 s[4:5], s[4:5], exec
	s_and_b64 s[8:9], s[8:9], exec
	s_or_b64 s[4:5], s[4:5], s[8:9]
	s_or_b64 exec, exec, s[6:7]
	s_and_saveexec_b64 s[6:7], s[4:5]
	s_cbranch_execnz .LBB13_1391
	s_branch .LBB13_1392
.LBB13_3441:
	s_movk_i32 s4, 0x80
	v_cmp_eq_u16_e32 vcc, s4, v3
	s_mov_b64 s[4:5], -1
                                        ; implicit-def: $sgpr10
	s_and_saveexec_b64 s[8:9], vcc
; %bb.3442:
	s_mov_b32 s10, 0x7f800001
	s_xor_b64 s[4:5], exec, -1
; %bb.3443:
	s_or_b64 exec, exec, s[8:9]
	s_and_b64 s[4:5], s[4:5], exec
                                        ; implicit-def: $vgpr3
	s_or_saveexec_b64 s[6:7], s[6:7]
	v_mov_b32_e32 v2, s10
	s_xor_b64 exec, exec, s[6:7]
	s_cbranch_execz .LBB13_1394
.LBB13_3444:
	v_cmp_ne_u16_e32 vcc, 0, v3
	s_andn2_b64 s[4:5], s[4:5], exec
	s_and_b64 s[8:9], vcc, exec
	v_mov_b32_e32 v2, 0
	s_or_b64 s[4:5], s[4:5], s[8:9]
	s_or_b64 exec, exec, s[6:7]
	s_and_saveexec_b64 s[6:7], s[4:5]
	s_cbranch_execnz .LBB13_1395
	s_branch .LBB13_1396
.LBB13_3445:
	s_movk_i32 s4, 0x80
	v_cmp_eq_u16_e32 vcc, s4, v3
	s_mov_b64 s[4:5], -1
                                        ; implicit-def: $sgpr10
	s_and_saveexec_b64 s[8:9], vcc
; %bb.3446:
	s_mov_b32 s10, 0x7f800001
	s_xor_b64 s[4:5], exec, -1
; %bb.3447:
	s_or_b64 exec, exec, s[8:9]
	s_and_b64 s[4:5], s[4:5], exec
                                        ; implicit-def: $vgpr3
	s_or_saveexec_b64 s[6:7], s[6:7]
	v_mov_b32_e32 v4, s10
	s_xor_b64 exec, exec, s[6:7]
	s_cbranch_execz .LBB13_1398
.LBB13_3448:
	v_cmp_ne_u16_e32 vcc, 0, v3
	s_andn2_b64 s[4:5], s[4:5], exec
	s_and_b64 s[8:9], vcc, exec
	v_mov_b32_e32 v4, 0
	s_or_b64 s[4:5], s[4:5], s[8:9]
	s_or_b64 exec, exec, s[6:7]
	s_and_saveexec_b64 s[6:7], s[4:5]
	s_cbranch_execnz .LBB13_1399
	s_branch .LBB13_1400
.LBB13_3449:
	s_movk_i32 s4, 0x80
	v_cmp_eq_u16_sdwa s[12:13], v9, s4 src0_sel:BYTE_3 src1_sel:DWORD
	s_mov_b64 s[4:5], -1
                                        ; implicit-def: $sgpr10
	s_and_saveexec_b64 s[8:9], s[12:13]
; %bb.3450:
	s_mov_b32 s10, 0x7f800001
	s_xor_b64 s[4:5], exec, -1
; %bb.3451:
	s_or_b64 exec, exec, s[8:9]
	s_and_b64 s[4:5], s[4:5], exec
	s_or_saveexec_b64 s[6:7], s[6:7]
	v_mov_b32_e32 v2, s10
	s_xor_b64 exec, exec, s[6:7]
	s_cbranch_execz .LBB13_1402
.LBB13_3452:
	v_mov_b32_e32 v2, 0
	v_cmp_ne_u16_sdwa s[8:9], v9, v2 src0_sel:BYTE_3 src1_sel:DWORD
	s_andn2_b64 s[4:5], s[4:5], exec
	s_and_b64 s[8:9], s[8:9], exec
	s_or_b64 s[4:5], s[4:5], s[8:9]
	s_or_b64 exec, exec, s[6:7]
	s_and_saveexec_b64 s[6:7], s[4:5]
	s_cbranch_execnz .LBB13_1403
	s_branch .LBB13_1404
.LBB13_3453:
	s_movk_i32 s4, 0x80
	v_cmp_eq_u16_sdwa s[12:13], v5, s4 src0_sel:BYTE_3 src1_sel:DWORD
	s_mov_b64 s[4:5], -1
                                        ; implicit-def: $sgpr10
	s_and_saveexec_b64 s[8:9], s[12:13]
; %bb.3454:
	s_mov_b32 s10, 0x7f800001
	s_xor_b64 s[4:5], exec, -1
; %bb.3455:
	s_or_b64 exec, exec, s[8:9]
	s_and_b64 s[4:5], s[4:5], exec
	s_or_saveexec_b64 s[6:7], s[6:7]
	v_mov_b32_e32 v3, s10
	s_xor_b64 exec, exec, s[6:7]
	s_cbranch_execz .LBB13_1406
.LBB13_3456:
	v_mov_b32_e32 v3, 0
	v_cmp_ne_u16_sdwa s[8:9], v5, v3 src0_sel:BYTE_3 src1_sel:DWORD
	s_andn2_b64 s[4:5], s[4:5], exec
	s_and_b64 s[8:9], s[8:9], exec
	s_or_b64 s[4:5], s[4:5], s[8:9]
	s_or_b64 exec, exec, s[6:7]
	s_and_saveexec_b64 s[6:7], s[4:5]
	s_cbranch_execnz .LBB13_1407
	s_branch .LBB13_1408
.LBB13_3457:
	s_movk_i32 s4, 0x80
	v_cmp_eq_u16_sdwa s[12:13], v6, s4 src0_sel:BYTE_0 src1_sel:DWORD
	s_mov_b64 s[4:5], -1
                                        ; implicit-def: $sgpr10
	s_and_saveexec_b64 s[8:9], s[12:13]
; %bb.3458:
	s_mov_b32 s10, 0x7f800001
	s_xor_b64 s[4:5], exec, -1
; %bb.3459:
	s_or_b64 exec, exec, s[8:9]
	s_and_b64 s[4:5], s[4:5], exec
	s_or_saveexec_b64 s[6:7], s[6:7]
	v_mov_b32_e32 v12, s10
	s_xor_b64 exec, exec, s[6:7]
	s_cbranch_execz .LBB13_1410
.LBB13_3460:
	v_mov_b32_e32 v12, 0
	v_cmp_ne_u16_sdwa s[8:9], v6, v12 src0_sel:BYTE_0 src1_sel:DWORD
	s_andn2_b64 s[4:5], s[4:5], exec
	s_and_b64 s[8:9], s[8:9], exec
	s_or_b64 s[4:5], s[4:5], s[8:9]
	s_or_b64 exec, exec, s[6:7]
	s_and_saveexec_b64 s[6:7], s[4:5]
	s_cbranch_execnz .LBB13_1411
	s_branch .LBB13_1412
.LBB13_3461:
	s_movk_i32 s4, 0x80
	v_cmp_eq_u16_sdwa s[12:13], v2, s4 src0_sel:BYTE_0 src1_sel:DWORD
	s_mov_b64 s[4:5], -1
                                        ; implicit-def: $sgpr10
	s_and_saveexec_b64 s[8:9], s[12:13]
; %bb.3462:
	s_mov_b32 s10, 0x7f800001
	s_xor_b64 s[4:5], exec, -1
; %bb.3463:
	s_or_b64 exec, exec, s[8:9]
	s_and_b64 s[4:5], s[4:5], exec
	s_or_saveexec_b64 s[6:7], s[6:7]
	v_mov_b32_e32 v13, s10
	s_xor_b64 exec, exec, s[6:7]
	s_cbranch_execz .LBB13_1414
.LBB13_3464:
	v_mov_b32_e32 v13, 0
	v_cmp_ne_u16_sdwa s[8:9], v2, v13 src0_sel:BYTE_0 src1_sel:DWORD
	s_andn2_b64 s[4:5], s[4:5], exec
	s_and_b64 s[8:9], s[8:9], exec
	s_or_b64 s[4:5], s[4:5], s[8:9]
	s_or_b64 exec, exec, s[6:7]
	s_and_saveexec_b64 s[6:7], s[4:5]
	s_cbranch_execnz .LBB13_1415
	s_branch .LBB13_1416
.LBB13_3465:
	s_movk_i32 s4, 0x80
	v_cmp_eq_u16_sdwa s[12:13], v13, s4 src0_sel:BYTE_0 src1_sel:DWORD
	s_mov_b64 s[4:5], -1
                                        ; implicit-def: $sgpr10
	s_and_saveexec_b64 s[8:9], s[12:13]
; %bb.3466:
	s_mov_b32 s10, 0x7f800001
	s_xor_b64 s[4:5], exec, -1
; %bb.3467:
	s_or_b64 exec, exec, s[8:9]
	s_and_b64 s[4:5], s[4:5], exec
	s_or_saveexec_b64 s[6:7], s[6:7]
	v_mov_b32_e32 v12, s10
	s_xor_b64 exec, exec, s[6:7]
	s_cbranch_execz .LBB13_1418
.LBB13_3468:
	v_mov_b32_e32 v12, 0
	v_cmp_ne_u16_sdwa s[8:9], v13, v12 src0_sel:BYTE_0 src1_sel:DWORD
	s_andn2_b64 s[4:5], s[4:5], exec
	s_and_b64 s[8:9], s[8:9], exec
	s_or_b64 s[4:5], s[4:5], s[8:9]
	s_or_b64 exec, exec, s[6:7]
	s_and_saveexec_b64 s[6:7], s[4:5]
	s_cbranch_execnz .LBB13_1419
	s_branch .LBB13_1420
.LBB13_3469:
	s_movk_i32 s4, 0x80
	v_cmp_eq_u16_sdwa s[12:13], v13, s4 src0_sel:BYTE_0 src1_sel:DWORD
	s_mov_b64 s[4:5], -1
                                        ; implicit-def: $sgpr10
	s_and_saveexec_b64 s[8:9], s[12:13]
; %bb.3470:
	s_mov_b32 s10, 0x7f800001
	s_xor_b64 s[4:5], exec, -1
; %bb.3471:
	s_or_b64 exec, exec, s[8:9]
	s_and_b64 s[4:5], s[4:5], exec
	s_or_saveexec_b64 s[6:7], s[6:7]
	v_mov_b32_e32 v14, s10
	s_xor_b64 exec, exec, s[6:7]
	s_cbranch_execz .LBB13_1422
.LBB13_3472:
	v_mov_b32_e32 v14, 0
	v_cmp_ne_u16_sdwa s[8:9], v13, v14 src0_sel:BYTE_0 src1_sel:DWORD
	s_andn2_b64 s[4:5], s[4:5], exec
	s_and_b64 s[8:9], s[8:9], exec
	s_or_b64 s[4:5], s[4:5], s[8:9]
	s_or_b64 exec, exec, s[6:7]
	s_and_saveexec_b64 s[6:7], s[4:5]
	s_cbranch_execnz .LBB13_1423
	s_branch .LBB13_1424
.LBB13_3473:
	s_movk_i32 s4, 0x80
	v_cmp_eq_u16_e32 vcc, s4, v13
	s_mov_b64 s[4:5], -1
                                        ; implicit-def: $sgpr10
	s_and_saveexec_b64 s[8:9], vcc
; %bb.3474:
	s_mov_b32 s10, 0x7f800001
	s_xor_b64 s[4:5], exec, -1
; %bb.3475:
	s_or_b64 exec, exec, s[8:9]
	s_and_b64 s[4:5], s[4:5], exec
                                        ; implicit-def: $vgpr13
	s_or_saveexec_b64 s[6:7], s[6:7]
	v_mov_b32_e32 v12, s10
	s_xor_b64 exec, exec, s[6:7]
	s_cbranch_execz .LBB13_1426
.LBB13_3476:
	v_cmp_ne_u16_e32 vcc, 0, v13
	s_andn2_b64 s[4:5], s[4:5], exec
	s_and_b64 s[8:9], vcc, exec
	v_mov_b32_e32 v12, 0
	s_or_b64 s[4:5], s[4:5], s[8:9]
	s_or_b64 exec, exec, s[6:7]
	s_and_saveexec_b64 s[6:7], s[4:5]
	s_cbranch_execnz .LBB13_1427
	s_branch .LBB13_1428
.LBB13_3477:
	s_movk_i32 s4, 0x80
	v_cmp_eq_u16_e32 vcc, s4, v13
	s_mov_b64 s[4:5], -1
                                        ; implicit-def: $sgpr10
	s_and_saveexec_b64 s[8:9], vcc
; %bb.3478:
	s_mov_b32 s10, 0x7f800001
	s_xor_b64 s[4:5], exec, -1
; %bb.3479:
	s_or_b64 exec, exec, s[8:9]
	s_and_b64 s[4:5], s[4:5], exec
                                        ; implicit-def: $vgpr13
	s_or_saveexec_b64 s[6:7], s[6:7]
	v_mov_b32_e32 v14, s10
	s_xor_b64 exec, exec, s[6:7]
	s_cbranch_execz .LBB13_1430
.LBB13_3480:
	v_cmp_ne_u16_e32 vcc, 0, v13
	s_andn2_b64 s[4:5], s[4:5], exec
	s_and_b64 s[8:9], vcc, exec
	v_mov_b32_e32 v14, 0
	s_or_b64 s[4:5], s[4:5], s[8:9]
	s_or_b64 exec, exec, s[6:7]
	s_and_saveexec_b64 s[6:7], s[4:5]
	s_cbranch_execnz .LBB13_1431
	s_branch .LBB13_1432
.LBB13_3481:
	s_movk_i32 s4, 0x80
	v_cmp_eq_u16_sdwa s[12:13], v6, s4 src0_sel:BYTE_3 src1_sel:DWORD
	s_mov_b64 s[4:5], -1
                                        ; implicit-def: $sgpr10
	s_and_saveexec_b64 s[8:9], s[12:13]
; %bb.3482:
	s_mov_b32 s10, 0x7f800001
	s_xor_b64 s[4:5], exec, -1
; %bb.3483:
	s_or_b64 exec, exec, s[8:9]
	s_and_b64 s[4:5], s[4:5], exec
	s_or_saveexec_b64 s[6:7], s[6:7]
	v_mov_b32_e32 v12, s10
	s_xor_b64 exec, exec, s[6:7]
	s_cbranch_execz .LBB13_1434
.LBB13_3484:
	v_mov_b32_e32 v12, 0
	v_cmp_ne_u16_sdwa s[8:9], v6, v12 src0_sel:BYTE_3 src1_sel:DWORD
	s_andn2_b64 s[4:5], s[4:5], exec
	s_and_b64 s[8:9], s[8:9], exec
	s_or_b64 s[4:5], s[4:5], s[8:9]
	s_or_b64 exec, exec, s[6:7]
	s_and_saveexec_b64 s[6:7], s[4:5]
	s_cbranch_execnz .LBB13_1435
	s_branch .LBB13_1436
.LBB13_3485:
	s_movk_i32 s4, 0x80
	v_cmp_eq_u16_sdwa s[12:13], v2, s4 src0_sel:BYTE_3 src1_sel:DWORD
	s_mov_b64 s[4:5], -1
                                        ; implicit-def: $sgpr10
	s_and_saveexec_b64 s[8:9], s[12:13]
; %bb.3486:
	s_mov_b32 s10, 0x7f800001
	s_xor_b64 s[4:5], exec, -1
; %bb.3487:
	s_or_b64 exec, exec, s[8:9]
	s_and_b64 s[4:5], s[4:5], exec
	s_or_saveexec_b64 s[6:7], s[6:7]
	v_mov_b32_e32 v6, s10
	s_xor_b64 exec, exec, s[6:7]
	s_cbranch_execz .LBB13_1438
.LBB13_3488:
	v_mov_b32_e32 v6, 0
	v_cmp_ne_u16_sdwa s[8:9], v2, v6 src0_sel:BYTE_3 src1_sel:DWORD
	s_andn2_b64 s[4:5], s[4:5], exec
	s_and_b64 s[8:9], s[8:9], exec
	s_or_b64 s[4:5], s[4:5], s[8:9]
	s_or_b64 exec, exec, s[6:7]
	s_and_saveexec_b64 s[6:7], s[4:5]
	s_cbranch_execnz .LBB13_1439
	s_branch .LBB13_1440
.LBB13_3489:
	s_movk_i32 s4, 0x80
	v_cmp_eq_u16_sdwa s[12:13], v7, s4 src0_sel:BYTE_0 src1_sel:DWORD
	s_mov_b64 s[4:5], -1
                                        ; implicit-def: $sgpr10
	s_and_saveexec_b64 s[8:9], s[12:13]
; %bb.3490:
	s_mov_b32 s10, 0x7f800001
	s_xor_b64 s[4:5], exec, -1
; %bb.3491:
	s_or_b64 exec, exec, s[8:9]
	s_and_b64 s[4:5], s[4:5], exec
	s_or_saveexec_b64 s[6:7], s[6:7]
	v_mov_b32_e32 v2, s10
	s_xor_b64 exec, exec, s[6:7]
	s_cbranch_execz .LBB13_1442
.LBB13_3492:
	v_mov_b32_e32 v2, 0
	v_cmp_ne_u16_sdwa s[8:9], v7, v2 src0_sel:BYTE_0 src1_sel:DWORD
	s_andn2_b64 s[4:5], s[4:5], exec
	s_and_b64 s[8:9], s[8:9], exec
	s_or_b64 s[4:5], s[4:5], s[8:9]
	s_or_b64 exec, exec, s[6:7]
	s_and_saveexec_b64 s[6:7], s[4:5]
	s_cbranch_execnz .LBB13_1443
	s_branch .LBB13_1444
.LBB13_3493:
	s_movk_i32 s4, 0x80
	v_cmp_eq_u16_sdwa s[12:13], v3, s4 src0_sel:BYTE_0 src1_sel:DWORD
	s_mov_b64 s[4:5], -1
                                        ; implicit-def: $sgpr10
	s_and_saveexec_b64 s[8:9], s[12:13]
; %bb.3494:
	s_mov_b32 s10, 0x7f800001
	s_xor_b64 s[4:5], exec, -1
; %bb.3495:
	s_or_b64 exec, exec, s[8:9]
	s_and_b64 s[4:5], s[4:5], exec
	s_or_saveexec_b64 s[6:7], s[6:7]
	v_mov_b32_e32 v6, s10
	s_xor_b64 exec, exec, s[6:7]
	s_cbranch_execz .LBB13_1446
.LBB13_3496:
	v_mov_b32_e32 v6, 0
	v_cmp_ne_u16_sdwa s[8:9], v3, v6 src0_sel:BYTE_0 src1_sel:DWORD
	s_andn2_b64 s[4:5], s[4:5], exec
	s_and_b64 s[8:9], s[8:9], exec
	s_or_b64 s[4:5], s[4:5], s[8:9]
	s_or_b64 exec, exec, s[6:7]
	s_and_saveexec_b64 s[6:7], s[4:5]
	s_cbranch_execnz .LBB13_1447
	s_branch .LBB13_1448
.LBB13_3497:
	s_movk_i32 s4, 0x80
	v_cmp_eq_u16_sdwa s[12:13], v6, s4 src0_sel:BYTE_0 src1_sel:DWORD
	s_mov_b64 s[4:5], -1
                                        ; implicit-def: $sgpr10
	s_and_saveexec_b64 s[8:9], s[12:13]
; %bb.3498:
	s_mov_b32 s10, 0x7f800001
	s_xor_b64 s[4:5], exec, -1
; %bb.3499:
	s_or_b64 exec, exec, s[8:9]
	s_and_b64 s[4:5], s[4:5], exec
	s_or_saveexec_b64 s[6:7], s[6:7]
	v_mov_b32_e32 v2, s10
	s_xor_b64 exec, exec, s[6:7]
	s_cbranch_execz .LBB13_1450
.LBB13_3500:
	v_mov_b32_e32 v2, 0
	v_cmp_ne_u16_sdwa s[8:9], v6, v2 src0_sel:BYTE_0 src1_sel:DWORD
	s_andn2_b64 s[4:5], s[4:5], exec
	s_and_b64 s[8:9], s[8:9], exec
	s_or_b64 s[4:5], s[4:5], s[8:9]
	s_or_b64 exec, exec, s[6:7]
	s_and_saveexec_b64 s[6:7], s[4:5]
	s_cbranch_execnz .LBB13_1451
	s_branch .LBB13_1452
.LBB13_3501:
	s_movk_i32 s4, 0x80
	v_cmp_eq_u16_sdwa s[12:13], v6, s4 src0_sel:BYTE_0 src1_sel:DWORD
	s_mov_b64 s[4:5], -1
                                        ; implicit-def: $sgpr10
	s_and_saveexec_b64 s[8:9], s[12:13]
; %bb.3502:
	s_mov_b32 s10, 0x7f800001
	s_xor_b64 s[4:5], exec, -1
; %bb.3503:
	s_or_b64 exec, exec, s[8:9]
	s_and_b64 s[4:5], s[4:5], exec
	s_or_saveexec_b64 s[6:7], s[6:7]
	v_mov_b32_e32 v12, s10
	s_xor_b64 exec, exec, s[6:7]
	s_cbranch_execz .LBB13_1454
.LBB13_3504:
	v_mov_b32_e32 v12, 0
	v_cmp_ne_u16_sdwa s[8:9], v6, v12 src0_sel:BYTE_0 src1_sel:DWORD
	s_andn2_b64 s[4:5], s[4:5], exec
	s_and_b64 s[8:9], s[8:9], exec
	s_or_b64 s[4:5], s[4:5], s[8:9]
	s_or_b64 exec, exec, s[6:7]
	s_and_saveexec_b64 s[6:7], s[4:5]
	s_cbranch_execnz .LBB13_1455
	s_branch .LBB13_1456
.LBB13_3505:
	s_movk_i32 s4, 0x80
	v_cmp_eq_u16_e32 vcc, s4, v6
	s_mov_b64 s[4:5], -1
                                        ; implicit-def: $sgpr10
	s_and_saveexec_b64 s[8:9], vcc
; %bb.3506:
	s_mov_b32 s10, 0x7f800001
	s_xor_b64 s[4:5], exec, -1
; %bb.3507:
	s_or_b64 exec, exec, s[8:9]
	s_and_b64 s[4:5], s[4:5], exec
                                        ; implicit-def: $vgpr6
	s_or_saveexec_b64 s[6:7], s[6:7]
	v_mov_b32_e32 v2, s10
	s_xor_b64 exec, exec, s[6:7]
	s_cbranch_execz .LBB13_1458
.LBB13_3508:
	v_cmp_ne_u16_e32 vcc, 0, v6
	s_andn2_b64 s[4:5], s[4:5], exec
	s_and_b64 s[8:9], vcc, exec
	v_mov_b32_e32 v2, 0
	s_or_b64 s[4:5], s[4:5], s[8:9]
	s_or_b64 exec, exec, s[6:7]
	s_and_saveexec_b64 s[6:7], s[4:5]
	s_cbranch_execnz .LBB13_1459
	s_branch .LBB13_1460
.LBB13_3509:
	s_movk_i32 s4, 0x80
	v_cmp_eq_u16_e32 vcc, s4, v6
	s_mov_b64 s[4:5], -1
                                        ; implicit-def: $sgpr10
	s_and_saveexec_b64 s[8:9], vcc
; %bb.3510:
	s_mov_b32 s10, 0x7f800001
	s_xor_b64 s[4:5], exec, -1
; %bb.3511:
	s_or_b64 exec, exec, s[8:9]
	s_and_b64 s[4:5], s[4:5], exec
                                        ; implicit-def: $vgpr6
	s_or_saveexec_b64 s[6:7], s[6:7]
	v_mov_b32_e32 v12, s10
	s_xor_b64 exec, exec, s[6:7]
	s_cbranch_execz .LBB13_1462
.LBB13_3512:
	v_cmp_ne_u16_e32 vcc, 0, v6
	s_andn2_b64 s[4:5], s[4:5], exec
	s_and_b64 s[8:9], vcc, exec
	v_mov_b32_e32 v12, 0
	s_or_b64 s[4:5], s[4:5], s[8:9]
	s_or_b64 exec, exec, s[6:7]
	s_and_saveexec_b64 s[6:7], s[4:5]
	s_cbranch_execnz .LBB13_1463
	s_branch .LBB13_1464
.LBB13_3513:
	s_movk_i32 s4, 0x80
	v_cmp_eq_u16_sdwa s[12:13], v7, s4 src0_sel:BYTE_3 src1_sel:DWORD
	s_mov_b64 s[4:5], -1
                                        ; implicit-def: $sgpr10
	s_and_saveexec_b64 s[8:9], s[12:13]
; %bb.3514:
	s_mov_b32 s10, 0x7f800001
	s_xor_b64 s[4:5], exec, -1
; %bb.3515:
	s_or_b64 exec, exec, s[8:9]
	s_and_b64 s[4:5], s[4:5], exec
	s_or_saveexec_b64 s[6:7], s[6:7]
	v_mov_b32_e32 v2, s10
	s_xor_b64 exec, exec, s[6:7]
	s_cbranch_execz .LBB13_1466
.LBB13_3516:
	v_mov_b32_e32 v2, 0
	v_cmp_ne_u16_sdwa s[8:9], v7, v2 src0_sel:BYTE_3 src1_sel:DWORD
	s_andn2_b64 s[4:5], s[4:5], exec
	s_and_b64 s[8:9], s[8:9], exec
	s_or_b64 s[4:5], s[4:5], s[8:9]
	s_or_b64 exec, exec, s[6:7]
	s_and_saveexec_b64 s[6:7], s[4:5]
	s_cbranch_execnz .LBB13_1467
	s_branch .LBB13_1468
.LBB13_3517:
	s_movk_i32 s4, 0x80
	v_cmp_eq_u16_sdwa s[12:13], v3, s4 src0_sel:BYTE_3 src1_sel:DWORD
	s_mov_b64 s[4:5], -1
                                        ; implicit-def: $sgpr10
	s_and_saveexec_b64 s[8:9], s[12:13]
; %bb.3518:
	s_mov_b32 s10, 0x7f800001
	s_xor_b64 s[4:5], exec, -1
; %bb.3519:
	s_or_b64 exec, exec, s[8:9]
	s_and_b64 s[4:5], s[4:5], exec
	s_or_saveexec_b64 s[6:7], s[6:7]
	v_mov_b32_e32 v6, s10
	s_xor_b64 exec, exec, s[6:7]
	s_cbranch_execz .LBB13_1470
.LBB13_3520:
	v_mov_b32_e32 v6, 0
	v_cmp_ne_u16_sdwa s[8:9], v3, v6 src0_sel:BYTE_3 src1_sel:DWORD
	s_andn2_b64 s[4:5], s[4:5], exec
	s_and_b64 s[8:9], s[8:9], exec
	s_or_b64 s[4:5], s[4:5], s[8:9]
	s_or_b64 exec, exec, s[6:7]
	s_and_saveexec_b64 s[6:7], s[4:5]
	s_cbranch_execnz .LBB13_1471
	s_branch .LBB13_1472
.LBB13_3521:
	s_movk_i32 s4, 0x80
	v_cmp_eq_u16_sdwa s[12:13], v8, s4 src0_sel:BYTE_0 src1_sel:DWORD
	s_mov_b64 s[4:5], -1
                                        ; implicit-def: $sgpr10
	s_and_saveexec_b64 s[8:9], s[12:13]
; %bb.3522:
	s_mov_b32 s10, 0x7f800001
	s_xor_b64 s[4:5], exec, -1
; %bb.3523:
	s_or_b64 exec, exec, s[8:9]
	s_and_b64 s[4:5], s[4:5], exec
	s_or_saveexec_b64 s[6:7], s[6:7]
	v_mov_b32_e32 v2, s10
	s_xor_b64 exec, exec, s[6:7]
	s_cbranch_execz .LBB13_1474
.LBB13_3524:
	v_mov_b32_e32 v2, 0
	v_cmp_ne_u16_sdwa s[8:9], v8, v2 src0_sel:BYTE_0 src1_sel:DWORD
	s_andn2_b64 s[4:5], s[4:5], exec
	s_and_b64 s[8:9], s[8:9], exec
	s_or_b64 s[4:5], s[4:5], s[8:9]
	s_or_b64 exec, exec, s[6:7]
	s_and_saveexec_b64 s[6:7], s[4:5]
	s_cbranch_execnz .LBB13_1475
	s_branch .LBB13_1476
.LBB13_3525:
	s_movk_i32 s4, 0x80
	v_cmp_eq_u16_sdwa s[12:13], v4, s4 src0_sel:BYTE_0 src1_sel:DWORD
	s_mov_b64 s[4:5], -1
                                        ; implicit-def: $sgpr10
	s_and_saveexec_b64 s[8:9], s[12:13]
; %bb.3526:
	s_mov_b32 s10, 0x7f800001
	s_xor_b64 s[4:5], exec, -1
; %bb.3527:
	s_or_b64 exec, exec, s[8:9]
	s_and_b64 s[4:5], s[4:5], exec
	s_or_saveexec_b64 s[6:7], s[6:7]
	v_mov_b32_e32 v3, s10
	s_xor_b64 exec, exec, s[6:7]
	s_cbranch_execz .LBB13_1478
.LBB13_3528:
	v_mov_b32_e32 v3, 0
	v_cmp_ne_u16_sdwa s[8:9], v4, v3 src0_sel:BYTE_0 src1_sel:DWORD
	s_andn2_b64 s[4:5], s[4:5], exec
	s_and_b64 s[8:9], s[8:9], exec
	s_or_b64 s[4:5], s[4:5], s[8:9]
	s_or_b64 exec, exec, s[6:7]
	s_and_saveexec_b64 s[6:7], s[4:5]
	s_cbranch_execnz .LBB13_1479
	s_branch .LBB13_1480
.LBB13_3529:
	s_movk_i32 s4, 0x80
	v_cmp_eq_u16_sdwa s[12:13], v3, s4 src0_sel:BYTE_0 src1_sel:DWORD
	s_mov_b64 s[4:5], -1
                                        ; implicit-def: $sgpr10
	s_and_saveexec_b64 s[8:9], s[12:13]
; %bb.3530:
	s_mov_b32 s10, 0x7f800001
	s_xor_b64 s[4:5], exec, -1
; %bb.3531:
	s_or_b64 exec, exec, s[8:9]
	s_and_b64 s[4:5], s[4:5], exec
	s_or_saveexec_b64 s[6:7], s[6:7]
	v_mov_b32_e32 v2, s10
	s_xor_b64 exec, exec, s[6:7]
	s_cbranch_execz .LBB13_1482
.LBB13_3532:
	v_mov_b32_e32 v2, 0
	v_cmp_ne_u16_sdwa s[8:9], v3, v2 src0_sel:BYTE_0 src1_sel:DWORD
	s_andn2_b64 s[4:5], s[4:5], exec
	s_and_b64 s[8:9], s[8:9], exec
	s_or_b64 s[4:5], s[4:5], s[8:9]
	s_or_b64 exec, exec, s[6:7]
	s_and_saveexec_b64 s[6:7], s[4:5]
	s_cbranch_execnz .LBB13_1483
	s_branch .LBB13_1484
.LBB13_3533:
	s_movk_i32 s4, 0x80
	v_cmp_eq_u16_sdwa s[12:13], v3, s4 src0_sel:BYTE_0 src1_sel:DWORD
	s_mov_b64 s[4:5], -1
                                        ; implicit-def: $sgpr10
	s_and_saveexec_b64 s[8:9], s[12:13]
; %bb.3534:
	s_mov_b32 s10, 0x7f800001
	s_xor_b64 s[4:5], exec, -1
; %bb.3535:
	s_or_b64 exec, exec, s[8:9]
	s_and_b64 s[4:5], s[4:5], exec
	s_or_saveexec_b64 s[6:7], s[6:7]
	v_mov_b32_e32 v6, s10
	s_xor_b64 exec, exec, s[6:7]
	s_cbranch_execz .LBB13_1486
.LBB13_3536:
	v_mov_b32_e32 v6, 0
	v_cmp_ne_u16_sdwa s[8:9], v3, v6 src0_sel:BYTE_0 src1_sel:DWORD
	s_andn2_b64 s[4:5], s[4:5], exec
	s_and_b64 s[8:9], s[8:9], exec
	s_or_b64 s[4:5], s[4:5], s[8:9]
	s_or_b64 exec, exec, s[6:7]
	s_and_saveexec_b64 s[6:7], s[4:5]
	s_cbranch_execnz .LBB13_1487
	s_branch .LBB13_1488
.LBB13_3537:
	s_movk_i32 s4, 0x80
	v_cmp_eq_u16_e32 vcc, s4, v3
	s_mov_b64 s[4:5], -1
                                        ; implicit-def: $sgpr10
	s_and_saveexec_b64 s[8:9], vcc
; %bb.3538:
	s_mov_b32 s10, 0x7f800001
	s_xor_b64 s[4:5], exec, -1
; %bb.3539:
	s_or_b64 exec, exec, s[8:9]
	s_and_b64 s[4:5], s[4:5], exec
                                        ; implicit-def: $vgpr3
	s_or_saveexec_b64 s[6:7], s[6:7]
	v_mov_b32_e32 v2, s10
	s_xor_b64 exec, exec, s[6:7]
	s_cbranch_execz .LBB13_1490
.LBB13_3540:
	v_cmp_ne_u16_e32 vcc, 0, v3
	s_andn2_b64 s[4:5], s[4:5], exec
	s_and_b64 s[8:9], vcc, exec
	v_mov_b32_e32 v2, 0
	s_or_b64 s[4:5], s[4:5], s[8:9]
	s_or_b64 exec, exec, s[6:7]
	s_and_saveexec_b64 s[6:7], s[4:5]
	s_cbranch_execnz .LBB13_1491
	s_branch .LBB13_1492
.LBB13_3541:
	s_movk_i32 s4, 0x80
	v_cmp_eq_u16_e32 vcc, s4, v3
	s_mov_b64 s[4:5], -1
                                        ; implicit-def: $sgpr10
	s_and_saveexec_b64 s[8:9], vcc
; %bb.3542:
	s_mov_b32 s10, 0x7f800001
	s_xor_b64 s[4:5], exec, -1
; %bb.3543:
	s_or_b64 exec, exec, s[8:9]
	s_and_b64 s[4:5], s[4:5], exec
                                        ; implicit-def: $vgpr3
	s_or_saveexec_b64 s[6:7], s[6:7]
	v_mov_b32_e32 v6, s10
	s_xor_b64 exec, exec, s[6:7]
	s_cbranch_execz .LBB13_1494
.LBB13_3544:
	v_cmp_ne_u16_e32 vcc, 0, v3
	s_andn2_b64 s[4:5], s[4:5], exec
	s_and_b64 s[8:9], vcc, exec
	v_mov_b32_e32 v6, 0
	s_or_b64 s[4:5], s[4:5], s[8:9]
	s_or_b64 exec, exec, s[6:7]
	s_and_saveexec_b64 s[6:7], s[4:5]
	s_cbranch_execnz .LBB13_1495
	s_branch .LBB13_1496
.LBB13_3545:
	s_movk_i32 s4, 0x80
	v_cmp_eq_u16_sdwa s[12:13], v8, s4 src0_sel:BYTE_3 src1_sel:DWORD
	s_mov_b64 s[4:5], -1
                                        ; implicit-def: $sgpr10
	s_and_saveexec_b64 s[8:9], s[12:13]
; %bb.3546:
	s_mov_b32 s10, 0x7f800001
	s_xor_b64 s[4:5], exec, -1
; %bb.3547:
	s_or_b64 exec, exec, s[8:9]
	s_and_b64 s[4:5], s[4:5], exec
	s_or_saveexec_b64 s[6:7], s[6:7]
	v_mov_b32_e32 v2, s10
	s_xor_b64 exec, exec, s[6:7]
	s_cbranch_execz .LBB13_1498
.LBB13_3548:
	v_mov_b32_e32 v2, 0
	v_cmp_ne_u16_sdwa s[8:9], v8, v2 src0_sel:BYTE_3 src1_sel:DWORD
	s_andn2_b64 s[4:5], s[4:5], exec
	s_and_b64 s[8:9], s[8:9], exec
	s_or_b64 s[4:5], s[4:5], s[8:9]
	s_or_b64 exec, exec, s[6:7]
	s_and_saveexec_b64 s[6:7], s[4:5]
	s_cbranch_execnz .LBB13_1499
	s_branch .LBB13_1500
.LBB13_3549:
	s_movk_i32 s4, 0x80
	v_cmp_eq_u16_sdwa s[12:13], v4, s4 src0_sel:BYTE_3 src1_sel:DWORD
	s_mov_b64 s[4:5], -1
                                        ; implicit-def: $sgpr10
	s_and_saveexec_b64 s[8:9], s[12:13]
; %bb.3550:
	s_mov_b32 s10, 0x7f800001
	s_xor_b64 s[4:5], exec, -1
; %bb.3551:
	s_or_b64 exec, exec, s[8:9]
	s_and_b64 s[4:5], s[4:5], exec
	s_or_saveexec_b64 s[6:7], s[6:7]
	v_mov_b32_e32 v3, s10
	s_xor_b64 exec, exec, s[6:7]
	s_cbranch_execz .LBB13_1502
.LBB13_3552:
	v_mov_b32_e32 v3, 0
	v_cmp_ne_u16_sdwa s[8:9], v4, v3 src0_sel:BYTE_3 src1_sel:DWORD
	s_andn2_b64 s[4:5], s[4:5], exec
	s_and_b64 s[8:9], s[8:9], exec
	s_or_b64 s[4:5], s[4:5], s[8:9]
	s_or_b64 exec, exec, s[6:7]
	s_and_saveexec_b64 s[6:7], s[4:5]
	s_cbranch_execnz .LBB13_1503
	s_branch .LBB13_1504
.LBB13_3553:
	s_movk_i32 s4, 0x80
	v_cmp_eq_u16_sdwa s[12:13], v9, s4 src0_sel:BYTE_0 src1_sel:DWORD
	s_mov_b64 s[4:5], -1
                                        ; implicit-def: $sgpr10
	s_and_saveexec_b64 s[8:9], s[12:13]
; %bb.3554:
	s_mov_b32 s10, 0x7f800001
	s_xor_b64 s[4:5], exec, -1
; %bb.3555:
	s_or_b64 exec, exec, s[8:9]
	s_and_b64 s[4:5], s[4:5], exec
	s_or_saveexec_b64 s[6:7], s[6:7]
	v_mov_b32_e32 v2, s10
	s_xor_b64 exec, exec, s[6:7]
	s_cbranch_execz .LBB13_1506
.LBB13_3556:
	v_mov_b32_e32 v2, 0
	v_cmp_ne_u16_sdwa s[8:9], v9, v2 src0_sel:BYTE_0 src1_sel:DWORD
	s_andn2_b64 s[4:5], s[4:5], exec
	s_and_b64 s[8:9], s[8:9], exec
	s_or_b64 s[4:5], s[4:5], s[8:9]
	s_or_b64 exec, exec, s[6:7]
	s_and_saveexec_b64 s[6:7], s[4:5]
	s_cbranch_execnz .LBB13_1507
	s_branch .LBB13_1508
.LBB13_3557:
	s_movk_i32 s4, 0x80
	v_cmp_eq_u16_sdwa s[12:13], v5, s4 src0_sel:BYTE_0 src1_sel:DWORD
	s_mov_b64 s[4:5], -1
                                        ; implicit-def: $sgpr10
	s_and_saveexec_b64 s[8:9], s[12:13]
; %bb.3558:
	s_mov_b32 s10, 0x7f800001
	s_xor_b64 s[4:5], exec, -1
; %bb.3559:
	s_or_b64 exec, exec, s[8:9]
	s_and_b64 s[4:5], s[4:5], exec
	s_or_saveexec_b64 s[6:7], s[6:7]
	v_mov_b32_e32 v3, s10
	s_xor_b64 exec, exec, s[6:7]
	s_cbranch_execz .LBB13_1510
.LBB13_3560:
	v_mov_b32_e32 v3, 0
	v_cmp_ne_u16_sdwa s[8:9], v5, v3 src0_sel:BYTE_0 src1_sel:DWORD
	s_andn2_b64 s[4:5], s[4:5], exec
	s_and_b64 s[8:9], s[8:9], exec
	s_or_b64 s[4:5], s[4:5], s[8:9]
	s_or_b64 exec, exec, s[6:7]
	s_and_saveexec_b64 s[6:7], s[4:5]
	s_cbranch_execnz .LBB13_1511
	s_branch .LBB13_1512
.LBB13_3561:
	s_movk_i32 s4, 0x80
	v_cmp_eq_u16_sdwa s[12:13], v3, s4 src0_sel:BYTE_0 src1_sel:DWORD
	s_mov_b64 s[4:5], -1
                                        ; implicit-def: $sgpr10
	s_and_saveexec_b64 s[8:9], s[12:13]
; %bb.3562:
	s_mov_b32 s10, 0x7f800001
	s_xor_b64 s[4:5], exec, -1
; %bb.3563:
	s_or_b64 exec, exec, s[8:9]
	s_and_b64 s[4:5], s[4:5], exec
	s_or_saveexec_b64 s[6:7], s[6:7]
	v_mov_b32_e32 v2, s10
	s_xor_b64 exec, exec, s[6:7]
	s_cbranch_execz .LBB13_1514
.LBB13_3564:
	v_mov_b32_e32 v2, 0
	v_cmp_ne_u16_sdwa s[8:9], v3, v2 src0_sel:BYTE_0 src1_sel:DWORD
	s_andn2_b64 s[4:5], s[4:5], exec
	s_and_b64 s[8:9], s[8:9], exec
	s_or_b64 s[4:5], s[4:5], s[8:9]
	s_or_b64 exec, exec, s[6:7]
	s_and_saveexec_b64 s[6:7], s[4:5]
	s_cbranch_execnz .LBB13_1515
	s_branch .LBB13_1516
.LBB13_3565:
	s_movk_i32 s4, 0x80
	v_cmp_eq_u16_sdwa s[12:13], v3, s4 src0_sel:BYTE_0 src1_sel:DWORD
	s_mov_b64 s[4:5], -1
                                        ; implicit-def: $sgpr10
	s_and_saveexec_b64 s[8:9], s[12:13]
; %bb.3566:
	s_mov_b32 s10, 0x7f800001
	s_xor_b64 s[4:5], exec, -1
; %bb.3567:
	s_or_b64 exec, exec, s[8:9]
	s_and_b64 s[4:5], s[4:5], exec
	s_or_saveexec_b64 s[6:7], s[6:7]
	v_mov_b32_e32 v4, s10
	s_xor_b64 exec, exec, s[6:7]
	s_cbranch_execz .LBB13_1518
.LBB13_3568:
	v_mov_b32_e32 v4, 0
	v_cmp_ne_u16_sdwa s[8:9], v3, v4 src0_sel:BYTE_0 src1_sel:DWORD
	s_andn2_b64 s[4:5], s[4:5], exec
	s_and_b64 s[8:9], s[8:9], exec
	s_or_b64 s[4:5], s[4:5], s[8:9]
	s_or_b64 exec, exec, s[6:7]
	s_and_saveexec_b64 s[6:7], s[4:5]
	s_cbranch_execnz .LBB13_1519
	s_branch .LBB13_1520
.LBB13_3569:
	s_movk_i32 s4, 0x80
	v_cmp_eq_u16_e32 vcc, s4, v3
	s_mov_b64 s[4:5], -1
                                        ; implicit-def: $sgpr10
	s_and_saveexec_b64 s[8:9], vcc
; %bb.3570:
	s_mov_b32 s10, 0x7f800001
	s_xor_b64 s[4:5], exec, -1
; %bb.3571:
	s_or_b64 exec, exec, s[8:9]
	s_and_b64 s[4:5], s[4:5], exec
                                        ; implicit-def: $vgpr3
	s_or_saveexec_b64 s[6:7], s[6:7]
	v_mov_b32_e32 v2, s10
	s_xor_b64 exec, exec, s[6:7]
	s_cbranch_execz .LBB13_1522
.LBB13_3572:
	v_cmp_ne_u16_e32 vcc, 0, v3
	s_andn2_b64 s[4:5], s[4:5], exec
	s_and_b64 s[8:9], vcc, exec
	v_mov_b32_e32 v2, 0
	s_or_b64 s[4:5], s[4:5], s[8:9]
	s_or_b64 exec, exec, s[6:7]
	s_and_saveexec_b64 s[6:7], s[4:5]
	s_cbranch_execnz .LBB13_1523
	s_branch .LBB13_1524
.LBB13_3573:
	s_movk_i32 s4, 0x80
	v_cmp_eq_u16_e32 vcc, s4, v3
	s_mov_b64 s[4:5], -1
                                        ; implicit-def: $sgpr10
	s_and_saveexec_b64 s[8:9], vcc
; %bb.3574:
	s_mov_b32 s10, 0x7f800001
	s_xor_b64 s[4:5], exec, -1
; %bb.3575:
	s_or_b64 exec, exec, s[8:9]
	s_and_b64 s[4:5], s[4:5], exec
                                        ; implicit-def: $vgpr3
	s_or_saveexec_b64 s[6:7], s[6:7]
	v_mov_b32_e32 v4, s10
	s_xor_b64 exec, exec, s[6:7]
	s_cbranch_execz .LBB13_1526
.LBB13_3576:
	v_cmp_ne_u16_e32 vcc, 0, v3
	s_andn2_b64 s[4:5], s[4:5], exec
	s_and_b64 s[8:9], vcc, exec
	v_mov_b32_e32 v4, 0
	s_or_b64 s[4:5], s[4:5], s[8:9]
	s_or_b64 exec, exec, s[6:7]
	s_and_saveexec_b64 s[6:7], s[4:5]
	s_cbranch_execnz .LBB13_1527
	s_branch .LBB13_1528
.LBB13_3577:
	s_movk_i32 s4, 0x80
	v_cmp_eq_u16_sdwa s[12:13], v9, s4 src0_sel:BYTE_3 src1_sel:DWORD
	s_mov_b64 s[4:5], -1
                                        ; implicit-def: $sgpr10
	s_and_saveexec_b64 s[8:9], s[12:13]
; %bb.3578:
	s_mov_b32 s10, 0x7f800001
	s_xor_b64 s[4:5], exec, -1
; %bb.3579:
	s_or_b64 exec, exec, s[8:9]
	s_and_b64 s[4:5], s[4:5], exec
	s_or_saveexec_b64 s[6:7], s[6:7]
	v_mov_b32_e32 v2, s10
	s_xor_b64 exec, exec, s[6:7]
	s_cbranch_execz .LBB13_1530
.LBB13_3580:
	v_mov_b32_e32 v2, 0
	v_cmp_ne_u16_sdwa s[8:9], v9, v2 src0_sel:BYTE_3 src1_sel:DWORD
	s_andn2_b64 s[4:5], s[4:5], exec
	s_and_b64 s[8:9], s[8:9], exec
	s_or_b64 s[4:5], s[4:5], s[8:9]
	s_or_b64 exec, exec, s[6:7]
	s_and_saveexec_b64 s[6:7], s[4:5]
	s_cbranch_execnz .LBB13_1531
	s_branch .LBB13_1532
.LBB13_3581:
	s_movk_i32 s4, 0x80
	v_cmp_eq_u16_sdwa s[12:13], v5, s4 src0_sel:BYTE_3 src1_sel:DWORD
	s_mov_b64 s[4:5], -1
                                        ; implicit-def: $sgpr10
	s_and_saveexec_b64 s[8:9], s[12:13]
; %bb.3582:
	s_mov_b32 s10, 0x7f800001
	s_xor_b64 s[4:5], exec, -1
; %bb.3583:
	s_or_b64 exec, exec, s[8:9]
	s_and_b64 s[4:5], s[4:5], exec
	s_or_saveexec_b64 s[6:7], s[6:7]
	v_mov_b32_e32 v3, s10
	s_xor_b64 exec, exec, s[6:7]
	s_cbranch_execz .LBB13_1534
.LBB13_3584:
	v_mov_b32_e32 v3, 0
	v_cmp_ne_u16_sdwa s[8:9], v5, v3 src0_sel:BYTE_3 src1_sel:DWORD
	s_andn2_b64 s[4:5], s[4:5], exec
	s_and_b64 s[8:9], s[8:9], exec
	s_or_b64 s[4:5], s[4:5], s[8:9]
	s_or_b64 exec, exec, s[6:7]
	s_and_saveexec_b64 s[6:7], s[4:5]
	s_cbranch_execnz .LBB13_1535
	s_branch .LBB13_1536
.LBB13_3585:
	s_movk_i32 s4, 0x80
	v_cmp_eq_u16_sdwa s[12:13], v6, s4 src0_sel:BYTE_0 src1_sel:DWORD
	s_mov_b64 s[4:5], -1
                                        ; implicit-def: $sgpr10
	s_and_saveexec_b64 s[8:9], s[12:13]
; %bb.3586:
	s_mov_b32 s10, 0x7f800001
	s_xor_b64 s[4:5], exec, -1
; %bb.3587:
	s_or_b64 exec, exec, s[8:9]
	s_and_b64 s[4:5], s[4:5], exec
	s_or_saveexec_b64 s[6:7], s[6:7]
	v_mov_b32_e32 v12, s10
	s_xor_b64 exec, exec, s[6:7]
	s_cbranch_execz .LBB13_1538
.LBB13_3588:
	v_mov_b32_e32 v12, 0
	v_cmp_ne_u16_sdwa s[8:9], v6, v12 src0_sel:BYTE_0 src1_sel:DWORD
	s_andn2_b64 s[4:5], s[4:5], exec
	s_and_b64 s[8:9], s[8:9], exec
	s_or_b64 s[4:5], s[4:5], s[8:9]
	s_or_b64 exec, exec, s[6:7]
	s_and_saveexec_b64 s[6:7], s[4:5]
	s_cbranch_execnz .LBB13_1539
	s_branch .LBB13_1540
.LBB13_3589:
	s_movk_i32 s4, 0x80
	v_cmp_eq_u16_sdwa s[12:13], v2, s4 src0_sel:BYTE_0 src1_sel:DWORD
	s_mov_b64 s[4:5], -1
                                        ; implicit-def: $sgpr10
	s_and_saveexec_b64 s[8:9], s[12:13]
; %bb.3590:
	s_mov_b32 s10, 0x7f800001
	s_xor_b64 s[4:5], exec, -1
; %bb.3591:
	s_or_b64 exec, exec, s[8:9]
	s_and_b64 s[4:5], s[4:5], exec
	s_or_saveexec_b64 s[6:7], s[6:7]
	v_mov_b32_e32 v13, s10
	s_xor_b64 exec, exec, s[6:7]
	s_cbranch_execz .LBB13_1542
.LBB13_3592:
	v_mov_b32_e32 v13, 0
	v_cmp_ne_u16_sdwa s[8:9], v2, v13 src0_sel:BYTE_0 src1_sel:DWORD
	s_andn2_b64 s[4:5], s[4:5], exec
	s_and_b64 s[8:9], s[8:9], exec
	s_or_b64 s[4:5], s[4:5], s[8:9]
	s_or_b64 exec, exec, s[6:7]
	s_and_saveexec_b64 s[6:7], s[4:5]
	s_cbranch_execnz .LBB13_1543
	s_branch .LBB13_1544
.LBB13_3593:
	s_movk_i32 s4, 0x80
	v_cmp_eq_u16_sdwa s[12:13], v13, s4 src0_sel:BYTE_0 src1_sel:DWORD
	s_mov_b64 s[4:5], -1
                                        ; implicit-def: $sgpr10
	s_and_saveexec_b64 s[8:9], s[12:13]
; %bb.3594:
	s_mov_b32 s10, 0x7f800001
	s_xor_b64 s[4:5], exec, -1
; %bb.3595:
	s_or_b64 exec, exec, s[8:9]
	s_and_b64 s[4:5], s[4:5], exec
	s_or_saveexec_b64 s[6:7], s[6:7]
	v_mov_b32_e32 v12, s10
	s_xor_b64 exec, exec, s[6:7]
	s_cbranch_execz .LBB13_1546
.LBB13_3596:
	v_mov_b32_e32 v12, 0
	v_cmp_ne_u16_sdwa s[8:9], v13, v12 src0_sel:BYTE_0 src1_sel:DWORD
	s_andn2_b64 s[4:5], s[4:5], exec
	s_and_b64 s[8:9], s[8:9], exec
	s_or_b64 s[4:5], s[4:5], s[8:9]
	s_or_b64 exec, exec, s[6:7]
	s_and_saveexec_b64 s[6:7], s[4:5]
	s_cbranch_execnz .LBB13_1547
	s_branch .LBB13_1548
.LBB13_3597:
	s_movk_i32 s4, 0x80
	v_cmp_eq_u16_sdwa s[12:13], v13, s4 src0_sel:BYTE_0 src1_sel:DWORD
	s_mov_b64 s[4:5], -1
                                        ; implicit-def: $sgpr10
	s_and_saveexec_b64 s[8:9], s[12:13]
; %bb.3598:
	s_mov_b32 s10, 0x7f800001
	s_xor_b64 s[4:5], exec, -1
; %bb.3599:
	s_or_b64 exec, exec, s[8:9]
	s_and_b64 s[4:5], s[4:5], exec
	s_or_saveexec_b64 s[6:7], s[6:7]
	v_mov_b32_e32 v14, s10
	s_xor_b64 exec, exec, s[6:7]
	s_cbranch_execz .LBB13_1550
.LBB13_3600:
	v_mov_b32_e32 v14, 0
	v_cmp_ne_u16_sdwa s[8:9], v13, v14 src0_sel:BYTE_0 src1_sel:DWORD
	s_andn2_b64 s[4:5], s[4:5], exec
	s_and_b64 s[8:9], s[8:9], exec
	s_or_b64 s[4:5], s[4:5], s[8:9]
	s_or_b64 exec, exec, s[6:7]
	s_and_saveexec_b64 s[6:7], s[4:5]
	s_cbranch_execnz .LBB13_1551
	s_branch .LBB13_1552
.LBB13_3601:
	s_movk_i32 s4, 0x80
	v_cmp_eq_u16_e32 vcc, s4, v13
	s_mov_b64 s[4:5], -1
                                        ; implicit-def: $sgpr10
	s_and_saveexec_b64 s[8:9], vcc
; %bb.3602:
	s_mov_b32 s10, 0x7f800001
	s_xor_b64 s[4:5], exec, -1
; %bb.3603:
	s_or_b64 exec, exec, s[8:9]
	s_and_b64 s[4:5], s[4:5], exec
                                        ; implicit-def: $vgpr13
	s_or_saveexec_b64 s[6:7], s[6:7]
	v_mov_b32_e32 v12, s10
	s_xor_b64 exec, exec, s[6:7]
	s_cbranch_execz .LBB13_1554
.LBB13_3604:
	v_cmp_ne_u16_e32 vcc, 0, v13
	s_andn2_b64 s[4:5], s[4:5], exec
	s_and_b64 s[8:9], vcc, exec
	v_mov_b32_e32 v12, 0
	s_or_b64 s[4:5], s[4:5], s[8:9]
	s_or_b64 exec, exec, s[6:7]
	s_and_saveexec_b64 s[6:7], s[4:5]
	s_cbranch_execnz .LBB13_1555
	s_branch .LBB13_1556
.LBB13_3605:
	s_movk_i32 s4, 0x80
	v_cmp_eq_u16_e32 vcc, s4, v13
	s_mov_b64 s[4:5], -1
                                        ; implicit-def: $sgpr10
	s_and_saveexec_b64 s[8:9], vcc
; %bb.3606:
	s_mov_b32 s10, 0x7f800001
	s_xor_b64 s[4:5], exec, -1
; %bb.3607:
	s_or_b64 exec, exec, s[8:9]
	s_and_b64 s[4:5], s[4:5], exec
                                        ; implicit-def: $vgpr13
	s_or_saveexec_b64 s[6:7], s[6:7]
	v_mov_b32_e32 v14, s10
	s_xor_b64 exec, exec, s[6:7]
	s_cbranch_execz .LBB13_1558
.LBB13_3608:
	v_cmp_ne_u16_e32 vcc, 0, v13
	s_andn2_b64 s[4:5], s[4:5], exec
	s_and_b64 s[8:9], vcc, exec
	v_mov_b32_e32 v14, 0
	s_or_b64 s[4:5], s[4:5], s[8:9]
	s_or_b64 exec, exec, s[6:7]
	s_and_saveexec_b64 s[6:7], s[4:5]
	s_cbranch_execnz .LBB13_1559
	s_branch .LBB13_1560
.LBB13_3609:
	s_movk_i32 s4, 0x80
	v_cmp_eq_u16_sdwa s[12:13], v6, s4 src0_sel:BYTE_3 src1_sel:DWORD
	s_mov_b64 s[4:5], -1
                                        ; implicit-def: $sgpr10
	s_and_saveexec_b64 s[8:9], s[12:13]
; %bb.3610:
	s_mov_b32 s10, 0x7f800001
	s_xor_b64 s[4:5], exec, -1
; %bb.3611:
	s_or_b64 exec, exec, s[8:9]
	s_and_b64 s[4:5], s[4:5], exec
	s_or_saveexec_b64 s[6:7], s[6:7]
	v_mov_b32_e32 v12, s10
	s_xor_b64 exec, exec, s[6:7]
	s_cbranch_execz .LBB13_1562
.LBB13_3612:
	v_mov_b32_e32 v12, 0
	v_cmp_ne_u16_sdwa s[8:9], v6, v12 src0_sel:BYTE_3 src1_sel:DWORD
	s_andn2_b64 s[4:5], s[4:5], exec
	s_and_b64 s[8:9], s[8:9], exec
	s_or_b64 s[4:5], s[4:5], s[8:9]
	s_or_b64 exec, exec, s[6:7]
	s_and_saveexec_b64 s[6:7], s[4:5]
	s_cbranch_execnz .LBB13_1563
	s_branch .LBB13_1564
.LBB13_3613:
	s_movk_i32 s4, 0x80
	v_cmp_eq_u16_sdwa s[12:13], v2, s4 src0_sel:BYTE_3 src1_sel:DWORD
	s_mov_b64 s[4:5], -1
                                        ; implicit-def: $sgpr10
	s_and_saveexec_b64 s[8:9], s[12:13]
; %bb.3614:
	s_mov_b32 s10, 0x7f800001
	s_xor_b64 s[4:5], exec, -1
; %bb.3615:
	s_or_b64 exec, exec, s[8:9]
	s_and_b64 s[4:5], s[4:5], exec
	s_or_saveexec_b64 s[6:7], s[6:7]
	v_mov_b32_e32 v6, s10
	s_xor_b64 exec, exec, s[6:7]
	s_cbranch_execz .LBB13_1566
.LBB13_3616:
	v_mov_b32_e32 v6, 0
	v_cmp_ne_u16_sdwa s[8:9], v2, v6 src0_sel:BYTE_3 src1_sel:DWORD
	s_andn2_b64 s[4:5], s[4:5], exec
	s_and_b64 s[8:9], s[8:9], exec
	s_or_b64 s[4:5], s[4:5], s[8:9]
	s_or_b64 exec, exec, s[6:7]
	s_and_saveexec_b64 s[6:7], s[4:5]
	s_cbranch_execnz .LBB13_1567
	s_branch .LBB13_1568
.LBB13_3617:
	s_movk_i32 s4, 0x80
	v_cmp_eq_u16_sdwa s[12:13], v7, s4 src0_sel:BYTE_0 src1_sel:DWORD
	s_mov_b64 s[4:5], -1
                                        ; implicit-def: $sgpr10
	s_and_saveexec_b64 s[8:9], s[12:13]
; %bb.3618:
	s_mov_b32 s10, 0x7f800001
	s_xor_b64 s[4:5], exec, -1
; %bb.3619:
	s_or_b64 exec, exec, s[8:9]
	s_and_b64 s[4:5], s[4:5], exec
	s_or_saveexec_b64 s[6:7], s[6:7]
	v_mov_b32_e32 v2, s10
	s_xor_b64 exec, exec, s[6:7]
	s_cbranch_execz .LBB13_1570
.LBB13_3620:
	v_mov_b32_e32 v2, 0
	v_cmp_ne_u16_sdwa s[8:9], v7, v2 src0_sel:BYTE_0 src1_sel:DWORD
	s_andn2_b64 s[4:5], s[4:5], exec
	s_and_b64 s[8:9], s[8:9], exec
	s_or_b64 s[4:5], s[4:5], s[8:9]
	s_or_b64 exec, exec, s[6:7]
	s_and_saveexec_b64 s[6:7], s[4:5]
	s_cbranch_execnz .LBB13_1571
	s_branch .LBB13_1572
.LBB13_3621:
	s_movk_i32 s4, 0x80
	v_cmp_eq_u16_sdwa s[12:13], v3, s4 src0_sel:BYTE_0 src1_sel:DWORD
	s_mov_b64 s[4:5], -1
                                        ; implicit-def: $sgpr10
	s_and_saveexec_b64 s[8:9], s[12:13]
; %bb.3622:
	s_mov_b32 s10, 0x7f800001
	s_xor_b64 s[4:5], exec, -1
; %bb.3623:
	s_or_b64 exec, exec, s[8:9]
	s_and_b64 s[4:5], s[4:5], exec
	s_or_saveexec_b64 s[6:7], s[6:7]
	v_mov_b32_e32 v6, s10
	s_xor_b64 exec, exec, s[6:7]
	s_cbranch_execz .LBB13_1574
.LBB13_3624:
	v_mov_b32_e32 v6, 0
	v_cmp_ne_u16_sdwa s[8:9], v3, v6 src0_sel:BYTE_0 src1_sel:DWORD
	s_andn2_b64 s[4:5], s[4:5], exec
	s_and_b64 s[8:9], s[8:9], exec
	s_or_b64 s[4:5], s[4:5], s[8:9]
	s_or_b64 exec, exec, s[6:7]
	s_and_saveexec_b64 s[6:7], s[4:5]
	s_cbranch_execnz .LBB13_1575
	s_branch .LBB13_1576
.LBB13_3625:
	s_movk_i32 s4, 0x80
	v_cmp_eq_u16_sdwa s[12:13], v6, s4 src0_sel:BYTE_0 src1_sel:DWORD
	s_mov_b64 s[4:5], -1
                                        ; implicit-def: $sgpr10
	s_and_saveexec_b64 s[8:9], s[12:13]
; %bb.3626:
	s_mov_b32 s10, 0x7f800001
	s_xor_b64 s[4:5], exec, -1
; %bb.3627:
	s_or_b64 exec, exec, s[8:9]
	s_and_b64 s[4:5], s[4:5], exec
	s_or_saveexec_b64 s[6:7], s[6:7]
	v_mov_b32_e32 v2, s10
	s_xor_b64 exec, exec, s[6:7]
	s_cbranch_execz .LBB13_1578
.LBB13_3628:
	v_mov_b32_e32 v2, 0
	v_cmp_ne_u16_sdwa s[8:9], v6, v2 src0_sel:BYTE_0 src1_sel:DWORD
	s_andn2_b64 s[4:5], s[4:5], exec
	s_and_b64 s[8:9], s[8:9], exec
	s_or_b64 s[4:5], s[4:5], s[8:9]
	s_or_b64 exec, exec, s[6:7]
	s_and_saveexec_b64 s[6:7], s[4:5]
	s_cbranch_execnz .LBB13_1579
	s_branch .LBB13_1580
.LBB13_3629:
	s_movk_i32 s4, 0x80
	v_cmp_eq_u16_sdwa s[12:13], v6, s4 src0_sel:BYTE_0 src1_sel:DWORD
	s_mov_b64 s[4:5], -1
                                        ; implicit-def: $sgpr10
	s_and_saveexec_b64 s[8:9], s[12:13]
; %bb.3630:
	s_mov_b32 s10, 0x7f800001
	s_xor_b64 s[4:5], exec, -1
; %bb.3631:
	s_or_b64 exec, exec, s[8:9]
	s_and_b64 s[4:5], s[4:5], exec
	s_or_saveexec_b64 s[6:7], s[6:7]
	v_mov_b32_e32 v12, s10
	s_xor_b64 exec, exec, s[6:7]
	s_cbranch_execz .LBB13_1582
.LBB13_3632:
	v_mov_b32_e32 v12, 0
	v_cmp_ne_u16_sdwa s[8:9], v6, v12 src0_sel:BYTE_0 src1_sel:DWORD
	s_andn2_b64 s[4:5], s[4:5], exec
	s_and_b64 s[8:9], s[8:9], exec
	s_or_b64 s[4:5], s[4:5], s[8:9]
	s_or_b64 exec, exec, s[6:7]
	s_and_saveexec_b64 s[6:7], s[4:5]
	s_cbranch_execnz .LBB13_1583
	s_branch .LBB13_1584
.LBB13_3633:
	s_movk_i32 s4, 0x80
	v_cmp_eq_u16_e32 vcc, s4, v6
	s_mov_b64 s[4:5], -1
                                        ; implicit-def: $sgpr10
	s_and_saveexec_b64 s[8:9], vcc
; %bb.3634:
	s_mov_b32 s10, 0x7f800001
	s_xor_b64 s[4:5], exec, -1
; %bb.3635:
	s_or_b64 exec, exec, s[8:9]
	s_and_b64 s[4:5], s[4:5], exec
                                        ; implicit-def: $vgpr6
	s_or_saveexec_b64 s[6:7], s[6:7]
	v_mov_b32_e32 v2, s10
	s_xor_b64 exec, exec, s[6:7]
	s_cbranch_execz .LBB13_1586
.LBB13_3636:
	v_cmp_ne_u16_e32 vcc, 0, v6
	s_andn2_b64 s[4:5], s[4:5], exec
	s_and_b64 s[8:9], vcc, exec
	v_mov_b32_e32 v2, 0
	s_or_b64 s[4:5], s[4:5], s[8:9]
	s_or_b64 exec, exec, s[6:7]
	s_and_saveexec_b64 s[6:7], s[4:5]
	s_cbranch_execnz .LBB13_1587
	s_branch .LBB13_1588
.LBB13_3637:
	s_movk_i32 s4, 0x80
	v_cmp_eq_u16_e32 vcc, s4, v6
	s_mov_b64 s[4:5], -1
                                        ; implicit-def: $sgpr10
	s_and_saveexec_b64 s[8:9], vcc
; %bb.3638:
	s_mov_b32 s10, 0x7f800001
	s_xor_b64 s[4:5], exec, -1
; %bb.3639:
	s_or_b64 exec, exec, s[8:9]
	s_and_b64 s[4:5], s[4:5], exec
                                        ; implicit-def: $vgpr6
	s_or_saveexec_b64 s[6:7], s[6:7]
	v_mov_b32_e32 v12, s10
	s_xor_b64 exec, exec, s[6:7]
	s_cbranch_execz .LBB13_1590
.LBB13_3640:
	v_cmp_ne_u16_e32 vcc, 0, v6
	s_andn2_b64 s[4:5], s[4:5], exec
	s_and_b64 s[8:9], vcc, exec
	v_mov_b32_e32 v12, 0
	s_or_b64 s[4:5], s[4:5], s[8:9]
	s_or_b64 exec, exec, s[6:7]
	s_and_saveexec_b64 s[6:7], s[4:5]
	s_cbranch_execnz .LBB13_1591
	s_branch .LBB13_1592
.LBB13_3641:
	s_movk_i32 s4, 0x80
	v_cmp_eq_u16_sdwa s[12:13], v7, s4 src0_sel:BYTE_3 src1_sel:DWORD
	s_mov_b64 s[4:5], -1
                                        ; implicit-def: $sgpr10
	s_and_saveexec_b64 s[8:9], s[12:13]
; %bb.3642:
	s_mov_b32 s10, 0x7f800001
	s_xor_b64 s[4:5], exec, -1
; %bb.3643:
	s_or_b64 exec, exec, s[8:9]
	s_and_b64 s[4:5], s[4:5], exec
	s_or_saveexec_b64 s[6:7], s[6:7]
	v_mov_b32_e32 v2, s10
	s_xor_b64 exec, exec, s[6:7]
	s_cbranch_execz .LBB13_1594
.LBB13_3644:
	v_mov_b32_e32 v2, 0
	v_cmp_ne_u16_sdwa s[8:9], v7, v2 src0_sel:BYTE_3 src1_sel:DWORD
	s_andn2_b64 s[4:5], s[4:5], exec
	s_and_b64 s[8:9], s[8:9], exec
	s_or_b64 s[4:5], s[4:5], s[8:9]
	s_or_b64 exec, exec, s[6:7]
	s_and_saveexec_b64 s[6:7], s[4:5]
	s_cbranch_execnz .LBB13_1595
	s_branch .LBB13_1596
.LBB13_3645:
	s_movk_i32 s4, 0x80
	v_cmp_eq_u16_sdwa s[12:13], v3, s4 src0_sel:BYTE_3 src1_sel:DWORD
	s_mov_b64 s[4:5], -1
                                        ; implicit-def: $sgpr10
	s_and_saveexec_b64 s[8:9], s[12:13]
; %bb.3646:
	s_mov_b32 s10, 0x7f800001
	s_xor_b64 s[4:5], exec, -1
; %bb.3647:
	s_or_b64 exec, exec, s[8:9]
	s_and_b64 s[4:5], s[4:5], exec
	s_or_saveexec_b64 s[6:7], s[6:7]
	v_mov_b32_e32 v6, s10
	s_xor_b64 exec, exec, s[6:7]
	s_cbranch_execz .LBB13_1598
.LBB13_3648:
	v_mov_b32_e32 v6, 0
	v_cmp_ne_u16_sdwa s[8:9], v3, v6 src0_sel:BYTE_3 src1_sel:DWORD
	s_andn2_b64 s[4:5], s[4:5], exec
	s_and_b64 s[8:9], s[8:9], exec
	s_or_b64 s[4:5], s[4:5], s[8:9]
	s_or_b64 exec, exec, s[6:7]
	s_and_saveexec_b64 s[6:7], s[4:5]
	s_cbranch_execnz .LBB13_1599
	s_branch .LBB13_1600
.LBB13_3649:
	s_movk_i32 s4, 0x80
	v_cmp_eq_u16_sdwa s[12:13], v8, s4 src0_sel:BYTE_0 src1_sel:DWORD
	s_mov_b64 s[4:5], -1
                                        ; implicit-def: $sgpr10
	s_and_saveexec_b64 s[8:9], s[12:13]
; %bb.3650:
	s_mov_b32 s10, 0x7f800001
	s_xor_b64 s[4:5], exec, -1
; %bb.3651:
	s_or_b64 exec, exec, s[8:9]
	s_and_b64 s[4:5], s[4:5], exec
	s_or_saveexec_b64 s[6:7], s[6:7]
	v_mov_b32_e32 v2, s10
	s_xor_b64 exec, exec, s[6:7]
	s_cbranch_execz .LBB13_1602
.LBB13_3652:
	v_mov_b32_e32 v2, 0
	v_cmp_ne_u16_sdwa s[8:9], v8, v2 src0_sel:BYTE_0 src1_sel:DWORD
	s_andn2_b64 s[4:5], s[4:5], exec
	s_and_b64 s[8:9], s[8:9], exec
	s_or_b64 s[4:5], s[4:5], s[8:9]
	s_or_b64 exec, exec, s[6:7]
	s_and_saveexec_b64 s[6:7], s[4:5]
	s_cbranch_execnz .LBB13_1603
	s_branch .LBB13_1604
.LBB13_3653:
	s_movk_i32 s4, 0x80
	v_cmp_eq_u16_sdwa s[12:13], v4, s4 src0_sel:BYTE_0 src1_sel:DWORD
	s_mov_b64 s[4:5], -1
                                        ; implicit-def: $sgpr10
	s_and_saveexec_b64 s[8:9], s[12:13]
; %bb.3654:
	s_mov_b32 s10, 0x7f800001
	s_xor_b64 s[4:5], exec, -1
; %bb.3655:
	s_or_b64 exec, exec, s[8:9]
	s_and_b64 s[4:5], s[4:5], exec
	s_or_saveexec_b64 s[6:7], s[6:7]
	v_mov_b32_e32 v3, s10
	s_xor_b64 exec, exec, s[6:7]
	s_cbranch_execz .LBB13_1606
.LBB13_3656:
	v_mov_b32_e32 v3, 0
	v_cmp_ne_u16_sdwa s[8:9], v4, v3 src0_sel:BYTE_0 src1_sel:DWORD
	s_andn2_b64 s[4:5], s[4:5], exec
	s_and_b64 s[8:9], s[8:9], exec
	s_or_b64 s[4:5], s[4:5], s[8:9]
	s_or_b64 exec, exec, s[6:7]
	s_and_saveexec_b64 s[6:7], s[4:5]
	s_cbranch_execnz .LBB13_1607
	s_branch .LBB13_1608
.LBB13_3657:
	s_movk_i32 s4, 0x80
	v_cmp_eq_u16_sdwa s[12:13], v3, s4 src0_sel:BYTE_0 src1_sel:DWORD
	s_mov_b64 s[4:5], -1
                                        ; implicit-def: $sgpr10
	s_and_saveexec_b64 s[8:9], s[12:13]
; %bb.3658:
	s_mov_b32 s10, 0x7f800001
	s_xor_b64 s[4:5], exec, -1
; %bb.3659:
	s_or_b64 exec, exec, s[8:9]
	s_and_b64 s[4:5], s[4:5], exec
	s_or_saveexec_b64 s[6:7], s[6:7]
	v_mov_b32_e32 v2, s10
	s_xor_b64 exec, exec, s[6:7]
	s_cbranch_execz .LBB13_1610
.LBB13_3660:
	v_mov_b32_e32 v2, 0
	v_cmp_ne_u16_sdwa s[8:9], v3, v2 src0_sel:BYTE_0 src1_sel:DWORD
	s_andn2_b64 s[4:5], s[4:5], exec
	s_and_b64 s[8:9], s[8:9], exec
	s_or_b64 s[4:5], s[4:5], s[8:9]
	s_or_b64 exec, exec, s[6:7]
	s_and_saveexec_b64 s[6:7], s[4:5]
	s_cbranch_execnz .LBB13_1611
	s_branch .LBB13_1612
.LBB13_3661:
	s_movk_i32 s4, 0x80
	v_cmp_eq_u16_sdwa s[12:13], v3, s4 src0_sel:BYTE_0 src1_sel:DWORD
	s_mov_b64 s[4:5], -1
                                        ; implicit-def: $sgpr10
	s_and_saveexec_b64 s[8:9], s[12:13]
; %bb.3662:
	s_mov_b32 s10, 0x7f800001
	s_xor_b64 s[4:5], exec, -1
; %bb.3663:
	s_or_b64 exec, exec, s[8:9]
	s_and_b64 s[4:5], s[4:5], exec
	s_or_saveexec_b64 s[6:7], s[6:7]
	v_mov_b32_e32 v6, s10
	s_xor_b64 exec, exec, s[6:7]
	s_cbranch_execz .LBB13_1614
.LBB13_3664:
	v_mov_b32_e32 v6, 0
	v_cmp_ne_u16_sdwa s[8:9], v3, v6 src0_sel:BYTE_0 src1_sel:DWORD
	s_andn2_b64 s[4:5], s[4:5], exec
	s_and_b64 s[8:9], s[8:9], exec
	s_or_b64 s[4:5], s[4:5], s[8:9]
	s_or_b64 exec, exec, s[6:7]
	s_and_saveexec_b64 s[6:7], s[4:5]
	s_cbranch_execnz .LBB13_1615
	s_branch .LBB13_1616
.LBB13_3665:
	s_movk_i32 s4, 0x80
	v_cmp_eq_u16_e32 vcc, s4, v3
	s_mov_b64 s[4:5], -1
                                        ; implicit-def: $sgpr10
	s_and_saveexec_b64 s[8:9], vcc
; %bb.3666:
	s_mov_b32 s10, 0x7f800001
	s_xor_b64 s[4:5], exec, -1
; %bb.3667:
	s_or_b64 exec, exec, s[8:9]
	s_and_b64 s[4:5], s[4:5], exec
                                        ; implicit-def: $vgpr3
	s_or_saveexec_b64 s[6:7], s[6:7]
	v_mov_b32_e32 v2, s10
	s_xor_b64 exec, exec, s[6:7]
	s_cbranch_execz .LBB13_1618
.LBB13_3668:
	v_cmp_ne_u16_e32 vcc, 0, v3
	s_andn2_b64 s[4:5], s[4:5], exec
	s_and_b64 s[8:9], vcc, exec
	v_mov_b32_e32 v2, 0
	s_or_b64 s[4:5], s[4:5], s[8:9]
	s_or_b64 exec, exec, s[6:7]
	s_and_saveexec_b64 s[6:7], s[4:5]
	s_cbranch_execnz .LBB13_1619
	s_branch .LBB13_1620
.LBB13_3669:
	s_movk_i32 s4, 0x80
	v_cmp_eq_u16_e32 vcc, s4, v3
	s_mov_b64 s[4:5], -1
                                        ; implicit-def: $sgpr10
	s_and_saveexec_b64 s[8:9], vcc
; %bb.3670:
	s_mov_b32 s10, 0x7f800001
	s_xor_b64 s[4:5], exec, -1
; %bb.3671:
	s_or_b64 exec, exec, s[8:9]
	s_and_b64 s[4:5], s[4:5], exec
                                        ; implicit-def: $vgpr3
	s_or_saveexec_b64 s[6:7], s[6:7]
	v_mov_b32_e32 v6, s10
	s_xor_b64 exec, exec, s[6:7]
	s_cbranch_execz .LBB13_1622
.LBB13_3672:
	v_cmp_ne_u16_e32 vcc, 0, v3
	s_andn2_b64 s[4:5], s[4:5], exec
	s_and_b64 s[8:9], vcc, exec
	v_mov_b32_e32 v6, 0
	s_or_b64 s[4:5], s[4:5], s[8:9]
	s_or_b64 exec, exec, s[6:7]
	s_and_saveexec_b64 s[6:7], s[4:5]
	s_cbranch_execnz .LBB13_1623
	s_branch .LBB13_1624
.LBB13_3673:
	s_movk_i32 s4, 0x80
	v_cmp_eq_u16_sdwa s[12:13], v8, s4 src0_sel:BYTE_3 src1_sel:DWORD
	s_mov_b64 s[4:5], -1
                                        ; implicit-def: $sgpr10
	s_and_saveexec_b64 s[8:9], s[12:13]
; %bb.3674:
	s_mov_b32 s10, 0x7f800001
	s_xor_b64 s[4:5], exec, -1
; %bb.3675:
	s_or_b64 exec, exec, s[8:9]
	s_and_b64 s[4:5], s[4:5], exec
	s_or_saveexec_b64 s[6:7], s[6:7]
	v_mov_b32_e32 v2, s10
	s_xor_b64 exec, exec, s[6:7]
	s_cbranch_execz .LBB13_1626
.LBB13_3676:
	v_mov_b32_e32 v2, 0
	v_cmp_ne_u16_sdwa s[8:9], v8, v2 src0_sel:BYTE_3 src1_sel:DWORD
	s_andn2_b64 s[4:5], s[4:5], exec
	s_and_b64 s[8:9], s[8:9], exec
	s_or_b64 s[4:5], s[4:5], s[8:9]
	s_or_b64 exec, exec, s[6:7]
	s_and_saveexec_b64 s[6:7], s[4:5]
	s_cbranch_execnz .LBB13_1627
	s_branch .LBB13_1628
.LBB13_3677:
	s_movk_i32 s4, 0x80
	v_cmp_eq_u16_sdwa s[12:13], v4, s4 src0_sel:BYTE_3 src1_sel:DWORD
	s_mov_b64 s[4:5], -1
                                        ; implicit-def: $sgpr10
	s_and_saveexec_b64 s[8:9], s[12:13]
; %bb.3678:
	s_mov_b32 s10, 0x7f800001
	s_xor_b64 s[4:5], exec, -1
; %bb.3679:
	s_or_b64 exec, exec, s[8:9]
	s_and_b64 s[4:5], s[4:5], exec
	s_or_saveexec_b64 s[6:7], s[6:7]
	v_mov_b32_e32 v3, s10
	s_xor_b64 exec, exec, s[6:7]
	s_cbranch_execz .LBB13_1630
.LBB13_3680:
	v_mov_b32_e32 v3, 0
	v_cmp_ne_u16_sdwa s[8:9], v4, v3 src0_sel:BYTE_3 src1_sel:DWORD
	s_andn2_b64 s[4:5], s[4:5], exec
	s_and_b64 s[8:9], s[8:9], exec
	s_or_b64 s[4:5], s[4:5], s[8:9]
	s_or_b64 exec, exec, s[6:7]
	s_and_saveexec_b64 s[6:7], s[4:5]
	s_cbranch_execnz .LBB13_1631
	s_branch .LBB13_1632
.LBB13_3681:
	s_movk_i32 s4, 0x80
	v_cmp_eq_u16_sdwa s[12:13], v9, s4 src0_sel:BYTE_0 src1_sel:DWORD
	s_mov_b64 s[4:5], -1
                                        ; implicit-def: $sgpr10
	s_and_saveexec_b64 s[8:9], s[12:13]
; %bb.3682:
	s_mov_b32 s10, 0x7f800001
	s_xor_b64 s[4:5], exec, -1
; %bb.3683:
	s_or_b64 exec, exec, s[8:9]
	s_and_b64 s[4:5], s[4:5], exec
	s_or_saveexec_b64 s[6:7], s[6:7]
	v_mov_b32_e32 v2, s10
	s_xor_b64 exec, exec, s[6:7]
	s_cbranch_execz .LBB13_1634
.LBB13_3684:
	v_mov_b32_e32 v2, 0
	v_cmp_ne_u16_sdwa s[8:9], v9, v2 src0_sel:BYTE_0 src1_sel:DWORD
	s_andn2_b64 s[4:5], s[4:5], exec
	s_and_b64 s[8:9], s[8:9], exec
	s_or_b64 s[4:5], s[4:5], s[8:9]
	s_or_b64 exec, exec, s[6:7]
	s_and_saveexec_b64 s[6:7], s[4:5]
	s_cbranch_execnz .LBB13_1635
	s_branch .LBB13_1636
.LBB13_3685:
	s_movk_i32 s4, 0x80
	v_cmp_eq_u16_sdwa s[12:13], v5, s4 src0_sel:BYTE_0 src1_sel:DWORD
	s_mov_b64 s[4:5], -1
                                        ; implicit-def: $sgpr10
	s_and_saveexec_b64 s[8:9], s[12:13]
; %bb.3686:
	s_mov_b32 s10, 0x7f800001
	s_xor_b64 s[4:5], exec, -1
; %bb.3687:
	s_or_b64 exec, exec, s[8:9]
	s_and_b64 s[4:5], s[4:5], exec
	s_or_saveexec_b64 s[6:7], s[6:7]
	v_mov_b32_e32 v3, s10
	s_xor_b64 exec, exec, s[6:7]
	s_cbranch_execz .LBB13_1638
.LBB13_3688:
	v_mov_b32_e32 v3, 0
	v_cmp_ne_u16_sdwa s[8:9], v5, v3 src0_sel:BYTE_0 src1_sel:DWORD
	s_andn2_b64 s[4:5], s[4:5], exec
	s_and_b64 s[8:9], s[8:9], exec
	s_or_b64 s[4:5], s[4:5], s[8:9]
	s_or_b64 exec, exec, s[6:7]
	s_and_saveexec_b64 s[6:7], s[4:5]
	s_cbranch_execnz .LBB13_1639
	s_branch .LBB13_1640
.LBB13_3689:
	s_movk_i32 s4, 0x80
	v_cmp_eq_u16_sdwa s[12:13], v3, s4 src0_sel:BYTE_0 src1_sel:DWORD
	s_mov_b64 s[4:5], -1
                                        ; implicit-def: $sgpr10
	s_and_saveexec_b64 s[8:9], s[12:13]
; %bb.3690:
	s_mov_b32 s10, 0x7f800001
	s_xor_b64 s[4:5], exec, -1
; %bb.3691:
	s_or_b64 exec, exec, s[8:9]
	s_and_b64 s[4:5], s[4:5], exec
	s_or_saveexec_b64 s[6:7], s[6:7]
	v_mov_b32_e32 v2, s10
	s_xor_b64 exec, exec, s[6:7]
	s_cbranch_execz .LBB13_1642
.LBB13_3692:
	v_mov_b32_e32 v2, 0
	v_cmp_ne_u16_sdwa s[8:9], v3, v2 src0_sel:BYTE_0 src1_sel:DWORD
	s_andn2_b64 s[4:5], s[4:5], exec
	s_and_b64 s[8:9], s[8:9], exec
	s_or_b64 s[4:5], s[4:5], s[8:9]
	s_or_b64 exec, exec, s[6:7]
	s_and_saveexec_b64 s[6:7], s[4:5]
	s_cbranch_execnz .LBB13_1643
	s_branch .LBB13_1644
.LBB13_3693:
	s_movk_i32 s4, 0x80
	v_cmp_eq_u16_sdwa s[12:13], v3, s4 src0_sel:BYTE_0 src1_sel:DWORD
	s_mov_b64 s[4:5], -1
                                        ; implicit-def: $sgpr10
	s_and_saveexec_b64 s[8:9], s[12:13]
; %bb.3694:
	s_mov_b32 s10, 0x7f800001
	s_xor_b64 s[4:5], exec, -1
; %bb.3695:
	s_or_b64 exec, exec, s[8:9]
	s_and_b64 s[4:5], s[4:5], exec
	s_or_saveexec_b64 s[6:7], s[6:7]
	v_mov_b32_e32 v4, s10
	s_xor_b64 exec, exec, s[6:7]
	s_cbranch_execz .LBB13_1646
.LBB13_3696:
	v_mov_b32_e32 v4, 0
	v_cmp_ne_u16_sdwa s[8:9], v3, v4 src0_sel:BYTE_0 src1_sel:DWORD
	s_andn2_b64 s[4:5], s[4:5], exec
	s_and_b64 s[8:9], s[8:9], exec
	s_or_b64 s[4:5], s[4:5], s[8:9]
	s_or_b64 exec, exec, s[6:7]
	s_and_saveexec_b64 s[6:7], s[4:5]
	s_cbranch_execnz .LBB13_1647
	s_branch .LBB13_1648
.LBB13_3697:
	s_movk_i32 s4, 0x80
	v_cmp_eq_u16_e32 vcc, s4, v3
	s_mov_b64 s[4:5], -1
                                        ; implicit-def: $sgpr10
	s_and_saveexec_b64 s[8:9], vcc
; %bb.3698:
	s_mov_b32 s10, 0x7f800001
	s_xor_b64 s[4:5], exec, -1
; %bb.3699:
	s_or_b64 exec, exec, s[8:9]
	s_and_b64 s[4:5], s[4:5], exec
                                        ; implicit-def: $vgpr3
	s_or_saveexec_b64 s[6:7], s[6:7]
	v_mov_b32_e32 v2, s10
	s_xor_b64 exec, exec, s[6:7]
	s_cbranch_execz .LBB13_1650
.LBB13_3700:
	v_cmp_ne_u16_e32 vcc, 0, v3
	s_andn2_b64 s[4:5], s[4:5], exec
	s_and_b64 s[8:9], vcc, exec
	v_mov_b32_e32 v2, 0
	s_or_b64 s[4:5], s[4:5], s[8:9]
	s_or_b64 exec, exec, s[6:7]
	s_and_saveexec_b64 s[6:7], s[4:5]
	s_cbranch_execnz .LBB13_1651
	s_branch .LBB13_1652
.LBB13_3701:
	s_movk_i32 s4, 0x80
	v_cmp_eq_u16_e32 vcc, s4, v3
	s_mov_b64 s[4:5], -1
                                        ; implicit-def: $sgpr10
	s_and_saveexec_b64 s[8:9], vcc
; %bb.3702:
	s_mov_b32 s10, 0x7f800001
	s_xor_b64 s[4:5], exec, -1
; %bb.3703:
	s_or_b64 exec, exec, s[8:9]
	s_and_b64 s[4:5], s[4:5], exec
                                        ; implicit-def: $vgpr3
	s_or_saveexec_b64 s[6:7], s[6:7]
	v_mov_b32_e32 v4, s10
	s_xor_b64 exec, exec, s[6:7]
	s_cbranch_execz .LBB13_1654
.LBB13_3704:
	v_cmp_ne_u16_e32 vcc, 0, v3
	s_andn2_b64 s[4:5], s[4:5], exec
	s_and_b64 s[8:9], vcc, exec
	v_mov_b32_e32 v4, 0
	s_or_b64 s[4:5], s[4:5], s[8:9]
	s_or_b64 exec, exec, s[6:7]
	s_and_saveexec_b64 s[6:7], s[4:5]
	s_cbranch_execnz .LBB13_1655
	s_branch .LBB13_1656
.LBB13_3705:
	s_movk_i32 s4, 0x80
	v_cmp_eq_u16_sdwa s[12:13], v9, s4 src0_sel:BYTE_3 src1_sel:DWORD
	s_mov_b64 s[4:5], -1
                                        ; implicit-def: $sgpr10
	s_and_saveexec_b64 s[8:9], s[12:13]
; %bb.3706:
	s_mov_b32 s10, 0x7f800001
	s_xor_b64 s[4:5], exec, -1
; %bb.3707:
	s_or_b64 exec, exec, s[8:9]
	s_and_b64 s[4:5], s[4:5], exec
	s_or_saveexec_b64 s[6:7], s[6:7]
	v_mov_b32_e32 v2, s10
	s_xor_b64 exec, exec, s[6:7]
	s_cbranch_execz .LBB13_1658
.LBB13_3708:
	v_mov_b32_e32 v2, 0
	v_cmp_ne_u16_sdwa s[8:9], v9, v2 src0_sel:BYTE_3 src1_sel:DWORD
	s_andn2_b64 s[4:5], s[4:5], exec
	s_and_b64 s[8:9], s[8:9], exec
	s_or_b64 s[4:5], s[4:5], s[8:9]
	s_or_b64 exec, exec, s[6:7]
	s_and_saveexec_b64 s[6:7], s[4:5]
	s_cbranch_execnz .LBB13_1659
	s_branch .LBB13_1660
.LBB13_3709:
	s_movk_i32 s4, 0x80
	v_cmp_eq_u16_sdwa s[12:13], v5, s4 src0_sel:BYTE_3 src1_sel:DWORD
	s_mov_b64 s[4:5], -1
                                        ; implicit-def: $sgpr10
	s_and_saveexec_b64 s[8:9], s[12:13]
; %bb.3710:
	s_mov_b32 s10, 0x7f800001
	s_xor_b64 s[4:5], exec, -1
; %bb.3711:
	s_or_b64 exec, exec, s[8:9]
	s_and_b64 s[4:5], s[4:5], exec
	s_or_saveexec_b64 s[6:7], s[6:7]
	v_mov_b32_e32 v3, s10
	s_xor_b64 exec, exec, s[6:7]
	s_cbranch_execz .LBB13_1662
.LBB13_3712:
	v_mov_b32_e32 v3, 0
	v_cmp_ne_u16_sdwa s[8:9], v5, v3 src0_sel:BYTE_3 src1_sel:DWORD
	s_andn2_b64 s[4:5], s[4:5], exec
	s_and_b64 s[8:9], s[8:9], exec
	s_or_b64 s[4:5], s[4:5], s[8:9]
	s_or_b64 exec, exec, s[6:7]
	s_and_saveexec_b64 s[6:7], s[4:5]
	s_cbranch_execnz .LBB13_1663
	s_branch .LBB13_1664
.LBB13_3713:
	s_movk_i32 s4, 0x80
	v_cmp_eq_u16_sdwa s[12:13], v6, s4 src0_sel:BYTE_0 src1_sel:DWORD
	s_mov_b64 s[4:5], -1
                                        ; implicit-def: $sgpr10
	s_and_saveexec_b64 s[8:9], s[12:13]
; %bb.3714:
	s_mov_b32 s10, 0x7f800001
	s_xor_b64 s[4:5], exec, -1
; %bb.3715:
	s_or_b64 exec, exec, s[8:9]
	s_and_b64 s[4:5], s[4:5], exec
	s_or_saveexec_b64 s[6:7], s[6:7]
	v_mov_b32_e32 v12, s10
	s_xor_b64 exec, exec, s[6:7]
	s_cbranch_execz .LBB13_1666
.LBB13_3716:
	v_mov_b32_e32 v12, 0
	v_cmp_ne_u16_sdwa s[8:9], v6, v12 src0_sel:BYTE_0 src1_sel:DWORD
	s_andn2_b64 s[4:5], s[4:5], exec
	s_and_b64 s[8:9], s[8:9], exec
	s_or_b64 s[4:5], s[4:5], s[8:9]
	s_or_b64 exec, exec, s[6:7]
	s_and_saveexec_b64 s[6:7], s[4:5]
	s_cbranch_execnz .LBB13_1667
	s_branch .LBB13_1668
.LBB13_3717:
	s_movk_i32 s4, 0x80
	v_cmp_eq_u16_sdwa s[12:13], v2, s4 src0_sel:BYTE_0 src1_sel:DWORD
	s_mov_b64 s[4:5], -1
                                        ; implicit-def: $sgpr10
	s_and_saveexec_b64 s[8:9], s[12:13]
; %bb.3718:
	s_mov_b32 s10, 0x7f800001
	s_xor_b64 s[4:5], exec, -1
; %bb.3719:
	s_or_b64 exec, exec, s[8:9]
	s_and_b64 s[4:5], s[4:5], exec
	s_or_saveexec_b64 s[6:7], s[6:7]
	v_mov_b32_e32 v13, s10
	s_xor_b64 exec, exec, s[6:7]
	s_cbranch_execz .LBB13_1670
.LBB13_3720:
	v_mov_b32_e32 v13, 0
	v_cmp_ne_u16_sdwa s[8:9], v2, v13 src0_sel:BYTE_0 src1_sel:DWORD
	s_andn2_b64 s[4:5], s[4:5], exec
	s_and_b64 s[8:9], s[8:9], exec
	s_or_b64 s[4:5], s[4:5], s[8:9]
	s_or_b64 exec, exec, s[6:7]
	s_and_saveexec_b64 s[6:7], s[4:5]
	s_cbranch_execnz .LBB13_1671
	s_branch .LBB13_1672
.LBB13_3721:
	s_movk_i32 s4, 0x80
	v_cmp_eq_u16_sdwa s[12:13], v13, s4 src0_sel:BYTE_0 src1_sel:DWORD
	s_mov_b64 s[4:5], -1
                                        ; implicit-def: $sgpr10
	s_and_saveexec_b64 s[8:9], s[12:13]
; %bb.3722:
	s_mov_b32 s10, 0x7f800001
	s_xor_b64 s[4:5], exec, -1
; %bb.3723:
	s_or_b64 exec, exec, s[8:9]
	s_and_b64 s[4:5], s[4:5], exec
	s_or_saveexec_b64 s[6:7], s[6:7]
	v_mov_b32_e32 v12, s10
	s_xor_b64 exec, exec, s[6:7]
	s_cbranch_execz .LBB13_1674
.LBB13_3724:
	v_mov_b32_e32 v12, 0
	v_cmp_ne_u16_sdwa s[8:9], v13, v12 src0_sel:BYTE_0 src1_sel:DWORD
	s_andn2_b64 s[4:5], s[4:5], exec
	s_and_b64 s[8:9], s[8:9], exec
	s_or_b64 s[4:5], s[4:5], s[8:9]
	s_or_b64 exec, exec, s[6:7]
	s_and_saveexec_b64 s[6:7], s[4:5]
	s_cbranch_execnz .LBB13_1675
	s_branch .LBB13_1676
.LBB13_3725:
	s_movk_i32 s4, 0x80
	v_cmp_eq_u16_sdwa s[12:13], v13, s4 src0_sel:BYTE_0 src1_sel:DWORD
	s_mov_b64 s[4:5], -1
                                        ; implicit-def: $sgpr10
	s_and_saveexec_b64 s[8:9], s[12:13]
; %bb.3726:
	s_mov_b32 s10, 0x7f800001
	s_xor_b64 s[4:5], exec, -1
; %bb.3727:
	s_or_b64 exec, exec, s[8:9]
	s_and_b64 s[4:5], s[4:5], exec
	s_or_saveexec_b64 s[6:7], s[6:7]
	v_mov_b32_e32 v14, s10
	s_xor_b64 exec, exec, s[6:7]
	s_cbranch_execz .LBB13_1678
.LBB13_3728:
	v_mov_b32_e32 v14, 0
	v_cmp_ne_u16_sdwa s[8:9], v13, v14 src0_sel:BYTE_0 src1_sel:DWORD
	s_andn2_b64 s[4:5], s[4:5], exec
	s_and_b64 s[8:9], s[8:9], exec
	s_or_b64 s[4:5], s[4:5], s[8:9]
	s_or_b64 exec, exec, s[6:7]
	s_and_saveexec_b64 s[6:7], s[4:5]
	s_cbranch_execnz .LBB13_1679
	s_branch .LBB13_1680
.LBB13_3729:
	s_movk_i32 s4, 0x80
	v_cmp_eq_u16_e32 vcc, s4, v13
	s_mov_b64 s[4:5], -1
                                        ; implicit-def: $sgpr10
	s_and_saveexec_b64 s[8:9], vcc
; %bb.3730:
	s_mov_b32 s10, 0x7f800001
	s_xor_b64 s[4:5], exec, -1
; %bb.3731:
	s_or_b64 exec, exec, s[8:9]
	s_and_b64 s[4:5], s[4:5], exec
                                        ; implicit-def: $vgpr13
	s_or_saveexec_b64 s[6:7], s[6:7]
	v_mov_b32_e32 v12, s10
	s_xor_b64 exec, exec, s[6:7]
	s_cbranch_execz .LBB13_1682
.LBB13_3732:
	v_cmp_ne_u16_e32 vcc, 0, v13
	s_andn2_b64 s[4:5], s[4:5], exec
	s_and_b64 s[8:9], vcc, exec
	v_mov_b32_e32 v12, 0
	s_or_b64 s[4:5], s[4:5], s[8:9]
	s_or_b64 exec, exec, s[6:7]
	s_and_saveexec_b64 s[6:7], s[4:5]
	s_cbranch_execnz .LBB13_1683
	s_branch .LBB13_1684
.LBB13_3733:
	s_movk_i32 s4, 0x80
	v_cmp_eq_u16_e32 vcc, s4, v13
	s_mov_b64 s[4:5], -1
                                        ; implicit-def: $sgpr10
	s_and_saveexec_b64 s[8:9], vcc
; %bb.3734:
	s_mov_b32 s10, 0x7f800001
	s_xor_b64 s[4:5], exec, -1
; %bb.3735:
	s_or_b64 exec, exec, s[8:9]
	s_and_b64 s[4:5], s[4:5], exec
                                        ; implicit-def: $vgpr13
	s_or_saveexec_b64 s[6:7], s[6:7]
	v_mov_b32_e32 v14, s10
	s_xor_b64 exec, exec, s[6:7]
	s_cbranch_execz .LBB13_1686
.LBB13_3736:
	v_cmp_ne_u16_e32 vcc, 0, v13
	s_andn2_b64 s[4:5], s[4:5], exec
	s_and_b64 s[8:9], vcc, exec
	v_mov_b32_e32 v14, 0
	s_or_b64 s[4:5], s[4:5], s[8:9]
	s_or_b64 exec, exec, s[6:7]
	s_and_saveexec_b64 s[6:7], s[4:5]
	s_cbranch_execnz .LBB13_1687
	s_branch .LBB13_1688
.LBB13_3737:
	s_movk_i32 s4, 0x80
	v_cmp_eq_u16_sdwa s[12:13], v6, s4 src0_sel:BYTE_3 src1_sel:DWORD
	s_mov_b64 s[4:5], -1
                                        ; implicit-def: $sgpr10
	s_and_saveexec_b64 s[8:9], s[12:13]
; %bb.3738:
	s_mov_b32 s10, 0x7f800001
	s_xor_b64 s[4:5], exec, -1
; %bb.3739:
	s_or_b64 exec, exec, s[8:9]
	s_and_b64 s[4:5], s[4:5], exec
	s_or_saveexec_b64 s[6:7], s[6:7]
	v_mov_b32_e32 v12, s10
	s_xor_b64 exec, exec, s[6:7]
	s_cbranch_execz .LBB13_1690
.LBB13_3740:
	v_mov_b32_e32 v12, 0
	v_cmp_ne_u16_sdwa s[8:9], v6, v12 src0_sel:BYTE_3 src1_sel:DWORD
	s_andn2_b64 s[4:5], s[4:5], exec
	s_and_b64 s[8:9], s[8:9], exec
	s_or_b64 s[4:5], s[4:5], s[8:9]
	s_or_b64 exec, exec, s[6:7]
	s_and_saveexec_b64 s[6:7], s[4:5]
	s_cbranch_execnz .LBB13_1691
	s_branch .LBB13_1692
.LBB13_3741:
	s_movk_i32 s4, 0x80
	v_cmp_eq_u16_sdwa s[12:13], v2, s4 src0_sel:BYTE_3 src1_sel:DWORD
	s_mov_b64 s[4:5], -1
                                        ; implicit-def: $sgpr10
	s_and_saveexec_b64 s[8:9], s[12:13]
; %bb.3742:
	s_mov_b32 s10, 0x7f800001
	s_xor_b64 s[4:5], exec, -1
; %bb.3743:
	s_or_b64 exec, exec, s[8:9]
	s_and_b64 s[4:5], s[4:5], exec
	s_or_saveexec_b64 s[6:7], s[6:7]
	v_mov_b32_e32 v6, s10
	s_xor_b64 exec, exec, s[6:7]
	s_cbranch_execz .LBB13_1694
.LBB13_3744:
	v_mov_b32_e32 v6, 0
	v_cmp_ne_u16_sdwa s[8:9], v2, v6 src0_sel:BYTE_3 src1_sel:DWORD
	s_andn2_b64 s[4:5], s[4:5], exec
	s_and_b64 s[8:9], s[8:9], exec
	s_or_b64 s[4:5], s[4:5], s[8:9]
	s_or_b64 exec, exec, s[6:7]
	s_and_saveexec_b64 s[6:7], s[4:5]
	s_cbranch_execnz .LBB13_1695
	s_branch .LBB13_1696
.LBB13_3745:
	s_movk_i32 s4, 0x80
	v_cmp_eq_u16_sdwa s[12:13], v7, s4 src0_sel:BYTE_0 src1_sel:DWORD
	s_mov_b64 s[4:5], -1
                                        ; implicit-def: $sgpr10
	s_and_saveexec_b64 s[8:9], s[12:13]
; %bb.3746:
	s_mov_b32 s10, 0x7f800001
	s_xor_b64 s[4:5], exec, -1
; %bb.3747:
	s_or_b64 exec, exec, s[8:9]
	s_and_b64 s[4:5], s[4:5], exec
	s_or_saveexec_b64 s[6:7], s[6:7]
	v_mov_b32_e32 v2, s10
	s_xor_b64 exec, exec, s[6:7]
	s_cbranch_execz .LBB13_1698
.LBB13_3748:
	v_mov_b32_e32 v2, 0
	v_cmp_ne_u16_sdwa s[8:9], v7, v2 src0_sel:BYTE_0 src1_sel:DWORD
	s_andn2_b64 s[4:5], s[4:5], exec
	s_and_b64 s[8:9], s[8:9], exec
	s_or_b64 s[4:5], s[4:5], s[8:9]
	s_or_b64 exec, exec, s[6:7]
	s_and_saveexec_b64 s[6:7], s[4:5]
	s_cbranch_execnz .LBB13_1699
	s_branch .LBB13_1700
.LBB13_3749:
	s_movk_i32 s4, 0x80
	v_cmp_eq_u16_sdwa s[12:13], v3, s4 src0_sel:BYTE_0 src1_sel:DWORD
	s_mov_b64 s[4:5], -1
                                        ; implicit-def: $sgpr10
	s_and_saveexec_b64 s[8:9], s[12:13]
; %bb.3750:
	s_mov_b32 s10, 0x7f800001
	s_xor_b64 s[4:5], exec, -1
; %bb.3751:
	s_or_b64 exec, exec, s[8:9]
	s_and_b64 s[4:5], s[4:5], exec
	s_or_saveexec_b64 s[6:7], s[6:7]
	v_mov_b32_e32 v6, s10
	s_xor_b64 exec, exec, s[6:7]
	s_cbranch_execz .LBB13_1702
.LBB13_3752:
	v_mov_b32_e32 v6, 0
	v_cmp_ne_u16_sdwa s[8:9], v3, v6 src0_sel:BYTE_0 src1_sel:DWORD
	s_andn2_b64 s[4:5], s[4:5], exec
	s_and_b64 s[8:9], s[8:9], exec
	s_or_b64 s[4:5], s[4:5], s[8:9]
	s_or_b64 exec, exec, s[6:7]
	s_and_saveexec_b64 s[6:7], s[4:5]
	s_cbranch_execnz .LBB13_1703
	s_branch .LBB13_1704
.LBB13_3753:
	s_movk_i32 s4, 0x80
	v_cmp_eq_u16_sdwa s[12:13], v6, s4 src0_sel:BYTE_0 src1_sel:DWORD
	s_mov_b64 s[4:5], -1
                                        ; implicit-def: $sgpr10
	s_and_saveexec_b64 s[8:9], s[12:13]
; %bb.3754:
	s_mov_b32 s10, 0x7f800001
	s_xor_b64 s[4:5], exec, -1
; %bb.3755:
	s_or_b64 exec, exec, s[8:9]
	s_and_b64 s[4:5], s[4:5], exec
	s_or_saveexec_b64 s[6:7], s[6:7]
	v_mov_b32_e32 v2, s10
	s_xor_b64 exec, exec, s[6:7]
	s_cbranch_execz .LBB13_1706
.LBB13_3756:
	v_mov_b32_e32 v2, 0
	v_cmp_ne_u16_sdwa s[8:9], v6, v2 src0_sel:BYTE_0 src1_sel:DWORD
	s_andn2_b64 s[4:5], s[4:5], exec
	s_and_b64 s[8:9], s[8:9], exec
	s_or_b64 s[4:5], s[4:5], s[8:9]
	s_or_b64 exec, exec, s[6:7]
	s_and_saveexec_b64 s[6:7], s[4:5]
	s_cbranch_execnz .LBB13_1707
	s_branch .LBB13_1708
.LBB13_3757:
	s_movk_i32 s4, 0x80
	v_cmp_eq_u16_sdwa s[12:13], v6, s4 src0_sel:BYTE_0 src1_sel:DWORD
	s_mov_b64 s[4:5], -1
                                        ; implicit-def: $sgpr10
	s_and_saveexec_b64 s[8:9], s[12:13]
; %bb.3758:
	s_mov_b32 s10, 0x7f800001
	s_xor_b64 s[4:5], exec, -1
; %bb.3759:
	s_or_b64 exec, exec, s[8:9]
	s_and_b64 s[4:5], s[4:5], exec
	s_or_saveexec_b64 s[6:7], s[6:7]
	v_mov_b32_e32 v12, s10
	s_xor_b64 exec, exec, s[6:7]
	s_cbranch_execz .LBB13_1710
.LBB13_3760:
	v_mov_b32_e32 v12, 0
	v_cmp_ne_u16_sdwa s[8:9], v6, v12 src0_sel:BYTE_0 src1_sel:DWORD
	s_andn2_b64 s[4:5], s[4:5], exec
	s_and_b64 s[8:9], s[8:9], exec
	s_or_b64 s[4:5], s[4:5], s[8:9]
	s_or_b64 exec, exec, s[6:7]
	s_and_saveexec_b64 s[6:7], s[4:5]
	s_cbranch_execnz .LBB13_1711
	s_branch .LBB13_1712
.LBB13_3761:
	s_movk_i32 s4, 0x80
	v_cmp_eq_u16_e32 vcc, s4, v6
	s_mov_b64 s[4:5], -1
                                        ; implicit-def: $sgpr10
	s_and_saveexec_b64 s[8:9], vcc
; %bb.3762:
	s_mov_b32 s10, 0x7f800001
	s_xor_b64 s[4:5], exec, -1
; %bb.3763:
	s_or_b64 exec, exec, s[8:9]
	s_and_b64 s[4:5], s[4:5], exec
                                        ; implicit-def: $vgpr6
	s_or_saveexec_b64 s[6:7], s[6:7]
	v_mov_b32_e32 v2, s10
	s_xor_b64 exec, exec, s[6:7]
	s_cbranch_execz .LBB13_1714
.LBB13_3764:
	v_cmp_ne_u16_e32 vcc, 0, v6
	s_andn2_b64 s[4:5], s[4:5], exec
	s_and_b64 s[8:9], vcc, exec
	v_mov_b32_e32 v2, 0
	s_or_b64 s[4:5], s[4:5], s[8:9]
	s_or_b64 exec, exec, s[6:7]
	s_and_saveexec_b64 s[6:7], s[4:5]
	s_cbranch_execnz .LBB13_1715
	s_branch .LBB13_1716
.LBB13_3765:
	s_movk_i32 s4, 0x80
	v_cmp_eq_u16_e32 vcc, s4, v6
	s_mov_b64 s[4:5], -1
                                        ; implicit-def: $sgpr10
	s_and_saveexec_b64 s[8:9], vcc
; %bb.3766:
	s_mov_b32 s10, 0x7f800001
	s_xor_b64 s[4:5], exec, -1
; %bb.3767:
	s_or_b64 exec, exec, s[8:9]
	s_and_b64 s[4:5], s[4:5], exec
                                        ; implicit-def: $vgpr6
	s_or_saveexec_b64 s[6:7], s[6:7]
	v_mov_b32_e32 v12, s10
	s_xor_b64 exec, exec, s[6:7]
	s_cbranch_execz .LBB13_1718
.LBB13_3768:
	v_cmp_ne_u16_e32 vcc, 0, v6
	s_andn2_b64 s[4:5], s[4:5], exec
	s_and_b64 s[8:9], vcc, exec
	v_mov_b32_e32 v12, 0
	s_or_b64 s[4:5], s[4:5], s[8:9]
	s_or_b64 exec, exec, s[6:7]
	s_and_saveexec_b64 s[6:7], s[4:5]
	s_cbranch_execnz .LBB13_1719
	s_branch .LBB13_1720
.LBB13_3769:
	s_movk_i32 s4, 0x80
	v_cmp_eq_u16_sdwa s[12:13], v7, s4 src0_sel:BYTE_3 src1_sel:DWORD
	s_mov_b64 s[4:5], -1
                                        ; implicit-def: $sgpr10
	s_and_saveexec_b64 s[8:9], s[12:13]
; %bb.3770:
	s_mov_b32 s10, 0x7f800001
	s_xor_b64 s[4:5], exec, -1
; %bb.3771:
	s_or_b64 exec, exec, s[8:9]
	s_and_b64 s[4:5], s[4:5], exec
	s_or_saveexec_b64 s[6:7], s[6:7]
	v_mov_b32_e32 v2, s10
	s_xor_b64 exec, exec, s[6:7]
	s_cbranch_execz .LBB13_1722
.LBB13_3772:
	v_mov_b32_e32 v2, 0
	v_cmp_ne_u16_sdwa s[8:9], v7, v2 src0_sel:BYTE_3 src1_sel:DWORD
	s_andn2_b64 s[4:5], s[4:5], exec
	s_and_b64 s[8:9], s[8:9], exec
	s_or_b64 s[4:5], s[4:5], s[8:9]
	s_or_b64 exec, exec, s[6:7]
	s_and_saveexec_b64 s[6:7], s[4:5]
	s_cbranch_execnz .LBB13_1723
	s_branch .LBB13_1724
.LBB13_3773:
	s_movk_i32 s4, 0x80
	v_cmp_eq_u16_sdwa s[12:13], v3, s4 src0_sel:BYTE_3 src1_sel:DWORD
	s_mov_b64 s[4:5], -1
                                        ; implicit-def: $sgpr10
	s_and_saveexec_b64 s[8:9], s[12:13]
; %bb.3774:
	s_mov_b32 s10, 0x7f800001
	s_xor_b64 s[4:5], exec, -1
; %bb.3775:
	s_or_b64 exec, exec, s[8:9]
	s_and_b64 s[4:5], s[4:5], exec
	s_or_saveexec_b64 s[6:7], s[6:7]
	v_mov_b32_e32 v6, s10
	s_xor_b64 exec, exec, s[6:7]
	s_cbranch_execz .LBB13_1726
.LBB13_3776:
	v_mov_b32_e32 v6, 0
	v_cmp_ne_u16_sdwa s[8:9], v3, v6 src0_sel:BYTE_3 src1_sel:DWORD
	s_andn2_b64 s[4:5], s[4:5], exec
	s_and_b64 s[8:9], s[8:9], exec
	s_or_b64 s[4:5], s[4:5], s[8:9]
	s_or_b64 exec, exec, s[6:7]
	s_and_saveexec_b64 s[6:7], s[4:5]
	s_cbranch_execnz .LBB13_1727
	s_branch .LBB13_1728
.LBB13_3777:
	s_movk_i32 s4, 0x80
	v_cmp_eq_u16_sdwa s[12:13], v8, s4 src0_sel:BYTE_0 src1_sel:DWORD
	s_mov_b64 s[4:5], -1
                                        ; implicit-def: $sgpr10
	s_and_saveexec_b64 s[8:9], s[12:13]
; %bb.3778:
	s_mov_b32 s10, 0x7f800001
	s_xor_b64 s[4:5], exec, -1
; %bb.3779:
	s_or_b64 exec, exec, s[8:9]
	s_and_b64 s[4:5], s[4:5], exec
	s_or_saveexec_b64 s[6:7], s[6:7]
	v_mov_b32_e32 v2, s10
	s_xor_b64 exec, exec, s[6:7]
	s_cbranch_execz .LBB13_1730
.LBB13_3780:
	v_mov_b32_e32 v2, 0
	v_cmp_ne_u16_sdwa s[8:9], v8, v2 src0_sel:BYTE_0 src1_sel:DWORD
	s_andn2_b64 s[4:5], s[4:5], exec
	s_and_b64 s[8:9], s[8:9], exec
	s_or_b64 s[4:5], s[4:5], s[8:9]
	s_or_b64 exec, exec, s[6:7]
	s_and_saveexec_b64 s[6:7], s[4:5]
	s_cbranch_execnz .LBB13_1731
	s_branch .LBB13_1732
.LBB13_3781:
	s_movk_i32 s4, 0x80
	v_cmp_eq_u16_sdwa s[12:13], v4, s4 src0_sel:BYTE_0 src1_sel:DWORD
	s_mov_b64 s[4:5], -1
                                        ; implicit-def: $sgpr10
	s_and_saveexec_b64 s[8:9], s[12:13]
; %bb.3782:
	s_mov_b32 s10, 0x7f800001
	s_xor_b64 s[4:5], exec, -1
; %bb.3783:
	s_or_b64 exec, exec, s[8:9]
	s_and_b64 s[4:5], s[4:5], exec
	s_or_saveexec_b64 s[6:7], s[6:7]
	v_mov_b32_e32 v3, s10
	s_xor_b64 exec, exec, s[6:7]
	s_cbranch_execz .LBB13_1734
.LBB13_3784:
	v_mov_b32_e32 v3, 0
	v_cmp_ne_u16_sdwa s[8:9], v4, v3 src0_sel:BYTE_0 src1_sel:DWORD
	s_andn2_b64 s[4:5], s[4:5], exec
	s_and_b64 s[8:9], s[8:9], exec
	s_or_b64 s[4:5], s[4:5], s[8:9]
	s_or_b64 exec, exec, s[6:7]
	s_and_saveexec_b64 s[6:7], s[4:5]
	s_cbranch_execnz .LBB13_1735
	s_branch .LBB13_1736
.LBB13_3785:
	s_movk_i32 s4, 0x80
	v_cmp_eq_u16_sdwa s[12:13], v3, s4 src0_sel:BYTE_0 src1_sel:DWORD
	s_mov_b64 s[4:5], -1
                                        ; implicit-def: $sgpr10
	s_and_saveexec_b64 s[8:9], s[12:13]
; %bb.3786:
	s_mov_b32 s10, 0x7f800001
	s_xor_b64 s[4:5], exec, -1
; %bb.3787:
	s_or_b64 exec, exec, s[8:9]
	s_and_b64 s[4:5], s[4:5], exec
	s_or_saveexec_b64 s[6:7], s[6:7]
	v_mov_b32_e32 v2, s10
	s_xor_b64 exec, exec, s[6:7]
	s_cbranch_execz .LBB13_1738
.LBB13_3788:
	v_mov_b32_e32 v2, 0
	v_cmp_ne_u16_sdwa s[8:9], v3, v2 src0_sel:BYTE_0 src1_sel:DWORD
	s_andn2_b64 s[4:5], s[4:5], exec
	s_and_b64 s[8:9], s[8:9], exec
	s_or_b64 s[4:5], s[4:5], s[8:9]
	s_or_b64 exec, exec, s[6:7]
	s_and_saveexec_b64 s[6:7], s[4:5]
	s_cbranch_execnz .LBB13_1739
	s_branch .LBB13_1740
.LBB13_3789:
	s_movk_i32 s4, 0x80
	v_cmp_eq_u16_sdwa s[12:13], v3, s4 src0_sel:BYTE_0 src1_sel:DWORD
	s_mov_b64 s[4:5], -1
                                        ; implicit-def: $sgpr10
	s_and_saveexec_b64 s[8:9], s[12:13]
; %bb.3790:
	s_mov_b32 s10, 0x7f800001
	s_xor_b64 s[4:5], exec, -1
; %bb.3791:
	s_or_b64 exec, exec, s[8:9]
	s_and_b64 s[4:5], s[4:5], exec
	s_or_saveexec_b64 s[6:7], s[6:7]
	v_mov_b32_e32 v6, s10
	s_xor_b64 exec, exec, s[6:7]
	s_cbranch_execz .LBB13_1742
.LBB13_3792:
	v_mov_b32_e32 v6, 0
	v_cmp_ne_u16_sdwa s[8:9], v3, v6 src0_sel:BYTE_0 src1_sel:DWORD
	s_andn2_b64 s[4:5], s[4:5], exec
	s_and_b64 s[8:9], s[8:9], exec
	s_or_b64 s[4:5], s[4:5], s[8:9]
	s_or_b64 exec, exec, s[6:7]
	s_and_saveexec_b64 s[6:7], s[4:5]
	s_cbranch_execnz .LBB13_1743
	s_branch .LBB13_1744
.LBB13_3793:
	s_movk_i32 s4, 0x80
	v_cmp_eq_u16_e32 vcc, s4, v3
	s_mov_b64 s[4:5], -1
                                        ; implicit-def: $sgpr10
	s_and_saveexec_b64 s[8:9], vcc
; %bb.3794:
	s_mov_b32 s10, 0x7f800001
	s_xor_b64 s[4:5], exec, -1
; %bb.3795:
	s_or_b64 exec, exec, s[8:9]
	s_and_b64 s[4:5], s[4:5], exec
                                        ; implicit-def: $vgpr3
	s_or_saveexec_b64 s[6:7], s[6:7]
	v_mov_b32_e32 v2, s10
	s_xor_b64 exec, exec, s[6:7]
	s_cbranch_execz .LBB13_1746
.LBB13_3796:
	v_cmp_ne_u16_e32 vcc, 0, v3
	s_andn2_b64 s[4:5], s[4:5], exec
	s_and_b64 s[8:9], vcc, exec
	v_mov_b32_e32 v2, 0
	s_or_b64 s[4:5], s[4:5], s[8:9]
	s_or_b64 exec, exec, s[6:7]
	s_and_saveexec_b64 s[6:7], s[4:5]
	s_cbranch_execnz .LBB13_1747
	s_branch .LBB13_1748
.LBB13_3797:
	s_movk_i32 s4, 0x80
	v_cmp_eq_u16_e32 vcc, s4, v3
	s_mov_b64 s[4:5], -1
                                        ; implicit-def: $sgpr10
	s_and_saveexec_b64 s[8:9], vcc
; %bb.3798:
	s_mov_b32 s10, 0x7f800001
	s_xor_b64 s[4:5], exec, -1
; %bb.3799:
	s_or_b64 exec, exec, s[8:9]
	s_and_b64 s[4:5], s[4:5], exec
                                        ; implicit-def: $vgpr3
	s_or_saveexec_b64 s[6:7], s[6:7]
	v_mov_b32_e32 v6, s10
	s_xor_b64 exec, exec, s[6:7]
	s_cbranch_execz .LBB13_1750
.LBB13_3800:
	v_cmp_ne_u16_e32 vcc, 0, v3
	s_andn2_b64 s[4:5], s[4:5], exec
	s_and_b64 s[8:9], vcc, exec
	v_mov_b32_e32 v6, 0
	s_or_b64 s[4:5], s[4:5], s[8:9]
	s_or_b64 exec, exec, s[6:7]
	s_and_saveexec_b64 s[6:7], s[4:5]
	s_cbranch_execnz .LBB13_1751
	s_branch .LBB13_1752
.LBB13_3801:
	s_movk_i32 s4, 0x80
	v_cmp_eq_u16_sdwa s[12:13], v8, s4 src0_sel:BYTE_3 src1_sel:DWORD
	s_mov_b64 s[4:5], -1
                                        ; implicit-def: $sgpr10
	s_and_saveexec_b64 s[8:9], s[12:13]
; %bb.3802:
	s_mov_b32 s10, 0x7f800001
	s_xor_b64 s[4:5], exec, -1
; %bb.3803:
	s_or_b64 exec, exec, s[8:9]
	s_and_b64 s[4:5], s[4:5], exec
	s_or_saveexec_b64 s[6:7], s[6:7]
	v_mov_b32_e32 v2, s10
	s_xor_b64 exec, exec, s[6:7]
	s_cbranch_execz .LBB13_1754
.LBB13_3804:
	v_mov_b32_e32 v2, 0
	v_cmp_ne_u16_sdwa s[8:9], v8, v2 src0_sel:BYTE_3 src1_sel:DWORD
	s_andn2_b64 s[4:5], s[4:5], exec
	s_and_b64 s[8:9], s[8:9], exec
	s_or_b64 s[4:5], s[4:5], s[8:9]
	s_or_b64 exec, exec, s[6:7]
	s_and_saveexec_b64 s[6:7], s[4:5]
	s_cbranch_execnz .LBB13_1755
	s_branch .LBB13_1756
.LBB13_3805:
	s_movk_i32 s4, 0x80
	v_cmp_eq_u16_sdwa s[12:13], v4, s4 src0_sel:BYTE_3 src1_sel:DWORD
	s_mov_b64 s[4:5], -1
                                        ; implicit-def: $sgpr10
	s_and_saveexec_b64 s[8:9], s[12:13]
; %bb.3806:
	s_mov_b32 s10, 0x7f800001
	s_xor_b64 s[4:5], exec, -1
; %bb.3807:
	s_or_b64 exec, exec, s[8:9]
	s_and_b64 s[4:5], s[4:5], exec
	s_or_saveexec_b64 s[6:7], s[6:7]
	v_mov_b32_e32 v3, s10
	s_xor_b64 exec, exec, s[6:7]
	s_cbranch_execz .LBB13_1758
.LBB13_3808:
	v_mov_b32_e32 v3, 0
	v_cmp_ne_u16_sdwa s[8:9], v4, v3 src0_sel:BYTE_3 src1_sel:DWORD
	s_andn2_b64 s[4:5], s[4:5], exec
	s_and_b64 s[8:9], s[8:9], exec
	s_or_b64 s[4:5], s[4:5], s[8:9]
	s_or_b64 exec, exec, s[6:7]
	s_and_saveexec_b64 s[6:7], s[4:5]
	s_cbranch_execnz .LBB13_1759
	s_branch .LBB13_1760
.LBB13_3809:
	s_movk_i32 s4, 0x80
	v_cmp_eq_u16_sdwa s[12:13], v9, s4 src0_sel:BYTE_0 src1_sel:DWORD
	s_mov_b64 s[4:5], -1
                                        ; implicit-def: $sgpr10
	s_and_saveexec_b64 s[8:9], s[12:13]
; %bb.3810:
	s_mov_b32 s10, 0x7f800001
	s_xor_b64 s[4:5], exec, -1
; %bb.3811:
	s_or_b64 exec, exec, s[8:9]
	s_and_b64 s[4:5], s[4:5], exec
	s_or_saveexec_b64 s[6:7], s[6:7]
	v_mov_b32_e32 v2, s10
	s_xor_b64 exec, exec, s[6:7]
	s_cbranch_execz .LBB13_1762
.LBB13_3812:
	v_mov_b32_e32 v2, 0
	v_cmp_ne_u16_sdwa s[8:9], v9, v2 src0_sel:BYTE_0 src1_sel:DWORD
	s_andn2_b64 s[4:5], s[4:5], exec
	s_and_b64 s[8:9], s[8:9], exec
	s_or_b64 s[4:5], s[4:5], s[8:9]
	s_or_b64 exec, exec, s[6:7]
	s_and_saveexec_b64 s[6:7], s[4:5]
	s_cbranch_execnz .LBB13_1763
	s_branch .LBB13_1764
.LBB13_3813:
	s_movk_i32 s4, 0x80
	v_cmp_eq_u16_sdwa s[12:13], v5, s4 src0_sel:BYTE_0 src1_sel:DWORD
	s_mov_b64 s[4:5], -1
                                        ; implicit-def: $sgpr10
	s_and_saveexec_b64 s[8:9], s[12:13]
; %bb.3814:
	s_mov_b32 s10, 0x7f800001
	s_xor_b64 s[4:5], exec, -1
; %bb.3815:
	s_or_b64 exec, exec, s[8:9]
	s_and_b64 s[4:5], s[4:5], exec
	s_or_saveexec_b64 s[6:7], s[6:7]
	v_mov_b32_e32 v3, s10
	s_xor_b64 exec, exec, s[6:7]
	s_cbranch_execz .LBB13_1766
.LBB13_3816:
	v_mov_b32_e32 v3, 0
	v_cmp_ne_u16_sdwa s[8:9], v5, v3 src0_sel:BYTE_0 src1_sel:DWORD
	s_andn2_b64 s[4:5], s[4:5], exec
	s_and_b64 s[8:9], s[8:9], exec
	s_or_b64 s[4:5], s[4:5], s[8:9]
	s_or_b64 exec, exec, s[6:7]
	s_and_saveexec_b64 s[6:7], s[4:5]
	s_cbranch_execnz .LBB13_1767
	s_branch .LBB13_1768
.LBB13_3817:
	s_movk_i32 s4, 0x80
	v_cmp_eq_u16_sdwa s[12:13], v3, s4 src0_sel:BYTE_0 src1_sel:DWORD
	s_mov_b64 s[4:5], -1
                                        ; implicit-def: $sgpr10
	s_and_saveexec_b64 s[8:9], s[12:13]
; %bb.3818:
	s_mov_b32 s10, 0x7f800001
	s_xor_b64 s[4:5], exec, -1
; %bb.3819:
	s_or_b64 exec, exec, s[8:9]
	s_and_b64 s[4:5], s[4:5], exec
	s_or_saveexec_b64 s[6:7], s[6:7]
	v_mov_b32_e32 v2, s10
	s_xor_b64 exec, exec, s[6:7]
	s_cbranch_execz .LBB13_1770
.LBB13_3820:
	v_mov_b32_e32 v2, 0
	v_cmp_ne_u16_sdwa s[8:9], v3, v2 src0_sel:BYTE_0 src1_sel:DWORD
	s_andn2_b64 s[4:5], s[4:5], exec
	s_and_b64 s[8:9], s[8:9], exec
	s_or_b64 s[4:5], s[4:5], s[8:9]
	s_or_b64 exec, exec, s[6:7]
	s_and_saveexec_b64 s[6:7], s[4:5]
	s_cbranch_execnz .LBB13_1771
	s_branch .LBB13_1772
.LBB13_3821:
	s_movk_i32 s4, 0x80
	v_cmp_eq_u16_sdwa s[12:13], v3, s4 src0_sel:BYTE_0 src1_sel:DWORD
	s_mov_b64 s[4:5], -1
                                        ; implicit-def: $sgpr10
	s_and_saveexec_b64 s[8:9], s[12:13]
; %bb.3822:
	s_mov_b32 s10, 0x7f800001
	s_xor_b64 s[4:5], exec, -1
; %bb.3823:
	s_or_b64 exec, exec, s[8:9]
	s_and_b64 s[4:5], s[4:5], exec
	s_or_saveexec_b64 s[6:7], s[6:7]
	v_mov_b32_e32 v4, s10
	s_xor_b64 exec, exec, s[6:7]
	s_cbranch_execz .LBB13_1774
.LBB13_3824:
	v_mov_b32_e32 v4, 0
	v_cmp_ne_u16_sdwa s[8:9], v3, v4 src0_sel:BYTE_0 src1_sel:DWORD
	s_andn2_b64 s[4:5], s[4:5], exec
	s_and_b64 s[8:9], s[8:9], exec
	s_or_b64 s[4:5], s[4:5], s[8:9]
	s_or_b64 exec, exec, s[6:7]
	s_and_saveexec_b64 s[6:7], s[4:5]
	s_cbranch_execnz .LBB13_1775
	s_branch .LBB13_1776
.LBB13_3825:
	s_movk_i32 s4, 0x80
	v_cmp_eq_u16_e32 vcc, s4, v3
	s_mov_b64 s[4:5], -1
                                        ; implicit-def: $sgpr10
	s_and_saveexec_b64 s[8:9], vcc
; %bb.3826:
	s_mov_b32 s10, 0x7f800001
	s_xor_b64 s[4:5], exec, -1
; %bb.3827:
	s_or_b64 exec, exec, s[8:9]
	s_and_b64 s[4:5], s[4:5], exec
                                        ; implicit-def: $vgpr3
	s_or_saveexec_b64 s[6:7], s[6:7]
	v_mov_b32_e32 v2, s10
	s_xor_b64 exec, exec, s[6:7]
	s_cbranch_execz .LBB13_1778
.LBB13_3828:
	v_cmp_ne_u16_e32 vcc, 0, v3
	s_andn2_b64 s[4:5], s[4:5], exec
	s_and_b64 s[8:9], vcc, exec
	v_mov_b32_e32 v2, 0
	s_or_b64 s[4:5], s[4:5], s[8:9]
	s_or_b64 exec, exec, s[6:7]
	s_and_saveexec_b64 s[6:7], s[4:5]
	s_cbranch_execnz .LBB13_1779
	s_branch .LBB13_1780
.LBB13_3829:
	s_movk_i32 s4, 0x80
	v_cmp_eq_u16_e32 vcc, s4, v3
	s_mov_b64 s[4:5], -1
                                        ; implicit-def: $sgpr10
	s_and_saveexec_b64 s[8:9], vcc
; %bb.3830:
	s_mov_b32 s10, 0x7f800001
	s_xor_b64 s[4:5], exec, -1
; %bb.3831:
	s_or_b64 exec, exec, s[8:9]
	s_and_b64 s[4:5], s[4:5], exec
                                        ; implicit-def: $vgpr3
	s_or_saveexec_b64 s[6:7], s[6:7]
	v_mov_b32_e32 v4, s10
	s_xor_b64 exec, exec, s[6:7]
	s_cbranch_execz .LBB13_1782
.LBB13_3832:
	v_cmp_ne_u16_e32 vcc, 0, v3
	s_andn2_b64 s[4:5], s[4:5], exec
	s_and_b64 s[8:9], vcc, exec
	v_mov_b32_e32 v4, 0
	s_or_b64 s[4:5], s[4:5], s[8:9]
	s_or_b64 exec, exec, s[6:7]
	s_and_saveexec_b64 s[6:7], s[4:5]
	s_cbranch_execnz .LBB13_1783
	s_branch .LBB13_1784
.LBB13_3833:
	s_movk_i32 s4, 0x80
	v_cmp_eq_u16_sdwa s[12:13], v9, s4 src0_sel:BYTE_3 src1_sel:DWORD
	s_mov_b64 s[4:5], -1
                                        ; implicit-def: $sgpr10
	s_and_saveexec_b64 s[8:9], s[12:13]
; %bb.3834:
	s_mov_b32 s10, 0x7f800001
	s_xor_b64 s[4:5], exec, -1
; %bb.3835:
	s_or_b64 exec, exec, s[8:9]
	s_and_b64 s[4:5], s[4:5], exec
	s_or_saveexec_b64 s[6:7], s[6:7]
	v_mov_b32_e32 v2, s10
	s_xor_b64 exec, exec, s[6:7]
	s_cbranch_execz .LBB13_1786
.LBB13_3836:
	v_mov_b32_e32 v2, 0
	v_cmp_ne_u16_sdwa s[8:9], v9, v2 src0_sel:BYTE_3 src1_sel:DWORD
	s_andn2_b64 s[4:5], s[4:5], exec
	s_and_b64 s[8:9], s[8:9], exec
	s_or_b64 s[4:5], s[4:5], s[8:9]
	s_or_b64 exec, exec, s[6:7]
	s_and_saveexec_b64 s[6:7], s[4:5]
	s_cbranch_execnz .LBB13_1787
	s_branch .LBB13_1788
.LBB13_3837:
	s_movk_i32 s4, 0x80
	v_cmp_eq_u16_sdwa s[12:13], v5, s4 src0_sel:BYTE_3 src1_sel:DWORD
	s_mov_b64 s[4:5], -1
                                        ; implicit-def: $sgpr10
	s_and_saveexec_b64 s[8:9], s[12:13]
; %bb.3838:
	s_mov_b32 s10, 0x7f800001
	s_xor_b64 s[4:5], exec, -1
; %bb.3839:
	s_or_b64 exec, exec, s[8:9]
	s_and_b64 s[4:5], s[4:5], exec
	s_or_saveexec_b64 s[6:7], s[6:7]
	v_mov_b32_e32 v3, s10
	s_xor_b64 exec, exec, s[6:7]
	s_cbranch_execz .LBB13_1790
.LBB13_3840:
	v_mov_b32_e32 v3, 0
	v_cmp_ne_u16_sdwa s[8:9], v5, v3 src0_sel:BYTE_3 src1_sel:DWORD
	s_andn2_b64 s[4:5], s[4:5], exec
	s_and_b64 s[8:9], s[8:9], exec
	s_or_b64 s[4:5], s[4:5], s[8:9]
	s_or_b64 exec, exec, s[6:7]
	s_and_saveexec_b64 s[6:7], s[4:5]
	s_cbranch_execnz .LBB13_1791
	s_branch .LBB13_1792
.LBB13_3841:
	s_movk_i32 s4, 0x80
	v_cmp_eq_u16_sdwa s[12:13], v6, s4 src0_sel:BYTE_0 src1_sel:DWORD
	s_mov_b64 s[4:5], -1
                                        ; implicit-def: $sgpr10
	s_and_saveexec_b64 s[8:9], s[12:13]
; %bb.3842:
	s_mov_b32 s10, 0x7f800001
	s_xor_b64 s[4:5], exec, -1
; %bb.3843:
	s_or_b64 exec, exec, s[8:9]
	s_and_b64 s[4:5], s[4:5], exec
	s_or_saveexec_b64 s[6:7], s[6:7]
	v_mov_b32_e32 v12, s10
	s_xor_b64 exec, exec, s[6:7]
	s_cbranch_execz .LBB13_1794
.LBB13_3844:
	v_mov_b32_e32 v12, 0
	v_cmp_ne_u16_sdwa s[8:9], v6, v12 src0_sel:BYTE_0 src1_sel:DWORD
	s_andn2_b64 s[4:5], s[4:5], exec
	s_and_b64 s[8:9], s[8:9], exec
	s_or_b64 s[4:5], s[4:5], s[8:9]
	s_or_b64 exec, exec, s[6:7]
	s_and_saveexec_b64 s[6:7], s[4:5]
	s_cbranch_execnz .LBB13_1795
	s_branch .LBB13_1796
.LBB13_3845:
	s_movk_i32 s4, 0x80
	v_cmp_eq_u16_sdwa s[12:13], v2, s4 src0_sel:BYTE_0 src1_sel:DWORD
	s_mov_b64 s[4:5], -1
                                        ; implicit-def: $sgpr10
	s_and_saveexec_b64 s[8:9], s[12:13]
; %bb.3846:
	s_mov_b32 s10, 0x7f800001
	s_xor_b64 s[4:5], exec, -1
; %bb.3847:
	s_or_b64 exec, exec, s[8:9]
	s_and_b64 s[4:5], s[4:5], exec
	s_or_saveexec_b64 s[6:7], s[6:7]
	v_mov_b32_e32 v13, s10
	s_xor_b64 exec, exec, s[6:7]
	s_cbranch_execz .LBB13_1798
.LBB13_3848:
	v_mov_b32_e32 v13, 0
	v_cmp_ne_u16_sdwa s[8:9], v2, v13 src0_sel:BYTE_0 src1_sel:DWORD
	s_andn2_b64 s[4:5], s[4:5], exec
	s_and_b64 s[8:9], s[8:9], exec
	s_or_b64 s[4:5], s[4:5], s[8:9]
	s_or_b64 exec, exec, s[6:7]
	s_and_saveexec_b64 s[6:7], s[4:5]
	s_cbranch_execnz .LBB13_1799
	s_branch .LBB13_1800
.LBB13_3849:
	s_movk_i32 s4, 0x80
	v_cmp_eq_u16_sdwa s[12:13], v13, s4 src0_sel:BYTE_0 src1_sel:DWORD
	s_mov_b64 s[4:5], -1
                                        ; implicit-def: $sgpr10
	s_and_saveexec_b64 s[8:9], s[12:13]
; %bb.3850:
	s_mov_b32 s10, 0x7f800001
	s_xor_b64 s[4:5], exec, -1
; %bb.3851:
	s_or_b64 exec, exec, s[8:9]
	s_and_b64 s[4:5], s[4:5], exec
	s_or_saveexec_b64 s[6:7], s[6:7]
	v_mov_b32_e32 v12, s10
	s_xor_b64 exec, exec, s[6:7]
	s_cbranch_execz .LBB13_1802
.LBB13_3852:
	v_mov_b32_e32 v12, 0
	v_cmp_ne_u16_sdwa s[8:9], v13, v12 src0_sel:BYTE_0 src1_sel:DWORD
	s_andn2_b64 s[4:5], s[4:5], exec
	s_and_b64 s[8:9], s[8:9], exec
	s_or_b64 s[4:5], s[4:5], s[8:9]
	s_or_b64 exec, exec, s[6:7]
	s_and_saveexec_b64 s[6:7], s[4:5]
	s_cbranch_execnz .LBB13_1803
	s_branch .LBB13_1804
.LBB13_3853:
	s_movk_i32 s4, 0x80
	v_cmp_eq_u16_sdwa s[12:13], v13, s4 src0_sel:BYTE_0 src1_sel:DWORD
	s_mov_b64 s[4:5], -1
                                        ; implicit-def: $sgpr10
	s_and_saveexec_b64 s[8:9], s[12:13]
; %bb.3854:
	s_mov_b32 s10, 0x7f800001
	s_xor_b64 s[4:5], exec, -1
; %bb.3855:
	s_or_b64 exec, exec, s[8:9]
	s_and_b64 s[4:5], s[4:5], exec
	s_or_saveexec_b64 s[6:7], s[6:7]
	v_mov_b32_e32 v14, s10
	s_xor_b64 exec, exec, s[6:7]
	s_cbranch_execz .LBB13_1806
.LBB13_3856:
	v_mov_b32_e32 v14, 0
	v_cmp_ne_u16_sdwa s[8:9], v13, v14 src0_sel:BYTE_0 src1_sel:DWORD
	s_andn2_b64 s[4:5], s[4:5], exec
	s_and_b64 s[8:9], s[8:9], exec
	s_or_b64 s[4:5], s[4:5], s[8:9]
	s_or_b64 exec, exec, s[6:7]
	s_and_saveexec_b64 s[6:7], s[4:5]
	s_cbranch_execnz .LBB13_1807
	s_branch .LBB13_1808
.LBB13_3857:
	s_movk_i32 s4, 0x80
	v_cmp_eq_u16_e32 vcc, s4, v13
	s_mov_b64 s[4:5], -1
                                        ; implicit-def: $sgpr10
	s_and_saveexec_b64 s[8:9], vcc
; %bb.3858:
	s_mov_b32 s10, 0x7f800001
	s_xor_b64 s[4:5], exec, -1
; %bb.3859:
	s_or_b64 exec, exec, s[8:9]
	s_and_b64 s[4:5], s[4:5], exec
                                        ; implicit-def: $vgpr13
	s_or_saveexec_b64 s[6:7], s[6:7]
	v_mov_b32_e32 v12, s10
	s_xor_b64 exec, exec, s[6:7]
	s_cbranch_execz .LBB13_1810
.LBB13_3860:
	v_cmp_ne_u16_e32 vcc, 0, v13
	s_andn2_b64 s[4:5], s[4:5], exec
	s_and_b64 s[8:9], vcc, exec
	v_mov_b32_e32 v12, 0
	s_or_b64 s[4:5], s[4:5], s[8:9]
	s_or_b64 exec, exec, s[6:7]
	s_and_saveexec_b64 s[6:7], s[4:5]
	s_cbranch_execnz .LBB13_1811
	s_branch .LBB13_1812
.LBB13_3861:
	s_movk_i32 s4, 0x80
	v_cmp_eq_u16_e32 vcc, s4, v13
	s_mov_b64 s[4:5], -1
                                        ; implicit-def: $sgpr10
	s_and_saveexec_b64 s[8:9], vcc
; %bb.3862:
	s_mov_b32 s10, 0x7f800001
	s_xor_b64 s[4:5], exec, -1
; %bb.3863:
	s_or_b64 exec, exec, s[8:9]
	s_and_b64 s[4:5], s[4:5], exec
                                        ; implicit-def: $vgpr13
	s_or_saveexec_b64 s[6:7], s[6:7]
	v_mov_b32_e32 v14, s10
	s_xor_b64 exec, exec, s[6:7]
	s_cbranch_execz .LBB13_1814
.LBB13_3864:
	v_cmp_ne_u16_e32 vcc, 0, v13
	s_andn2_b64 s[4:5], s[4:5], exec
	s_and_b64 s[8:9], vcc, exec
	v_mov_b32_e32 v14, 0
	s_or_b64 s[4:5], s[4:5], s[8:9]
	s_or_b64 exec, exec, s[6:7]
	s_and_saveexec_b64 s[6:7], s[4:5]
	s_cbranch_execnz .LBB13_1815
	s_branch .LBB13_1816
.LBB13_3865:
	s_movk_i32 s4, 0x80
	v_cmp_eq_u16_sdwa s[12:13], v6, s4 src0_sel:BYTE_3 src1_sel:DWORD
	s_mov_b64 s[4:5], -1
                                        ; implicit-def: $sgpr10
	s_and_saveexec_b64 s[8:9], s[12:13]
; %bb.3866:
	s_mov_b32 s10, 0x7f800001
	s_xor_b64 s[4:5], exec, -1
; %bb.3867:
	s_or_b64 exec, exec, s[8:9]
	s_and_b64 s[4:5], s[4:5], exec
	s_or_saveexec_b64 s[6:7], s[6:7]
	v_mov_b32_e32 v12, s10
	s_xor_b64 exec, exec, s[6:7]
	s_cbranch_execz .LBB13_1818
.LBB13_3868:
	v_mov_b32_e32 v12, 0
	v_cmp_ne_u16_sdwa s[8:9], v6, v12 src0_sel:BYTE_3 src1_sel:DWORD
	s_andn2_b64 s[4:5], s[4:5], exec
	s_and_b64 s[8:9], s[8:9], exec
	s_or_b64 s[4:5], s[4:5], s[8:9]
	s_or_b64 exec, exec, s[6:7]
	s_and_saveexec_b64 s[6:7], s[4:5]
	s_cbranch_execnz .LBB13_1819
	s_branch .LBB13_1820
.LBB13_3869:
	s_movk_i32 s4, 0x80
	v_cmp_eq_u16_sdwa s[12:13], v2, s4 src0_sel:BYTE_3 src1_sel:DWORD
	s_mov_b64 s[4:5], -1
                                        ; implicit-def: $sgpr10
	s_and_saveexec_b64 s[8:9], s[12:13]
; %bb.3870:
	s_mov_b32 s10, 0x7f800001
	s_xor_b64 s[4:5], exec, -1
; %bb.3871:
	s_or_b64 exec, exec, s[8:9]
	s_and_b64 s[4:5], s[4:5], exec
	s_or_saveexec_b64 s[6:7], s[6:7]
	v_mov_b32_e32 v6, s10
	s_xor_b64 exec, exec, s[6:7]
	s_cbranch_execz .LBB13_1822
.LBB13_3872:
	v_mov_b32_e32 v6, 0
	v_cmp_ne_u16_sdwa s[8:9], v2, v6 src0_sel:BYTE_3 src1_sel:DWORD
	s_andn2_b64 s[4:5], s[4:5], exec
	s_and_b64 s[8:9], s[8:9], exec
	s_or_b64 s[4:5], s[4:5], s[8:9]
	s_or_b64 exec, exec, s[6:7]
	s_and_saveexec_b64 s[6:7], s[4:5]
	s_cbranch_execnz .LBB13_1823
	s_branch .LBB13_1824
.LBB13_3873:
	s_movk_i32 s4, 0x80
	v_cmp_eq_u16_sdwa s[12:13], v7, s4 src0_sel:BYTE_0 src1_sel:DWORD
	s_mov_b64 s[4:5], -1
                                        ; implicit-def: $sgpr10
	s_and_saveexec_b64 s[8:9], s[12:13]
; %bb.3874:
	s_mov_b32 s10, 0x7f800001
	s_xor_b64 s[4:5], exec, -1
; %bb.3875:
	s_or_b64 exec, exec, s[8:9]
	s_and_b64 s[4:5], s[4:5], exec
	s_or_saveexec_b64 s[6:7], s[6:7]
	v_mov_b32_e32 v2, s10
	s_xor_b64 exec, exec, s[6:7]
	s_cbranch_execz .LBB13_1826
.LBB13_3876:
	v_mov_b32_e32 v2, 0
	v_cmp_ne_u16_sdwa s[8:9], v7, v2 src0_sel:BYTE_0 src1_sel:DWORD
	s_andn2_b64 s[4:5], s[4:5], exec
	s_and_b64 s[8:9], s[8:9], exec
	s_or_b64 s[4:5], s[4:5], s[8:9]
	s_or_b64 exec, exec, s[6:7]
	s_and_saveexec_b64 s[6:7], s[4:5]
	s_cbranch_execnz .LBB13_1827
	s_branch .LBB13_1828
.LBB13_3877:
	s_movk_i32 s4, 0x80
	v_cmp_eq_u16_sdwa s[12:13], v3, s4 src0_sel:BYTE_0 src1_sel:DWORD
	s_mov_b64 s[4:5], -1
                                        ; implicit-def: $sgpr10
	s_and_saveexec_b64 s[8:9], s[12:13]
; %bb.3878:
	s_mov_b32 s10, 0x7f800001
	s_xor_b64 s[4:5], exec, -1
; %bb.3879:
	s_or_b64 exec, exec, s[8:9]
	s_and_b64 s[4:5], s[4:5], exec
	s_or_saveexec_b64 s[6:7], s[6:7]
	v_mov_b32_e32 v6, s10
	s_xor_b64 exec, exec, s[6:7]
	s_cbranch_execz .LBB13_1830
.LBB13_3880:
	v_mov_b32_e32 v6, 0
	v_cmp_ne_u16_sdwa s[8:9], v3, v6 src0_sel:BYTE_0 src1_sel:DWORD
	s_andn2_b64 s[4:5], s[4:5], exec
	s_and_b64 s[8:9], s[8:9], exec
	s_or_b64 s[4:5], s[4:5], s[8:9]
	s_or_b64 exec, exec, s[6:7]
	s_and_saveexec_b64 s[6:7], s[4:5]
	s_cbranch_execnz .LBB13_1831
	s_branch .LBB13_1832
.LBB13_3881:
	s_movk_i32 s4, 0x80
	v_cmp_eq_u16_sdwa s[12:13], v6, s4 src0_sel:BYTE_0 src1_sel:DWORD
	s_mov_b64 s[4:5], -1
                                        ; implicit-def: $sgpr10
	s_and_saveexec_b64 s[8:9], s[12:13]
; %bb.3882:
	s_mov_b32 s10, 0x7f800001
	s_xor_b64 s[4:5], exec, -1
; %bb.3883:
	s_or_b64 exec, exec, s[8:9]
	s_and_b64 s[4:5], s[4:5], exec
	s_or_saveexec_b64 s[6:7], s[6:7]
	v_mov_b32_e32 v2, s10
	s_xor_b64 exec, exec, s[6:7]
	s_cbranch_execz .LBB13_1834
.LBB13_3884:
	v_mov_b32_e32 v2, 0
	v_cmp_ne_u16_sdwa s[8:9], v6, v2 src0_sel:BYTE_0 src1_sel:DWORD
	s_andn2_b64 s[4:5], s[4:5], exec
	s_and_b64 s[8:9], s[8:9], exec
	s_or_b64 s[4:5], s[4:5], s[8:9]
	s_or_b64 exec, exec, s[6:7]
	s_and_saveexec_b64 s[6:7], s[4:5]
	s_cbranch_execnz .LBB13_1835
	s_branch .LBB13_1836
.LBB13_3885:
	s_movk_i32 s4, 0x80
	v_cmp_eq_u16_sdwa s[12:13], v6, s4 src0_sel:BYTE_0 src1_sel:DWORD
	s_mov_b64 s[4:5], -1
                                        ; implicit-def: $sgpr10
	s_and_saveexec_b64 s[8:9], s[12:13]
; %bb.3886:
	s_mov_b32 s10, 0x7f800001
	s_xor_b64 s[4:5], exec, -1
; %bb.3887:
	s_or_b64 exec, exec, s[8:9]
	s_and_b64 s[4:5], s[4:5], exec
	s_or_saveexec_b64 s[6:7], s[6:7]
	v_mov_b32_e32 v12, s10
	s_xor_b64 exec, exec, s[6:7]
	s_cbranch_execz .LBB13_1838
.LBB13_3888:
	v_mov_b32_e32 v12, 0
	v_cmp_ne_u16_sdwa s[8:9], v6, v12 src0_sel:BYTE_0 src1_sel:DWORD
	s_andn2_b64 s[4:5], s[4:5], exec
	s_and_b64 s[8:9], s[8:9], exec
	s_or_b64 s[4:5], s[4:5], s[8:9]
	s_or_b64 exec, exec, s[6:7]
	s_and_saveexec_b64 s[6:7], s[4:5]
	s_cbranch_execnz .LBB13_1839
	s_branch .LBB13_1840
.LBB13_3889:
	s_movk_i32 s4, 0x80
	v_cmp_eq_u16_e32 vcc, s4, v6
	s_mov_b64 s[4:5], -1
                                        ; implicit-def: $sgpr10
	s_and_saveexec_b64 s[8:9], vcc
; %bb.3890:
	s_mov_b32 s10, 0x7f800001
	s_xor_b64 s[4:5], exec, -1
; %bb.3891:
	s_or_b64 exec, exec, s[8:9]
	s_and_b64 s[4:5], s[4:5], exec
                                        ; implicit-def: $vgpr6
	s_or_saveexec_b64 s[6:7], s[6:7]
	v_mov_b32_e32 v2, s10
	s_xor_b64 exec, exec, s[6:7]
	s_cbranch_execz .LBB13_1842
.LBB13_3892:
	v_cmp_ne_u16_e32 vcc, 0, v6
	s_andn2_b64 s[4:5], s[4:5], exec
	s_and_b64 s[8:9], vcc, exec
	v_mov_b32_e32 v2, 0
	s_or_b64 s[4:5], s[4:5], s[8:9]
	s_or_b64 exec, exec, s[6:7]
	s_and_saveexec_b64 s[6:7], s[4:5]
	s_cbranch_execnz .LBB13_1843
	s_branch .LBB13_1844
.LBB13_3893:
	s_movk_i32 s4, 0x80
	v_cmp_eq_u16_e32 vcc, s4, v6
	s_mov_b64 s[4:5], -1
                                        ; implicit-def: $sgpr10
	s_and_saveexec_b64 s[8:9], vcc
; %bb.3894:
	s_mov_b32 s10, 0x7f800001
	s_xor_b64 s[4:5], exec, -1
; %bb.3895:
	s_or_b64 exec, exec, s[8:9]
	s_and_b64 s[4:5], s[4:5], exec
                                        ; implicit-def: $vgpr6
	s_or_saveexec_b64 s[6:7], s[6:7]
	v_mov_b32_e32 v12, s10
	s_xor_b64 exec, exec, s[6:7]
	s_cbranch_execz .LBB13_1846
.LBB13_3896:
	v_cmp_ne_u16_e32 vcc, 0, v6
	s_andn2_b64 s[4:5], s[4:5], exec
	s_and_b64 s[8:9], vcc, exec
	v_mov_b32_e32 v12, 0
	s_or_b64 s[4:5], s[4:5], s[8:9]
	s_or_b64 exec, exec, s[6:7]
	s_and_saveexec_b64 s[6:7], s[4:5]
	s_cbranch_execnz .LBB13_1847
	s_branch .LBB13_1848
.LBB13_3897:
	s_movk_i32 s4, 0x80
	v_cmp_eq_u16_sdwa s[12:13], v7, s4 src0_sel:BYTE_3 src1_sel:DWORD
	s_mov_b64 s[4:5], -1
                                        ; implicit-def: $sgpr10
	s_and_saveexec_b64 s[8:9], s[12:13]
; %bb.3898:
	s_mov_b32 s10, 0x7f800001
	s_xor_b64 s[4:5], exec, -1
; %bb.3899:
	s_or_b64 exec, exec, s[8:9]
	s_and_b64 s[4:5], s[4:5], exec
	s_or_saveexec_b64 s[6:7], s[6:7]
	v_mov_b32_e32 v2, s10
	s_xor_b64 exec, exec, s[6:7]
	s_cbranch_execz .LBB13_1850
.LBB13_3900:
	v_mov_b32_e32 v2, 0
	v_cmp_ne_u16_sdwa s[8:9], v7, v2 src0_sel:BYTE_3 src1_sel:DWORD
	s_andn2_b64 s[4:5], s[4:5], exec
	s_and_b64 s[8:9], s[8:9], exec
	s_or_b64 s[4:5], s[4:5], s[8:9]
	s_or_b64 exec, exec, s[6:7]
	s_and_saveexec_b64 s[6:7], s[4:5]
	s_cbranch_execnz .LBB13_1851
	s_branch .LBB13_1852
.LBB13_3901:
	s_movk_i32 s4, 0x80
	v_cmp_eq_u16_sdwa s[12:13], v3, s4 src0_sel:BYTE_3 src1_sel:DWORD
	s_mov_b64 s[4:5], -1
                                        ; implicit-def: $sgpr10
	s_and_saveexec_b64 s[8:9], s[12:13]
; %bb.3902:
	s_mov_b32 s10, 0x7f800001
	s_xor_b64 s[4:5], exec, -1
; %bb.3903:
	s_or_b64 exec, exec, s[8:9]
	s_and_b64 s[4:5], s[4:5], exec
	s_or_saveexec_b64 s[6:7], s[6:7]
	v_mov_b32_e32 v6, s10
	s_xor_b64 exec, exec, s[6:7]
	s_cbranch_execz .LBB13_1854
.LBB13_3904:
	v_mov_b32_e32 v6, 0
	v_cmp_ne_u16_sdwa s[8:9], v3, v6 src0_sel:BYTE_3 src1_sel:DWORD
	s_andn2_b64 s[4:5], s[4:5], exec
	s_and_b64 s[8:9], s[8:9], exec
	s_or_b64 s[4:5], s[4:5], s[8:9]
	s_or_b64 exec, exec, s[6:7]
	s_and_saveexec_b64 s[6:7], s[4:5]
	s_cbranch_execnz .LBB13_1855
	s_branch .LBB13_1856
.LBB13_3905:
	s_movk_i32 s4, 0x80
	v_cmp_eq_u16_sdwa s[12:13], v8, s4 src0_sel:BYTE_0 src1_sel:DWORD
	s_mov_b64 s[4:5], -1
                                        ; implicit-def: $sgpr10
	s_and_saveexec_b64 s[8:9], s[12:13]
; %bb.3906:
	s_mov_b32 s10, 0x7f800001
	s_xor_b64 s[4:5], exec, -1
; %bb.3907:
	s_or_b64 exec, exec, s[8:9]
	s_and_b64 s[4:5], s[4:5], exec
	s_or_saveexec_b64 s[6:7], s[6:7]
	v_mov_b32_e32 v2, s10
	s_xor_b64 exec, exec, s[6:7]
	s_cbranch_execz .LBB13_1858
.LBB13_3908:
	v_mov_b32_e32 v2, 0
	v_cmp_ne_u16_sdwa s[8:9], v8, v2 src0_sel:BYTE_0 src1_sel:DWORD
	s_andn2_b64 s[4:5], s[4:5], exec
	s_and_b64 s[8:9], s[8:9], exec
	s_or_b64 s[4:5], s[4:5], s[8:9]
	s_or_b64 exec, exec, s[6:7]
	s_and_saveexec_b64 s[6:7], s[4:5]
	s_cbranch_execnz .LBB13_1859
	s_branch .LBB13_1860
.LBB13_3909:
	s_movk_i32 s4, 0x80
	v_cmp_eq_u16_sdwa s[12:13], v4, s4 src0_sel:BYTE_0 src1_sel:DWORD
	s_mov_b64 s[4:5], -1
                                        ; implicit-def: $sgpr10
	s_and_saveexec_b64 s[8:9], s[12:13]
; %bb.3910:
	s_mov_b32 s10, 0x7f800001
	s_xor_b64 s[4:5], exec, -1
; %bb.3911:
	s_or_b64 exec, exec, s[8:9]
	s_and_b64 s[4:5], s[4:5], exec
	s_or_saveexec_b64 s[6:7], s[6:7]
	v_mov_b32_e32 v3, s10
	s_xor_b64 exec, exec, s[6:7]
	s_cbranch_execz .LBB13_1862
.LBB13_3912:
	v_mov_b32_e32 v3, 0
	v_cmp_ne_u16_sdwa s[8:9], v4, v3 src0_sel:BYTE_0 src1_sel:DWORD
	s_andn2_b64 s[4:5], s[4:5], exec
	s_and_b64 s[8:9], s[8:9], exec
	s_or_b64 s[4:5], s[4:5], s[8:9]
	s_or_b64 exec, exec, s[6:7]
	s_and_saveexec_b64 s[6:7], s[4:5]
	s_cbranch_execnz .LBB13_1863
	s_branch .LBB13_1864
.LBB13_3913:
	s_movk_i32 s4, 0x80
	v_cmp_eq_u16_sdwa s[12:13], v3, s4 src0_sel:BYTE_0 src1_sel:DWORD
	s_mov_b64 s[4:5], -1
                                        ; implicit-def: $sgpr10
	s_and_saveexec_b64 s[8:9], s[12:13]
; %bb.3914:
	s_mov_b32 s10, 0x7f800001
	s_xor_b64 s[4:5], exec, -1
; %bb.3915:
	s_or_b64 exec, exec, s[8:9]
	s_and_b64 s[4:5], s[4:5], exec
	s_or_saveexec_b64 s[6:7], s[6:7]
	v_mov_b32_e32 v2, s10
	s_xor_b64 exec, exec, s[6:7]
	s_cbranch_execz .LBB13_1866
.LBB13_3916:
	v_mov_b32_e32 v2, 0
	v_cmp_ne_u16_sdwa s[8:9], v3, v2 src0_sel:BYTE_0 src1_sel:DWORD
	s_andn2_b64 s[4:5], s[4:5], exec
	s_and_b64 s[8:9], s[8:9], exec
	s_or_b64 s[4:5], s[4:5], s[8:9]
	s_or_b64 exec, exec, s[6:7]
	s_and_saveexec_b64 s[6:7], s[4:5]
	s_cbranch_execnz .LBB13_1867
	s_branch .LBB13_1868
.LBB13_3917:
	s_movk_i32 s4, 0x80
	v_cmp_eq_u16_sdwa s[12:13], v3, s4 src0_sel:BYTE_0 src1_sel:DWORD
	s_mov_b64 s[4:5], -1
                                        ; implicit-def: $sgpr10
	s_and_saveexec_b64 s[8:9], s[12:13]
; %bb.3918:
	s_mov_b32 s10, 0x7f800001
	s_xor_b64 s[4:5], exec, -1
; %bb.3919:
	s_or_b64 exec, exec, s[8:9]
	s_and_b64 s[4:5], s[4:5], exec
	s_or_saveexec_b64 s[6:7], s[6:7]
	v_mov_b32_e32 v6, s10
	s_xor_b64 exec, exec, s[6:7]
	s_cbranch_execz .LBB13_1870
.LBB13_3920:
	v_mov_b32_e32 v6, 0
	v_cmp_ne_u16_sdwa s[8:9], v3, v6 src0_sel:BYTE_0 src1_sel:DWORD
	s_andn2_b64 s[4:5], s[4:5], exec
	s_and_b64 s[8:9], s[8:9], exec
	s_or_b64 s[4:5], s[4:5], s[8:9]
	s_or_b64 exec, exec, s[6:7]
	s_and_saveexec_b64 s[6:7], s[4:5]
	s_cbranch_execnz .LBB13_1871
	s_branch .LBB13_1872
.LBB13_3921:
	s_movk_i32 s4, 0x80
	v_cmp_eq_u16_e32 vcc, s4, v3
	s_mov_b64 s[4:5], -1
                                        ; implicit-def: $sgpr10
	s_and_saveexec_b64 s[8:9], vcc
; %bb.3922:
	s_mov_b32 s10, 0x7f800001
	s_xor_b64 s[4:5], exec, -1
; %bb.3923:
	s_or_b64 exec, exec, s[8:9]
	s_and_b64 s[4:5], s[4:5], exec
                                        ; implicit-def: $vgpr3
	s_or_saveexec_b64 s[6:7], s[6:7]
	v_mov_b32_e32 v2, s10
	s_xor_b64 exec, exec, s[6:7]
	s_cbranch_execz .LBB13_1874
.LBB13_3924:
	v_cmp_ne_u16_e32 vcc, 0, v3
	s_andn2_b64 s[4:5], s[4:5], exec
	s_and_b64 s[8:9], vcc, exec
	v_mov_b32_e32 v2, 0
	s_or_b64 s[4:5], s[4:5], s[8:9]
	s_or_b64 exec, exec, s[6:7]
	s_and_saveexec_b64 s[6:7], s[4:5]
	s_cbranch_execnz .LBB13_1875
	s_branch .LBB13_1876
.LBB13_3925:
	s_movk_i32 s4, 0x80
	v_cmp_eq_u16_e32 vcc, s4, v3
	s_mov_b64 s[4:5], -1
                                        ; implicit-def: $sgpr10
	s_and_saveexec_b64 s[8:9], vcc
; %bb.3926:
	s_mov_b32 s10, 0x7f800001
	s_xor_b64 s[4:5], exec, -1
; %bb.3927:
	s_or_b64 exec, exec, s[8:9]
	s_and_b64 s[4:5], s[4:5], exec
                                        ; implicit-def: $vgpr3
	s_or_saveexec_b64 s[6:7], s[6:7]
	v_mov_b32_e32 v6, s10
	s_xor_b64 exec, exec, s[6:7]
	s_cbranch_execz .LBB13_1878
.LBB13_3928:
	v_cmp_ne_u16_e32 vcc, 0, v3
	s_andn2_b64 s[4:5], s[4:5], exec
	s_and_b64 s[8:9], vcc, exec
	v_mov_b32_e32 v6, 0
	s_or_b64 s[4:5], s[4:5], s[8:9]
	s_or_b64 exec, exec, s[6:7]
	s_and_saveexec_b64 s[6:7], s[4:5]
	s_cbranch_execnz .LBB13_1879
	s_branch .LBB13_1880
.LBB13_3929:
	s_movk_i32 s4, 0x80
	v_cmp_eq_u16_sdwa s[12:13], v8, s4 src0_sel:BYTE_3 src1_sel:DWORD
	s_mov_b64 s[4:5], -1
                                        ; implicit-def: $sgpr10
	s_and_saveexec_b64 s[8:9], s[12:13]
; %bb.3930:
	s_mov_b32 s10, 0x7f800001
	s_xor_b64 s[4:5], exec, -1
; %bb.3931:
	s_or_b64 exec, exec, s[8:9]
	s_and_b64 s[4:5], s[4:5], exec
	s_or_saveexec_b64 s[6:7], s[6:7]
	v_mov_b32_e32 v2, s10
	s_xor_b64 exec, exec, s[6:7]
	s_cbranch_execz .LBB13_1882
.LBB13_3932:
	v_mov_b32_e32 v2, 0
	v_cmp_ne_u16_sdwa s[8:9], v8, v2 src0_sel:BYTE_3 src1_sel:DWORD
	s_andn2_b64 s[4:5], s[4:5], exec
	s_and_b64 s[8:9], s[8:9], exec
	s_or_b64 s[4:5], s[4:5], s[8:9]
	s_or_b64 exec, exec, s[6:7]
	s_and_saveexec_b64 s[6:7], s[4:5]
	s_cbranch_execnz .LBB13_1883
	s_branch .LBB13_1884
.LBB13_3933:
	s_movk_i32 s4, 0x80
	v_cmp_eq_u16_sdwa s[12:13], v4, s4 src0_sel:BYTE_3 src1_sel:DWORD
	s_mov_b64 s[4:5], -1
                                        ; implicit-def: $sgpr10
	s_and_saveexec_b64 s[8:9], s[12:13]
; %bb.3934:
	s_mov_b32 s10, 0x7f800001
	s_xor_b64 s[4:5], exec, -1
; %bb.3935:
	s_or_b64 exec, exec, s[8:9]
	s_and_b64 s[4:5], s[4:5], exec
	s_or_saveexec_b64 s[6:7], s[6:7]
	v_mov_b32_e32 v3, s10
	s_xor_b64 exec, exec, s[6:7]
	s_cbranch_execz .LBB13_1886
.LBB13_3936:
	v_mov_b32_e32 v3, 0
	v_cmp_ne_u16_sdwa s[8:9], v4, v3 src0_sel:BYTE_3 src1_sel:DWORD
	s_andn2_b64 s[4:5], s[4:5], exec
	s_and_b64 s[8:9], s[8:9], exec
	s_or_b64 s[4:5], s[4:5], s[8:9]
	s_or_b64 exec, exec, s[6:7]
	s_and_saveexec_b64 s[6:7], s[4:5]
	s_cbranch_execnz .LBB13_1887
	s_branch .LBB13_1888
.LBB13_3937:
	s_movk_i32 s4, 0x80
	v_cmp_eq_u16_sdwa s[12:13], v9, s4 src0_sel:BYTE_0 src1_sel:DWORD
	s_mov_b64 s[4:5], -1
                                        ; implicit-def: $sgpr10
	s_and_saveexec_b64 s[8:9], s[12:13]
; %bb.3938:
	s_mov_b32 s10, 0x7f800001
	s_xor_b64 s[4:5], exec, -1
; %bb.3939:
	s_or_b64 exec, exec, s[8:9]
	s_and_b64 s[4:5], s[4:5], exec
	s_or_saveexec_b64 s[6:7], s[6:7]
	v_mov_b32_e32 v2, s10
	s_xor_b64 exec, exec, s[6:7]
	s_cbranch_execz .LBB13_1890
.LBB13_3940:
	v_mov_b32_e32 v2, 0
	v_cmp_ne_u16_sdwa s[8:9], v9, v2 src0_sel:BYTE_0 src1_sel:DWORD
	s_andn2_b64 s[4:5], s[4:5], exec
	s_and_b64 s[8:9], s[8:9], exec
	s_or_b64 s[4:5], s[4:5], s[8:9]
	s_or_b64 exec, exec, s[6:7]
	s_and_saveexec_b64 s[6:7], s[4:5]
	s_cbranch_execnz .LBB13_1891
	s_branch .LBB13_1892
.LBB13_3941:
	s_movk_i32 s4, 0x80
	v_cmp_eq_u16_sdwa s[12:13], v5, s4 src0_sel:BYTE_0 src1_sel:DWORD
	s_mov_b64 s[4:5], -1
                                        ; implicit-def: $sgpr10
	s_and_saveexec_b64 s[8:9], s[12:13]
; %bb.3942:
	s_mov_b32 s10, 0x7f800001
	s_xor_b64 s[4:5], exec, -1
; %bb.3943:
	s_or_b64 exec, exec, s[8:9]
	s_and_b64 s[4:5], s[4:5], exec
	s_or_saveexec_b64 s[6:7], s[6:7]
	v_mov_b32_e32 v3, s10
	s_xor_b64 exec, exec, s[6:7]
	s_cbranch_execz .LBB13_1894
.LBB13_3944:
	v_mov_b32_e32 v3, 0
	v_cmp_ne_u16_sdwa s[8:9], v5, v3 src0_sel:BYTE_0 src1_sel:DWORD
	s_andn2_b64 s[4:5], s[4:5], exec
	s_and_b64 s[8:9], s[8:9], exec
	s_or_b64 s[4:5], s[4:5], s[8:9]
	s_or_b64 exec, exec, s[6:7]
	s_and_saveexec_b64 s[6:7], s[4:5]
	s_cbranch_execnz .LBB13_1895
	s_branch .LBB13_1896
.LBB13_3945:
	s_movk_i32 s4, 0x80
	v_cmp_eq_u16_sdwa s[12:13], v3, s4 src0_sel:BYTE_0 src1_sel:DWORD
	s_mov_b64 s[4:5], -1
                                        ; implicit-def: $sgpr10
	s_and_saveexec_b64 s[8:9], s[12:13]
; %bb.3946:
	s_mov_b32 s10, 0x7f800001
	s_xor_b64 s[4:5], exec, -1
; %bb.3947:
	s_or_b64 exec, exec, s[8:9]
	s_and_b64 s[4:5], s[4:5], exec
	s_or_saveexec_b64 s[6:7], s[6:7]
	v_mov_b32_e32 v2, s10
	s_xor_b64 exec, exec, s[6:7]
	s_cbranch_execz .LBB13_1898
.LBB13_3948:
	v_mov_b32_e32 v2, 0
	v_cmp_ne_u16_sdwa s[8:9], v3, v2 src0_sel:BYTE_0 src1_sel:DWORD
	s_andn2_b64 s[4:5], s[4:5], exec
	s_and_b64 s[8:9], s[8:9], exec
	s_or_b64 s[4:5], s[4:5], s[8:9]
	s_or_b64 exec, exec, s[6:7]
	s_and_saveexec_b64 s[6:7], s[4:5]
	s_cbranch_execnz .LBB13_1899
	s_branch .LBB13_1900
.LBB13_3949:
	s_movk_i32 s4, 0x80
	v_cmp_eq_u16_sdwa s[12:13], v3, s4 src0_sel:BYTE_0 src1_sel:DWORD
	s_mov_b64 s[4:5], -1
                                        ; implicit-def: $sgpr10
	s_and_saveexec_b64 s[8:9], s[12:13]
; %bb.3950:
	s_mov_b32 s10, 0x7f800001
	s_xor_b64 s[4:5], exec, -1
; %bb.3951:
	s_or_b64 exec, exec, s[8:9]
	s_and_b64 s[4:5], s[4:5], exec
	s_or_saveexec_b64 s[6:7], s[6:7]
	v_mov_b32_e32 v4, s10
	s_xor_b64 exec, exec, s[6:7]
	s_cbranch_execz .LBB13_1902
.LBB13_3952:
	v_mov_b32_e32 v4, 0
	v_cmp_ne_u16_sdwa s[8:9], v3, v4 src0_sel:BYTE_0 src1_sel:DWORD
	s_andn2_b64 s[4:5], s[4:5], exec
	s_and_b64 s[8:9], s[8:9], exec
	s_or_b64 s[4:5], s[4:5], s[8:9]
	s_or_b64 exec, exec, s[6:7]
	s_and_saveexec_b64 s[6:7], s[4:5]
	s_cbranch_execnz .LBB13_1903
	s_branch .LBB13_1904
.LBB13_3953:
	s_movk_i32 s4, 0x80
	v_cmp_eq_u16_e32 vcc, s4, v3
	s_mov_b64 s[4:5], -1
                                        ; implicit-def: $sgpr10
	s_and_saveexec_b64 s[8:9], vcc
; %bb.3954:
	s_mov_b32 s10, 0x7f800001
	s_xor_b64 s[4:5], exec, -1
; %bb.3955:
	s_or_b64 exec, exec, s[8:9]
	s_and_b64 s[4:5], s[4:5], exec
                                        ; implicit-def: $vgpr3
	s_or_saveexec_b64 s[6:7], s[6:7]
	v_mov_b32_e32 v2, s10
	s_xor_b64 exec, exec, s[6:7]
	s_cbranch_execz .LBB13_1906
.LBB13_3956:
	v_cmp_ne_u16_e32 vcc, 0, v3
	s_andn2_b64 s[4:5], s[4:5], exec
	s_and_b64 s[8:9], vcc, exec
	v_mov_b32_e32 v2, 0
	s_or_b64 s[4:5], s[4:5], s[8:9]
	s_or_b64 exec, exec, s[6:7]
	s_and_saveexec_b64 s[6:7], s[4:5]
	s_cbranch_execnz .LBB13_1907
	s_branch .LBB13_1908
.LBB13_3957:
	s_movk_i32 s4, 0x80
	v_cmp_eq_u16_e32 vcc, s4, v3
	s_mov_b64 s[4:5], -1
                                        ; implicit-def: $sgpr10
	s_and_saveexec_b64 s[8:9], vcc
; %bb.3958:
	s_mov_b32 s10, 0x7f800001
	s_xor_b64 s[4:5], exec, -1
; %bb.3959:
	s_or_b64 exec, exec, s[8:9]
	s_and_b64 s[4:5], s[4:5], exec
                                        ; implicit-def: $vgpr3
	s_or_saveexec_b64 s[6:7], s[6:7]
	v_mov_b32_e32 v4, s10
	s_xor_b64 exec, exec, s[6:7]
	s_cbranch_execz .LBB13_1910
.LBB13_3960:
	v_cmp_ne_u16_e32 vcc, 0, v3
	s_andn2_b64 s[4:5], s[4:5], exec
	s_and_b64 s[8:9], vcc, exec
	v_mov_b32_e32 v4, 0
	s_or_b64 s[4:5], s[4:5], s[8:9]
	s_or_b64 exec, exec, s[6:7]
	s_and_saveexec_b64 s[6:7], s[4:5]
	s_cbranch_execnz .LBB13_1911
	s_branch .LBB13_1912
.LBB13_3961:
	s_movk_i32 s4, 0x80
	v_cmp_eq_u16_sdwa s[12:13], v9, s4 src0_sel:BYTE_3 src1_sel:DWORD
	s_mov_b64 s[4:5], -1
                                        ; implicit-def: $sgpr10
	s_and_saveexec_b64 s[8:9], s[12:13]
; %bb.3962:
	s_mov_b32 s10, 0x7f800001
	s_xor_b64 s[4:5], exec, -1
; %bb.3963:
	s_or_b64 exec, exec, s[8:9]
	s_and_b64 s[4:5], s[4:5], exec
	s_or_saveexec_b64 s[6:7], s[6:7]
	v_mov_b32_e32 v2, s10
	s_xor_b64 exec, exec, s[6:7]
	s_cbranch_execz .LBB13_1914
.LBB13_3964:
	v_mov_b32_e32 v2, 0
	v_cmp_ne_u16_sdwa s[8:9], v9, v2 src0_sel:BYTE_3 src1_sel:DWORD
	s_andn2_b64 s[4:5], s[4:5], exec
	s_and_b64 s[8:9], s[8:9], exec
	s_or_b64 s[4:5], s[4:5], s[8:9]
	s_or_b64 exec, exec, s[6:7]
	s_and_saveexec_b64 s[6:7], s[4:5]
	s_cbranch_execnz .LBB13_1915
	s_branch .LBB13_1916
.LBB13_3965:
	s_movk_i32 s4, 0x80
	v_cmp_eq_u16_sdwa s[12:13], v5, s4 src0_sel:BYTE_3 src1_sel:DWORD
	s_mov_b64 s[4:5], -1
                                        ; implicit-def: $sgpr10
	s_and_saveexec_b64 s[8:9], s[12:13]
; %bb.3966:
	s_mov_b32 s10, 0x7f800001
	s_xor_b64 s[4:5], exec, -1
; %bb.3967:
	s_or_b64 exec, exec, s[8:9]
	s_and_b64 s[4:5], s[4:5], exec
	s_or_saveexec_b64 s[6:7], s[6:7]
	v_mov_b32_e32 v3, s10
	s_xor_b64 exec, exec, s[6:7]
	s_cbranch_execz .LBB13_1918
.LBB13_3968:
	v_mov_b32_e32 v3, 0
	v_cmp_ne_u16_sdwa s[8:9], v5, v3 src0_sel:BYTE_3 src1_sel:DWORD
	s_andn2_b64 s[4:5], s[4:5], exec
	s_and_b64 s[8:9], s[8:9], exec
	s_or_b64 s[4:5], s[4:5], s[8:9]
	s_or_b64 exec, exec, s[6:7]
	s_and_saveexec_b64 s[6:7], s[4:5]
	s_cbranch_execnz .LBB13_1919
	s_branch .LBB13_1920
.LBB13_3969:
	s_movk_i32 s4, 0x80
	v_cmp_eq_u16_sdwa s[12:13], v6, s4 src0_sel:BYTE_0 src1_sel:DWORD
	s_mov_b64 s[4:5], -1
                                        ; implicit-def: $sgpr10
	s_and_saveexec_b64 s[8:9], s[12:13]
; %bb.3970:
	s_mov_b32 s10, 0x7f800001
	s_xor_b64 s[4:5], exec, -1
; %bb.3971:
	s_or_b64 exec, exec, s[8:9]
	s_and_b64 s[4:5], s[4:5], exec
	s_or_saveexec_b64 s[6:7], s[6:7]
	v_mov_b32_e32 v10, s10
	s_xor_b64 exec, exec, s[6:7]
	s_cbranch_execz .LBB13_1922
.LBB13_3972:
	v_mov_b32_e32 v10, 0
	v_cmp_ne_u16_sdwa s[8:9], v6, v10 src0_sel:BYTE_0 src1_sel:DWORD
	s_andn2_b64 s[4:5], s[4:5], exec
	s_and_b64 s[8:9], s[8:9], exec
	s_or_b64 s[4:5], s[4:5], s[8:9]
	s_or_b64 exec, exec, s[6:7]
	s_and_saveexec_b64 s[6:7], s[4:5]
	s_cbranch_execnz .LBB13_1923
	s_branch .LBB13_1924
.LBB13_3973:
	s_movk_i32 s4, 0x80
	v_cmp_eq_u16_sdwa s[12:13], v2, s4 src0_sel:BYTE_0 src1_sel:DWORD
	s_mov_b64 s[4:5], -1
                                        ; implicit-def: $sgpr10
	s_and_saveexec_b64 s[8:9], s[12:13]
; %bb.3974:
	s_mov_b32 s10, 0x7f800001
	s_xor_b64 s[4:5], exec, -1
; %bb.3975:
	s_or_b64 exec, exec, s[8:9]
	s_and_b64 s[4:5], s[4:5], exec
	s_or_saveexec_b64 s[6:7], s[6:7]
	v_mov_b32_e32 v11, s10
	s_xor_b64 exec, exec, s[6:7]
	s_cbranch_execz .LBB13_1926
.LBB13_3976:
	v_mov_b32_e32 v11, 0
	v_cmp_ne_u16_sdwa s[8:9], v2, v11 src0_sel:BYTE_0 src1_sel:DWORD
	s_andn2_b64 s[4:5], s[4:5], exec
	s_and_b64 s[8:9], s[8:9], exec
	s_or_b64 s[4:5], s[4:5], s[8:9]
	s_or_b64 exec, exec, s[6:7]
	s_and_saveexec_b64 s[6:7], s[4:5]
	s_cbranch_execnz .LBB13_1927
	s_branch .LBB13_1928
.LBB13_3977:
	s_movk_i32 s4, 0x80
	v_cmp_eq_u16_sdwa s[12:13], v11, s4 src0_sel:BYTE_0 src1_sel:DWORD
	s_mov_b64 s[4:5], -1
                                        ; implicit-def: $sgpr10
	s_and_saveexec_b64 s[8:9], s[12:13]
; %bb.3978:
	s_mov_b32 s10, 0x7f800001
	s_xor_b64 s[4:5], exec, -1
; %bb.3979:
	s_or_b64 exec, exec, s[8:9]
	s_and_b64 s[4:5], s[4:5], exec
	s_or_saveexec_b64 s[6:7], s[6:7]
	v_mov_b32_e32 v10, s10
	s_xor_b64 exec, exec, s[6:7]
	s_cbranch_execz .LBB13_1930
.LBB13_3980:
	v_mov_b32_e32 v10, 0
	v_cmp_ne_u16_sdwa s[8:9], v11, v10 src0_sel:BYTE_0 src1_sel:DWORD
	s_andn2_b64 s[4:5], s[4:5], exec
	s_and_b64 s[8:9], s[8:9], exec
	s_or_b64 s[4:5], s[4:5], s[8:9]
	s_or_b64 exec, exec, s[6:7]
	s_and_saveexec_b64 s[6:7], s[4:5]
	s_cbranch_execnz .LBB13_1931
	s_branch .LBB13_1932
.LBB13_3981:
	s_movk_i32 s4, 0x80
	v_cmp_eq_u16_sdwa s[12:13], v11, s4 src0_sel:BYTE_0 src1_sel:DWORD
	s_mov_b64 s[4:5], -1
                                        ; implicit-def: $sgpr10
	s_and_saveexec_b64 s[8:9], s[12:13]
; %bb.3982:
	s_mov_b32 s10, 0x7f800001
	s_xor_b64 s[4:5], exec, -1
; %bb.3983:
	s_or_b64 exec, exec, s[8:9]
	s_and_b64 s[4:5], s[4:5], exec
	s_or_saveexec_b64 s[6:7], s[6:7]
	v_mov_b32_e32 v12, s10
	s_xor_b64 exec, exec, s[6:7]
	s_cbranch_execz .LBB13_1934
.LBB13_3984:
	v_mov_b32_e32 v12, 0
	v_cmp_ne_u16_sdwa s[8:9], v11, v12 src0_sel:BYTE_0 src1_sel:DWORD
	s_andn2_b64 s[4:5], s[4:5], exec
	s_and_b64 s[8:9], s[8:9], exec
	s_or_b64 s[4:5], s[4:5], s[8:9]
	s_or_b64 exec, exec, s[6:7]
	s_and_saveexec_b64 s[6:7], s[4:5]
	s_cbranch_execnz .LBB13_1935
	s_branch .LBB13_1936
.LBB13_3985:
	s_movk_i32 s4, 0x80
	v_cmp_eq_u16_e32 vcc, s4, v11
	s_mov_b64 s[4:5], -1
                                        ; implicit-def: $sgpr10
	s_and_saveexec_b64 s[8:9], vcc
; %bb.3986:
	s_mov_b32 s10, 0x7f800001
	s_xor_b64 s[4:5], exec, -1
; %bb.3987:
	s_or_b64 exec, exec, s[8:9]
	s_and_b64 s[4:5], s[4:5], exec
                                        ; implicit-def: $vgpr11
	s_or_saveexec_b64 s[6:7], s[6:7]
	v_mov_b32_e32 v10, s10
	s_xor_b64 exec, exec, s[6:7]
	s_cbranch_execz .LBB13_1938
.LBB13_3988:
	v_cmp_ne_u16_e32 vcc, 0, v11
	s_andn2_b64 s[4:5], s[4:5], exec
	s_and_b64 s[8:9], vcc, exec
	v_mov_b32_e32 v10, 0
	s_or_b64 s[4:5], s[4:5], s[8:9]
	s_or_b64 exec, exec, s[6:7]
	s_and_saveexec_b64 s[6:7], s[4:5]
	s_cbranch_execnz .LBB13_1939
	s_branch .LBB13_1940
.LBB13_3989:
	s_movk_i32 s4, 0x80
	v_cmp_eq_u16_e32 vcc, s4, v11
	s_mov_b64 s[4:5], -1
                                        ; implicit-def: $sgpr10
	s_and_saveexec_b64 s[8:9], vcc
; %bb.3990:
	s_mov_b32 s10, 0x7f800001
	s_xor_b64 s[4:5], exec, -1
; %bb.3991:
	s_or_b64 exec, exec, s[8:9]
	s_and_b64 s[4:5], s[4:5], exec
                                        ; implicit-def: $vgpr11
	s_or_saveexec_b64 s[6:7], s[6:7]
	v_mov_b32_e32 v12, s10
	s_xor_b64 exec, exec, s[6:7]
	s_cbranch_execz .LBB13_1942
.LBB13_3992:
	v_cmp_ne_u16_e32 vcc, 0, v11
	s_andn2_b64 s[4:5], s[4:5], exec
	s_and_b64 s[8:9], vcc, exec
	v_mov_b32_e32 v12, 0
	s_or_b64 s[4:5], s[4:5], s[8:9]
	s_or_b64 exec, exec, s[6:7]
	s_and_saveexec_b64 s[6:7], s[4:5]
	s_cbranch_execnz .LBB13_1943
	s_branch .LBB13_1944
.LBB13_3993:
	s_movk_i32 s4, 0x80
	v_cmp_eq_u16_sdwa s[12:13], v6, s4 src0_sel:BYTE_3 src1_sel:DWORD
	s_mov_b64 s[4:5], -1
                                        ; implicit-def: $sgpr10
	s_and_saveexec_b64 s[8:9], s[12:13]
; %bb.3994:
	s_mov_b32 s10, 0x7f800001
	s_xor_b64 s[4:5], exec, -1
; %bb.3995:
	s_or_b64 exec, exec, s[8:9]
	s_and_b64 s[4:5], s[4:5], exec
	s_or_saveexec_b64 s[6:7], s[6:7]
	v_mov_b32_e32 v10, s10
	s_xor_b64 exec, exec, s[6:7]
	s_cbranch_execz .LBB13_1946
.LBB13_3996:
	v_mov_b32_e32 v10, 0
	v_cmp_ne_u16_sdwa s[8:9], v6, v10 src0_sel:BYTE_3 src1_sel:DWORD
	s_andn2_b64 s[4:5], s[4:5], exec
	s_and_b64 s[8:9], s[8:9], exec
	s_or_b64 s[4:5], s[4:5], s[8:9]
	s_or_b64 exec, exec, s[6:7]
	s_and_saveexec_b64 s[6:7], s[4:5]
	s_cbranch_execnz .LBB13_1947
	s_branch .LBB13_1948
.LBB13_3997:
	s_movk_i32 s4, 0x80
	v_cmp_eq_u16_sdwa s[12:13], v2, s4 src0_sel:BYTE_3 src1_sel:DWORD
	s_mov_b64 s[4:5], -1
                                        ; implicit-def: $sgpr10
	s_and_saveexec_b64 s[8:9], s[12:13]
; %bb.3998:
	s_mov_b32 s10, 0x7f800001
	s_xor_b64 s[4:5], exec, -1
; %bb.3999:
	s_or_b64 exec, exec, s[8:9]
	s_and_b64 s[4:5], s[4:5], exec
	s_or_saveexec_b64 s[6:7], s[6:7]
	v_mov_b32_e32 v6, s10
	s_xor_b64 exec, exec, s[6:7]
	s_cbranch_execz .LBB13_1950
.LBB13_4000:
	v_mov_b32_e32 v6, 0
	v_cmp_ne_u16_sdwa s[8:9], v2, v6 src0_sel:BYTE_3 src1_sel:DWORD
	s_andn2_b64 s[4:5], s[4:5], exec
	s_and_b64 s[8:9], s[8:9], exec
	s_or_b64 s[4:5], s[4:5], s[8:9]
	s_or_b64 exec, exec, s[6:7]
	s_and_saveexec_b64 s[6:7], s[4:5]
	s_cbranch_execnz .LBB13_1951
	s_branch .LBB13_1952
.LBB13_4001:
	s_movk_i32 s4, 0x80
	v_cmp_eq_u16_sdwa s[12:13], v7, s4 src0_sel:BYTE_0 src1_sel:DWORD
	s_mov_b64 s[4:5], -1
                                        ; implicit-def: $sgpr10
	s_and_saveexec_b64 s[8:9], s[12:13]
; %bb.4002:
	s_mov_b32 s10, 0x7f800001
	s_xor_b64 s[4:5], exec, -1
; %bb.4003:
	s_or_b64 exec, exec, s[8:9]
	s_and_b64 s[4:5], s[4:5], exec
	s_or_saveexec_b64 s[6:7], s[6:7]
	v_mov_b32_e32 v2, s10
	s_xor_b64 exec, exec, s[6:7]
	s_cbranch_execz .LBB13_1954
.LBB13_4004:
	v_mov_b32_e32 v2, 0
	v_cmp_ne_u16_sdwa s[8:9], v7, v2 src0_sel:BYTE_0 src1_sel:DWORD
	s_andn2_b64 s[4:5], s[4:5], exec
	s_and_b64 s[8:9], s[8:9], exec
	s_or_b64 s[4:5], s[4:5], s[8:9]
	s_or_b64 exec, exec, s[6:7]
	s_and_saveexec_b64 s[6:7], s[4:5]
	s_cbranch_execnz .LBB13_1955
	s_branch .LBB13_1956
.LBB13_4005:
	s_movk_i32 s4, 0x80
	v_cmp_eq_u16_sdwa s[12:13], v3, s4 src0_sel:BYTE_0 src1_sel:DWORD
	s_mov_b64 s[4:5], -1
                                        ; implicit-def: $sgpr10
	s_and_saveexec_b64 s[8:9], s[12:13]
; %bb.4006:
	s_mov_b32 s10, 0x7f800001
	s_xor_b64 s[4:5], exec, -1
; %bb.4007:
	s_or_b64 exec, exec, s[8:9]
	s_and_b64 s[4:5], s[4:5], exec
	s_or_saveexec_b64 s[6:7], s[6:7]
	v_mov_b32_e32 v6, s10
	s_xor_b64 exec, exec, s[6:7]
	s_cbranch_execz .LBB13_1958
.LBB13_4008:
	v_mov_b32_e32 v6, 0
	v_cmp_ne_u16_sdwa s[8:9], v3, v6 src0_sel:BYTE_0 src1_sel:DWORD
	s_andn2_b64 s[4:5], s[4:5], exec
	s_and_b64 s[8:9], s[8:9], exec
	s_or_b64 s[4:5], s[4:5], s[8:9]
	s_or_b64 exec, exec, s[6:7]
	s_and_saveexec_b64 s[6:7], s[4:5]
	s_cbranch_execnz .LBB13_1959
	s_branch .LBB13_1960
.LBB13_4009:
	s_movk_i32 s4, 0x80
	v_cmp_eq_u16_sdwa s[12:13], v6, s4 src0_sel:BYTE_0 src1_sel:DWORD
	s_mov_b64 s[4:5], -1
                                        ; implicit-def: $sgpr10
	s_and_saveexec_b64 s[8:9], s[12:13]
; %bb.4010:
	s_mov_b32 s10, 0x7f800001
	s_xor_b64 s[4:5], exec, -1
; %bb.4011:
	s_or_b64 exec, exec, s[8:9]
	s_and_b64 s[4:5], s[4:5], exec
	s_or_saveexec_b64 s[6:7], s[6:7]
	v_mov_b32_e32 v2, s10
	s_xor_b64 exec, exec, s[6:7]
	s_cbranch_execz .LBB13_1962
.LBB13_4012:
	v_mov_b32_e32 v2, 0
	v_cmp_ne_u16_sdwa s[8:9], v6, v2 src0_sel:BYTE_0 src1_sel:DWORD
	s_andn2_b64 s[4:5], s[4:5], exec
	s_and_b64 s[8:9], s[8:9], exec
	s_or_b64 s[4:5], s[4:5], s[8:9]
	s_or_b64 exec, exec, s[6:7]
	s_and_saveexec_b64 s[6:7], s[4:5]
	s_cbranch_execnz .LBB13_1963
	s_branch .LBB13_1964
.LBB13_4013:
	s_movk_i32 s4, 0x80
	v_cmp_eq_u16_sdwa s[12:13], v6, s4 src0_sel:BYTE_0 src1_sel:DWORD
	s_mov_b64 s[4:5], -1
                                        ; implicit-def: $sgpr10
	s_and_saveexec_b64 s[8:9], s[12:13]
; %bb.4014:
	s_mov_b32 s10, 0x7f800001
	s_xor_b64 s[4:5], exec, -1
; %bb.4015:
	s_or_b64 exec, exec, s[8:9]
	s_and_b64 s[4:5], s[4:5], exec
	s_or_saveexec_b64 s[6:7], s[6:7]
	v_mov_b32_e32 v10, s10
	s_xor_b64 exec, exec, s[6:7]
	s_cbranch_execz .LBB13_1966
.LBB13_4016:
	v_mov_b32_e32 v10, 0
	v_cmp_ne_u16_sdwa s[8:9], v6, v10 src0_sel:BYTE_0 src1_sel:DWORD
	s_andn2_b64 s[4:5], s[4:5], exec
	s_and_b64 s[8:9], s[8:9], exec
	s_or_b64 s[4:5], s[4:5], s[8:9]
	s_or_b64 exec, exec, s[6:7]
	s_and_saveexec_b64 s[6:7], s[4:5]
	s_cbranch_execnz .LBB13_1967
	s_branch .LBB13_1968
.LBB13_4017:
	s_movk_i32 s4, 0x80
	v_cmp_eq_u16_e32 vcc, s4, v6
	s_mov_b64 s[4:5], -1
                                        ; implicit-def: $sgpr10
	s_and_saveexec_b64 s[8:9], vcc
; %bb.4018:
	s_mov_b32 s10, 0x7f800001
	s_xor_b64 s[4:5], exec, -1
; %bb.4019:
	s_or_b64 exec, exec, s[8:9]
	s_and_b64 s[4:5], s[4:5], exec
                                        ; implicit-def: $vgpr6
	s_or_saveexec_b64 s[6:7], s[6:7]
	v_mov_b32_e32 v2, s10
	s_xor_b64 exec, exec, s[6:7]
	s_cbranch_execz .LBB13_1970
.LBB13_4020:
	v_cmp_ne_u16_e32 vcc, 0, v6
	s_andn2_b64 s[4:5], s[4:5], exec
	s_and_b64 s[8:9], vcc, exec
	v_mov_b32_e32 v2, 0
	s_or_b64 s[4:5], s[4:5], s[8:9]
	s_or_b64 exec, exec, s[6:7]
	s_and_saveexec_b64 s[6:7], s[4:5]
	s_cbranch_execnz .LBB13_1971
	s_branch .LBB13_1972
.LBB13_4021:
	s_movk_i32 s4, 0x80
	v_cmp_eq_u16_e32 vcc, s4, v6
	s_mov_b64 s[4:5], -1
                                        ; implicit-def: $sgpr10
	s_and_saveexec_b64 s[8:9], vcc
; %bb.4022:
	s_mov_b32 s10, 0x7f800001
	s_xor_b64 s[4:5], exec, -1
; %bb.4023:
	s_or_b64 exec, exec, s[8:9]
	s_and_b64 s[4:5], s[4:5], exec
                                        ; implicit-def: $vgpr6
	s_or_saveexec_b64 s[6:7], s[6:7]
	v_mov_b32_e32 v10, s10
	s_xor_b64 exec, exec, s[6:7]
	s_cbranch_execz .LBB13_1974
.LBB13_4024:
	v_cmp_ne_u16_e32 vcc, 0, v6
	s_andn2_b64 s[4:5], s[4:5], exec
	s_and_b64 s[8:9], vcc, exec
	v_mov_b32_e32 v10, 0
	s_or_b64 s[4:5], s[4:5], s[8:9]
	s_or_b64 exec, exec, s[6:7]
	s_and_saveexec_b64 s[6:7], s[4:5]
	s_cbranch_execnz .LBB13_1975
	s_branch .LBB13_1976
.LBB13_4025:
	s_movk_i32 s4, 0x80
	v_cmp_eq_u16_sdwa s[12:13], v7, s4 src0_sel:BYTE_3 src1_sel:DWORD
	s_mov_b64 s[4:5], -1
                                        ; implicit-def: $sgpr10
	s_and_saveexec_b64 s[8:9], s[12:13]
; %bb.4026:
	s_mov_b32 s10, 0x7f800001
	s_xor_b64 s[4:5], exec, -1
; %bb.4027:
	s_or_b64 exec, exec, s[8:9]
	s_and_b64 s[4:5], s[4:5], exec
	s_or_saveexec_b64 s[6:7], s[6:7]
	v_mov_b32_e32 v2, s10
	s_xor_b64 exec, exec, s[6:7]
	s_cbranch_execz .LBB13_1978
.LBB13_4028:
	v_mov_b32_e32 v2, 0
	v_cmp_ne_u16_sdwa s[8:9], v7, v2 src0_sel:BYTE_3 src1_sel:DWORD
	s_andn2_b64 s[4:5], s[4:5], exec
	s_and_b64 s[8:9], s[8:9], exec
	s_or_b64 s[4:5], s[4:5], s[8:9]
	s_or_b64 exec, exec, s[6:7]
	s_and_saveexec_b64 s[6:7], s[4:5]
	s_cbranch_execnz .LBB13_1979
	s_branch .LBB13_1980
.LBB13_4029:
	s_movk_i32 s4, 0x80
	v_cmp_eq_u16_sdwa s[12:13], v3, s4 src0_sel:BYTE_3 src1_sel:DWORD
	s_mov_b64 s[4:5], -1
                                        ; implicit-def: $sgpr10
	s_and_saveexec_b64 s[8:9], s[12:13]
; %bb.4030:
	s_mov_b32 s10, 0x7f800001
	s_xor_b64 s[4:5], exec, -1
; %bb.4031:
	s_or_b64 exec, exec, s[8:9]
	s_and_b64 s[4:5], s[4:5], exec
	s_or_saveexec_b64 s[6:7], s[6:7]
	v_mov_b32_e32 v6, s10
	s_xor_b64 exec, exec, s[6:7]
	s_cbranch_execz .LBB13_1982
.LBB13_4032:
	v_mov_b32_e32 v6, 0
	v_cmp_ne_u16_sdwa s[8:9], v3, v6 src0_sel:BYTE_3 src1_sel:DWORD
	s_andn2_b64 s[4:5], s[4:5], exec
	s_and_b64 s[8:9], s[8:9], exec
	s_or_b64 s[4:5], s[4:5], s[8:9]
	s_or_b64 exec, exec, s[6:7]
	s_and_saveexec_b64 s[6:7], s[4:5]
	s_cbranch_execnz .LBB13_1983
	s_branch .LBB13_1984
.LBB13_4033:
	s_movk_i32 s4, 0x80
	v_cmp_eq_u16_sdwa s[12:13], v8, s4 src0_sel:BYTE_0 src1_sel:DWORD
	s_mov_b64 s[4:5], -1
                                        ; implicit-def: $sgpr10
	s_and_saveexec_b64 s[8:9], s[12:13]
; %bb.4034:
	s_mov_b32 s10, 0x7f800001
	s_xor_b64 s[4:5], exec, -1
; %bb.4035:
	s_or_b64 exec, exec, s[8:9]
	s_and_b64 s[4:5], s[4:5], exec
	s_or_saveexec_b64 s[6:7], s[6:7]
	v_mov_b32_e32 v2, s10
	s_xor_b64 exec, exec, s[6:7]
	s_cbranch_execz .LBB13_1986
.LBB13_4036:
	v_mov_b32_e32 v2, 0
	v_cmp_ne_u16_sdwa s[8:9], v8, v2 src0_sel:BYTE_0 src1_sel:DWORD
	s_andn2_b64 s[4:5], s[4:5], exec
	s_and_b64 s[8:9], s[8:9], exec
	s_or_b64 s[4:5], s[4:5], s[8:9]
	s_or_b64 exec, exec, s[6:7]
	s_and_saveexec_b64 s[6:7], s[4:5]
	s_cbranch_execnz .LBB13_1987
	s_branch .LBB13_1988
.LBB13_4037:
	s_movk_i32 s4, 0x80
	v_cmp_eq_u16_sdwa s[12:13], v4, s4 src0_sel:BYTE_0 src1_sel:DWORD
	s_mov_b64 s[4:5], -1
                                        ; implicit-def: $sgpr10
	s_and_saveexec_b64 s[8:9], s[12:13]
; %bb.4038:
	s_mov_b32 s10, 0x7f800001
	s_xor_b64 s[4:5], exec, -1
; %bb.4039:
	s_or_b64 exec, exec, s[8:9]
	s_and_b64 s[4:5], s[4:5], exec
	s_or_saveexec_b64 s[6:7], s[6:7]
	v_mov_b32_e32 v3, s10
	s_xor_b64 exec, exec, s[6:7]
	s_cbranch_execz .LBB13_1990
.LBB13_4040:
	v_mov_b32_e32 v3, 0
	v_cmp_ne_u16_sdwa s[8:9], v4, v3 src0_sel:BYTE_0 src1_sel:DWORD
	s_andn2_b64 s[4:5], s[4:5], exec
	s_and_b64 s[8:9], s[8:9], exec
	s_or_b64 s[4:5], s[4:5], s[8:9]
	s_or_b64 exec, exec, s[6:7]
	s_and_saveexec_b64 s[6:7], s[4:5]
	s_cbranch_execnz .LBB13_1991
	s_branch .LBB13_1992
.LBB13_4041:
	s_movk_i32 s4, 0x80
	v_cmp_eq_u16_sdwa s[12:13], v3, s4 src0_sel:BYTE_0 src1_sel:DWORD
	s_mov_b64 s[4:5], -1
                                        ; implicit-def: $sgpr10
	s_and_saveexec_b64 s[8:9], s[12:13]
; %bb.4042:
	s_mov_b32 s10, 0x7f800001
	s_xor_b64 s[4:5], exec, -1
; %bb.4043:
	s_or_b64 exec, exec, s[8:9]
	s_and_b64 s[4:5], s[4:5], exec
	s_or_saveexec_b64 s[6:7], s[6:7]
	v_mov_b32_e32 v2, s10
	s_xor_b64 exec, exec, s[6:7]
	s_cbranch_execz .LBB13_1994
.LBB13_4044:
	v_mov_b32_e32 v2, 0
	v_cmp_ne_u16_sdwa s[8:9], v3, v2 src0_sel:BYTE_0 src1_sel:DWORD
	s_andn2_b64 s[4:5], s[4:5], exec
	s_and_b64 s[8:9], s[8:9], exec
	s_or_b64 s[4:5], s[4:5], s[8:9]
	s_or_b64 exec, exec, s[6:7]
	s_and_saveexec_b64 s[6:7], s[4:5]
	s_cbranch_execnz .LBB13_1995
	s_branch .LBB13_1996
.LBB13_4045:
	s_movk_i32 s4, 0x80
	v_cmp_eq_u16_sdwa s[12:13], v3, s4 src0_sel:BYTE_0 src1_sel:DWORD
	s_mov_b64 s[4:5], -1
                                        ; implicit-def: $sgpr10
	s_and_saveexec_b64 s[8:9], s[12:13]
; %bb.4046:
	s_mov_b32 s10, 0x7f800001
	s_xor_b64 s[4:5], exec, -1
; %bb.4047:
	s_or_b64 exec, exec, s[8:9]
	s_and_b64 s[4:5], s[4:5], exec
	s_or_saveexec_b64 s[6:7], s[6:7]
	v_mov_b32_e32 v6, s10
	s_xor_b64 exec, exec, s[6:7]
	s_cbranch_execz .LBB13_1998
.LBB13_4048:
	v_mov_b32_e32 v6, 0
	v_cmp_ne_u16_sdwa s[8:9], v3, v6 src0_sel:BYTE_0 src1_sel:DWORD
	s_andn2_b64 s[4:5], s[4:5], exec
	s_and_b64 s[8:9], s[8:9], exec
	s_or_b64 s[4:5], s[4:5], s[8:9]
	s_or_b64 exec, exec, s[6:7]
	s_and_saveexec_b64 s[6:7], s[4:5]
	s_cbranch_execnz .LBB13_1999
	s_branch .LBB13_2000
.LBB13_4049:
	s_movk_i32 s4, 0x80
	v_cmp_eq_u16_e32 vcc, s4, v3
	s_mov_b64 s[4:5], -1
                                        ; implicit-def: $sgpr10
	s_and_saveexec_b64 s[8:9], vcc
; %bb.4050:
	s_mov_b32 s10, 0x7f800001
	s_xor_b64 s[4:5], exec, -1
; %bb.4051:
	s_or_b64 exec, exec, s[8:9]
	s_and_b64 s[4:5], s[4:5], exec
                                        ; implicit-def: $vgpr3
	s_or_saveexec_b64 s[6:7], s[6:7]
	v_mov_b32_e32 v2, s10
	s_xor_b64 exec, exec, s[6:7]
	s_cbranch_execz .LBB13_2002
.LBB13_4052:
	v_cmp_ne_u16_e32 vcc, 0, v3
	s_andn2_b64 s[4:5], s[4:5], exec
	s_and_b64 s[8:9], vcc, exec
	v_mov_b32_e32 v2, 0
	s_or_b64 s[4:5], s[4:5], s[8:9]
	s_or_b64 exec, exec, s[6:7]
	s_and_saveexec_b64 s[6:7], s[4:5]
	s_cbranch_execnz .LBB13_2003
	s_branch .LBB13_2004
.LBB13_4053:
	s_movk_i32 s4, 0x80
	v_cmp_eq_u16_e32 vcc, s4, v3
	s_mov_b64 s[4:5], -1
                                        ; implicit-def: $sgpr10
	s_and_saveexec_b64 s[8:9], vcc
; %bb.4054:
	s_mov_b32 s10, 0x7f800001
	s_xor_b64 s[4:5], exec, -1
; %bb.4055:
	s_or_b64 exec, exec, s[8:9]
	s_and_b64 s[4:5], s[4:5], exec
                                        ; implicit-def: $vgpr3
	s_or_saveexec_b64 s[6:7], s[6:7]
	v_mov_b32_e32 v6, s10
	s_xor_b64 exec, exec, s[6:7]
	s_cbranch_execz .LBB13_2006
.LBB13_4056:
	v_cmp_ne_u16_e32 vcc, 0, v3
	s_andn2_b64 s[4:5], s[4:5], exec
	s_and_b64 s[8:9], vcc, exec
	v_mov_b32_e32 v6, 0
	s_or_b64 s[4:5], s[4:5], s[8:9]
	s_or_b64 exec, exec, s[6:7]
	s_and_saveexec_b64 s[6:7], s[4:5]
	s_cbranch_execnz .LBB13_2007
	s_branch .LBB13_2008
.LBB13_4057:
	s_movk_i32 s4, 0x80
	v_cmp_eq_u16_sdwa s[12:13], v8, s4 src0_sel:BYTE_3 src1_sel:DWORD
	s_mov_b64 s[4:5], -1
                                        ; implicit-def: $sgpr10
	s_and_saveexec_b64 s[8:9], s[12:13]
; %bb.4058:
	s_mov_b32 s10, 0x7f800001
	s_xor_b64 s[4:5], exec, -1
; %bb.4059:
	s_or_b64 exec, exec, s[8:9]
	s_and_b64 s[4:5], s[4:5], exec
	s_or_saveexec_b64 s[6:7], s[6:7]
	v_mov_b32_e32 v2, s10
	s_xor_b64 exec, exec, s[6:7]
	s_cbranch_execz .LBB13_2010
.LBB13_4060:
	v_mov_b32_e32 v2, 0
	v_cmp_ne_u16_sdwa s[8:9], v8, v2 src0_sel:BYTE_3 src1_sel:DWORD
	s_andn2_b64 s[4:5], s[4:5], exec
	s_and_b64 s[8:9], s[8:9], exec
	s_or_b64 s[4:5], s[4:5], s[8:9]
	s_or_b64 exec, exec, s[6:7]
	s_and_saveexec_b64 s[6:7], s[4:5]
	s_cbranch_execnz .LBB13_2011
	s_branch .LBB13_2012
.LBB13_4061:
	s_movk_i32 s4, 0x80
	v_cmp_eq_u16_sdwa s[12:13], v4, s4 src0_sel:BYTE_3 src1_sel:DWORD
	s_mov_b64 s[4:5], -1
                                        ; implicit-def: $sgpr10
	s_and_saveexec_b64 s[8:9], s[12:13]
; %bb.4062:
	s_mov_b32 s10, 0x7f800001
	s_xor_b64 s[4:5], exec, -1
; %bb.4063:
	s_or_b64 exec, exec, s[8:9]
	s_and_b64 s[4:5], s[4:5], exec
	s_or_saveexec_b64 s[6:7], s[6:7]
	v_mov_b32_e32 v3, s10
	s_xor_b64 exec, exec, s[6:7]
	s_cbranch_execz .LBB13_2014
.LBB13_4064:
	v_mov_b32_e32 v3, 0
	v_cmp_ne_u16_sdwa s[8:9], v4, v3 src0_sel:BYTE_3 src1_sel:DWORD
	s_andn2_b64 s[4:5], s[4:5], exec
	s_and_b64 s[8:9], s[8:9], exec
	s_or_b64 s[4:5], s[4:5], s[8:9]
	s_or_b64 exec, exec, s[6:7]
	s_and_saveexec_b64 s[6:7], s[4:5]
	s_cbranch_execnz .LBB13_2015
	s_branch .LBB13_2016
.LBB13_4065:
	s_movk_i32 s4, 0x80
	v_cmp_eq_u16_sdwa s[12:13], v9, s4 src0_sel:BYTE_0 src1_sel:DWORD
	s_mov_b64 s[4:5], -1
                                        ; implicit-def: $sgpr10
	s_and_saveexec_b64 s[8:9], s[12:13]
; %bb.4066:
	s_mov_b32 s10, 0x7f800001
	s_xor_b64 s[4:5], exec, -1
; %bb.4067:
	s_or_b64 exec, exec, s[8:9]
	s_and_b64 s[4:5], s[4:5], exec
	s_or_saveexec_b64 s[6:7], s[6:7]
	v_mov_b32_e32 v2, s10
	s_xor_b64 exec, exec, s[6:7]
	s_cbranch_execz .LBB13_2018
.LBB13_4068:
	v_mov_b32_e32 v2, 0
	v_cmp_ne_u16_sdwa s[8:9], v9, v2 src0_sel:BYTE_0 src1_sel:DWORD
	s_andn2_b64 s[4:5], s[4:5], exec
	s_and_b64 s[8:9], s[8:9], exec
	s_or_b64 s[4:5], s[4:5], s[8:9]
	s_or_b64 exec, exec, s[6:7]
	s_and_saveexec_b64 s[6:7], s[4:5]
	s_cbranch_execnz .LBB13_2019
	s_branch .LBB13_2020
.LBB13_4069:
	s_movk_i32 s4, 0x80
	v_cmp_eq_u16_sdwa s[12:13], v5, s4 src0_sel:BYTE_0 src1_sel:DWORD
	s_mov_b64 s[4:5], -1
                                        ; implicit-def: $sgpr10
	s_and_saveexec_b64 s[8:9], s[12:13]
; %bb.4070:
	s_mov_b32 s10, 0x7f800001
	s_xor_b64 s[4:5], exec, -1
; %bb.4071:
	s_or_b64 exec, exec, s[8:9]
	s_and_b64 s[4:5], s[4:5], exec
	s_or_saveexec_b64 s[6:7], s[6:7]
	v_mov_b32_e32 v3, s10
	s_xor_b64 exec, exec, s[6:7]
	s_cbranch_execz .LBB13_2022
.LBB13_4072:
	v_mov_b32_e32 v3, 0
	v_cmp_ne_u16_sdwa s[8:9], v5, v3 src0_sel:BYTE_0 src1_sel:DWORD
	s_andn2_b64 s[4:5], s[4:5], exec
	s_and_b64 s[8:9], s[8:9], exec
	s_or_b64 s[4:5], s[4:5], s[8:9]
	s_or_b64 exec, exec, s[6:7]
	s_and_saveexec_b64 s[6:7], s[4:5]
	s_cbranch_execnz .LBB13_2023
	s_branch .LBB13_2024
.LBB13_4073:
	s_movk_i32 s4, 0x80
	v_cmp_eq_u16_sdwa s[12:13], v3, s4 src0_sel:BYTE_0 src1_sel:DWORD
	s_mov_b64 s[4:5], -1
                                        ; implicit-def: $sgpr10
	s_and_saveexec_b64 s[8:9], s[12:13]
; %bb.4074:
	s_mov_b32 s10, 0x7f800001
	s_xor_b64 s[4:5], exec, -1
; %bb.4075:
	s_or_b64 exec, exec, s[8:9]
	s_and_b64 s[4:5], s[4:5], exec
	s_or_saveexec_b64 s[6:7], s[6:7]
	v_mov_b32_e32 v2, s10
	s_xor_b64 exec, exec, s[6:7]
	s_cbranch_execz .LBB13_2026
.LBB13_4076:
	v_mov_b32_e32 v2, 0
	v_cmp_ne_u16_sdwa s[8:9], v3, v2 src0_sel:BYTE_0 src1_sel:DWORD
	s_andn2_b64 s[4:5], s[4:5], exec
	s_and_b64 s[8:9], s[8:9], exec
	s_or_b64 s[4:5], s[4:5], s[8:9]
	s_or_b64 exec, exec, s[6:7]
	s_and_saveexec_b64 s[6:7], s[4:5]
	s_cbranch_execnz .LBB13_2027
	s_branch .LBB13_2028
.LBB13_4077:
	s_movk_i32 s4, 0x80
	v_cmp_eq_u16_sdwa s[12:13], v3, s4 src0_sel:BYTE_0 src1_sel:DWORD
	s_mov_b64 s[4:5], -1
                                        ; implicit-def: $sgpr10
	s_and_saveexec_b64 s[8:9], s[12:13]
; %bb.4078:
	s_mov_b32 s10, 0x7f800001
	s_xor_b64 s[4:5], exec, -1
; %bb.4079:
	s_or_b64 exec, exec, s[8:9]
	s_and_b64 s[4:5], s[4:5], exec
	s_or_saveexec_b64 s[6:7], s[6:7]
	v_mov_b32_e32 v4, s10
	s_xor_b64 exec, exec, s[6:7]
	s_cbranch_execz .LBB13_2030
.LBB13_4080:
	v_mov_b32_e32 v4, 0
	v_cmp_ne_u16_sdwa s[8:9], v3, v4 src0_sel:BYTE_0 src1_sel:DWORD
	s_andn2_b64 s[4:5], s[4:5], exec
	s_and_b64 s[8:9], s[8:9], exec
	s_or_b64 s[4:5], s[4:5], s[8:9]
	s_or_b64 exec, exec, s[6:7]
	s_and_saveexec_b64 s[6:7], s[4:5]
	s_cbranch_execnz .LBB13_2031
	s_branch .LBB13_2032
.LBB13_4081:
	s_movk_i32 s4, 0x80
	v_cmp_eq_u16_e32 vcc, s4, v3
	s_mov_b64 s[4:5], -1
                                        ; implicit-def: $sgpr10
	s_and_saveexec_b64 s[8:9], vcc
; %bb.4082:
	s_mov_b32 s10, 0x7f800001
	s_xor_b64 s[4:5], exec, -1
; %bb.4083:
	s_or_b64 exec, exec, s[8:9]
	s_and_b64 s[4:5], s[4:5], exec
                                        ; implicit-def: $vgpr3
	s_or_saveexec_b64 s[6:7], s[6:7]
	v_mov_b32_e32 v2, s10
	s_xor_b64 exec, exec, s[6:7]
	s_cbranch_execz .LBB13_2034
.LBB13_4084:
	v_cmp_ne_u16_e32 vcc, 0, v3
	s_andn2_b64 s[4:5], s[4:5], exec
	s_and_b64 s[8:9], vcc, exec
	v_mov_b32_e32 v2, 0
	s_or_b64 s[4:5], s[4:5], s[8:9]
	s_or_b64 exec, exec, s[6:7]
	s_and_saveexec_b64 s[6:7], s[4:5]
	s_cbranch_execnz .LBB13_2035
	s_branch .LBB13_2036
.LBB13_4085:
	s_movk_i32 s4, 0x80
	v_cmp_eq_u16_e32 vcc, s4, v3
	s_mov_b64 s[4:5], -1
                                        ; implicit-def: $sgpr10
	s_and_saveexec_b64 s[8:9], vcc
; %bb.4086:
	s_mov_b32 s10, 0x7f800001
	s_xor_b64 s[4:5], exec, -1
; %bb.4087:
	s_or_b64 exec, exec, s[8:9]
	s_and_b64 s[4:5], s[4:5], exec
                                        ; implicit-def: $vgpr3
	s_or_saveexec_b64 s[6:7], s[6:7]
	v_mov_b32_e32 v4, s10
	s_xor_b64 exec, exec, s[6:7]
	s_cbranch_execz .LBB13_2038
.LBB13_4088:
	v_cmp_ne_u16_e32 vcc, 0, v3
	s_andn2_b64 s[4:5], s[4:5], exec
	s_and_b64 s[8:9], vcc, exec
	v_mov_b32_e32 v4, 0
	s_or_b64 s[4:5], s[4:5], s[8:9]
	s_or_b64 exec, exec, s[6:7]
	s_and_saveexec_b64 s[6:7], s[4:5]
	s_cbranch_execnz .LBB13_2039
	s_branch .LBB13_2040
.LBB13_4089:
	s_movk_i32 s4, 0x80
	v_cmp_eq_u16_sdwa s[12:13], v9, s4 src0_sel:BYTE_3 src1_sel:DWORD
	s_mov_b64 s[4:5], -1
                                        ; implicit-def: $sgpr10
	s_and_saveexec_b64 s[8:9], s[12:13]
; %bb.4090:
	s_mov_b32 s10, 0x7f800001
	s_xor_b64 s[4:5], exec, -1
; %bb.4091:
	s_or_b64 exec, exec, s[8:9]
	s_and_b64 s[4:5], s[4:5], exec
	s_or_saveexec_b64 s[6:7], s[6:7]
	v_mov_b32_e32 v2, s10
	s_xor_b64 exec, exec, s[6:7]
	s_cbranch_execz .LBB13_2042
.LBB13_4092:
	v_mov_b32_e32 v2, 0
	v_cmp_ne_u16_sdwa s[8:9], v9, v2 src0_sel:BYTE_3 src1_sel:DWORD
	s_andn2_b64 s[4:5], s[4:5], exec
	s_and_b64 s[8:9], s[8:9], exec
	s_or_b64 s[4:5], s[4:5], s[8:9]
	s_or_b64 exec, exec, s[6:7]
	s_and_saveexec_b64 s[6:7], s[4:5]
	s_cbranch_execnz .LBB13_2043
	s_branch .LBB13_2044
.LBB13_4093:
	s_movk_i32 s4, 0x80
	v_cmp_eq_u16_sdwa s[12:13], v5, s4 src0_sel:BYTE_3 src1_sel:DWORD
	s_mov_b64 s[4:5], -1
                                        ; implicit-def: $sgpr10
	s_and_saveexec_b64 s[8:9], s[12:13]
; %bb.4094:
	s_mov_b32 s10, 0x7f800001
	s_xor_b64 s[4:5], exec, -1
; %bb.4095:
	s_or_b64 exec, exec, s[8:9]
	s_and_b64 s[4:5], s[4:5], exec
	s_or_saveexec_b64 s[6:7], s[6:7]
	v_mov_b32_e32 v3, s10
	s_xor_b64 exec, exec, s[6:7]
	s_cbranch_execz .LBB13_2046
.LBB13_4096:
	v_mov_b32_e32 v3, 0
	v_cmp_ne_u16_sdwa s[8:9], v5, v3 src0_sel:BYTE_3 src1_sel:DWORD
	s_andn2_b64 s[4:5], s[4:5], exec
	s_and_b64 s[8:9], s[8:9], exec
	s_or_b64 s[4:5], s[4:5], s[8:9]
	s_or_b64 exec, exec, s[6:7]
	s_and_saveexec_b64 s[6:7], s[4:5]
	s_cbranch_execnz .LBB13_2047
	s_branch .LBB13_2048
.Lfunc_end13:
	.size	_ZNK2ck6detail7applierIiJLi0ELi1ELi2ELi3ELi4ELi5ELi6ELi7ELi8ELi9ELi10ELi11ELi12ELi13ELi14ELi15EEEclIZNKS_11static_fordINS_8SequenceIJLi4ELi4EEEENS5_IJLi0ELi1EEEEEclIZZZZZNKS_31BlockwiseGemmXdlops_pipeline_v2ILNS_26BlockGemmPipelineSchedulerE1ELi256ENS_9f8_fnuz_tENS_7pk_i4_tESC_fNS_16TensorDescriptorINS_5TupleIJNS_5EmbedINSF_IJNS_17integral_constantIiLi8EEENSH_IiLi128EEENSH_IiLi16EEEEEENSF_IJSK_SJ_NSH_IiLi1EEEEEELb0EEENS_3XorINSF_IJSJ_SI_EEELb1EEENS_11PassThroughISK_EENS_7UnMergeINSF_IJSI_SM_EEELb0EEENSS_ISJ_EEST_NSS_ISI_EENS_21Merge_v3_division_modINSF_IJSJ_SM_EEEEEST_EEENSF_IJNS5_IJLi0EEEENS5_IJLi2ELi1EEEENS5_IJLi3EEEENS5_IJLi5EEEENS5_IJLi4EEEENS5_IJLi6EEEENS5_IJLi7EEEENS5_IJLi9ELi8EEEENS5_IJLi10EEEEEEENSF_IJNS5_IJLi1ELi2ELi3EEEENS5_IJLi4ELi5EEEES18_NS5_IJLi7ELi8EEEENS5_IJLi9EEEES1B_NS5_IJLi11EEEENS5_IJLi12EEEENS5_IJLi13EEEEEEENS5_IJLi11ELi12ELi13EEEENSH_IlLl16384EEEEENSE_INSF_IJNSG_INSF_IJSK_NSH_IiLi64EEESK_EEENSF_IJSK_NSH_IiLi256EEESM_EEELb0EEENSP_INSF_IJS1O_SK_EEELb1EEEST_NSU_INSF_IJSI_NSH_IiLi2EEEEEELb0EEENSS_IS1O_EEST_SY_NSZ_INSF_IJS1O_S1V_EEEEEST_EEES1C_S1K_S1L_S1M_EENSE_INSF_IJSO_SR_ST_SW_SX_ST_SY_S11_ST_NSZ_INSF_IJSI_SK_EEEEENSU_INSF_IJNSH_IiLi4EEES1V_SK_EEELb0EEEEEENSF_IJS13_S14_S15_S16_S17_S18_S19_S1A_S1B_NS5_IJLi11ELi13EEEES1I_EEENSF_IJS1D_S1E_S18_S1F_S1G_S1B_S1H_S1I_S1J_NS5_IJLi14EEEENS5_IJLi15ELi16ELi17EEEEEEENS5_IJLi15ELi16ELi17ELi14EEEES1M_EENSE_INSF_IJS1S_S1U_ST_S1X_S1Y_ST_SY_S20_ST_S24_S27_EEES2A_S2D_S2E_S1M_EELi16ELi16ELi128ELi128ELi128ELi16ELi16ELi4ELi4ELi16ELb0EE3RunILb1ELNS_10TailNumberE10ENSE_INSF_IJNSG_INSF_IJiiEEENSF_IJiSM_EEELb0EEENSU_IS2L_Lb0EEENSS_IiEEEEENSF_IJS13_NS5_IJLi2EEEENS5_IJLi1EEEEEEENSF_IJNS5_IJLi1ELi2EEEENS5_IJLi3ELi4EEEES16_EEENS5_IJLi3ELi5ELi4EEEElEES1N_NS_35ThreadGroupTensorSliceTransfer_v4r1INS_15ThisThreadBlockILi256EEENS_16tensor_operation12element_wise11PassThroughES34_LNS_25InMemoryDataOperationEnumE0ENS5_IJLi8ELi128ELi16EEEENS5_IJLi8ELi32ELi1EEEENS5_IJLi1ELi0ELi2EEEESC_SC_RKS2Y_KS1N_S38_NS5_IJLi0ELi1ELi2EEEELi2ELi2ELi16ELi16ELi1ELi1ELb0ELb1ELi2EiEENS_13DynamicBufferILNS_16AddressSpaceEnumE1EKSC_lLb1ELNS_22AmdBufferCoherenceEnumE0EiEENS3E_ILS3F_2ESC_S1M_Lb1ELS3H_0EiEENSF_IJiiiEEENSE_INSF_IJNSU_INSF_IJiiiiEEELb0EEENS_23Merge_v2_magic_divisionIS2L_EENSS_INSF_IJiEEEEES2P_EEENSF_IJS13_NS5_IJLi1ELi3EEEES2R_S17_EEENSF_IJNS5_IJLi1ELi2ELi3ELi4EEEES16_S18_S19_EEENS5_IJLi5ELi6ELi7EEEElEES22_NS2Z_IS31_S34_S34_LS35_0ES36_NS5_IJLi4ELi64ELi1EEEES38_SD_SD_RKS3X_KS22_S38_S3C_Li2ELi2ELi16ELi16ELi1ELi1ELb0ELb1ELi2EiEENS3E_ILS3F_1EKSD_lLb1ELS3H_0EiEENS3E_ILS3F_2ESD_S1M_Lb1ELS3H_0EiEES3K_NS_25StaticBufferTupleOfVectorILS3F_4EfLi16ELi4ELb1ELb0EEEEEvRKT1_RKT2_RT3_RKT4_RT5_RKT6_RKT7_RKT8_RT9_RKT10_RT11_RKT12_RT13_iENKUlT_E1_clIS1V_EEDaS56_ENKUlS56_E_clISM_EEDaS56_ENKUlS56_E_clINSH_IiLi0EEEEEDaS56_ENKUlS56_E1_clISK_EEDaS56_EUlS56_E_EEvS56_EUlS56_E_EEvS56_, .Lfunc_end13-_ZNK2ck6detail7applierIiJLi0ELi1ELi2ELi3ELi4ELi5ELi6ELi7ELi8ELi9ELi10ELi11ELi12ELi13ELi14ELi15EEEclIZNKS_11static_fordINS_8SequenceIJLi4ELi4EEEENS5_IJLi0ELi1EEEEEclIZZZZZNKS_31BlockwiseGemmXdlops_pipeline_v2ILNS_26BlockGemmPipelineSchedulerE1ELi256ENS_9f8_fnuz_tENS_7pk_i4_tESC_fNS_16TensorDescriptorINS_5TupleIJNS_5EmbedINSF_IJNS_17integral_constantIiLi8EEENSH_IiLi128EEENSH_IiLi16EEEEEENSF_IJSK_SJ_NSH_IiLi1EEEEEELb0EEENS_3XorINSF_IJSJ_SI_EEELb1EEENS_11PassThroughISK_EENS_7UnMergeINSF_IJSI_SM_EEELb0EEENSS_ISJ_EEST_NSS_ISI_EENS_21Merge_v3_division_modINSF_IJSJ_SM_EEEEEST_EEENSF_IJNS5_IJLi0EEEENS5_IJLi2ELi1EEEENS5_IJLi3EEEENS5_IJLi5EEEENS5_IJLi4EEEENS5_IJLi6EEEENS5_IJLi7EEEENS5_IJLi9ELi8EEEENS5_IJLi10EEEEEEENSF_IJNS5_IJLi1ELi2ELi3EEEENS5_IJLi4ELi5EEEES18_NS5_IJLi7ELi8EEEENS5_IJLi9EEEES1B_NS5_IJLi11EEEENS5_IJLi12EEEENS5_IJLi13EEEEEEENS5_IJLi11ELi12ELi13EEEENSH_IlLl16384EEEEENSE_INSF_IJNSG_INSF_IJSK_NSH_IiLi64EEESK_EEENSF_IJSK_NSH_IiLi256EEESM_EEELb0EEENSP_INSF_IJS1O_SK_EEELb1EEEST_NSU_INSF_IJSI_NSH_IiLi2EEEEEELb0EEENSS_IS1O_EEST_SY_NSZ_INSF_IJS1O_S1V_EEEEEST_EEES1C_S1K_S1L_S1M_EENSE_INSF_IJSO_SR_ST_SW_SX_ST_SY_S11_ST_NSZ_INSF_IJSI_SK_EEEEENSU_INSF_IJNSH_IiLi4EEES1V_SK_EEELb0EEEEEENSF_IJS13_S14_S15_S16_S17_S18_S19_S1A_S1B_NS5_IJLi11ELi13EEEES1I_EEENSF_IJS1D_S1E_S18_S1F_S1G_S1B_S1H_S1I_S1J_NS5_IJLi14EEEENS5_IJLi15ELi16ELi17EEEEEEENS5_IJLi15ELi16ELi17ELi14EEEES1M_EENSE_INSF_IJS1S_S1U_ST_S1X_S1Y_ST_SY_S20_ST_S24_S27_EEES2A_S2D_S2E_S1M_EELi16ELi16ELi128ELi128ELi128ELi16ELi16ELi4ELi4ELi16ELb0EE3RunILb1ELNS_10TailNumberE10ENSE_INSF_IJNSG_INSF_IJiiEEENSF_IJiSM_EEELb0EEENSU_IS2L_Lb0EEENSS_IiEEEEENSF_IJS13_NS5_IJLi2EEEENS5_IJLi1EEEEEEENSF_IJNS5_IJLi1ELi2EEEENS5_IJLi3ELi4EEEES16_EEENS5_IJLi3ELi5ELi4EEEElEES1N_NS_35ThreadGroupTensorSliceTransfer_v4r1INS_15ThisThreadBlockILi256EEENS_16tensor_operation12element_wise11PassThroughES34_LNS_25InMemoryDataOperationEnumE0ENS5_IJLi8ELi128ELi16EEEENS5_IJLi8ELi32ELi1EEEENS5_IJLi1ELi0ELi2EEEESC_SC_RKS2Y_KS1N_S38_NS5_IJLi0ELi1ELi2EEEELi2ELi2ELi16ELi16ELi1ELi1ELb0ELb1ELi2EiEENS_13DynamicBufferILNS_16AddressSpaceEnumE1EKSC_lLb1ELNS_22AmdBufferCoherenceEnumE0EiEENS3E_ILS3F_2ESC_S1M_Lb1ELS3H_0EiEENSF_IJiiiEEENSE_INSF_IJNSU_INSF_IJiiiiEEELb0EEENS_23Merge_v2_magic_divisionIS2L_EENSS_INSF_IJiEEEEES2P_EEENSF_IJS13_NS5_IJLi1ELi3EEEES2R_S17_EEENSF_IJNS5_IJLi1ELi2ELi3ELi4EEEES16_S18_S19_EEENS5_IJLi5ELi6ELi7EEEElEES22_NS2Z_IS31_S34_S34_LS35_0ES36_NS5_IJLi4ELi64ELi1EEEES38_SD_SD_RKS3X_KS22_S38_S3C_Li2ELi2ELi16ELi16ELi1ELi1ELb0ELb1ELi2EiEENS3E_ILS3F_1EKSD_lLb1ELS3H_0EiEENS3E_ILS3F_2ESD_S1M_Lb1ELS3H_0EiEES3K_NS_25StaticBufferTupleOfVectorILS3F_4EfLi16ELi4ELb1ELb0EEEEEvRKT1_RKT2_RT3_RKT4_RT5_RKT6_RKT7_RKT8_RT9_RKT10_RT11_RKT12_RT13_iENKUlT_E1_clIS1V_EEDaS56_ENKUlS56_E_clISM_EEDaS56_ENKUlS56_E_clINSH_IiLi0EEEEEDaS56_ENKUlS56_E1_clISK_EEDaS56_EUlS56_E_EEvS56_EUlS56_E_EEvS56_
                                        ; -- End function
	.section	.AMDGPU.csdata,"",@progbits
; Function info:
; codeLenInByte = 134352
; NumSgprs: 36
; NumVgprs: 18
; NumAgprs: 4
; TotalNumVgprs: 24
; ScratchSize: 0
; MemoryBound: 1
	.text
	.p2align	2                               ; -- Begin function _ZNK2ck6detail7applierIiJLi0ELi1ELi2ELi3ELi4ELi5ELi6ELi7ELi8ELi9ELi10ELi11ELi12ELi13ELi14ELi15EEEclIZNKS_11static_fordINS_8SequenceIJLi4ELi4EEEENS5_IJLi0ELi1EEEEEclIZZZZNKS_31BlockwiseGemmXdlops_pipeline_v2ILNS_26BlockGemmPipelineSchedulerE1ELi256ENS_9f8_fnuz_tENS_7pk_i4_tESC_fNS_16TensorDescriptorINS_5TupleIJNS_5EmbedINSF_IJNS_17integral_constantIiLi8EEENSH_IiLi128EEENSH_IiLi16EEEEEENSF_IJSK_SJ_NSH_IiLi1EEEEEELb0EEENS_3XorINSF_IJSJ_SI_EEELb1EEENS_11PassThroughISK_EENS_7UnMergeINSF_IJSI_SM_EEELb0EEENSS_ISJ_EEST_NSS_ISI_EENS_21Merge_v3_division_modINSF_IJSJ_SM_EEEEEST_EEENSF_IJNS5_IJLi0EEEENS5_IJLi2ELi1EEEENS5_IJLi3EEEENS5_IJLi5EEEENS5_IJLi4EEEENS5_IJLi6EEEENS5_IJLi7EEEENS5_IJLi9ELi8EEEENS5_IJLi10EEEEEEENSF_IJNS5_IJLi1ELi2ELi3EEEENS5_IJLi4ELi5EEEES18_NS5_IJLi7ELi8EEEENS5_IJLi9EEEES1B_NS5_IJLi11EEEENS5_IJLi12EEEENS5_IJLi13EEEEEEENS5_IJLi11ELi12ELi13EEEENSH_IlLl16384EEEEENSE_INSF_IJNSG_INSF_IJSK_NSH_IiLi64EEESK_EEENSF_IJSK_NSH_IiLi256EEESM_EEELb0EEENSP_INSF_IJS1O_SK_EEELb1EEEST_NSU_INSF_IJSI_NSH_IiLi2EEEEEELb0EEENSS_IS1O_EEST_SY_NSZ_INSF_IJS1O_S1V_EEEEEST_EEES1C_S1K_S1L_S1M_EENSE_INSF_IJSO_SR_ST_SW_SX_ST_SY_S11_ST_NSZ_INSF_IJSI_SK_EEEEENSU_INSF_IJNSH_IiLi4EEES1V_SK_EEELb0EEEEEENSF_IJS13_S14_S15_S16_S17_S18_S19_S1A_S1B_NS5_IJLi11ELi13EEEES1I_EEENSF_IJS1D_S1E_S18_S1F_S1G_S1B_S1H_S1I_S1J_NS5_IJLi14EEEENS5_IJLi15ELi16ELi17EEEEEEENS5_IJLi15ELi16ELi17ELi14EEEES1M_EENSE_INSF_IJS1S_S1U_ST_S1X_S1Y_ST_SY_S20_ST_S24_S27_EEES2A_S2D_S2E_S1M_EELi16ELi16ELi128ELi128ELi128ELi16ELi16ELi4ELi4ELi16ELb0EE3RunILb1ELNS_10TailNumberE10ENSE_INSF_IJNSG_INSF_IJiiEEENSF_IJiSM_EEELb0EEENSU_IS2L_Lb0EEENSS_IiEEEEENSF_IJS13_NS5_IJLi2EEEENS5_IJLi1EEEEEEENSF_IJNS5_IJLi1ELi2EEEENS5_IJLi3ELi4EEEES16_EEENS5_IJLi3ELi5ELi4EEEElEES1N_NS_35ThreadGroupTensorSliceTransfer_v4r1INS_15ThisThreadBlockILi256EEENS_16tensor_operation12element_wise11PassThroughES34_LNS_25InMemoryDataOperationEnumE0ENS5_IJLi8ELi128ELi16EEEENS5_IJLi8ELi32ELi1EEEENS5_IJLi1ELi0ELi2EEEESC_SC_RKS2Y_KS1N_S38_NS5_IJLi0ELi1ELi2EEEELi2ELi2ELi16ELi16ELi1ELi1ELb0ELb1ELi2EiEENS_13DynamicBufferILNS_16AddressSpaceEnumE1EKSC_lLb1ELNS_22AmdBufferCoherenceEnumE0EiEENS3E_ILS3F_2ESC_S1M_Lb1ELS3H_0EiEENSF_IJiiiEEENSE_INSF_IJNSU_INSF_IJiiiiEEELb0EEENS_23Merge_v2_magic_divisionIS2L_EENSS_INSF_IJiEEEEES2P_EEENSF_IJS13_NS5_IJLi1ELi3EEEES2R_S17_EEENSF_IJNS5_IJLi1ELi2ELi3ELi4EEEES16_S18_S19_EEENS5_IJLi5ELi6ELi7EEEElEES22_NS2Z_IS31_S34_S34_LS35_0ES36_NS5_IJLi4ELi64ELi1EEEES38_SD_SD_RKS3X_KS22_S38_S3C_Li2ELi2ELi16ELi16ELi1ELi1ELb0ELb1ELi2EiEENS3E_ILS3F_1EKSD_lLb1ELS3H_0EiEENS3E_ILS3F_2ESD_S1M_Lb1ELS3H_0EiEES3K_NS_25StaticBufferTupleOfVectorILS3F_4EfLi16ELi4ELb1ELb0EEEEEvRKT1_RKT2_RT3_RKT4_RT5_RKT6_RKT7_RKT8_RT9_RKT10_RT11_RKT12_RT13_iENKUlT_E1_clIS1V_EEDaS56_ENKUlS56_E0_clINSH_IiLi0EEEEEDaS56_ENKUlS56_E1_clIS5B_EEDaS56_EUlS56_E_EEvS56_EUlS56_E_EEvS56_
	.type	_ZNK2ck6detail7applierIiJLi0ELi1ELi2ELi3ELi4ELi5ELi6ELi7ELi8ELi9ELi10ELi11ELi12ELi13ELi14ELi15EEEclIZNKS_11static_fordINS_8SequenceIJLi4ELi4EEEENS5_IJLi0ELi1EEEEEclIZZZZNKS_31BlockwiseGemmXdlops_pipeline_v2ILNS_26BlockGemmPipelineSchedulerE1ELi256ENS_9f8_fnuz_tENS_7pk_i4_tESC_fNS_16TensorDescriptorINS_5TupleIJNS_5EmbedINSF_IJNS_17integral_constantIiLi8EEENSH_IiLi128EEENSH_IiLi16EEEEEENSF_IJSK_SJ_NSH_IiLi1EEEEEELb0EEENS_3XorINSF_IJSJ_SI_EEELb1EEENS_11PassThroughISK_EENS_7UnMergeINSF_IJSI_SM_EEELb0EEENSS_ISJ_EEST_NSS_ISI_EENS_21Merge_v3_division_modINSF_IJSJ_SM_EEEEEST_EEENSF_IJNS5_IJLi0EEEENS5_IJLi2ELi1EEEENS5_IJLi3EEEENS5_IJLi5EEEENS5_IJLi4EEEENS5_IJLi6EEEENS5_IJLi7EEEENS5_IJLi9ELi8EEEENS5_IJLi10EEEEEEENSF_IJNS5_IJLi1ELi2ELi3EEEENS5_IJLi4ELi5EEEES18_NS5_IJLi7ELi8EEEENS5_IJLi9EEEES1B_NS5_IJLi11EEEENS5_IJLi12EEEENS5_IJLi13EEEEEEENS5_IJLi11ELi12ELi13EEEENSH_IlLl16384EEEEENSE_INSF_IJNSG_INSF_IJSK_NSH_IiLi64EEESK_EEENSF_IJSK_NSH_IiLi256EEESM_EEELb0EEENSP_INSF_IJS1O_SK_EEELb1EEEST_NSU_INSF_IJSI_NSH_IiLi2EEEEEELb0EEENSS_IS1O_EEST_SY_NSZ_INSF_IJS1O_S1V_EEEEEST_EEES1C_S1K_S1L_S1M_EENSE_INSF_IJSO_SR_ST_SW_SX_ST_SY_S11_ST_NSZ_INSF_IJSI_SK_EEEEENSU_INSF_IJNSH_IiLi4EEES1V_SK_EEELb0EEEEEENSF_IJS13_S14_S15_S16_S17_S18_S19_S1A_S1B_NS5_IJLi11ELi13EEEES1I_EEENSF_IJS1D_S1E_S18_S1F_S1G_S1B_S1H_S1I_S1J_NS5_IJLi14EEEENS5_IJLi15ELi16ELi17EEEEEEENS5_IJLi15ELi16ELi17ELi14EEEES1M_EENSE_INSF_IJS1S_S1U_ST_S1X_S1Y_ST_SY_S20_ST_S24_S27_EEES2A_S2D_S2E_S1M_EELi16ELi16ELi128ELi128ELi128ELi16ELi16ELi4ELi4ELi16ELb0EE3RunILb1ELNS_10TailNumberE10ENSE_INSF_IJNSG_INSF_IJiiEEENSF_IJiSM_EEELb0EEENSU_IS2L_Lb0EEENSS_IiEEEEENSF_IJS13_NS5_IJLi2EEEENS5_IJLi1EEEEEEENSF_IJNS5_IJLi1ELi2EEEENS5_IJLi3ELi4EEEES16_EEENS5_IJLi3ELi5ELi4EEEElEES1N_NS_35ThreadGroupTensorSliceTransfer_v4r1INS_15ThisThreadBlockILi256EEENS_16tensor_operation12element_wise11PassThroughES34_LNS_25InMemoryDataOperationEnumE0ENS5_IJLi8ELi128ELi16EEEENS5_IJLi8ELi32ELi1EEEENS5_IJLi1ELi0ELi2EEEESC_SC_RKS2Y_KS1N_S38_NS5_IJLi0ELi1ELi2EEEELi2ELi2ELi16ELi16ELi1ELi1ELb0ELb1ELi2EiEENS_13DynamicBufferILNS_16AddressSpaceEnumE1EKSC_lLb1ELNS_22AmdBufferCoherenceEnumE0EiEENS3E_ILS3F_2ESC_S1M_Lb1ELS3H_0EiEENSF_IJiiiEEENSE_INSF_IJNSU_INSF_IJiiiiEEELb0EEENS_23Merge_v2_magic_divisionIS2L_EENSS_INSF_IJiEEEEES2P_EEENSF_IJS13_NS5_IJLi1ELi3EEEES2R_S17_EEENSF_IJNS5_IJLi1ELi2ELi3ELi4EEEES16_S18_S19_EEENS5_IJLi5ELi6ELi7EEEElEES22_NS2Z_IS31_S34_S34_LS35_0ES36_NS5_IJLi4ELi64ELi1EEEES38_SD_SD_RKS3X_KS22_S38_S3C_Li2ELi2ELi16ELi16ELi1ELi1ELb0ELb1ELi2EiEENS3E_ILS3F_1EKSD_lLb1ELS3H_0EiEENS3E_ILS3F_2ESD_S1M_Lb1ELS3H_0EiEES3K_NS_25StaticBufferTupleOfVectorILS3F_4EfLi16ELi4ELb1ELb0EEEEEvRKT1_RKT2_RT3_RKT4_RT5_RKT6_RKT7_RKT8_RT9_RKT10_RT11_RKT12_RT13_iENKUlT_E1_clIS1V_EEDaS56_ENKUlS56_E0_clINSH_IiLi0EEEEEDaS56_ENKUlS56_E1_clIS5B_EEDaS56_EUlS56_E_EEvS56_EUlS56_E_EEvS56_,@function
_ZNK2ck6detail7applierIiJLi0ELi1ELi2ELi3ELi4ELi5ELi6ELi7ELi8ELi9ELi10ELi11ELi12ELi13ELi14ELi15EEEclIZNKS_11static_fordINS_8SequenceIJLi4ELi4EEEENS5_IJLi0ELi1EEEEEclIZZZZNKS_31BlockwiseGemmXdlops_pipeline_v2ILNS_26BlockGemmPipelineSchedulerE1ELi256ENS_9f8_fnuz_tENS_7pk_i4_tESC_fNS_16TensorDescriptorINS_5TupleIJNS_5EmbedINSF_IJNS_17integral_constantIiLi8EEENSH_IiLi128EEENSH_IiLi16EEEEEENSF_IJSK_SJ_NSH_IiLi1EEEEEELb0EEENS_3XorINSF_IJSJ_SI_EEELb1EEENS_11PassThroughISK_EENS_7UnMergeINSF_IJSI_SM_EEELb0EEENSS_ISJ_EEST_NSS_ISI_EENS_21Merge_v3_division_modINSF_IJSJ_SM_EEEEEST_EEENSF_IJNS5_IJLi0EEEENS5_IJLi2ELi1EEEENS5_IJLi3EEEENS5_IJLi5EEEENS5_IJLi4EEEENS5_IJLi6EEEENS5_IJLi7EEEENS5_IJLi9ELi8EEEENS5_IJLi10EEEEEEENSF_IJNS5_IJLi1ELi2ELi3EEEENS5_IJLi4ELi5EEEES18_NS5_IJLi7ELi8EEEENS5_IJLi9EEEES1B_NS5_IJLi11EEEENS5_IJLi12EEEENS5_IJLi13EEEEEEENS5_IJLi11ELi12ELi13EEEENSH_IlLl16384EEEEENSE_INSF_IJNSG_INSF_IJSK_NSH_IiLi64EEESK_EEENSF_IJSK_NSH_IiLi256EEESM_EEELb0EEENSP_INSF_IJS1O_SK_EEELb1EEEST_NSU_INSF_IJSI_NSH_IiLi2EEEEEELb0EEENSS_IS1O_EEST_SY_NSZ_INSF_IJS1O_S1V_EEEEEST_EEES1C_S1K_S1L_S1M_EENSE_INSF_IJSO_SR_ST_SW_SX_ST_SY_S11_ST_NSZ_INSF_IJSI_SK_EEEEENSU_INSF_IJNSH_IiLi4EEES1V_SK_EEELb0EEEEEENSF_IJS13_S14_S15_S16_S17_S18_S19_S1A_S1B_NS5_IJLi11ELi13EEEES1I_EEENSF_IJS1D_S1E_S18_S1F_S1G_S1B_S1H_S1I_S1J_NS5_IJLi14EEEENS5_IJLi15ELi16ELi17EEEEEEENS5_IJLi15ELi16ELi17ELi14EEEES1M_EENSE_INSF_IJS1S_S1U_ST_S1X_S1Y_ST_SY_S20_ST_S24_S27_EEES2A_S2D_S2E_S1M_EELi16ELi16ELi128ELi128ELi128ELi16ELi16ELi4ELi4ELi16ELb0EE3RunILb1ELNS_10TailNumberE10ENSE_INSF_IJNSG_INSF_IJiiEEENSF_IJiSM_EEELb0EEENSU_IS2L_Lb0EEENSS_IiEEEEENSF_IJS13_NS5_IJLi2EEEENS5_IJLi1EEEEEEENSF_IJNS5_IJLi1ELi2EEEENS5_IJLi3ELi4EEEES16_EEENS5_IJLi3ELi5ELi4EEEElEES1N_NS_35ThreadGroupTensorSliceTransfer_v4r1INS_15ThisThreadBlockILi256EEENS_16tensor_operation12element_wise11PassThroughES34_LNS_25InMemoryDataOperationEnumE0ENS5_IJLi8ELi128ELi16EEEENS5_IJLi8ELi32ELi1EEEENS5_IJLi1ELi0ELi2EEEESC_SC_RKS2Y_KS1N_S38_NS5_IJLi0ELi1ELi2EEEELi2ELi2ELi16ELi16ELi1ELi1ELb0ELb1ELi2EiEENS_13DynamicBufferILNS_16AddressSpaceEnumE1EKSC_lLb1ELNS_22AmdBufferCoherenceEnumE0EiEENS3E_ILS3F_2ESC_S1M_Lb1ELS3H_0EiEENSF_IJiiiEEENSE_INSF_IJNSU_INSF_IJiiiiEEELb0EEENS_23Merge_v2_magic_divisionIS2L_EENSS_INSF_IJiEEEEES2P_EEENSF_IJS13_NS5_IJLi1ELi3EEEES2R_S17_EEENSF_IJNS5_IJLi1ELi2ELi3ELi4EEEES16_S18_S19_EEENS5_IJLi5ELi6ELi7EEEElEES22_NS2Z_IS31_S34_S34_LS35_0ES36_NS5_IJLi4ELi64ELi1EEEES38_SD_SD_RKS3X_KS22_S38_S3C_Li2ELi2ELi16ELi16ELi1ELi1ELb0ELb1ELi2EiEENS3E_ILS3F_1EKSD_lLb1ELS3H_0EiEENS3E_ILS3F_2ESD_S1M_Lb1ELS3H_0EiEES3K_NS_25StaticBufferTupleOfVectorILS3F_4EfLi16ELi4ELb1ELb0EEEEEvRKT1_RKT2_RT3_RKT4_RT5_RKT6_RKT7_RKT8_RT9_RKT10_RT11_RKT12_RT13_iENKUlT_E1_clIS1V_EEDaS56_ENKUlS56_E0_clINSH_IiLi0EEEEEDaS56_ENKUlS56_E1_clIS5B_EEDaS56_EUlS56_E_EEvS56_EUlS56_E_EEvS56_: ; @_ZNK2ck6detail7applierIiJLi0ELi1ELi2ELi3ELi4ELi5ELi6ELi7ELi8ELi9ELi10ELi11ELi12ELi13ELi14ELi15EEEclIZNKS_11static_fordINS_8SequenceIJLi4ELi4EEEENS5_IJLi0ELi1EEEEEclIZZZZNKS_31BlockwiseGemmXdlops_pipeline_v2ILNS_26BlockGemmPipelineSchedulerE1ELi256ENS_9f8_fnuz_tENS_7pk_i4_tESC_fNS_16TensorDescriptorINS_5TupleIJNS_5EmbedINSF_IJNS_17integral_constantIiLi8EEENSH_IiLi128EEENSH_IiLi16EEEEEENSF_IJSK_SJ_NSH_IiLi1EEEEEELb0EEENS_3XorINSF_IJSJ_SI_EEELb1EEENS_11PassThroughISK_EENS_7UnMergeINSF_IJSI_SM_EEELb0EEENSS_ISJ_EEST_NSS_ISI_EENS_21Merge_v3_division_modINSF_IJSJ_SM_EEEEEST_EEENSF_IJNS5_IJLi0EEEENS5_IJLi2ELi1EEEENS5_IJLi3EEEENS5_IJLi5EEEENS5_IJLi4EEEENS5_IJLi6EEEENS5_IJLi7EEEENS5_IJLi9ELi8EEEENS5_IJLi10EEEEEEENSF_IJNS5_IJLi1ELi2ELi3EEEENS5_IJLi4ELi5EEEES18_NS5_IJLi7ELi8EEEENS5_IJLi9EEEES1B_NS5_IJLi11EEEENS5_IJLi12EEEENS5_IJLi13EEEEEEENS5_IJLi11ELi12ELi13EEEENSH_IlLl16384EEEEENSE_INSF_IJNSG_INSF_IJSK_NSH_IiLi64EEESK_EEENSF_IJSK_NSH_IiLi256EEESM_EEELb0EEENSP_INSF_IJS1O_SK_EEELb1EEEST_NSU_INSF_IJSI_NSH_IiLi2EEEEEELb0EEENSS_IS1O_EEST_SY_NSZ_INSF_IJS1O_S1V_EEEEEST_EEES1C_S1K_S1L_S1M_EENSE_INSF_IJSO_SR_ST_SW_SX_ST_SY_S11_ST_NSZ_INSF_IJSI_SK_EEEEENSU_INSF_IJNSH_IiLi4EEES1V_SK_EEELb0EEEEEENSF_IJS13_S14_S15_S16_S17_S18_S19_S1A_S1B_NS5_IJLi11ELi13EEEES1I_EEENSF_IJS1D_S1E_S18_S1F_S1G_S1B_S1H_S1I_S1J_NS5_IJLi14EEEENS5_IJLi15ELi16ELi17EEEEEEENS5_IJLi15ELi16ELi17ELi14EEEES1M_EENSE_INSF_IJS1S_S1U_ST_S1X_S1Y_ST_SY_S20_ST_S24_S27_EEES2A_S2D_S2E_S1M_EELi16ELi16ELi128ELi128ELi128ELi16ELi16ELi4ELi4ELi16ELb0EE3RunILb1ELNS_10TailNumberE10ENSE_INSF_IJNSG_INSF_IJiiEEENSF_IJiSM_EEELb0EEENSU_IS2L_Lb0EEENSS_IiEEEEENSF_IJS13_NS5_IJLi2EEEENS5_IJLi1EEEEEEENSF_IJNS5_IJLi1ELi2EEEENS5_IJLi3ELi4EEEES16_EEENS5_IJLi3ELi5ELi4EEEElEES1N_NS_35ThreadGroupTensorSliceTransfer_v4r1INS_15ThisThreadBlockILi256EEENS_16tensor_operation12element_wise11PassThroughES34_LNS_25InMemoryDataOperationEnumE0ENS5_IJLi8ELi128ELi16EEEENS5_IJLi8ELi32ELi1EEEENS5_IJLi1ELi0ELi2EEEESC_SC_RKS2Y_KS1N_S38_NS5_IJLi0ELi1ELi2EEEELi2ELi2ELi16ELi16ELi1ELi1ELb0ELb1ELi2EiEENS_13DynamicBufferILNS_16AddressSpaceEnumE1EKSC_lLb1ELNS_22AmdBufferCoherenceEnumE0EiEENS3E_ILS3F_2ESC_S1M_Lb1ELS3H_0EiEENSF_IJiiiEEENSE_INSF_IJNSU_INSF_IJiiiiEEELb0EEENS_23Merge_v2_magic_divisionIS2L_EENSS_INSF_IJiEEEEES2P_EEENSF_IJS13_NS5_IJLi1ELi3EEEES2R_S17_EEENSF_IJNS5_IJLi1ELi2ELi3ELi4EEEES16_S18_S19_EEENS5_IJLi5ELi6ELi7EEEElEES22_NS2Z_IS31_S34_S34_LS35_0ES36_NS5_IJLi4ELi64ELi1EEEES38_SD_SD_RKS3X_KS22_S38_S3C_Li2ELi2ELi16ELi16ELi1ELi1ELb0ELb1ELi2EiEENS3E_ILS3F_1EKSD_lLb1ELS3H_0EiEENS3E_ILS3F_2ESD_S1M_Lb1ELS3H_0EiEES3K_NS_25StaticBufferTupleOfVectorILS3F_4EfLi16ELi4ELb1ELb0EEEEEvRKT1_RKT2_RT3_RKT4_RT5_RKT6_RKT7_RKT8_RT9_RKT10_RT11_RKT12_RT13_iENKUlT_E1_clIS1V_EEDaS56_ENKUlS56_E0_clINSH_IiLi0EEEEEDaS56_ENKUlS56_E1_clIS5B_EEDaS56_EUlS56_E_EEvS56_EUlS56_E_EEvS56_
; %bb.0:
	s_waitcnt vmcnt(0) expcnt(0) lgkmcnt(0)
	flat_load_dwordx4 v[12:15], v[0:1] offset:8
	flat_load_dwordx2 v[10:11], v[0:1] offset:32
	s_movk_i32 s4, 0x7f
                                        ; implicit-def: $sgpr10
	s_waitcnt vmcnt(0) lgkmcnt(0)
	flat_load_dwordx4 v[6:9], v[12:13]
	flat_load_dwordx4 v[2:5], v[14:15]
	s_waitcnt vmcnt(0) lgkmcnt(0)
	v_cmp_gt_i16_sdwa s[6:7], v6, s4 src0_sel:BYTE_0 src1_sel:DWORD
	s_mov_b64 s[4:5], 0
	s_and_saveexec_b64 s[8:9], s[6:7]
	s_xor_b64 s[6:7], exec, s[8:9]
	s_cbranch_execnz .LBB14_2049
; %bb.1:
	s_or_saveexec_b64 s[6:7], s[6:7]
	v_mov_b32_e32 v12, s10
	s_xor_b64 exec, exec, s[6:7]
	s_cbranch_execnz .LBB14_2052
.LBB14_2:
	s_or_b64 exec, exec, s[6:7]
	s_and_saveexec_b64 s[6:7], s[4:5]
	s_cbranch_execz .LBB14_4
.LBB14_3:
	v_and_b32_e32 v12, 7, v6
	v_ffbh_u32_e32 v14, v12
	v_min_u32_e32 v14, 32, v14
	v_lshrrev_b16_e32 v13, 3, v6
	v_subrev_u32_e32 v15, 28, v14
	v_and_b32_e32 v13, 15, v13
	v_lshlrev_b32_e32 v15, v15, v6
	v_sub_u32_e32 v14, 29, v14
	v_and_b32_e32 v15, 7, v15
	v_cmp_eq_u16_e32 vcc, 0, v13
	v_cndmask_b32_e32 v12, v12, v15, vcc
	v_cndmask_b32_e32 v13, v13, v14, vcc
	v_lshlrev_b32_e32 v14, 24, v6
	v_mov_b32_e32 v15, 0x3b800000
	v_lshlrev_b32_e32 v12, 20, v12
	v_and_b32_e32 v14, 0x80000000, v14
	v_lshl_add_u32 v13, v13, 23, v15
	v_or3_b32 v12, v14, v13, v12
.LBB14_4:
	s_or_b64 exec, exec, s[6:7]
	s_movk_i32 s4, 0x7f
	v_cmp_gt_i16_sdwa s[6:7], v2, s4 src0_sel:BYTE_0 src1_sel:DWORD
	s_mov_b64 s[4:5], 0
                                        ; implicit-def: $sgpr10
	s_and_saveexec_b64 s[8:9], s[6:7]
	s_xor_b64 s[6:7], exec, s[8:9]
	s_cbranch_execnz .LBB14_2053
; %bb.5:
	s_or_saveexec_b64 s[6:7], s[6:7]
	v_mov_b32_e32 v13, s10
	s_xor_b64 exec, exec, s[6:7]
	s_cbranch_execnz .LBB14_2056
.LBB14_6:
	s_or_b64 exec, exec, s[6:7]
	s_and_saveexec_b64 s[6:7], s[4:5]
	s_cbranch_execz .LBB14_8
.LBB14_7:
	v_and_b32_e32 v13, 7, v2
	v_ffbh_u32_e32 v15, v13
	v_min_u32_e32 v15, 32, v15
	v_lshrrev_b16_e32 v14, 3, v2
	v_subrev_u32_e32 v16, 28, v15
	v_and_b32_e32 v14, 15, v14
	v_lshlrev_b32_e32 v16, v16, v2
	v_sub_u32_e32 v15, 29, v15
	v_and_b32_e32 v16, 7, v16
	v_cmp_eq_u16_e32 vcc, 0, v14
	v_cndmask_b32_e32 v13, v13, v16, vcc
	v_cndmask_b32_e32 v14, v14, v15, vcc
	v_lshlrev_b32_e32 v15, 24, v2
	v_mov_b32_e32 v16, 0x3b800000
	v_lshlrev_b32_e32 v13, 20, v13
	v_and_b32_e32 v15, 0x80000000, v15
	v_lshl_add_u32 v14, v14, 23, v16
	v_or3_b32 v13, v15, v14, v13
.LBB14_8:
	s_or_b64 exec, exec, s[6:7]
	flat_load_dwordx4 a[0:3], v[10:11]
	s_movk_i32 s4, 0x7f
                                        ; implicit-def: $sgpr10
	s_waitcnt vmcnt(0) lgkmcnt(0)
	v_mfma_f32_16x16x4f32 a[0:3], v12, v13, a[0:3]
	v_lshrrev_b32_e32 v13, 8, v6
	v_cmp_gt_i16_sdwa s[6:7], v13, s4 src0_sel:BYTE_0 src1_sel:DWORD
	s_mov_b64 s[4:5], 0
	s_and_saveexec_b64 s[8:9], s[6:7]
	s_xor_b64 s[6:7], exec, s[8:9]
	s_cbranch_execnz .LBB14_2057
; %bb.9:
	s_or_saveexec_b64 s[6:7], s[6:7]
	v_mov_b32_e32 v12, s10
	s_xor_b64 exec, exec, s[6:7]
	s_cbranch_execnz .LBB14_2060
.LBB14_10:
	s_or_b64 exec, exec, s[6:7]
	s_and_saveexec_b64 s[6:7], s[4:5]
	s_cbranch_execz .LBB14_12
.LBB14_11:
	v_bfe_u32 v12, v6, 8, 3
	v_ffbh_u32_e32 v15, v12
	v_min_u32_e32 v15, 32, v15
	v_lshrrev_b16_e32 v14, 3, v13
	v_subrev_u32_e32 v16, 28, v15
	v_and_b32_e32 v14, 15, v14
	v_lshlrev_b32_e32 v13, v16, v13
	v_sub_u32_e32 v15, 29, v15
	v_and_b32_e32 v13, 7, v13
	v_cmp_eq_u16_e32 vcc, 0, v14
	v_cndmask_b32_e32 v12, v12, v13, vcc
	v_cndmask_b32_e32 v13, v14, v15, vcc
	v_lshlrev_b32_e32 v14, 16, v6
	v_mov_b32_e32 v15, 0x3b800000
	v_lshlrev_b32_e32 v12, 20, v12
	v_and_b32_e32 v14, 0x80000000, v14
	v_lshl_add_u32 v13, v13, 23, v15
	v_or3_b32 v12, v14, v13, v12
.LBB14_12:
	s_or_b64 exec, exec, s[6:7]
	v_lshrrev_b32_e32 v13, 8, v2
	s_movk_i32 s4, 0x7f
	v_cmp_gt_i16_sdwa s[6:7], v13, s4 src0_sel:BYTE_0 src1_sel:DWORD
	s_mov_b64 s[4:5], 0
                                        ; implicit-def: $sgpr10
	s_and_saveexec_b64 s[8:9], s[6:7]
	s_xor_b64 s[6:7], exec, s[8:9]
	s_cbranch_execnz .LBB14_2061
; %bb.13:
	s_or_saveexec_b64 s[6:7], s[6:7]
	v_mov_b32_e32 v14, s10
	s_xor_b64 exec, exec, s[6:7]
	s_cbranch_execnz .LBB14_2064
.LBB14_14:
	s_or_b64 exec, exec, s[6:7]
	s_and_saveexec_b64 s[6:7], s[4:5]
	s_cbranch_execz .LBB14_16
.LBB14_15:
	v_bfe_u32 v14, v2, 8, 3
	v_ffbh_u32_e32 v16, v14
	v_min_u32_e32 v16, 32, v16
	v_lshrrev_b16_e32 v15, 3, v13
	v_subrev_u32_e32 v17, 28, v16
	v_and_b32_e32 v15, 15, v15
	v_lshlrev_b32_e32 v13, v17, v13
	v_sub_u32_e32 v16, 29, v16
	v_and_b32_e32 v13, 7, v13
	v_cmp_eq_u16_e32 vcc, 0, v15
	v_cndmask_b32_e32 v13, v14, v13, vcc
	v_cndmask_b32_e32 v14, v15, v16, vcc
	v_lshlrev_b32_e32 v15, 16, v2
	v_mov_b32_e32 v16, 0x3b800000
	v_lshlrev_b32_e32 v13, 20, v13
	v_and_b32_e32 v15, 0x80000000, v15
	v_lshl_add_u32 v14, v14, 23, v16
	v_or3_b32 v14, v15, v14, v13
.LBB14_16:
	s_or_b64 exec, exec, s[6:7]
	s_nop 0
	v_mfma_f32_16x16x4f32 a[0:3], v12, v14, a[0:3]
	s_movk_i32 s4, 0xff
	v_and_b32_sdwa v13, v6, s4 dst_sel:DWORD dst_unused:UNUSED_PAD src0_sel:WORD_1 src1_sel:DWORD
	s_movk_i32 s4, 0x7f
	v_cmp_lt_i16_e32 vcc, s4, v13
	s_mov_b64 s[4:5], 0
                                        ; implicit-def: $sgpr10
	s_and_saveexec_b64 s[6:7], vcc
	s_xor_b64 s[6:7], exec, s[6:7]
	s_cbranch_execnz .LBB14_2065
; %bb.17:
	s_or_saveexec_b64 s[6:7], s[6:7]
	v_mov_b32_e32 v12, s10
	s_xor_b64 exec, exec, s[6:7]
	s_cbranch_execnz .LBB14_2068
.LBB14_18:
	s_or_b64 exec, exec, s[6:7]
	s_and_saveexec_b64 s[6:7], s[4:5]
	s_cbranch_execz .LBB14_20
.LBB14_19:
	v_bfe_u32 v12, v6, 16, 3
	v_ffbh_u32_e32 v15, v12
	v_min_u32_e32 v15, 32, v15
	v_lshrrev_b32_e32 v13, 19, v6
	v_subrev_u32_e32 v16, 28, v15
	v_and_b32_e32 v13, 15, v13
	v_lshlrev_b32_sdwa v16, v16, v6 dst_sel:DWORD dst_unused:UNUSED_PAD src0_sel:DWORD src1_sel:WORD_1
	v_bfe_u32 v14, v6, 19, 4
	v_sub_u32_e32 v15, 29, v15
	v_and_b32_e32 v16, 7, v16
	v_cmp_eq_u16_e32 vcc, 0, v13
	v_cndmask_b32_e32 v12, v12, v16, vcc
	v_cndmask_b32_e32 v13, v14, v15, vcc
	v_lshlrev_b32_e32 v14, 8, v6
	v_mov_b32_e32 v15, 0x3b800000
	v_lshlrev_b32_e32 v12, 20, v12
	v_and_b32_e32 v14, 0x80000000, v14
	v_lshl_add_u32 v13, v13, 23, v15
	v_or3_b32 v12, v14, v13, v12
.LBB14_20:
	s_or_b64 exec, exec, s[6:7]
	s_movk_i32 s4, 0xff
	v_and_b32_sdwa v13, v2, s4 dst_sel:DWORD dst_unused:UNUSED_PAD src0_sel:WORD_1 src1_sel:DWORD
	s_movk_i32 s4, 0x7f
	v_cmp_lt_i16_e32 vcc, s4, v13
	s_mov_b64 s[4:5], 0
                                        ; implicit-def: $sgpr10
	s_and_saveexec_b64 s[6:7], vcc
	s_xor_b64 s[6:7], exec, s[6:7]
	s_cbranch_execnz .LBB14_2069
; %bb.21:
	s_or_saveexec_b64 s[6:7], s[6:7]
	v_mov_b32_e32 v14, s10
	s_xor_b64 exec, exec, s[6:7]
	s_cbranch_execnz .LBB14_2072
.LBB14_22:
	s_or_b64 exec, exec, s[6:7]
	s_and_saveexec_b64 s[6:7], s[4:5]
	s_cbranch_execz .LBB14_24
.LBB14_23:
	v_bfe_u32 v13, v2, 16, 3
	v_ffbh_u32_e32 v16, v13
	v_min_u32_e32 v16, 32, v16
	v_lshrrev_b32_e32 v14, 19, v2
	v_subrev_u32_e32 v17, 28, v16
	v_and_b32_e32 v14, 15, v14
	v_lshlrev_b32_sdwa v17, v17, v2 dst_sel:DWORD dst_unused:UNUSED_PAD src0_sel:DWORD src1_sel:WORD_1
	v_bfe_u32 v15, v2, 19, 4
	v_sub_u32_e32 v16, 29, v16
	v_and_b32_e32 v17, 7, v17
	v_cmp_eq_u16_e32 vcc, 0, v14
	v_cndmask_b32_e32 v13, v13, v17, vcc
	v_cndmask_b32_e32 v14, v15, v16, vcc
	v_lshlrev_b32_e32 v15, 8, v2
	v_mov_b32_e32 v16, 0x3b800000
	v_lshlrev_b32_e32 v13, 20, v13
	v_and_b32_e32 v15, 0x80000000, v15
	v_lshl_add_u32 v14, v14, 23, v16
	v_or3_b32 v14, v15, v14, v13
.LBB14_24:
	s_or_b64 exec, exec, s[6:7]
	s_nop 0
	v_mfma_f32_16x16x4f32 a[0:3], v12, v14, a[0:3]
	s_movk_i32 s4, 0x7f
	v_cmp_gt_i16_sdwa s[6:7], v6, s4 src0_sel:BYTE_3 src1_sel:DWORD
	s_mov_b64 s[4:5], 0
                                        ; implicit-def: $sgpr10
	s_and_saveexec_b64 s[8:9], s[6:7]
	s_xor_b64 s[6:7], exec, s[8:9]
	s_cbranch_execnz .LBB14_2073
; %bb.25:
	s_or_saveexec_b64 s[6:7], s[6:7]
	v_mov_b32_e32 v12, s10
	s_xor_b64 exec, exec, s[6:7]
	s_cbranch_execnz .LBB14_2076
.LBB14_26:
	s_or_b64 exec, exec, s[6:7]
	s_and_saveexec_b64 s[6:7], s[4:5]
	s_cbranch_execz .LBB14_28
.LBB14_27:
	v_bfe_u32 v12, v6, 24, 3
	v_ffbh_u32_e32 v16, v12
	v_min_u32_e32 v16, 32, v16
	v_lshrrev_b32_e32 v14, 27, v6
	v_subrev_u32_e32 v17, 28, v16
	v_and_b32_e32 v13, 0x80000000, v6
	v_and_b32_e32 v14, 15, v14
	v_bfe_u32 v15, v6, 27, 4
	v_lshlrev_b32_sdwa v6, v17, v6 dst_sel:DWORD dst_unused:UNUSED_PAD src0_sel:DWORD src1_sel:BYTE_3
	v_sub_u32_e32 v16, 29, v16
	v_and_b32_e32 v6, 7, v6
	v_cmp_eq_u16_e32 vcc, 0, v14
	v_cndmask_b32_e32 v6, v12, v6, vcc
	v_cndmask_b32_e32 v12, v15, v16, vcc
	v_mov_b32_e32 v14, 0x3b800000
	v_lshlrev_b32_e32 v6, 20, v6
	v_lshl_add_u32 v12, v12, 23, v14
	v_or3_b32 v12, v13, v12, v6
.LBB14_28:
	s_or_b64 exec, exec, s[6:7]
	s_movk_i32 s4, 0x7f
	v_cmp_gt_i16_sdwa s[6:7], v2, s4 src0_sel:BYTE_3 src1_sel:DWORD
	s_mov_b64 s[4:5], 0
                                        ; implicit-def: $sgpr10
	s_and_saveexec_b64 s[8:9], s[6:7]
	s_xor_b64 s[6:7], exec, s[8:9]
	s_cbranch_execnz .LBB14_2077
; %bb.29:
	s_or_saveexec_b64 s[6:7], s[6:7]
	v_mov_b32_e32 v6, s10
	s_xor_b64 exec, exec, s[6:7]
	s_cbranch_execnz .LBB14_2080
.LBB14_30:
	s_or_b64 exec, exec, s[6:7]
	s_and_saveexec_b64 s[6:7], s[4:5]
	s_cbranch_execz .LBB14_32
.LBB14_31:
	v_bfe_u32 v6, v2, 24, 3
	v_ffbh_u32_e32 v16, v6
	v_min_u32_e32 v16, 32, v16
	v_lshrrev_b32_e32 v14, 27, v2
	v_subrev_u32_e32 v17, 28, v16
	v_and_b32_e32 v13, 0x80000000, v2
	v_and_b32_e32 v14, 15, v14
	v_bfe_u32 v15, v2, 27, 4
	v_lshlrev_b32_sdwa v2, v17, v2 dst_sel:DWORD dst_unused:UNUSED_PAD src0_sel:DWORD src1_sel:BYTE_3
	v_sub_u32_e32 v16, 29, v16
	v_and_b32_e32 v2, 7, v2
	v_cmp_eq_u16_e32 vcc, 0, v14
	v_cndmask_b32_e32 v2, v6, v2, vcc
	v_cndmask_b32_e32 v6, v15, v16, vcc
	v_mov_b32_e32 v14, 0x3b800000
	v_lshlrev_b32_e32 v2, 20, v2
	v_lshl_add_u32 v6, v6, 23, v14
	v_or3_b32 v6, v13, v6, v2
.LBB14_32:
	s_or_b64 exec, exec, s[6:7]
	s_nop 0
	v_mfma_f32_16x16x4f32 a[0:3], v12, v6, a[0:3]
	s_movk_i32 s4, 0x7f
	v_cmp_gt_i16_sdwa s[6:7], v7, s4 src0_sel:BYTE_0 src1_sel:DWORD
	s_mov_b64 s[4:5], 0
                                        ; implicit-def: $sgpr10
	s_and_saveexec_b64 s[8:9], s[6:7]
	s_xor_b64 s[6:7], exec, s[8:9]
	s_cbranch_execnz .LBB14_2081
; %bb.33:
	s_or_saveexec_b64 s[6:7], s[6:7]
	v_mov_b32_e32 v2, s10
	s_xor_b64 exec, exec, s[6:7]
	s_cbranch_execnz .LBB14_2084
.LBB14_34:
	s_or_b64 exec, exec, s[6:7]
	s_and_saveexec_b64 s[6:7], s[4:5]
	s_cbranch_execz .LBB14_36
.LBB14_35:
	v_and_b32_e32 v2, 7, v7
	v_ffbh_u32_e32 v12, v2
	v_min_u32_e32 v12, 32, v12
	v_lshrrev_b16_e32 v6, 3, v7
	v_subrev_u32_e32 v13, 28, v12
	v_and_b32_e32 v6, 15, v6
	v_lshlrev_b32_e32 v13, v13, v7
	v_sub_u32_e32 v12, 29, v12
	v_and_b32_e32 v13, 7, v13
	v_cmp_eq_u16_e32 vcc, 0, v6
	v_cndmask_b32_e32 v2, v2, v13, vcc
	v_cndmask_b32_e32 v6, v6, v12, vcc
	v_lshlrev_b32_e32 v12, 24, v7
	v_mov_b32_e32 v13, 0x3b800000
	v_lshlrev_b32_e32 v2, 20, v2
	v_and_b32_e32 v12, 0x80000000, v12
	v_lshl_add_u32 v6, v6, 23, v13
	v_or3_b32 v2, v12, v6, v2
.LBB14_36:
	s_or_b64 exec, exec, s[6:7]
	s_movk_i32 s4, 0x7f
	v_cmp_gt_i16_sdwa s[6:7], v3, s4 src0_sel:BYTE_0 src1_sel:DWORD
	s_mov_b64 s[4:5], 0
                                        ; implicit-def: $sgpr10
	s_and_saveexec_b64 s[8:9], s[6:7]
	s_xor_b64 s[6:7], exec, s[8:9]
	s_cbranch_execnz .LBB14_2085
; %bb.37:
	s_or_saveexec_b64 s[6:7], s[6:7]
	v_mov_b32_e32 v6, s10
	s_xor_b64 exec, exec, s[6:7]
	s_cbranch_execnz .LBB14_2088
.LBB14_38:
	s_or_b64 exec, exec, s[6:7]
	s_and_saveexec_b64 s[6:7], s[4:5]
	s_cbranch_execz .LBB14_40
.LBB14_39:
	v_and_b32_e32 v6, 7, v3
	v_ffbh_u32_e32 v13, v6
	v_min_u32_e32 v13, 32, v13
	v_lshrrev_b16_e32 v12, 3, v3
	v_subrev_u32_e32 v14, 28, v13
	v_and_b32_e32 v12, 15, v12
	v_lshlrev_b32_e32 v14, v14, v3
	v_sub_u32_e32 v13, 29, v13
	v_and_b32_e32 v14, 7, v14
	v_cmp_eq_u16_e32 vcc, 0, v12
	v_cndmask_b32_e32 v6, v6, v14, vcc
	v_cndmask_b32_e32 v12, v12, v13, vcc
	v_lshlrev_b32_e32 v13, 24, v3
	v_mov_b32_e32 v14, 0x3b800000
	v_lshlrev_b32_e32 v6, 20, v6
	v_and_b32_e32 v13, 0x80000000, v13
	v_lshl_add_u32 v12, v12, 23, v14
	v_or3_b32 v6, v13, v12, v6
.LBB14_40:
	s_or_b64 exec, exec, s[6:7]
	s_nop 0
	v_mfma_f32_16x16x4f32 a[0:3], v2, v6, a[0:3]
	v_lshrrev_b32_e32 v6, 8, v7
	s_movk_i32 s4, 0x7f
	v_cmp_gt_i16_sdwa s[6:7], v6, s4 src0_sel:BYTE_0 src1_sel:DWORD
	s_mov_b64 s[4:5], 0
                                        ; implicit-def: $sgpr10
	s_and_saveexec_b64 s[8:9], s[6:7]
	s_xor_b64 s[6:7], exec, s[8:9]
	s_cbranch_execnz .LBB14_2089
; %bb.41:
	s_or_saveexec_b64 s[6:7], s[6:7]
	v_mov_b32_e32 v2, s10
	s_xor_b64 exec, exec, s[6:7]
	s_cbranch_execnz .LBB14_2092
.LBB14_42:
	s_or_b64 exec, exec, s[6:7]
	s_and_saveexec_b64 s[6:7], s[4:5]
	s_cbranch_execz .LBB14_44
.LBB14_43:
	v_bfe_u32 v2, v7, 8, 3
	v_ffbh_u32_e32 v13, v2
	v_min_u32_e32 v13, 32, v13
	v_lshrrev_b16_e32 v12, 3, v6
	v_subrev_u32_e32 v14, 28, v13
	v_and_b32_e32 v12, 15, v12
	v_lshlrev_b32_e32 v6, v14, v6
	v_sub_u32_e32 v13, 29, v13
	v_and_b32_e32 v6, 7, v6
	v_cmp_eq_u16_e32 vcc, 0, v12
	v_cndmask_b32_e32 v2, v2, v6, vcc
	v_cndmask_b32_e32 v6, v12, v13, vcc
	v_lshlrev_b32_e32 v12, 16, v7
	v_mov_b32_e32 v13, 0x3b800000
	v_lshlrev_b32_e32 v2, 20, v2
	v_and_b32_e32 v12, 0x80000000, v12
	v_lshl_add_u32 v6, v6, 23, v13
	v_or3_b32 v2, v12, v6, v2
.LBB14_44:
	s_or_b64 exec, exec, s[6:7]
	v_lshrrev_b32_e32 v6, 8, v3
	s_movk_i32 s4, 0x7f
	v_cmp_gt_i16_sdwa s[6:7], v6, s4 src0_sel:BYTE_0 src1_sel:DWORD
	s_mov_b64 s[4:5], 0
                                        ; implicit-def: $sgpr10
	s_and_saveexec_b64 s[8:9], s[6:7]
	s_xor_b64 s[6:7], exec, s[8:9]
	s_cbranch_execnz .LBB14_2093
; %bb.45:
	s_or_saveexec_b64 s[6:7], s[6:7]
	v_mov_b32_e32 v12, s10
	s_xor_b64 exec, exec, s[6:7]
	s_cbranch_execnz .LBB14_2096
.LBB14_46:
	s_or_b64 exec, exec, s[6:7]
	s_and_saveexec_b64 s[6:7], s[4:5]
	s_cbranch_execz .LBB14_48
.LBB14_47:
	v_bfe_u32 v12, v3, 8, 3
	v_ffbh_u32_e32 v14, v12
	v_min_u32_e32 v14, 32, v14
	v_lshrrev_b16_e32 v13, 3, v6
	v_subrev_u32_e32 v15, 28, v14
	v_and_b32_e32 v13, 15, v13
	v_lshlrev_b32_e32 v6, v15, v6
	v_sub_u32_e32 v14, 29, v14
	v_and_b32_e32 v6, 7, v6
	v_cmp_eq_u16_e32 vcc, 0, v13
	v_cndmask_b32_e32 v6, v12, v6, vcc
	v_cndmask_b32_e32 v12, v13, v14, vcc
	v_lshlrev_b32_e32 v13, 16, v3
	v_mov_b32_e32 v14, 0x3b800000
	v_lshlrev_b32_e32 v6, 20, v6
	v_and_b32_e32 v13, 0x80000000, v13
	v_lshl_add_u32 v12, v12, 23, v14
	v_or3_b32 v12, v13, v12, v6
.LBB14_48:
	s_or_b64 exec, exec, s[6:7]
	s_nop 0
	v_mfma_f32_16x16x4f32 a[0:3], v2, v12, a[0:3]
	s_movk_i32 s4, 0xff
	v_and_b32_sdwa v6, v7, s4 dst_sel:DWORD dst_unused:UNUSED_PAD src0_sel:WORD_1 src1_sel:DWORD
	s_movk_i32 s4, 0x7f
	v_cmp_lt_i16_e32 vcc, s4, v6
	s_mov_b64 s[4:5], 0
                                        ; implicit-def: $sgpr10
	s_and_saveexec_b64 s[6:7], vcc
	s_xor_b64 s[6:7], exec, s[6:7]
	s_cbranch_execnz .LBB14_2097
; %bb.49:
	s_or_saveexec_b64 s[6:7], s[6:7]
	v_mov_b32_e32 v2, s10
	s_xor_b64 exec, exec, s[6:7]
	s_cbranch_execnz .LBB14_2100
.LBB14_50:
	s_or_b64 exec, exec, s[6:7]
	s_and_saveexec_b64 s[6:7], s[4:5]
	s_cbranch_execz .LBB14_52
.LBB14_51:
	v_bfe_u32 v2, v7, 16, 3
	v_ffbh_u32_e32 v13, v2
	v_min_u32_e32 v13, 32, v13
	v_lshrrev_b32_e32 v6, 19, v7
	v_subrev_u32_e32 v14, 28, v13
	v_and_b32_e32 v6, 15, v6
	v_lshlrev_b32_sdwa v14, v14, v7 dst_sel:DWORD dst_unused:UNUSED_PAD src0_sel:DWORD src1_sel:WORD_1
	v_bfe_u32 v12, v7, 19, 4
	v_sub_u32_e32 v13, 29, v13
	v_and_b32_e32 v14, 7, v14
	v_cmp_eq_u16_e32 vcc, 0, v6
	v_cndmask_b32_e32 v2, v2, v14, vcc
	v_cndmask_b32_e32 v6, v12, v13, vcc
	v_lshlrev_b32_e32 v12, 8, v7
	v_mov_b32_e32 v13, 0x3b800000
	v_lshlrev_b32_e32 v2, 20, v2
	v_and_b32_e32 v12, 0x80000000, v12
	v_lshl_add_u32 v6, v6, 23, v13
	v_or3_b32 v2, v12, v6, v2
.LBB14_52:
	s_or_b64 exec, exec, s[6:7]
	s_movk_i32 s4, 0xff
	v_and_b32_sdwa v6, v3, s4 dst_sel:DWORD dst_unused:UNUSED_PAD src0_sel:WORD_1 src1_sel:DWORD
	s_movk_i32 s4, 0x7f
	v_cmp_lt_i16_e32 vcc, s4, v6
	s_mov_b64 s[4:5], 0
                                        ; implicit-def: $sgpr10
	s_and_saveexec_b64 s[6:7], vcc
	s_xor_b64 s[6:7], exec, s[6:7]
	s_cbranch_execnz .LBB14_2101
; %bb.53:
	s_or_saveexec_b64 s[6:7], s[6:7]
	v_mov_b32_e32 v12, s10
	s_xor_b64 exec, exec, s[6:7]
	s_cbranch_execnz .LBB14_2104
.LBB14_54:
	s_or_b64 exec, exec, s[6:7]
	s_and_saveexec_b64 s[6:7], s[4:5]
	s_cbranch_execz .LBB14_56
.LBB14_55:
	v_bfe_u32 v6, v3, 16, 3
	v_ffbh_u32_e32 v14, v6
	v_min_u32_e32 v14, 32, v14
	v_lshrrev_b32_e32 v12, 19, v3
	v_subrev_u32_e32 v15, 28, v14
	v_and_b32_e32 v12, 15, v12
	v_lshlrev_b32_sdwa v15, v15, v3 dst_sel:DWORD dst_unused:UNUSED_PAD src0_sel:DWORD src1_sel:WORD_1
	v_bfe_u32 v13, v3, 19, 4
	v_sub_u32_e32 v14, 29, v14
	v_and_b32_e32 v15, 7, v15
	v_cmp_eq_u16_e32 vcc, 0, v12
	v_cndmask_b32_e32 v6, v6, v15, vcc
	v_cndmask_b32_e32 v12, v13, v14, vcc
	v_lshlrev_b32_e32 v13, 8, v3
	v_mov_b32_e32 v14, 0x3b800000
	v_lshlrev_b32_e32 v6, 20, v6
	v_and_b32_e32 v13, 0x80000000, v13
	v_lshl_add_u32 v12, v12, 23, v14
	v_or3_b32 v12, v13, v12, v6
.LBB14_56:
	s_or_b64 exec, exec, s[6:7]
	s_nop 0
	v_mfma_f32_16x16x4f32 a[0:3], v2, v12, a[0:3]
	s_movk_i32 s4, 0x7f
	v_cmp_gt_i16_sdwa s[6:7], v7, s4 src0_sel:BYTE_3 src1_sel:DWORD
	s_mov_b64 s[4:5], 0
                                        ; implicit-def: $sgpr10
	s_and_saveexec_b64 s[8:9], s[6:7]
	s_xor_b64 s[6:7], exec, s[8:9]
	s_cbranch_execnz .LBB14_2105
; %bb.57:
	s_or_saveexec_b64 s[6:7], s[6:7]
	v_mov_b32_e32 v2, s10
	s_xor_b64 exec, exec, s[6:7]
	s_cbranch_execnz .LBB14_2108
.LBB14_58:
	s_or_b64 exec, exec, s[6:7]
	s_and_saveexec_b64 s[6:7], s[4:5]
	s_cbranch_execz .LBB14_60
.LBB14_59:
	v_bfe_u32 v2, v7, 24, 3
	v_ffbh_u32_e32 v14, v2
	v_min_u32_e32 v14, 32, v14
	v_lshrrev_b32_e32 v12, 27, v7
	v_subrev_u32_e32 v15, 28, v14
	v_and_b32_e32 v6, 0x80000000, v7
	v_and_b32_e32 v12, 15, v12
	v_bfe_u32 v13, v7, 27, 4
	v_lshlrev_b32_sdwa v7, v15, v7 dst_sel:DWORD dst_unused:UNUSED_PAD src0_sel:DWORD src1_sel:BYTE_3
	v_sub_u32_e32 v14, 29, v14
	v_and_b32_e32 v7, 7, v7
	v_cmp_eq_u16_e32 vcc, 0, v12
	v_cndmask_b32_e32 v2, v2, v7, vcc
	v_cndmask_b32_e32 v7, v13, v14, vcc
	v_mov_b32_e32 v12, 0x3b800000
	v_lshlrev_b32_e32 v2, 20, v2
	v_lshl_add_u32 v7, v7, 23, v12
	v_or3_b32 v2, v6, v7, v2
.LBB14_60:
	s_or_b64 exec, exec, s[6:7]
	s_movk_i32 s4, 0x7f
	v_cmp_gt_i16_sdwa s[6:7], v3, s4 src0_sel:BYTE_3 src1_sel:DWORD
	s_mov_b64 s[4:5], 0
                                        ; implicit-def: $sgpr10
	s_and_saveexec_b64 s[8:9], s[6:7]
	s_xor_b64 s[6:7], exec, s[8:9]
	s_cbranch_execnz .LBB14_2109
; %bb.61:
	s_or_saveexec_b64 s[6:7], s[6:7]
	v_mov_b32_e32 v6, s10
	s_xor_b64 exec, exec, s[6:7]
	s_cbranch_execnz .LBB14_2112
.LBB14_62:
	s_or_b64 exec, exec, s[6:7]
	s_and_saveexec_b64 s[6:7], s[4:5]
	s_cbranch_execz .LBB14_64
.LBB14_63:
	v_bfe_u32 v6, v3, 24, 3
	v_ffbh_u32_e32 v14, v6
	v_min_u32_e32 v14, 32, v14
	v_lshrrev_b32_e32 v12, 27, v3
	v_subrev_u32_e32 v15, 28, v14
	v_and_b32_e32 v7, 0x80000000, v3
	v_and_b32_e32 v12, 15, v12
	v_bfe_u32 v13, v3, 27, 4
	v_lshlrev_b32_sdwa v3, v15, v3 dst_sel:DWORD dst_unused:UNUSED_PAD src0_sel:DWORD src1_sel:BYTE_3
	v_sub_u32_e32 v14, 29, v14
	v_and_b32_e32 v3, 7, v3
	v_cmp_eq_u16_e32 vcc, 0, v12
	v_cndmask_b32_e32 v3, v6, v3, vcc
	v_cndmask_b32_e32 v6, v13, v14, vcc
	v_mov_b32_e32 v12, 0x3b800000
	v_lshlrev_b32_e32 v3, 20, v3
	v_lshl_add_u32 v6, v6, 23, v12
	v_or3_b32 v6, v7, v6, v3
.LBB14_64:
	s_or_b64 exec, exec, s[6:7]
	s_nop 0
	v_mfma_f32_16x16x4f32 a[0:3], v2, v6, a[0:3]
	s_movk_i32 s4, 0x7f
	v_cmp_gt_i16_sdwa s[6:7], v8, s4 src0_sel:BYTE_0 src1_sel:DWORD
	s_mov_b64 s[4:5], 0
                                        ; implicit-def: $sgpr10
	s_and_saveexec_b64 s[8:9], s[6:7]
	s_xor_b64 s[6:7], exec, s[8:9]
	s_cbranch_execnz .LBB14_2113
; %bb.65:
	s_or_saveexec_b64 s[6:7], s[6:7]
	v_mov_b32_e32 v2, s10
	s_xor_b64 exec, exec, s[6:7]
	s_cbranch_execnz .LBB14_2116
.LBB14_66:
	s_or_b64 exec, exec, s[6:7]
	s_and_saveexec_b64 s[6:7], s[4:5]
	s_cbranch_execz .LBB14_68
.LBB14_67:
	v_and_b32_e32 v2, 7, v8
	v_ffbh_u32_e32 v6, v2
	v_min_u32_e32 v6, 32, v6
	v_lshrrev_b16_e32 v3, 3, v8
	v_subrev_u32_e32 v7, 28, v6
	v_and_b32_e32 v3, 15, v3
	v_lshlrev_b32_e32 v7, v7, v8
	v_sub_u32_e32 v6, 29, v6
	v_and_b32_e32 v7, 7, v7
	v_cmp_eq_u16_e32 vcc, 0, v3
	v_cndmask_b32_e32 v2, v2, v7, vcc
	v_cndmask_b32_e32 v3, v3, v6, vcc
	v_lshlrev_b32_e32 v6, 24, v8
	v_mov_b32_e32 v7, 0x3b800000
	v_lshlrev_b32_e32 v2, 20, v2
	v_and_b32_e32 v6, 0x80000000, v6
	v_lshl_add_u32 v3, v3, 23, v7
	v_or3_b32 v2, v6, v3, v2
.LBB14_68:
	s_or_b64 exec, exec, s[6:7]
	s_movk_i32 s4, 0x7f
	v_cmp_gt_i16_sdwa s[6:7], v4, s4 src0_sel:BYTE_0 src1_sel:DWORD
	s_mov_b64 s[4:5], 0
                                        ; implicit-def: $sgpr10
	s_and_saveexec_b64 s[8:9], s[6:7]
	s_xor_b64 s[6:7], exec, s[8:9]
	s_cbranch_execnz .LBB14_2117
; %bb.69:
	s_or_saveexec_b64 s[6:7], s[6:7]
	v_mov_b32_e32 v3, s10
	s_xor_b64 exec, exec, s[6:7]
	s_cbranch_execnz .LBB14_2120
.LBB14_70:
	s_or_b64 exec, exec, s[6:7]
	s_and_saveexec_b64 s[6:7], s[4:5]
	s_cbranch_execz .LBB14_72
.LBB14_71:
	v_and_b32_e32 v3, 7, v4
	v_ffbh_u32_e32 v7, v3
	v_min_u32_e32 v7, 32, v7
	v_lshrrev_b16_e32 v6, 3, v4
	v_subrev_u32_e32 v12, 28, v7
	v_and_b32_e32 v6, 15, v6
	v_lshlrev_b32_e32 v12, v12, v4
	v_sub_u32_e32 v7, 29, v7
	v_and_b32_e32 v12, 7, v12
	v_cmp_eq_u16_e32 vcc, 0, v6
	v_cndmask_b32_e32 v3, v3, v12, vcc
	v_cndmask_b32_e32 v6, v6, v7, vcc
	v_lshlrev_b32_e32 v7, 24, v4
	v_mov_b32_e32 v12, 0x3b800000
	v_lshlrev_b32_e32 v3, 20, v3
	v_and_b32_e32 v7, 0x80000000, v7
	v_lshl_add_u32 v6, v6, 23, v12
	v_or3_b32 v3, v7, v6, v3
.LBB14_72:
	s_or_b64 exec, exec, s[6:7]
	s_nop 0
	v_mfma_f32_16x16x4f32 a[0:3], v2, v3, a[0:3]
	v_lshrrev_b32_e32 v3, 8, v8
	s_movk_i32 s4, 0x7f
	v_cmp_gt_i16_sdwa s[6:7], v3, s4 src0_sel:BYTE_0 src1_sel:DWORD
	s_mov_b64 s[4:5], 0
                                        ; implicit-def: $sgpr10
	s_and_saveexec_b64 s[8:9], s[6:7]
	s_xor_b64 s[6:7], exec, s[8:9]
	s_cbranch_execnz .LBB14_2121
; %bb.73:
	s_or_saveexec_b64 s[6:7], s[6:7]
	v_mov_b32_e32 v2, s10
	s_xor_b64 exec, exec, s[6:7]
	s_cbranch_execnz .LBB14_2124
.LBB14_74:
	s_or_b64 exec, exec, s[6:7]
	s_and_saveexec_b64 s[6:7], s[4:5]
	s_cbranch_execz .LBB14_76
.LBB14_75:
	v_bfe_u32 v2, v8, 8, 3
	v_ffbh_u32_e32 v7, v2
	v_min_u32_e32 v7, 32, v7
	v_lshrrev_b16_e32 v6, 3, v3
	v_subrev_u32_e32 v12, 28, v7
	v_and_b32_e32 v6, 15, v6
	v_lshlrev_b32_e32 v3, v12, v3
	v_sub_u32_e32 v7, 29, v7
	v_and_b32_e32 v3, 7, v3
	v_cmp_eq_u16_e32 vcc, 0, v6
	v_cndmask_b32_e32 v2, v2, v3, vcc
	v_cndmask_b32_e32 v3, v6, v7, vcc
	v_lshlrev_b32_e32 v6, 16, v8
	v_mov_b32_e32 v7, 0x3b800000
	v_lshlrev_b32_e32 v2, 20, v2
	v_and_b32_e32 v6, 0x80000000, v6
	v_lshl_add_u32 v3, v3, 23, v7
	v_or3_b32 v2, v6, v3, v2
.LBB14_76:
	s_or_b64 exec, exec, s[6:7]
	v_lshrrev_b32_e32 v3, 8, v4
	s_movk_i32 s4, 0x7f
	v_cmp_gt_i16_sdwa s[6:7], v3, s4 src0_sel:BYTE_0 src1_sel:DWORD
	s_mov_b64 s[4:5], 0
                                        ; implicit-def: $sgpr10
	s_and_saveexec_b64 s[8:9], s[6:7]
	s_xor_b64 s[6:7], exec, s[8:9]
	s_cbranch_execnz .LBB14_2125
; %bb.77:
	s_or_saveexec_b64 s[6:7], s[6:7]
	v_mov_b32_e32 v6, s10
	s_xor_b64 exec, exec, s[6:7]
	s_cbranch_execnz .LBB14_2128
.LBB14_78:
	s_or_b64 exec, exec, s[6:7]
	s_and_saveexec_b64 s[6:7], s[4:5]
	s_cbranch_execz .LBB14_80
.LBB14_79:
	v_bfe_u32 v6, v4, 8, 3
	v_ffbh_u32_e32 v12, v6
	v_min_u32_e32 v12, 32, v12
	v_lshrrev_b16_e32 v7, 3, v3
	v_subrev_u32_e32 v13, 28, v12
	v_and_b32_e32 v7, 15, v7
	v_lshlrev_b32_e32 v3, v13, v3
	v_sub_u32_e32 v12, 29, v12
	v_and_b32_e32 v3, 7, v3
	v_cmp_eq_u16_e32 vcc, 0, v7
	v_cndmask_b32_e32 v3, v6, v3, vcc
	v_cndmask_b32_e32 v6, v7, v12, vcc
	v_lshlrev_b32_e32 v7, 16, v4
	v_mov_b32_e32 v12, 0x3b800000
	v_lshlrev_b32_e32 v3, 20, v3
	v_and_b32_e32 v7, 0x80000000, v7
	v_lshl_add_u32 v6, v6, 23, v12
	v_or3_b32 v6, v7, v6, v3
.LBB14_80:
	s_or_b64 exec, exec, s[6:7]
	s_nop 0
	v_mfma_f32_16x16x4f32 a[0:3], v2, v6, a[0:3]
	s_movk_i32 s4, 0xff
	v_and_b32_sdwa v3, v8, s4 dst_sel:DWORD dst_unused:UNUSED_PAD src0_sel:WORD_1 src1_sel:DWORD
	s_movk_i32 s4, 0x7f
	v_cmp_lt_i16_e32 vcc, s4, v3
	s_mov_b64 s[4:5], 0
                                        ; implicit-def: $sgpr10
	s_and_saveexec_b64 s[6:7], vcc
	s_xor_b64 s[6:7], exec, s[6:7]
	s_cbranch_execnz .LBB14_2129
; %bb.81:
	s_or_saveexec_b64 s[6:7], s[6:7]
	v_mov_b32_e32 v2, s10
	s_xor_b64 exec, exec, s[6:7]
	s_cbranch_execnz .LBB14_2132
.LBB14_82:
	s_or_b64 exec, exec, s[6:7]
	s_and_saveexec_b64 s[6:7], s[4:5]
	s_cbranch_execz .LBB14_84
.LBB14_83:
	v_bfe_u32 v2, v8, 16, 3
	v_ffbh_u32_e32 v7, v2
	v_min_u32_e32 v7, 32, v7
	v_lshrrev_b32_e32 v3, 19, v8
	v_subrev_u32_e32 v12, 28, v7
	v_and_b32_e32 v3, 15, v3
	v_lshlrev_b32_sdwa v12, v12, v8 dst_sel:DWORD dst_unused:UNUSED_PAD src0_sel:DWORD src1_sel:WORD_1
	v_bfe_u32 v6, v8, 19, 4
	v_sub_u32_e32 v7, 29, v7
	v_and_b32_e32 v12, 7, v12
	v_cmp_eq_u16_e32 vcc, 0, v3
	v_cndmask_b32_e32 v2, v2, v12, vcc
	v_cndmask_b32_e32 v3, v6, v7, vcc
	v_lshlrev_b32_e32 v6, 8, v8
	v_mov_b32_e32 v7, 0x3b800000
	v_lshlrev_b32_e32 v2, 20, v2
	v_and_b32_e32 v6, 0x80000000, v6
	v_lshl_add_u32 v3, v3, 23, v7
	v_or3_b32 v2, v6, v3, v2
.LBB14_84:
	s_or_b64 exec, exec, s[6:7]
	s_movk_i32 s4, 0xff
	v_and_b32_sdwa v3, v4, s4 dst_sel:DWORD dst_unused:UNUSED_PAD src0_sel:WORD_1 src1_sel:DWORD
	s_movk_i32 s4, 0x7f
	v_cmp_lt_i16_e32 vcc, s4, v3
	s_mov_b64 s[4:5], 0
                                        ; implicit-def: $sgpr10
	s_and_saveexec_b64 s[6:7], vcc
	s_xor_b64 s[6:7], exec, s[6:7]
	s_cbranch_execnz .LBB14_2133
; %bb.85:
	s_or_saveexec_b64 s[6:7], s[6:7]
	v_mov_b32_e32 v6, s10
	s_xor_b64 exec, exec, s[6:7]
	s_cbranch_execnz .LBB14_2136
.LBB14_86:
	s_or_b64 exec, exec, s[6:7]
	s_and_saveexec_b64 s[6:7], s[4:5]
	s_cbranch_execz .LBB14_88
.LBB14_87:
	v_bfe_u32 v3, v4, 16, 3
	v_ffbh_u32_e32 v12, v3
	v_min_u32_e32 v12, 32, v12
	v_lshrrev_b32_e32 v6, 19, v4
	v_subrev_u32_e32 v13, 28, v12
	v_and_b32_e32 v6, 15, v6
	v_lshlrev_b32_sdwa v13, v13, v4 dst_sel:DWORD dst_unused:UNUSED_PAD src0_sel:DWORD src1_sel:WORD_1
	v_bfe_u32 v7, v4, 19, 4
	v_sub_u32_e32 v12, 29, v12
	v_and_b32_e32 v13, 7, v13
	v_cmp_eq_u16_e32 vcc, 0, v6
	v_cndmask_b32_e32 v3, v3, v13, vcc
	v_cndmask_b32_e32 v6, v7, v12, vcc
	v_lshlrev_b32_e32 v7, 8, v4
	v_mov_b32_e32 v12, 0x3b800000
	v_lshlrev_b32_e32 v3, 20, v3
	v_and_b32_e32 v7, 0x80000000, v7
	v_lshl_add_u32 v6, v6, 23, v12
	v_or3_b32 v6, v7, v6, v3
.LBB14_88:
	s_or_b64 exec, exec, s[6:7]
	s_nop 0
	v_mfma_f32_16x16x4f32 a[0:3], v2, v6, a[0:3]
	s_movk_i32 s4, 0x7f
	v_cmp_gt_i16_sdwa s[6:7], v8, s4 src0_sel:BYTE_3 src1_sel:DWORD
	s_mov_b64 s[4:5], 0
                                        ; implicit-def: $sgpr10
	s_and_saveexec_b64 s[8:9], s[6:7]
	s_xor_b64 s[6:7], exec, s[8:9]
	s_cbranch_execnz .LBB14_2137
; %bb.89:
	s_or_saveexec_b64 s[6:7], s[6:7]
	v_mov_b32_e32 v2, s10
	s_xor_b64 exec, exec, s[6:7]
	s_cbranch_execnz .LBB14_2140
.LBB14_90:
	s_or_b64 exec, exec, s[6:7]
	s_and_saveexec_b64 s[6:7], s[4:5]
	s_cbranch_execz .LBB14_92
.LBB14_91:
	v_bfe_u32 v2, v8, 24, 3
	v_ffbh_u32_e32 v12, v2
	v_min_u32_e32 v12, 32, v12
	v_lshrrev_b32_e32 v6, 27, v8
	v_subrev_u32_e32 v13, 28, v12
	v_and_b32_e32 v3, 0x80000000, v8
	v_and_b32_e32 v6, 15, v6
	v_bfe_u32 v7, v8, 27, 4
	v_lshlrev_b32_sdwa v8, v13, v8 dst_sel:DWORD dst_unused:UNUSED_PAD src0_sel:DWORD src1_sel:BYTE_3
	v_sub_u32_e32 v12, 29, v12
	v_and_b32_e32 v8, 7, v8
	v_cmp_eq_u16_e32 vcc, 0, v6
	v_cndmask_b32_e32 v2, v2, v8, vcc
	v_cndmask_b32_e32 v6, v7, v12, vcc
	v_mov_b32_e32 v7, 0x3b800000
	v_lshlrev_b32_e32 v2, 20, v2
	v_lshl_add_u32 v6, v6, 23, v7
	v_or3_b32 v2, v3, v6, v2
.LBB14_92:
	s_or_b64 exec, exec, s[6:7]
	s_movk_i32 s4, 0x7f
	v_cmp_gt_i16_sdwa s[6:7], v4, s4 src0_sel:BYTE_3 src1_sel:DWORD
	s_mov_b64 s[4:5], 0
                                        ; implicit-def: $sgpr10
	s_and_saveexec_b64 s[8:9], s[6:7]
	s_xor_b64 s[6:7], exec, s[8:9]
	s_cbranch_execnz .LBB14_2141
; %bb.93:
	s_or_saveexec_b64 s[6:7], s[6:7]
	v_mov_b32_e32 v3, s10
	s_xor_b64 exec, exec, s[6:7]
	s_cbranch_execnz .LBB14_2144
.LBB14_94:
	s_or_b64 exec, exec, s[6:7]
	s_and_saveexec_b64 s[6:7], s[4:5]
	s_cbranch_execz .LBB14_96
.LBB14_95:
	v_bfe_u32 v3, v4, 24, 3
	v_ffbh_u32_e32 v12, v3
	v_min_u32_e32 v12, 32, v12
	v_lshrrev_b32_e32 v7, 27, v4
	v_subrev_u32_e32 v13, 28, v12
	v_and_b32_e32 v6, 0x80000000, v4
	v_and_b32_e32 v7, 15, v7
	v_bfe_u32 v8, v4, 27, 4
	v_lshlrev_b32_sdwa v4, v13, v4 dst_sel:DWORD dst_unused:UNUSED_PAD src0_sel:DWORD src1_sel:BYTE_3
	v_sub_u32_e32 v12, 29, v12
	v_and_b32_e32 v4, 7, v4
	v_cmp_eq_u16_e32 vcc, 0, v7
	v_cndmask_b32_e32 v3, v3, v4, vcc
	v_cndmask_b32_e32 v4, v8, v12, vcc
	v_mov_b32_e32 v7, 0x3b800000
	v_lshlrev_b32_e32 v3, 20, v3
	v_lshl_add_u32 v4, v4, 23, v7
	v_or3_b32 v3, v6, v4, v3
.LBB14_96:
	s_or_b64 exec, exec, s[6:7]
	s_nop 0
	v_mfma_f32_16x16x4f32 a[0:3], v2, v3, a[0:3]
	s_movk_i32 s4, 0x7f
	v_cmp_gt_i16_sdwa s[6:7], v9, s4 src0_sel:BYTE_0 src1_sel:DWORD
	s_mov_b64 s[4:5], 0
                                        ; implicit-def: $sgpr10
	s_and_saveexec_b64 s[8:9], s[6:7]
	s_xor_b64 s[6:7], exec, s[8:9]
	s_cbranch_execnz .LBB14_2145
; %bb.97:
	s_or_saveexec_b64 s[6:7], s[6:7]
	v_mov_b32_e32 v2, s10
	s_xor_b64 exec, exec, s[6:7]
	s_cbranch_execnz .LBB14_2148
.LBB14_98:
	s_or_b64 exec, exec, s[6:7]
	s_and_saveexec_b64 s[6:7], s[4:5]
	s_cbranch_execz .LBB14_100
.LBB14_99:
	v_mov_b32_e32 v2, 8
	v_and_b32_e32 v3, 7, v9
	v_lshrrev_b32_sdwa v2, v2, v9 dst_sel:BYTE_1 dst_unused:UNUSED_PAD src0_sel:DWORD src1_sel:DWORD
	v_ffbh_u32_e32 v4, v3
	v_or_b32_sdwa v2, v9, v2 dst_sel:DWORD dst_unused:UNUSED_PAD src0_sel:BYTE_0 src1_sel:DWORD
	v_min_u32_e32 v4, 32, v4
	v_lshrrev_b16_e32 v2, 3, v2
	v_subrev_u32_e32 v6, 28, v4
	v_and_b32_e32 v2, 15, v2
	v_lshlrev_b32_e32 v6, v6, v9
	v_sub_u32_e32 v4, 29, v4
	v_and_b32_e32 v6, 7, v6
	v_cmp_eq_u16_e32 vcc, 0, v2
	v_cndmask_b32_e32 v3, v3, v6, vcc
	v_cndmask_b32_e32 v2, v2, v4, vcc
	v_lshlrev_b32_e32 v4, 24, v9
	v_mov_b32_e32 v6, 0x3b800000
	v_lshlrev_b32_e32 v3, 20, v3
	v_and_b32_e32 v4, 0x80000000, v4
	v_lshl_add_u32 v2, v2, 23, v6
	v_or3_b32 v2, v4, v2, v3
.LBB14_100:
	s_or_b64 exec, exec, s[6:7]
	s_movk_i32 s4, 0x7f
	v_cmp_gt_i16_sdwa s[6:7], v5, s4 src0_sel:BYTE_0 src1_sel:DWORD
	s_mov_b64 s[4:5], 0
                                        ; implicit-def: $sgpr10
	s_and_saveexec_b64 s[8:9], s[6:7]
	s_xor_b64 s[6:7], exec, s[8:9]
	s_cbranch_execnz .LBB14_2149
; %bb.101:
	s_or_saveexec_b64 s[6:7], s[6:7]
	v_mov_b32_e32 v3, s10
	s_xor_b64 exec, exec, s[6:7]
	s_cbranch_execnz .LBB14_2152
.LBB14_102:
	s_or_b64 exec, exec, s[6:7]
	s_and_saveexec_b64 s[6:7], s[4:5]
	s_cbranch_execz .LBB14_104
.LBB14_103:
	v_mov_b32_e32 v3, 8
	v_and_b32_e32 v4, 7, v5
	v_lshrrev_b32_sdwa v3, v3, v5 dst_sel:BYTE_1 dst_unused:UNUSED_PAD src0_sel:DWORD src1_sel:DWORD
	v_ffbh_u32_e32 v6, v4
	v_or_b32_sdwa v3, v5, v3 dst_sel:DWORD dst_unused:UNUSED_PAD src0_sel:BYTE_0 src1_sel:DWORD
	v_min_u32_e32 v6, 32, v6
	v_lshrrev_b16_e32 v3, 3, v3
	v_subrev_u32_e32 v7, 28, v6
	v_and_b32_e32 v3, 15, v3
	v_lshlrev_b32_e32 v7, v7, v5
	v_sub_u32_e32 v6, 29, v6
	v_and_b32_e32 v7, 7, v7
	v_cmp_eq_u16_e32 vcc, 0, v3
	v_cndmask_b32_e32 v4, v4, v7, vcc
	v_cndmask_b32_e32 v3, v3, v6, vcc
	v_lshlrev_b32_e32 v6, 24, v5
	v_mov_b32_e32 v7, 0x3b800000
	v_lshlrev_b32_e32 v4, 20, v4
	v_and_b32_e32 v6, 0x80000000, v6
	v_lshl_add_u32 v3, v3, 23, v7
	v_or3_b32 v3, v6, v3, v4
.LBB14_104:
	s_or_b64 exec, exec, s[6:7]
	s_nop 0
	v_mfma_f32_16x16x4f32 a[0:3], v2, v3, a[0:3]
	v_lshrrev_b32_e32 v3, 8, v9
	s_movk_i32 s4, 0x7f
	v_cmp_gt_i16_sdwa s[6:7], v3, s4 src0_sel:BYTE_0 src1_sel:DWORD
	s_mov_b64 s[4:5], 0
                                        ; implicit-def: $sgpr10
	s_and_saveexec_b64 s[8:9], s[6:7]
	s_xor_b64 s[6:7], exec, s[8:9]
	s_cbranch_execnz .LBB14_2153
; %bb.105:
	s_or_saveexec_b64 s[6:7], s[6:7]
	v_mov_b32_e32 v2, s10
	s_xor_b64 exec, exec, s[6:7]
	s_cbranch_execnz .LBB14_2156
.LBB14_106:
	s_or_b64 exec, exec, s[6:7]
	s_and_saveexec_b64 s[6:7], s[4:5]
	s_cbranch_execz .LBB14_108
.LBB14_107:
	v_bfe_u32 v2, v9, 8, 3
	v_ffbh_u32_e32 v6, v2
	v_min_u32_e32 v6, 32, v6
	v_lshrrev_b16_e32 v4, 3, v3
	v_subrev_u32_e32 v7, 28, v6
	v_and_b32_e32 v4, 15, v4
	v_lshlrev_b32_e32 v3, v7, v3
	v_sub_u32_e32 v6, 29, v6
	v_and_b32_e32 v3, 7, v3
	v_cmp_eq_u16_e32 vcc, 0, v4
	v_cndmask_b32_e32 v2, v2, v3, vcc
	v_cndmask_b32_e32 v3, v4, v6, vcc
	v_lshlrev_b32_e32 v4, 16, v9
	v_mov_b32_e32 v6, 0x3b800000
	v_lshlrev_b32_e32 v2, 20, v2
	v_and_b32_e32 v4, 0x80000000, v4
	v_lshl_add_u32 v3, v3, 23, v6
	v_or3_b32 v2, v4, v3, v2
.LBB14_108:
	s_or_b64 exec, exec, s[6:7]
	v_lshrrev_b32_e32 v3, 8, v5
	s_movk_i32 s4, 0x7f
	v_cmp_gt_i16_sdwa s[6:7], v3, s4 src0_sel:BYTE_0 src1_sel:DWORD
	s_mov_b64 s[4:5], 0
                                        ; implicit-def: $sgpr10
	s_and_saveexec_b64 s[8:9], s[6:7]
	s_xor_b64 s[6:7], exec, s[8:9]
	s_cbranch_execnz .LBB14_2157
; %bb.109:
	s_or_saveexec_b64 s[6:7], s[6:7]
	v_mov_b32_e32 v4, s10
	s_xor_b64 exec, exec, s[6:7]
	s_cbranch_execnz .LBB14_2160
.LBB14_110:
	s_or_b64 exec, exec, s[6:7]
	s_and_saveexec_b64 s[6:7], s[4:5]
	s_cbranch_execz .LBB14_112
.LBB14_111:
	v_bfe_u32 v4, v5, 8, 3
	v_ffbh_u32_e32 v7, v4
	v_min_u32_e32 v7, 32, v7
	v_lshrrev_b16_e32 v6, 3, v3
	v_subrev_u32_e32 v8, 28, v7
	v_and_b32_e32 v6, 15, v6
	v_lshlrev_b32_e32 v3, v8, v3
	v_sub_u32_e32 v7, 29, v7
	v_and_b32_e32 v3, 7, v3
	v_cmp_eq_u16_e32 vcc, 0, v6
	v_cndmask_b32_e32 v3, v4, v3, vcc
	v_cndmask_b32_e32 v4, v6, v7, vcc
	v_lshlrev_b32_e32 v6, 16, v5
	v_mov_b32_e32 v7, 0x3b800000
	v_lshlrev_b32_e32 v3, 20, v3
	v_and_b32_e32 v6, 0x80000000, v6
	v_lshl_add_u32 v4, v4, 23, v7
	v_or3_b32 v4, v6, v4, v3
.LBB14_112:
	s_or_b64 exec, exec, s[6:7]
	s_nop 0
	v_mfma_f32_16x16x4f32 a[0:3], v2, v4, a[0:3]
	s_movk_i32 s4, 0xff
	v_and_b32_sdwa v3, v9, s4 dst_sel:DWORD dst_unused:UNUSED_PAD src0_sel:WORD_1 src1_sel:DWORD
	s_movk_i32 s4, 0x7f
	v_cmp_lt_i16_e32 vcc, s4, v3
	s_mov_b64 s[4:5], 0
                                        ; implicit-def: $sgpr10
	s_and_saveexec_b64 s[6:7], vcc
	s_xor_b64 s[6:7], exec, s[6:7]
	s_cbranch_execnz .LBB14_2161
; %bb.113:
	s_or_saveexec_b64 s[6:7], s[6:7]
	v_mov_b32_e32 v2, s10
	s_xor_b64 exec, exec, s[6:7]
	s_cbranch_execnz .LBB14_2164
.LBB14_114:
	s_or_b64 exec, exec, s[6:7]
	s_and_saveexec_b64 s[6:7], s[4:5]
	s_cbranch_execz .LBB14_116
.LBB14_115:
	v_bfe_u32 v2, v9, 16, 3
	v_ffbh_u32_e32 v6, v2
	v_min_u32_e32 v6, 32, v6
	v_lshrrev_b32_e32 v3, 19, v9
	v_subrev_u32_e32 v7, 28, v6
	v_and_b32_e32 v3, 15, v3
	v_lshlrev_b32_sdwa v7, v7, v9 dst_sel:DWORD dst_unused:UNUSED_PAD src0_sel:DWORD src1_sel:WORD_1
	v_bfe_u32 v4, v9, 19, 4
	v_sub_u32_e32 v6, 29, v6
	v_and_b32_e32 v7, 7, v7
	v_cmp_eq_u16_e32 vcc, 0, v3
	v_cndmask_b32_e32 v2, v2, v7, vcc
	v_cndmask_b32_e32 v3, v4, v6, vcc
	v_lshlrev_b32_e32 v4, 8, v9
	v_mov_b32_e32 v6, 0x3b800000
	v_lshlrev_b32_e32 v2, 20, v2
	v_and_b32_e32 v4, 0x80000000, v4
	v_lshl_add_u32 v3, v3, 23, v6
	v_or3_b32 v2, v4, v3, v2
.LBB14_116:
	s_or_b64 exec, exec, s[6:7]
	s_movk_i32 s4, 0xff
	v_and_b32_sdwa v3, v5, s4 dst_sel:DWORD dst_unused:UNUSED_PAD src0_sel:WORD_1 src1_sel:DWORD
	s_movk_i32 s4, 0x7f
	v_cmp_lt_i16_e32 vcc, s4, v3
	s_mov_b64 s[4:5], 0
                                        ; implicit-def: $sgpr10
	s_and_saveexec_b64 s[6:7], vcc
	s_xor_b64 s[6:7], exec, s[6:7]
	s_cbranch_execnz .LBB14_2165
; %bb.117:
	s_or_saveexec_b64 s[6:7], s[6:7]
	v_mov_b32_e32 v4, s10
	s_xor_b64 exec, exec, s[6:7]
	s_cbranch_execnz .LBB14_2168
.LBB14_118:
	s_or_b64 exec, exec, s[6:7]
	s_and_saveexec_b64 s[6:7], s[4:5]
	s_cbranch_execz .LBB14_120
.LBB14_119:
	v_bfe_u32 v3, v5, 16, 3
	v_ffbh_u32_e32 v7, v3
	v_min_u32_e32 v7, 32, v7
	v_lshrrev_b32_e32 v4, 19, v5
	v_subrev_u32_e32 v8, 28, v7
	v_and_b32_e32 v4, 15, v4
	v_lshlrev_b32_sdwa v8, v8, v5 dst_sel:DWORD dst_unused:UNUSED_PAD src0_sel:DWORD src1_sel:WORD_1
	v_bfe_u32 v6, v5, 19, 4
	v_sub_u32_e32 v7, 29, v7
	v_and_b32_e32 v8, 7, v8
	v_cmp_eq_u16_e32 vcc, 0, v4
	v_cndmask_b32_e32 v3, v3, v8, vcc
	v_cndmask_b32_e32 v4, v6, v7, vcc
	v_lshlrev_b32_e32 v6, 8, v5
	v_mov_b32_e32 v7, 0x3b800000
	v_lshlrev_b32_e32 v3, 20, v3
	v_and_b32_e32 v6, 0x80000000, v6
	v_lshl_add_u32 v4, v4, 23, v7
	v_or3_b32 v4, v6, v4, v3
.LBB14_120:
	s_or_b64 exec, exec, s[6:7]
	s_nop 0
	v_mfma_f32_16x16x4f32 a[0:3], v2, v4, a[0:3]
	s_movk_i32 s4, 0x7f
	v_cmp_gt_i16_sdwa s[6:7], v9, s4 src0_sel:BYTE_3 src1_sel:DWORD
	s_mov_b64 s[4:5], 0
                                        ; implicit-def: $sgpr10
	s_and_saveexec_b64 s[8:9], s[6:7]
	s_xor_b64 s[6:7], exec, s[8:9]
	s_cbranch_execnz .LBB14_2169
; %bb.121:
	s_or_saveexec_b64 s[6:7], s[6:7]
	v_mov_b32_e32 v2, s10
	s_xor_b64 exec, exec, s[6:7]
	s_cbranch_execnz .LBB14_2172
.LBB14_122:
	s_or_b64 exec, exec, s[6:7]
	s_and_saveexec_b64 s[6:7], s[4:5]
	s_cbranch_execz .LBB14_124
.LBB14_123:
	v_bfe_u32 v2, v9, 24, 3
	v_ffbh_u32_e32 v7, v2
	v_min_u32_e32 v7, 32, v7
	v_lshrrev_b32_e32 v4, 27, v9
	v_subrev_u32_e32 v8, 28, v7
	v_and_b32_e32 v4, 15, v4
	v_lshlrev_b32_sdwa v8, v8, v9 dst_sel:DWORD dst_unused:UNUSED_PAD src0_sel:DWORD src1_sel:BYTE_3
	v_bfe_u32 v6, v9, 27, 4
	v_sub_u32_e32 v7, 29, v7
	v_and_b32_e32 v8, 7, v8
	v_cmp_eq_u16_e32 vcc, 0, v4
	v_cndmask_b32_e32 v2, v2, v8, vcc
	v_cndmask_b32_e32 v4, v6, v7, vcc
	v_mov_b32_e32 v6, 0x3b800000
	v_and_b32_e32 v3, 0x80000000, v9
	v_lshlrev_b32_e32 v2, 20, v2
	v_lshl_add_u32 v4, v4, 23, v6
	v_or3_b32 v2, v3, v4, v2
.LBB14_124:
	s_or_b64 exec, exec, s[6:7]
	s_movk_i32 s4, 0x7f
	v_cmp_gt_i16_sdwa s[6:7], v5, s4 src0_sel:BYTE_3 src1_sel:DWORD
	s_mov_b64 s[4:5], 0
                                        ; implicit-def: $sgpr10
	s_and_saveexec_b64 s[8:9], s[6:7]
	s_xor_b64 s[6:7], exec, s[8:9]
	s_cbranch_execnz .LBB14_2173
; %bb.125:
	s_or_saveexec_b64 s[6:7], s[6:7]
	v_mov_b32_e32 v3, s10
	s_xor_b64 exec, exec, s[6:7]
	s_cbranch_execnz .LBB14_2176
.LBB14_126:
	s_or_b64 exec, exec, s[6:7]
	s_and_saveexec_b64 s[6:7], s[4:5]
	s_cbranch_execz .LBB14_128
.LBB14_127:
	v_bfe_u32 v3, v5, 24, 3
	v_ffbh_u32_e32 v8, v3
	v_min_u32_e32 v8, 32, v8
	v_lshrrev_b32_e32 v6, 27, v5
	v_subrev_u32_e32 v9, 28, v8
	v_and_b32_e32 v4, 0x80000000, v5
	v_and_b32_e32 v6, 15, v6
	v_bfe_u32 v7, v5, 27, 4
	v_lshlrev_b32_sdwa v5, v9, v5 dst_sel:DWORD dst_unused:UNUSED_PAD src0_sel:DWORD src1_sel:BYTE_3
	v_sub_u32_e32 v8, 29, v8
	v_and_b32_e32 v5, 7, v5
	v_cmp_eq_u16_e32 vcc, 0, v6
	v_cndmask_b32_e32 v3, v3, v5, vcc
	v_cndmask_b32_e32 v5, v7, v8, vcc
	v_mov_b32_e32 v6, 0x3b800000
	v_lshlrev_b32_e32 v3, 20, v3
	v_lshl_add_u32 v5, v5, 23, v6
	v_or3_b32 v3, v4, v5, v3
.LBB14_128:
	s_or_b64 exec, exec, s[6:7]
	s_nop 0
	v_mfma_f32_16x16x4f32 a[0:3], v2, v3, a[0:3]
	s_nop 7
	s_nop 2
	flat_store_dwordx4 v[10:11], a[0:3]
	; sched_barrier mask(0x00000000)
	s_setprio 1
	; sched_barrier mask(0x00000000)
	flat_load_dwordx4 v[12:15], v[0:1] offset:8
	flat_load_dwordx2 v[10:11], v[0:1] offset:32
	s_movk_i32 s4, 0x7f
                                        ; implicit-def: $sgpr10
	s_waitcnt vmcnt(0) lgkmcnt(0)
	flat_load_dwordx4 v[6:9], v[12:13]
	flat_load_dwordx4 v[2:5], v[14:15] offset:32
	s_waitcnt vmcnt(0) lgkmcnt(0)
	v_cmp_gt_i16_sdwa s[6:7], v6, s4 src0_sel:BYTE_0 src1_sel:DWORD
	s_mov_b64 s[4:5], 0
	s_and_saveexec_b64 s[8:9], s[6:7]
	s_xor_b64 s[6:7], exec, s[8:9]
	s_cbranch_execnz .LBB14_2177
; %bb.129:
	s_or_saveexec_b64 s[6:7], s[6:7]
	v_mov_b32_e32 v12, s10
	s_xor_b64 exec, exec, s[6:7]
	s_cbranch_execnz .LBB14_2180
.LBB14_130:
	s_or_b64 exec, exec, s[6:7]
	s_and_saveexec_b64 s[6:7], s[4:5]
	s_cbranch_execz .LBB14_132
.LBB14_131:
	v_and_b32_e32 v12, 7, v6
	v_ffbh_u32_e32 v14, v12
	v_min_u32_e32 v14, 32, v14
	v_lshrrev_b16_e32 v13, 3, v6
	v_subrev_u32_e32 v15, 28, v14
	v_and_b32_e32 v13, 15, v13
	v_lshlrev_b32_e32 v15, v15, v6
	v_sub_u32_e32 v14, 29, v14
	v_and_b32_e32 v15, 7, v15
	v_cmp_eq_u16_e32 vcc, 0, v13
	v_cndmask_b32_e32 v12, v12, v15, vcc
	v_cndmask_b32_e32 v13, v13, v14, vcc
	v_lshlrev_b32_e32 v14, 24, v6
	v_mov_b32_e32 v15, 0x3b800000
	v_lshlrev_b32_e32 v12, 20, v12
	v_and_b32_e32 v14, 0x80000000, v14
	v_lshl_add_u32 v13, v13, 23, v15
	v_or3_b32 v12, v14, v13, v12
.LBB14_132:
	s_or_b64 exec, exec, s[6:7]
	s_movk_i32 s4, 0x7f
	v_cmp_gt_i16_sdwa s[6:7], v2, s4 src0_sel:BYTE_0 src1_sel:DWORD
	s_mov_b64 s[4:5], 0
                                        ; implicit-def: $sgpr10
	s_and_saveexec_b64 s[8:9], s[6:7]
	s_xor_b64 s[6:7], exec, s[8:9]
	s_cbranch_execnz .LBB14_2181
; %bb.133:
	s_or_saveexec_b64 s[6:7], s[6:7]
	v_mov_b32_e32 v13, s10
	s_xor_b64 exec, exec, s[6:7]
	s_cbranch_execnz .LBB14_2184
.LBB14_134:
	s_or_b64 exec, exec, s[6:7]
	s_and_saveexec_b64 s[6:7], s[4:5]
	s_cbranch_execz .LBB14_136
.LBB14_135:
	v_and_b32_e32 v13, 7, v2
	v_ffbh_u32_e32 v15, v13
	v_min_u32_e32 v15, 32, v15
	v_lshrrev_b16_e32 v14, 3, v2
	v_subrev_u32_e32 v16, 28, v15
	v_and_b32_e32 v14, 15, v14
	v_lshlrev_b32_e32 v16, v16, v2
	v_sub_u32_e32 v15, 29, v15
	v_and_b32_e32 v16, 7, v16
	v_cmp_eq_u16_e32 vcc, 0, v14
	v_cndmask_b32_e32 v13, v13, v16, vcc
	v_cndmask_b32_e32 v14, v14, v15, vcc
	v_lshlrev_b32_e32 v15, 24, v2
	v_mov_b32_e32 v16, 0x3b800000
	v_lshlrev_b32_e32 v13, 20, v13
	v_and_b32_e32 v15, 0x80000000, v15
	v_lshl_add_u32 v14, v14, 23, v16
	v_or3_b32 v13, v15, v14, v13
.LBB14_136:
	s_or_b64 exec, exec, s[6:7]
	flat_load_dwordx4 a[0:3], v[10:11] offset:16
	s_movk_i32 s4, 0x7f
                                        ; implicit-def: $sgpr10
	s_waitcnt vmcnt(0) lgkmcnt(0)
	v_mfma_f32_16x16x4f32 a[0:3], v12, v13, a[0:3]
	v_lshrrev_b32_e32 v13, 8, v6
	v_cmp_gt_i16_sdwa s[6:7], v13, s4 src0_sel:BYTE_0 src1_sel:DWORD
	s_mov_b64 s[4:5], 0
	s_and_saveexec_b64 s[8:9], s[6:7]
	s_xor_b64 s[6:7], exec, s[8:9]
	s_cbranch_execnz .LBB14_2185
; %bb.137:
	s_or_saveexec_b64 s[6:7], s[6:7]
	v_mov_b32_e32 v12, s10
	s_xor_b64 exec, exec, s[6:7]
	s_cbranch_execnz .LBB14_2188
.LBB14_138:
	s_or_b64 exec, exec, s[6:7]
	s_and_saveexec_b64 s[6:7], s[4:5]
	s_cbranch_execz .LBB14_140
.LBB14_139:
	v_bfe_u32 v12, v6, 8, 3
	v_ffbh_u32_e32 v15, v12
	v_min_u32_e32 v15, 32, v15
	v_lshrrev_b16_e32 v14, 3, v13
	v_subrev_u32_e32 v16, 28, v15
	v_and_b32_e32 v14, 15, v14
	v_lshlrev_b32_e32 v13, v16, v13
	v_sub_u32_e32 v15, 29, v15
	v_and_b32_e32 v13, 7, v13
	v_cmp_eq_u16_e32 vcc, 0, v14
	v_cndmask_b32_e32 v12, v12, v13, vcc
	v_cndmask_b32_e32 v13, v14, v15, vcc
	v_lshlrev_b32_e32 v14, 16, v6
	v_mov_b32_e32 v15, 0x3b800000
	v_lshlrev_b32_e32 v12, 20, v12
	v_and_b32_e32 v14, 0x80000000, v14
	v_lshl_add_u32 v13, v13, 23, v15
	v_or3_b32 v12, v14, v13, v12
.LBB14_140:
	s_or_b64 exec, exec, s[6:7]
	v_lshrrev_b32_e32 v13, 8, v2
	s_movk_i32 s4, 0x7f
	v_cmp_gt_i16_sdwa s[6:7], v13, s4 src0_sel:BYTE_0 src1_sel:DWORD
	s_mov_b64 s[4:5], 0
                                        ; implicit-def: $sgpr10
	s_and_saveexec_b64 s[8:9], s[6:7]
	s_xor_b64 s[6:7], exec, s[8:9]
	s_cbranch_execnz .LBB14_2189
; %bb.141:
	s_or_saveexec_b64 s[6:7], s[6:7]
	v_mov_b32_e32 v14, s10
	s_xor_b64 exec, exec, s[6:7]
	s_cbranch_execnz .LBB14_2192
.LBB14_142:
	s_or_b64 exec, exec, s[6:7]
	s_and_saveexec_b64 s[6:7], s[4:5]
	s_cbranch_execz .LBB14_144
.LBB14_143:
	v_bfe_u32 v14, v2, 8, 3
	v_ffbh_u32_e32 v16, v14
	v_min_u32_e32 v16, 32, v16
	v_lshrrev_b16_e32 v15, 3, v13
	v_subrev_u32_e32 v17, 28, v16
	v_and_b32_e32 v15, 15, v15
	v_lshlrev_b32_e32 v13, v17, v13
	v_sub_u32_e32 v16, 29, v16
	v_and_b32_e32 v13, 7, v13
	v_cmp_eq_u16_e32 vcc, 0, v15
	v_cndmask_b32_e32 v13, v14, v13, vcc
	v_cndmask_b32_e32 v14, v15, v16, vcc
	v_lshlrev_b32_e32 v15, 16, v2
	v_mov_b32_e32 v16, 0x3b800000
	v_lshlrev_b32_e32 v13, 20, v13
	v_and_b32_e32 v15, 0x80000000, v15
	v_lshl_add_u32 v14, v14, 23, v16
	v_or3_b32 v14, v15, v14, v13
.LBB14_144:
	s_or_b64 exec, exec, s[6:7]
	s_nop 0
	v_mfma_f32_16x16x4f32 a[0:3], v12, v14, a[0:3]
	s_movk_i32 s4, 0xff
	v_and_b32_sdwa v13, v6, s4 dst_sel:DWORD dst_unused:UNUSED_PAD src0_sel:WORD_1 src1_sel:DWORD
	s_movk_i32 s4, 0x7f
	v_cmp_lt_i16_e32 vcc, s4, v13
	s_mov_b64 s[4:5], 0
                                        ; implicit-def: $sgpr10
	s_and_saveexec_b64 s[6:7], vcc
	s_xor_b64 s[6:7], exec, s[6:7]
	s_cbranch_execnz .LBB14_2193
; %bb.145:
	s_or_saveexec_b64 s[6:7], s[6:7]
	v_mov_b32_e32 v12, s10
	s_xor_b64 exec, exec, s[6:7]
	s_cbranch_execnz .LBB14_2196
.LBB14_146:
	s_or_b64 exec, exec, s[6:7]
	s_and_saveexec_b64 s[6:7], s[4:5]
	s_cbranch_execz .LBB14_148
.LBB14_147:
	v_bfe_u32 v12, v6, 16, 3
	v_ffbh_u32_e32 v15, v12
	v_min_u32_e32 v15, 32, v15
	v_lshrrev_b32_e32 v13, 19, v6
	v_subrev_u32_e32 v16, 28, v15
	v_and_b32_e32 v13, 15, v13
	v_lshlrev_b32_sdwa v16, v16, v6 dst_sel:DWORD dst_unused:UNUSED_PAD src0_sel:DWORD src1_sel:WORD_1
	v_bfe_u32 v14, v6, 19, 4
	v_sub_u32_e32 v15, 29, v15
	v_and_b32_e32 v16, 7, v16
	v_cmp_eq_u16_e32 vcc, 0, v13
	v_cndmask_b32_e32 v12, v12, v16, vcc
	v_cndmask_b32_e32 v13, v14, v15, vcc
	v_lshlrev_b32_e32 v14, 8, v6
	v_mov_b32_e32 v15, 0x3b800000
	v_lshlrev_b32_e32 v12, 20, v12
	v_and_b32_e32 v14, 0x80000000, v14
	v_lshl_add_u32 v13, v13, 23, v15
	v_or3_b32 v12, v14, v13, v12
.LBB14_148:
	s_or_b64 exec, exec, s[6:7]
	s_movk_i32 s4, 0xff
	v_and_b32_sdwa v13, v2, s4 dst_sel:DWORD dst_unused:UNUSED_PAD src0_sel:WORD_1 src1_sel:DWORD
	s_movk_i32 s4, 0x7f
	v_cmp_lt_i16_e32 vcc, s4, v13
	s_mov_b64 s[4:5], 0
                                        ; implicit-def: $sgpr10
	s_and_saveexec_b64 s[6:7], vcc
	s_xor_b64 s[6:7], exec, s[6:7]
	s_cbranch_execnz .LBB14_2197
; %bb.149:
	s_or_saveexec_b64 s[6:7], s[6:7]
	v_mov_b32_e32 v14, s10
	s_xor_b64 exec, exec, s[6:7]
	s_cbranch_execnz .LBB14_2200
.LBB14_150:
	s_or_b64 exec, exec, s[6:7]
	s_and_saveexec_b64 s[6:7], s[4:5]
	s_cbranch_execz .LBB14_152
.LBB14_151:
	v_bfe_u32 v13, v2, 16, 3
	v_ffbh_u32_e32 v16, v13
	v_min_u32_e32 v16, 32, v16
	v_lshrrev_b32_e32 v14, 19, v2
	v_subrev_u32_e32 v17, 28, v16
	v_and_b32_e32 v14, 15, v14
	v_lshlrev_b32_sdwa v17, v17, v2 dst_sel:DWORD dst_unused:UNUSED_PAD src0_sel:DWORD src1_sel:WORD_1
	v_bfe_u32 v15, v2, 19, 4
	v_sub_u32_e32 v16, 29, v16
	v_and_b32_e32 v17, 7, v17
	v_cmp_eq_u16_e32 vcc, 0, v14
	v_cndmask_b32_e32 v13, v13, v17, vcc
	v_cndmask_b32_e32 v14, v15, v16, vcc
	v_lshlrev_b32_e32 v15, 8, v2
	v_mov_b32_e32 v16, 0x3b800000
	v_lshlrev_b32_e32 v13, 20, v13
	v_and_b32_e32 v15, 0x80000000, v15
	v_lshl_add_u32 v14, v14, 23, v16
	v_or3_b32 v14, v15, v14, v13
.LBB14_152:
	s_or_b64 exec, exec, s[6:7]
	s_nop 0
	v_mfma_f32_16x16x4f32 a[0:3], v12, v14, a[0:3]
	s_movk_i32 s4, 0x7f
	v_cmp_gt_i16_sdwa s[6:7], v6, s4 src0_sel:BYTE_3 src1_sel:DWORD
	s_mov_b64 s[4:5], 0
                                        ; implicit-def: $sgpr10
	s_and_saveexec_b64 s[8:9], s[6:7]
	s_xor_b64 s[6:7], exec, s[8:9]
	s_cbranch_execnz .LBB14_2201
; %bb.153:
	s_or_saveexec_b64 s[6:7], s[6:7]
	v_mov_b32_e32 v12, s10
	s_xor_b64 exec, exec, s[6:7]
	s_cbranch_execnz .LBB14_2204
.LBB14_154:
	s_or_b64 exec, exec, s[6:7]
	s_and_saveexec_b64 s[6:7], s[4:5]
	s_cbranch_execz .LBB14_156
.LBB14_155:
	v_bfe_u32 v12, v6, 24, 3
	v_ffbh_u32_e32 v16, v12
	v_min_u32_e32 v16, 32, v16
	v_lshrrev_b32_e32 v14, 27, v6
	v_subrev_u32_e32 v17, 28, v16
	v_and_b32_e32 v13, 0x80000000, v6
	v_and_b32_e32 v14, 15, v14
	v_bfe_u32 v15, v6, 27, 4
	v_lshlrev_b32_sdwa v6, v17, v6 dst_sel:DWORD dst_unused:UNUSED_PAD src0_sel:DWORD src1_sel:BYTE_3
	v_sub_u32_e32 v16, 29, v16
	v_and_b32_e32 v6, 7, v6
	v_cmp_eq_u16_e32 vcc, 0, v14
	v_cndmask_b32_e32 v6, v12, v6, vcc
	v_cndmask_b32_e32 v12, v15, v16, vcc
	v_mov_b32_e32 v14, 0x3b800000
	v_lshlrev_b32_e32 v6, 20, v6
	v_lshl_add_u32 v12, v12, 23, v14
	v_or3_b32 v12, v13, v12, v6
.LBB14_156:
	s_or_b64 exec, exec, s[6:7]
	s_movk_i32 s4, 0x7f
	v_cmp_gt_i16_sdwa s[6:7], v2, s4 src0_sel:BYTE_3 src1_sel:DWORD
	s_mov_b64 s[4:5], 0
                                        ; implicit-def: $sgpr10
	s_and_saveexec_b64 s[8:9], s[6:7]
	s_xor_b64 s[6:7], exec, s[8:9]
	s_cbranch_execnz .LBB14_2205
; %bb.157:
	s_or_saveexec_b64 s[6:7], s[6:7]
	v_mov_b32_e32 v6, s10
	s_xor_b64 exec, exec, s[6:7]
	s_cbranch_execnz .LBB14_2208
.LBB14_158:
	s_or_b64 exec, exec, s[6:7]
	s_and_saveexec_b64 s[6:7], s[4:5]
	s_cbranch_execz .LBB14_160
.LBB14_159:
	v_bfe_u32 v6, v2, 24, 3
	v_ffbh_u32_e32 v16, v6
	v_min_u32_e32 v16, 32, v16
	v_lshrrev_b32_e32 v14, 27, v2
	v_subrev_u32_e32 v17, 28, v16
	v_and_b32_e32 v13, 0x80000000, v2
	v_and_b32_e32 v14, 15, v14
	v_bfe_u32 v15, v2, 27, 4
	v_lshlrev_b32_sdwa v2, v17, v2 dst_sel:DWORD dst_unused:UNUSED_PAD src0_sel:DWORD src1_sel:BYTE_3
	v_sub_u32_e32 v16, 29, v16
	v_and_b32_e32 v2, 7, v2
	v_cmp_eq_u16_e32 vcc, 0, v14
	v_cndmask_b32_e32 v2, v6, v2, vcc
	v_cndmask_b32_e32 v6, v15, v16, vcc
	v_mov_b32_e32 v14, 0x3b800000
	v_lshlrev_b32_e32 v2, 20, v2
	v_lshl_add_u32 v6, v6, 23, v14
	v_or3_b32 v6, v13, v6, v2
.LBB14_160:
	s_or_b64 exec, exec, s[6:7]
	s_nop 0
	v_mfma_f32_16x16x4f32 a[0:3], v12, v6, a[0:3]
	s_movk_i32 s4, 0x7f
	v_cmp_gt_i16_sdwa s[6:7], v7, s4 src0_sel:BYTE_0 src1_sel:DWORD
	s_mov_b64 s[4:5], 0
                                        ; implicit-def: $sgpr10
	s_and_saveexec_b64 s[8:9], s[6:7]
	s_xor_b64 s[6:7], exec, s[8:9]
	s_cbranch_execnz .LBB14_2209
; %bb.161:
	s_or_saveexec_b64 s[6:7], s[6:7]
	v_mov_b32_e32 v2, s10
	s_xor_b64 exec, exec, s[6:7]
	s_cbranch_execnz .LBB14_2212
.LBB14_162:
	s_or_b64 exec, exec, s[6:7]
	s_and_saveexec_b64 s[6:7], s[4:5]
	s_cbranch_execz .LBB14_164
.LBB14_163:
	v_and_b32_e32 v2, 7, v7
	v_ffbh_u32_e32 v12, v2
	v_min_u32_e32 v12, 32, v12
	v_lshrrev_b16_e32 v6, 3, v7
	v_subrev_u32_e32 v13, 28, v12
	v_and_b32_e32 v6, 15, v6
	v_lshlrev_b32_e32 v13, v13, v7
	v_sub_u32_e32 v12, 29, v12
	v_and_b32_e32 v13, 7, v13
	v_cmp_eq_u16_e32 vcc, 0, v6
	v_cndmask_b32_e32 v2, v2, v13, vcc
	v_cndmask_b32_e32 v6, v6, v12, vcc
	v_lshlrev_b32_e32 v12, 24, v7
	v_mov_b32_e32 v13, 0x3b800000
	v_lshlrev_b32_e32 v2, 20, v2
	v_and_b32_e32 v12, 0x80000000, v12
	v_lshl_add_u32 v6, v6, 23, v13
	v_or3_b32 v2, v12, v6, v2
.LBB14_164:
	s_or_b64 exec, exec, s[6:7]
	s_movk_i32 s4, 0x7f
	v_cmp_gt_i16_sdwa s[6:7], v3, s4 src0_sel:BYTE_0 src1_sel:DWORD
	s_mov_b64 s[4:5], 0
                                        ; implicit-def: $sgpr10
	s_and_saveexec_b64 s[8:9], s[6:7]
	s_xor_b64 s[6:7], exec, s[8:9]
	s_cbranch_execnz .LBB14_2213
; %bb.165:
	s_or_saveexec_b64 s[6:7], s[6:7]
	v_mov_b32_e32 v6, s10
	s_xor_b64 exec, exec, s[6:7]
	s_cbranch_execnz .LBB14_2216
.LBB14_166:
	s_or_b64 exec, exec, s[6:7]
	s_and_saveexec_b64 s[6:7], s[4:5]
	s_cbranch_execz .LBB14_168
.LBB14_167:
	v_and_b32_e32 v6, 7, v3
	v_ffbh_u32_e32 v13, v6
	v_min_u32_e32 v13, 32, v13
	v_lshrrev_b16_e32 v12, 3, v3
	v_subrev_u32_e32 v14, 28, v13
	v_and_b32_e32 v12, 15, v12
	v_lshlrev_b32_e32 v14, v14, v3
	v_sub_u32_e32 v13, 29, v13
	v_and_b32_e32 v14, 7, v14
	v_cmp_eq_u16_e32 vcc, 0, v12
	v_cndmask_b32_e32 v6, v6, v14, vcc
	v_cndmask_b32_e32 v12, v12, v13, vcc
	v_lshlrev_b32_e32 v13, 24, v3
	v_mov_b32_e32 v14, 0x3b800000
	v_lshlrev_b32_e32 v6, 20, v6
	v_and_b32_e32 v13, 0x80000000, v13
	v_lshl_add_u32 v12, v12, 23, v14
	v_or3_b32 v6, v13, v12, v6
.LBB14_168:
	s_or_b64 exec, exec, s[6:7]
	s_nop 0
	v_mfma_f32_16x16x4f32 a[0:3], v2, v6, a[0:3]
	v_lshrrev_b32_e32 v6, 8, v7
	s_movk_i32 s4, 0x7f
	v_cmp_gt_i16_sdwa s[6:7], v6, s4 src0_sel:BYTE_0 src1_sel:DWORD
	s_mov_b64 s[4:5], 0
                                        ; implicit-def: $sgpr10
	s_and_saveexec_b64 s[8:9], s[6:7]
	s_xor_b64 s[6:7], exec, s[8:9]
	s_cbranch_execnz .LBB14_2217
; %bb.169:
	s_or_saveexec_b64 s[6:7], s[6:7]
	v_mov_b32_e32 v2, s10
	s_xor_b64 exec, exec, s[6:7]
	s_cbranch_execnz .LBB14_2220
.LBB14_170:
	s_or_b64 exec, exec, s[6:7]
	s_and_saveexec_b64 s[6:7], s[4:5]
	s_cbranch_execz .LBB14_172
.LBB14_171:
	v_bfe_u32 v2, v7, 8, 3
	v_ffbh_u32_e32 v13, v2
	v_min_u32_e32 v13, 32, v13
	v_lshrrev_b16_e32 v12, 3, v6
	v_subrev_u32_e32 v14, 28, v13
	v_and_b32_e32 v12, 15, v12
	v_lshlrev_b32_e32 v6, v14, v6
	v_sub_u32_e32 v13, 29, v13
	v_and_b32_e32 v6, 7, v6
	v_cmp_eq_u16_e32 vcc, 0, v12
	v_cndmask_b32_e32 v2, v2, v6, vcc
	v_cndmask_b32_e32 v6, v12, v13, vcc
	v_lshlrev_b32_e32 v12, 16, v7
	v_mov_b32_e32 v13, 0x3b800000
	v_lshlrev_b32_e32 v2, 20, v2
	v_and_b32_e32 v12, 0x80000000, v12
	v_lshl_add_u32 v6, v6, 23, v13
	v_or3_b32 v2, v12, v6, v2
.LBB14_172:
	s_or_b64 exec, exec, s[6:7]
	v_lshrrev_b32_e32 v6, 8, v3
	s_movk_i32 s4, 0x7f
	v_cmp_gt_i16_sdwa s[6:7], v6, s4 src0_sel:BYTE_0 src1_sel:DWORD
	s_mov_b64 s[4:5], 0
                                        ; implicit-def: $sgpr10
	s_and_saveexec_b64 s[8:9], s[6:7]
	s_xor_b64 s[6:7], exec, s[8:9]
	s_cbranch_execnz .LBB14_2221
; %bb.173:
	s_or_saveexec_b64 s[6:7], s[6:7]
	v_mov_b32_e32 v12, s10
	s_xor_b64 exec, exec, s[6:7]
	s_cbranch_execnz .LBB14_2224
.LBB14_174:
	s_or_b64 exec, exec, s[6:7]
	s_and_saveexec_b64 s[6:7], s[4:5]
	s_cbranch_execz .LBB14_176
.LBB14_175:
	v_bfe_u32 v12, v3, 8, 3
	v_ffbh_u32_e32 v14, v12
	v_min_u32_e32 v14, 32, v14
	v_lshrrev_b16_e32 v13, 3, v6
	v_subrev_u32_e32 v15, 28, v14
	v_and_b32_e32 v13, 15, v13
	v_lshlrev_b32_e32 v6, v15, v6
	v_sub_u32_e32 v14, 29, v14
	v_and_b32_e32 v6, 7, v6
	v_cmp_eq_u16_e32 vcc, 0, v13
	v_cndmask_b32_e32 v6, v12, v6, vcc
	v_cndmask_b32_e32 v12, v13, v14, vcc
	v_lshlrev_b32_e32 v13, 16, v3
	v_mov_b32_e32 v14, 0x3b800000
	v_lshlrev_b32_e32 v6, 20, v6
	v_and_b32_e32 v13, 0x80000000, v13
	v_lshl_add_u32 v12, v12, 23, v14
	v_or3_b32 v12, v13, v12, v6
.LBB14_176:
	s_or_b64 exec, exec, s[6:7]
	s_nop 0
	v_mfma_f32_16x16x4f32 a[0:3], v2, v12, a[0:3]
	s_movk_i32 s4, 0xff
	v_and_b32_sdwa v6, v7, s4 dst_sel:DWORD dst_unused:UNUSED_PAD src0_sel:WORD_1 src1_sel:DWORD
	s_movk_i32 s4, 0x7f
	v_cmp_lt_i16_e32 vcc, s4, v6
	s_mov_b64 s[4:5], 0
                                        ; implicit-def: $sgpr10
	s_and_saveexec_b64 s[6:7], vcc
	s_xor_b64 s[6:7], exec, s[6:7]
	s_cbranch_execnz .LBB14_2225
; %bb.177:
	s_or_saveexec_b64 s[6:7], s[6:7]
	v_mov_b32_e32 v2, s10
	s_xor_b64 exec, exec, s[6:7]
	s_cbranch_execnz .LBB14_2228
.LBB14_178:
	s_or_b64 exec, exec, s[6:7]
	s_and_saveexec_b64 s[6:7], s[4:5]
	s_cbranch_execz .LBB14_180
.LBB14_179:
	v_bfe_u32 v2, v7, 16, 3
	v_ffbh_u32_e32 v13, v2
	v_min_u32_e32 v13, 32, v13
	v_lshrrev_b32_e32 v6, 19, v7
	v_subrev_u32_e32 v14, 28, v13
	v_and_b32_e32 v6, 15, v6
	v_lshlrev_b32_sdwa v14, v14, v7 dst_sel:DWORD dst_unused:UNUSED_PAD src0_sel:DWORD src1_sel:WORD_1
	v_bfe_u32 v12, v7, 19, 4
	v_sub_u32_e32 v13, 29, v13
	v_and_b32_e32 v14, 7, v14
	v_cmp_eq_u16_e32 vcc, 0, v6
	v_cndmask_b32_e32 v2, v2, v14, vcc
	v_cndmask_b32_e32 v6, v12, v13, vcc
	v_lshlrev_b32_e32 v12, 8, v7
	v_mov_b32_e32 v13, 0x3b800000
	v_lshlrev_b32_e32 v2, 20, v2
	v_and_b32_e32 v12, 0x80000000, v12
	v_lshl_add_u32 v6, v6, 23, v13
	v_or3_b32 v2, v12, v6, v2
.LBB14_180:
	s_or_b64 exec, exec, s[6:7]
	s_movk_i32 s4, 0xff
	v_and_b32_sdwa v6, v3, s4 dst_sel:DWORD dst_unused:UNUSED_PAD src0_sel:WORD_1 src1_sel:DWORD
	s_movk_i32 s4, 0x7f
	v_cmp_lt_i16_e32 vcc, s4, v6
	s_mov_b64 s[4:5], 0
                                        ; implicit-def: $sgpr10
	s_and_saveexec_b64 s[6:7], vcc
	s_xor_b64 s[6:7], exec, s[6:7]
	s_cbranch_execnz .LBB14_2229
; %bb.181:
	s_or_saveexec_b64 s[6:7], s[6:7]
	v_mov_b32_e32 v12, s10
	s_xor_b64 exec, exec, s[6:7]
	s_cbranch_execnz .LBB14_2232
.LBB14_182:
	s_or_b64 exec, exec, s[6:7]
	s_and_saveexec_b64 s[6:7], s[4:5]
	s_cbranch_execz .LBB14_184
.LBB14_183:
	v_bfe_u32 v6, v3, 16, 3
	v_ffbh_u32_e32 v14, v6
	v_min_u32_e32 v14, 32, v14
	v_lshrrev_b32_e32 v12, 19, v3
	v_subrev_u32_e32 v15, 28, v14
	v_and_b32_e32 v12, 15, v12
	v_lshlrev_b32_sdwa v15, v15, v3 dst_sel:DWORD dst_unused:UNUSED_PAD src0_sel:DWORD src1_sel:WORD_1
	v_bfe_u32 v13, v3, 19, 4
	v_sub_u32_e32 v14, 29, v14
	v_and_b32_e32 v15, 7, v15
	v_cmp_eq_u16_e32 vcc, 0, v12
	v_cndmask_b32_e32 v6, v6, v15, vcc
	v_cndmask_b32_e32 v12, v13, v14, vcc
	v_lshlrev_b32_e32 v13, 8, v3
	v_mov_b32_e32 v14, 0x3b800000
	v_lshlrev_b32_e32 v6, 20, v6
	v_and_b32_e32 v13, 0x80000000, v13
	v_lshl_add_u32 v12, v12, 23, v14
	v_or3_b32 v12, v13, v12, v6
.LBB14_184:
	s_or_b64 exec, exec, s[6:7]
	s_nop 0
	v_mfma_f32_16x16x4f32 a[0:3], v2, v12, a[0:3]
	s_movk_i32 s4, 0x7f
	v_cmp_gt_i16_sdwa s[6:7], v7, s4 src0_sel:BYTE_3 src1_sel:DWORD
	s_mov_b64 s[4:5], 0
                                        ; implicit-def: $sgpr10
	s_and_saveexec_b64 s[8:9], s[6:7]
	s_xor_b64 s[6:7], exec, s[8:9]
	s_cbranch_execnz .LBB14_2233
; %bb.185:
	s_or_saveexec_b64 s[6:7], s[6:7]
	v_mov_b32_e32 v2, s10
	s_xor_b64 exec, exec, s[6:7]
	s_cbranch_execnz .LBB14_2236
.LBB14_186:
	s_or_b64 exec, exec, s[6:7]
	s_and_saveexec_b64 s[6:7], s[4:5]
	s_cbranch_execz .LBB14_188
.LBB14_187:
	v_bfe_u32 v2, v7, 24, 3
	v_ffbh_u32_e32 v14, v2
	v_min_u32_e32 v14, 32, v14
	v_lshrrev_b32_e32 v12, 27, v7
	v_subrev_u32_e32 v15, 28, v14
	v_and_b32_e32 v6, 0x80000000, v7
	v_and_b32_e32 v12, 15, v12
	v_bfe_u32 v13, v7, 27, 4
	v_lshlrev_b32_sdwa v7, v15, v7 dst_sel:DWORD dst_unused:UNUSED_PAD src0_sel:DWORD src1_sel:BYTE_3
	v_sub_u32_e32 v14, 29, v14
	v_and_b32_e32 v7, 7, v7
	v_cmp_eq_u16_e32 vcc, 0, v12
	v_cndmask_b32_e32 v2, v2, v7, vcc
	v_cndmask_b32_e32 v7, v13, v14, vcc
	v_mov_b32_e32 v12, 0x3b800000
	v_lshlrev_b32_e32 v2, 20, v2
	v_lshl_add_u32 v7, v7, 23, v12
	v_or3_b32 v2, v6, v7, v2
.LBB14_188:
	s_or_b64 exec, exec, s[6:7]
	s_movk_i32 s4, 0x7f
	v_cmp_gt_i16_sdwa s[6:7], v3, s4 src0_sel:BYTE_3 src1_sel:DWORD
	s_mov_b64 s[4:5], 0
                                        ; implicit-def: $sgpr10
	s_and_saveexec_b64 s[8:9], s[6:7]
	s_xor_b64 s[6:7], exec, s[8:9]
	s_cbranch_execnz .LBB14_2237
; %bb.189:
	s_or_saveexec_b64 s[6:7], s[6:7]
	v_mov_b32_e32 v6, s10
	s_xor_b64 exec, exec, s[6:7]
	s_cbranch_execnz .LBB14_2240
.LBB14_190:
	s_or_b64 exec, exec, s[6:7]
	s_and_saveexec_b64 s[6:7], s[4:5]
	s_cbranch_execz .LBB14_192
.LBB14_191:
	v_bfe_u32 v6, v3, 24, 3
	v_ffbh_u32_e32 v14, v6
	v_min_u32_e32 v14, 32, v14
	v_lshrrev_b32_e32 v12, 27, v3
	v_subrev_u32_e32 v15, 28, v14
	v_and_b32_e32 v7, 0x80000000, v3
	v_and_b32_e32 v12, 15, v12
	v_bfe_u32 v13, v3, 27, 4
	v_lshlrev_b32_sdwa v3, v15, v3 dst_sel:DWORD dst_unused:UNUSED_PAD src0_sel:DWORD src1_sel:BYTE_3
	v_sub_u32_e32 v14, 29, v14
	v_and_b32_e32 v3, 7, v3
	v_cmp_eq_u16_e32 vcc, 0, v12
	v_cndmask_b32_e32 v3, v6, v3, vcc
	v_cndmask_b32_e32 v6, v13, v14, vcc
	v_mov_b32_e32 v12, 0x3b800000
	v_lshlrev_b32_e32 v3, 20, v3
	v_lshl_add_u32 v6, v6, 23, v12
	v_or3_b32 v6, v7, v6, v3
.LBB14_192:
	s_or_b64 exec, exec, s[6:7]
	s_nop 0
	v_mfma_f32_16x16x4f32 a[0:3], v2, v6, a[0:3]
	s_movk_i32 s4, 0x7f
	v_cmp_gt_i16_sdwa s[6:7], v8, s4 src0_sel:BYTE_0 src1_sel:DWORD
	s_mov_b64 s[4:5], 0
                                        ; implicit-def: $sgpr10
	s_and_saveexec_b64 s[8:9], s[6:7]
	s_xor_b64 s[6:7], exec, s[8:9]
	s_cbranch_execnz .LBB14_2241
; %bb.193:
	s_or_saveexec_b64 s[6:7], s[6:7]
	v_mov_b32_e32 v2, s10
	s_xor_b64 exec, exec, s[6:7]
	s_cbranch_execnz .LBB14_2244
.LBB14_194:
	s_or_b64 exec, exec, s[6:7]
	s_and_saveexec_b64 s[6:7], s[4:5]
	s_cbranch_execz .LBB14_196
.LBB14_195:
	v_and_b32_e32 v2, 7, v8
	v_ffbh_u32_e32 v6, v2
	v_min_u32_e32 v6, 32, v6
	v_lshrrev_b16_e32 v3, 3, v8
	v_subrev_u32_e32 v7, 28, v6
	v_and_b32_e32 v3, 15, v3
	v_lshlrev_b32_e32 v7, v7, v8
	v_sub_u32_e32 v6, 29, v6
	v_and_b32_e32 v7, 7, v7
	v_cmp_eq_u16_e32 vcc, 0, v3
	v_cndmask_b32_e32 v2, v2, v7, vcc
	v_cndmask_b32_e32 v3, v3, v6, vcc
	v_lshlrev_b32_e32 v6, 24, v8
	v_mov_b32_e32 v7, 0x3b800000
	v_lshlrev_b32_e32 v2, 20, v2
	v_and_b32_e32 v6, 0x80000000, v6
	v_lshl_add_u32 v3, v3, 23, v7
	v_or3_b32 v2, v6, v3, v2
.LBB14_196:
	s_or_b64 exec, exec, s[6:7]
	s_movk_i32 s4, 0x7f
	v_cmp_gt_i16_sdwa s[6:7], v4, s4 src0_sel:BYTE_0 src1_sel:DWORD
	s_mov_b64 s[4:5], 0
                                        ; implicit-def: $sgpr10
	s_and_saveexec_b64 s[8:9], s[6:7]
	s_xor_b64 s[6:7], exec, s[8:9]
	s_cbranch_execnz .LBB14_2245
; %bb.197:
	s_or_saveexec_b64 s[6:7], s[6:7]
	v_mov_b32_e32 v3, s10
	s_xor_b64 exec, exec, s[6:7]
	s_cbranch_execnz .LBB14_2248
.LBB14_198:
	s_or_b64 exec, exec, s[6:7]
	s_and_saveexec_b64 s[6:7], s[4:5]
	s_cbranch_execz .LBB14_200
.LBB14_199:
	v_and_b32_e32 v3, 7, v4
	v_ffbh_u32_e32 v7, v3
	v_min_u32_e32 v7, 32, v7
	v_lshrrev_b16_e32 v6, 3, v4
	v_subrev_u32_e32 v12, 28, v7
	v_and_b32_e32 v6, 15, v6
	v_lshlrev_b32_e32 v12, v12, v4
	v_sub_u32_e32 v7, 29, v7
	v_and_b32_e32 v12, 7, v12
	v_cmp_eq_u16_e32 vcc, 0, v6
	v_cndmask_b32_e32 v3, v3, v12, vcc
	v_cndmask_b32_e32 v6, v6, v7, vcc
	v_lshlrev_b32_e32 v7, 24, v4
	v_mov_b32_e32 v12, 0x3b800000
	v_lshlrev_b32_e32 v3, 20, v3
	v_and_b32_e32 v7, 0x80000000, v7
	v_lshl_add_u32 v6, v6, 23, v12
	v_or3_b32 v3, v7, v6, v3
.LBB14_200:
	s_or_b64 exec, exec, s[6:7]
	s_nop 0
	v_mfma_f32_16x16x4f32 a[0:3], v2, v3, a[0:3]
	v_lshrrev_b32_e32 v3, 8, v8
	s_movk_i32 s4, 0x7f
	v_cmp_gt_i16_sdwa s[6:7], v3, s4 src0_sel:BYTE_0 src1_sel:DWORD
	s_mov_b64 s[4:5], 0
                                        ; implicit-def: $sgpr10
	s_and_saveexec_b64 s[8:9], s[6:7]
	s_xor_b64 s[6:7], exec, s[8:9]
	s_cbranch_execnz .LBB14_2249
; %bb.201:
	s_or_saveexec_b64 s[6:7], s[6:7]
	v_mov_b32_e32 v2, s10
	s_xor_b64 exec, exec, s[6:7]
	s_cbranch_execnz .LBB14_2252
.LBB14_202:
	s_or_b64 exec, exec, s[6:7]
	s_and_saveexec_b64 s[6:7], s[4:5]
	s_cbranch_execz .LBB14_204
.LBB14_203:
	v_bfe_u32 v2, v8, 8, 3
	v_ffbh_u32_e32 v7, v2
	v_min_u32_e32 v7, 32, v7
	v_lshrrev_b16_e32 v6, 3, v3
	v_subrev_u32_e32 v12, 28, v7
	v_and_b32_e32 v6, 15, v6
	v_lshlrev_b32_e32 v3, v12, v3
	v_sub_u32_e32 v7, 29, v7
	v_and_b32_e32 v3, 7, v3
	v_cmp_eq_u16_e32 vcc, 0, v6
	v_cndmask_b32_e32 v2, v2, v3, vcc
	v_cndmask_b32_e32 v3, v6, v7, vcc
	v_lshlrev_b32_e32 v6, 16, v8
	v_mov_b32_e32 v7, 0x3b800000
	v_lshlrev_b32_e32 v2, 20, v2
	v_and_b32_e32 v6, 0x80000000, v6
	v_lshl_add_u32 v3, v3, 23, v7
	v_or3_b32 v2, v6, v3, v2
.LBB14_204:
	s_or_b64 exec, exec, s[6:7]
	v_lshrrev_b32_e32 v3, 8, v4
	s_movk_i32 s4, 0x7f
	v_cmp_gt_i16_sdwa s[6:7], v3, s4 src0_sel:BYTE_0 src1_sel:DWORD
	s_mov_b64 s[4:5], 0
                                        ; implicit-def: $sgpr10
	s_and_saveexec_b64 s[8:9], s[6:7]
	s_xor_b64 s[6:7], exec, s[8:9]
	s_cbranch_execnz .LBB14_2253
; %bb.205:
	s_or_saveexec_b64 s[6:7], s[6:7]
	v_mov_b32_e32 v6, s10
	s_xor_b64 exec, exec, s[6:7]
	s_cbranch_execnz .LBB14_2256
.LBB14_206:
	s_or_b64 exec, exec, s[6:7]
	s_and_saveexec_b64 s[6:7], s[4:5]
	s_cbranch_execz .LBB14_208
.LBB14_207:
	v_bfe_u32 v6, v4, 8, 3
	v_ffbh_u32_e32 v12, v6
	v_min_u32_e32 v12, 32, v12
	v_lshrrev_b16_e32 v7, 3, v3
	v_subrev_u32_e32 v13, 28, v12
	v_and_b32_e32 v7, 15, v7
	v_lshlrev_b32_e32 v3, v13, v3
	v_sub_u32_e32 v12, 29, v12
	v_and_b32_e32 v3, 7, v3
	v_cmp_eq_u16_e32 vcc, 0, v7
	v_cndmask_b32_e32 v3, v6, v3, vcc
	v_cndmask_b32_e32 v6, v7, v12, vcc
	v_lshlrev_b32_e32 v7, 16, v4
	v_mov_b32_e32 v12, 0x3b800000
	v_lshlrev_b32_e32 v3, 20, v3
	v_and_b32_e32 v7, 0x80000000, v7
	v_lshl_add_u32 v6, v6, 23, v12
	v_or3_b32 v6, v7, v6, v3
.LBB14_208:
	s_or_b64 exec, exec, s[6:7]
	s_nop 0
	v_mfma_f32_16x16x4f32 a[0:3], v2, v6, a[0:3]
	s_movk_i32 s4, 0xff
	v_and_b32_sdwa v3, v8, s4 dst_sel:DWORD dst_unused:UNUSED_PAD src0_sel:WORD_1 src1_sel:DWORD
	s_movk_i32 s4, 0x7f
	v_cmp_lt_i16_e32 vcc, s4, v3
	s_mov_b64 s[4:5], 0
                                        ; implicit-def: $sgpr10
	s_and_saveexec_b64 s[6:7], vcc
	s_xor_b64 s[6:7], exec, s[6:7]
	s_cbranch_execnz .LBB14_2257
; %bb.209:
	s_or_saveexec_b64 s[6:7], s[6:7]
	v_mov_b32_e32 v2, s10
	s_xor_b64 exec, exec, s[6:7]
	s_cbranch_execnz .LBB14_2260
.LBB14_210:
	s_or_b64 exec, exec, s[6:7]
	s_and_saveexec_b64 s[6:7], s[4:5]
	s_cbranch_execz .LBB14_212
.LBB14_211:
	v_bfe_u32 v2, v8, 16, 3
	v_ffbh_u32_e32 v7, v2
	v_min_u32_e32 v7, 32, v7
	v_lshrrev_b32_e32 v3, 19, v8
	v_subrev_u32_e32 v12, 28, v7
	v_and_b32_e32 v3, 15, v3
	v_lshlrev_b32_sdwa v12, v12, v8 dst_sel:DWORD dst_unused:UNUSED_PAD src0_sel:DWORD src1_sel:WORD_1
	v_bfe_u32 v6, v8, 19, 4
	v_sub_u32_e32 v7, 29, v7
	v_and_b32_e32 v12, 7, v12
	v_cmp_eq_u16_e32 vcc, 0, v3
	v_cndmask_b32_e32 v2, v2, v12, vcc
	v_cndmask_b32_e32 v3, v6, v7, vcc
	v_lshlrev_b32_e32 v6, 8, v8
	v_mov_b32_e32 v7, 0x3b800000
	v_lshlrev_b32_e32 v2, 20, v2
	v_and_b32_e32 v6, 0x80000000, v6
	v_lshl_add_u32 v3, v3, 23, v7
	v_or3_b32 v2, v6, v3, v2
.LBB14_212:
	s_or_b64 exec, exec, s[6:7]
	s_movk_i32 s4, 0xff
	v_and_b32_sdwa v3, v4, s4 dst_sel:DWORD dst_unused:UNUSED_PAD src0_sel:WORD_1 src1_sel:DWORD
	s_movk_i32 s4, 0x7f
	v_cmp_lt_i16_e32 vcc, s4, v3
	s_mov_b64 s[4:5], 0
                                        ; implicit-def: $sgpr10
	s_and_saveexec_b64 s[6:7], vcc
	s_xor_b64 s[6:7], exec, s[6:7]
	s_cbranch_execnz .LBB14_2261
; %bb.213:
	s_or_saveexec_b64 s[6:7], s[6:7]
	v_mov_b32_e32 v6, s10
	s_xor_b64 exec, exec, s[6:7]
	s_cbranch_execnz .LBB14_2264
.LBB14_214:
	s_or_b64 exec, exec, s[6:7]
	s_and_saveexec_b64 s[6:7], s[4:5]
	s_cbranch_execz .LBB14_216
.LBB14_215:
	v_bfe_u32 v3, v4, 16, 3
	v_ffbh_u32_e32 v12, v3
	v_min_u32_e32 v12, 32, v12
	v_lshrrev_b32_e32 v6, 19, v4
	v_subrev_u32_e32 v13, 28, v12
	v_and_b32_e32 v6, 15, v6
	v_lshlrev_b32_sdwa v13, v13, v4 dst_sel:DWORD dst_unused:UNUSED_PAD src0_sel:DWORD src1_sel:WORD_1
	v_bfe_u32 v7, v4, 19, 4
	v_sub_u32_e32 v12, 29, v12
	v_and_b32_e32 v13, 7, v13
	v_cmp_eq_u16_e32 vcc, 0, v6
	v_cndmask_b32_e32 v3, v3, v13, vcc
	v_cndmask_b32_e32 v6, v7, v12, vcc
	v_lshlrev_b32_e32 v7, 8, v4
	v_mov_b32_e32 v12, 0x3b800000
	v_lshlrev_b32_e32 v3, 20, v3
	v_and_b32_e32 v7, 0x80000000, v7
	v_lshl_add_u32 v6, v6, 23, v12
	v_or3_b32 v6, v7, v6, v3
.LBB14_216:
	s_or_b64 exec, exec, s[6:7]
	s_nop 0
	v_mfma_f32_16x16x4f32 a[0:3], v2, v6, a[0:3]
	s_movk_i32 s4, 0x7f
	v_cmp_gt_i16_sdwa s[6:7], v8, s4 src0_sel:BYTE_3 src1_sel:DWORD
	s_mov_b64 s[4:5], 0
                                        ; implicit-def: $sgpr10
	s_and_saveexec_b64 s[8:9], s[6:7]
	s_xor_b64 s[6:7], exec, s[8:9]
	s_cbranch_execnz .LBB14_2265
; %bb.217:
	s_or_saveexec_b64 s[6:7], s[6:7]
	v_mov_b32_e32 v2, s10
	s_xor_b64 exec, exec, s[6:7]
	s_cbranch_execnz .LBB14_2268
.LBB14_218:
	s_or_b64 exec, exec, s[6:7]
	s_and_saveexec_b64 s[6:7], s[4:5]
	s_cbranch_execz .LBB14_220
.LBB14_219:
	v_bfe_u32 v2, v8, 24, 3
	v_ffbh_u32_e32 v12, v2
	v_min_u32_e32 v12, 32, v12
	v_lshrrev_b32_e32 v6, 27, v8
	v_subrev_u32_e32 v13, 28, v12
	v_and_b32_e32 v3, 0x80000000, v8
	v_and_b32_e32 v6, 15, v6
	v_bfe_u32 v7, v8, 27, 4
	v_lshlrev_b32_sdwa v8, v13, v8 dst_sel:DWORD dst_unused:UNUSED_PAD src0_sel:DWORD src1_sel:BYTE_3
	v_sub_u32_e32 v12, 29, v12
	v_and_b32_e32 v8, 7, v8
	v_cmp_eq_u16_e32 vcc, 0, v6
	v_cndmask_b32_e32 v2, v2, v8, vcc
	v_cndmask_b32_e32 v6, v7, v12, vcc
	v_mov_b32_e32 v7, 0x3b800000
	v_lshlrev_b32_e32 v2, 20, v2
	v_lshl_add_u32 v6, v6, 23, v7
	v_or3_b32 v2, v3, v6, v2
.LBB14_220:
	s_or_b64 exec, exec, s[6:7]
	s_movk_i32 s4, 0x7f
	v_cmp_gt_i16_sdwa s[6:7], v4, s4 src0_sel:BYTE_3 src1_sel:DWORD
	s_mov_b64 s[4:5], 0
                                        ; implicit-def: $sgpr10
	s_and_saveexec_b64 s[8:9], s[6:7]
	s_xor_b64 s[6:7], exec, s[8:9]
	s_cbranch_execnz .LBB14_2269
; %bb.221:
	s_or_saveexec_b64 s[6:7], s[6:7]
	v_mov_b32_e32 v3, s10
	s_xor_b64 exec, exec, s[6:7]
	s_cbranch_execnz .LBB14_2272
.LBB14_222:
	s_or_b64 exec, exec, s[6:7]
	s_and_saveexec_b64 s[6:7], s[4:5]
	s_cbranch_execz .LBB14_224
.LBB14_223:
	v_bfe_u32 v3, v4, 24, 3
	v_ffbh_u32_e32 v12, v3
	v_min_u32_e32 v12, 32, v12
	v_lshrrev_b32_e32 v7, 27, v4
	v_subrev_u32_e32 v13, 28, v12
	v_and_b32_e32 v6, 0x80000000, v4
	v_and_b32_e32 v7, 15, v7
	v_bfe_u32 v8, v4, 27, 4
	v_lshlrev_b32_sdwa v4, v13, v4 dst_sel:DWORD dst_unused:UNUSED_PAD src0_sel:DWORD src1_sel:BYTE_3
	v_sub_u32_e32 v12, 29, v12
	v_and_b32_e32 v4, 7, v4
	v_cmp_eq_u16_e32 vcc, 0, v7
	v_cndmask_b32_e32 v3, v3, v4, vcc
	v_cndmask_b32_e32 v4, v8, v12, vcc
	v_mov_b32_e32 v7, 0x3b800000
	v_lshlrev_b32_e32 v3, 20, v3
	v_lshl_add_u32 v4, v4, 23, v7
	v_or3_b32 v3, v6, v4, v3
.LBB14_224:
	s_or_b64 exec, exec, s[6:7]
	s_nop 0
	v_mfma_f32_16x16x4f32 a[0:3], v2, v3, a[0:3]
	s_movk_i32 s4, 0x7f
	v_cmp_gt_i16_sdwa s[6:7], v9, s4 src0_sel:BYTE_0 src1_sel:DWORD
	s_mov_b64 s[4:5], 0
                                        ; implicit-def: $sgpr10
	s_and_saveexec_b64 s[8:9], s[6:7]
	s_xor_b64 s[6:7], exec, s[8:9]
	s_cbranch_execnz .LBB14_2273
; %bb.225:
	s_or_saveexec_b64 s[6:7], s[6:7]
	v_mov_b32_e32 v2, s10
	s_xor_b64 exec, exec, s[6:7]
	s_cbranch_execnz .LBB14_2276
.LBB14_226:
	s_or_b64 exec, exec, s[6:7]
	s_and_saveexec_b64 s[6:7], s[4:5]
	s_cbranch_execz .LBB14_228
.LBB14_227:
	v_mov_b32_e32 v2, 8
	v_and_b32_e32 v3, 7, v9
	v_lshrrev_b32_sdwa v2, v2, v9 dst_sel:BYTE_1 dst_unused:UNUSED_PAD src0_sel:DWORD src1_sel:DWORD
	v_ffbh_u32_e32 v4, v3
	v_or_b32_sdwa v2, v9, v2 dst_sel:DWORD dst_unused:UNUSED_PAD src0_sel:BYTE_0 src1_sel:DWORD
	v_min_u32_e32 v4, 32, v4
	v_lshrrev_b16_e32 v2, 3, v2
	v_subrev_u32_e32 v6, 28, v4
	v_and_b32_e32 v2, 15, v2
	v_lshlrev_b32_e32 v6, v6, v9
	v_sub_u32_e32 v4, 29, v4
	v_and_b32_e32 v6, 7, v6
	v_cmp_eq_u16_e32 vcc, 0, v2
	v_cndmask_b32_e32 v3, v3, v6, vcc
	v_cndmask_b32_e32 v2, v2, v4, vcc
	v_lshlrev_b32_e32 v4, 24, v9
	v_mov_b32_e32 v6, 0x3b800000
	v_lshlrev_b32_e32 v3, 20, v3
	v_and_b32_e32 v4, 0x80000000, v4
	v_lshl_add_u32 v2, v2, 23, v6
	v_or3_b32 v2, v4, v2, v3
.LBB14_228:
	s_or_b64 exec, exec, s[6:7]
	s_movk_i32 s4, 0x7f
	v_cmp_gt_i16_sdwa s[6:7], v5, s4 src0_sel:BYTE_0 src1_sel:DWORD
	s_mov_b64 s[4:5], 0
                                        ; implicit-def: $sgpr10
	s_and_saveexec_b64 s[8:9], s[6:7]
	s_xor_b64 s[6:7], exec, s[8:9]
	s_cbranch_execnz .LBB14_2277
; %bb.229:
	s_or_saveexec_b64 s[6:7], s[6:7]
	v_mov_b32_e32 v3, s10
	s_xor_b64 exec, exec, s[6:7]
	s_cbranch_execnz .LBB14_2280
.LBB14_230:
	s_or_b64 exec, exec, s[6:7]
	s_and_saveexec_b64 s[6:7], s[4:5]
	s_cbranch_execz .LBB14_232
.LBB14_231:
	v_mov_b32_e32 v3, 8
	v_and_b32_e32 v4, 7, v5
	v_lshrrev_b32_sdwa v3, v3, v5 dst_sel:BYTE_1 dst_unused:UNUSED_PAD src0_sel:DWORD src1_sel:DWORD
	v_ffbh_u32_e32 v6, v4
	v_or_b32_sdwa v3, v5, v3 dst_sel:DWORD dst_unused:UNUSED_PAD src0_sel:BYTE_0 src1_sel:DWORD
	v_min_u32_e32 v6, 32, v6
	v_lshrrev_b16_e32 v3, 3, v3
	v_subrev_u32_e32 v7, 28, v6
	v_and_b32_e32 v3, 15, v3
	v_lshlrev_b32_e32 v7, v7, v5
	v_sub_u32_e32 v6, 29, v6
	v_and_b32_e32 v7, 7, v7
	v_cmp_eq_u16_e32 vcc, 0, v3
	v_cndmask_b32_e32 v4, v4, v7, vcc
	v_cndmask_b32_e32 v3, v3, v6, vcc
	v_lshlrev_b32_e32 v6, 24, v5
	v_mov_b32_e32 v7, 0x3b800000
	v_lshlrev_b32_e32 v4, 20, v4
	v_and_b32_e32 v6, 0x80000000, v6
	v_lshl_add_u32 v3, v3, 23, v7
	v_or3_b32 v3, v6, v3, v4
.LBB14_232:
	s_or_b64 exec, exec, s[6:7]
	s_nop 0
	v_mfma_f32_16x16x4f32 a[0:3], v2, v3, a[0:3]
	v_lshrrev_b32_e32 v3, 8, v9
	s_movk_i32 s4, 0x7f
	v_cmp_gt_i16_sdwa s[6:7], v3, s4 src0_sel:BYTE_0 src1_sel:DWORD
	s_mov_b64 s[4:5], 0
                                        ; implicit-def: $sgpr10
	s_and_saveexec_b64 s[8:9], s[6:7]
	s_xor_b64 s[6:7], exec, s[8:9]
	s_cbranch_execnz .LBB14_2281
; %bb.233:
	s_or_saveexec_b64 s[6:7], s[6:7]
	v_mov_b32_e32 v2, s10
	s_xor_b64 exec, exec, s[6:7]
	s_cbranch_execnz .LBB14_2284
.LBB14_234:
	s_or_b64 exec, exec, s[6:7]
	s_and_saveexec_b64 s[6:7], s[4:5]
	s_cbranch_execz .LBB14_236
.LBB14_235:
	v_bfe_u32 v2, v9, 8, 3
	v_ffbh_u32_e32 v6, v2
	v_min_u32_e32 v6, 32, v6
	v_lshrrev_b16_e32 v4, 3, v3
	v_subrev_u32_e32 v7, 28, v6
	v_and_b32_e32 v4, 15, v4
	v_lshlrev_b32_e32 v3, v7, v3
	v_sub_u32_e32 v6, 29, v6
	v_and_b32_e32 v3, 7, v3
	v_cmp_eq_u16_e32 vcc, 0, v4
	v_cndmask_b32_e32 v2, v2, v3, vcc
	v_cndmask_b32_e32 v3, v4, v6, vcc
	v_lshlrev_b32_e32 v4, 16, v9
	v_mov_b32_e32 v6, 0x3b800000
	v_lshlrev_b32_e32 v2, 20, v2
	v_and_b32_e32 v4, 0x80000000, v4
	v_lshl_add_u32 v3, v3, 23, v6
	v_or3_b32 v2, v4, v3, v2
.LBB14_236:
	s_or_b64 exec, exec, s[6:7]
	v_lshrrev_b32_e32 v3, 8, v5
	s_movk_i32 s4, 0x7f
	v_cmp_gt_i16_sdwa s[6:7], v3, s4 src0_sel:BYTE_0 src1_sel:DWORD
	s_mov_b64 s[4:5], 0
                                        ; implicit-def: $sgpr10
	s_and_saveexec_b64 s[8:9], s[6:7]
	s_xor_b64 s[6:7], exec, s[8:9]
	s_cbranch_execnz .LBB14_2285
; %bb.237:
	s_or_saveexec_b64 s[6:7], s[6:7]
	v_mov_b32_e32 v4, s10
	s_xor_b64 exec, exec, s[6:7]
	s_cbranch_execnz .LBB14_2288
.LBB14_238:
	s_or_b64 exec, exec, s[6:7]
	s_and_saveexec_b64 s[6:7], s[4:5]
	s_cbranch_execz .LBB14_240
.LBB14_239:
	v_bfe_u32 v4, v5, 8, 3
	v_ffbh_u32_e32 v7, v4
	v_min_u32_e32 v7, 32, v7
	v_lshrrev_b16_e32 v6, 3, v3
	v_subrev_u32_e32 v8, 28, v7
	v_and_b32_e32 v6, 15, v6
	v_lshlrev_b32_e32 v3, v8, v3
	v_sub_u32_e32 v7, 29, v7
	v_and_b32_e32 v3, 7, v3
	v_cmp_eq_u16_e32 vcc, 0, v6
	v_cndmask_b32_e32 v3, v4, v3, vcc
	v_cndmask_b32_e32 v4, v6, v7, vcc
	v_lshlrev_b32_e32 v6, 16, v5
	v_mov_b32_e32 v7, 0x3b800000
	v_lshlrev_b32_e32 v3, 20, v3
	v_and_b32_e32 v6, 0x80000000, v6
	v_lshl_add_u32 v4, v4, 23, v7
	v_or3_b32 v4, v6, v4, v3
.LBB14_240:
	s_or_b64 exec, exec, s[6:7]
	s_nop 0
	v_mfma_f32_16x16x4f32 a[0:3], v2, v4, a[0:3]
	s_movk_i32 s4, 0xff
	v_and_b32_sdwa v3, v9, s4 dst_sel:DWORD dst_unused:UNUSED_PAD src0_sel:WORD_1 src1_sel:DWORD
	s_movk_i32 s4, 0x7f
	v_cmp_lt_i16_e32 vcc, s4, v3
	s_mov_b64 s[4:5], 0
                                        ; implicit-def: $sgpr10
	s_and_saveexec_b64 s[6:7], vcc
	s_xor_b64 s[6:7], exec, s[6:7]
	s_cbranch_execnz .LBB14_2289
; %bb.241:
	s_or_saveexec_b64 s[6:7], s[6:7]
	v_mov_b32_e32 v2, s10
	s_xor_b64 exec, exec, s[6:7]
	s_cbranch_execnz .LBB14_2292
.LBB14_242:
	s_or_b64 exec, exec, s[6:7]
	s_and_saveexec_b64 s[6:7], s[4:5]
	s_cbranch_execz .LBB14_244
.LBB14_243:
	v_bfe_u32 v2, v9, 16, 3
	v_ffbh_u32_e32 v6, v2
	v_min_u32_e32 v6, 32, v6
	v_lshrrev_b32_e32 v3, 19, v9
	v_subrev_u32_e32 v7, 28, v6
	v_and_b32_e32 v3, 15, v3
	v_lshlrev_b32_sdwa v7, v7, v9 dst_sel:DWORD dst_unused:UNUSED_PAD src0_sel:DWORD src1_sel:WORD_1
	v_bfe_u32 v4, v9, 19, 4
	v_sub_u32_e32 v6, 29, v6
	v_and_b32_e32 v7, 7, v7
	v_cmp_eq_u16_e32 vcc, 0, v3
	v_cndmask_b32_e32 v2, v2, v7, vcc
	v_cndmask_b32_e32 v3, v4, v6, vcc
	v_lshlrev_b32_e32 v4, 8, v9
	v_mov_b32_e32 v6, 0x3b800000
	v_lshlrev_b32_e32 v2, 20, v2
	v_and_b32_e32 v4, 0x80000000, v4
	v_lshl_add_u32 v3, v3, 23, v6
	v_or3_b32 v2, v4, v3, v2
.LBB14_244:
	s_or_b64 exec, exec, s[6:7]
	s_movk_i32 s4, 0xff
	v_and_b32_sdwa v3, v5, s4 dst_sel:DWORD dst_unused:UNUSED_PAD src0_sel:WORD_1 src1_sel:DWORD
	s_movk_i32 s4, 0x7f
	v_cmp_lt_i16_e32 vcc, s4, v3
	s_mov_b64 s[4:5], 0
                                        ; implicit-def: $sgpr10
	s_and_saveexec_b64 s[6:7], vcc
	s_xor_b64 s[6:7], exec, s[6:7]
	s_cbranch_execnz .LBB14_2293
; %bb.245:
	s_or_saveexec_b64 s[6:7], s[6:7]
	v_mov_b32_e32 v4, s10
	s_xor_b64 exec, exec, s[6:7]
	s_cbranch_execnz .LBB14_2296
.LBB14_246:
	s_or_b64 exec, exec, s[6:7]
	s_and_saveexec_b64 s[6:7], s[4:5]
	s_cbranch_execz .LBB14_248
.LBB14_247:
	v_bfe_u32 v3, v5, 16, 3
	v_ffbh_u32_e32 v7, v3
	v_min_u32_e32 v7, 32, v7
	v_lshrrev_b32_e32 v4, 19, v5
	v_subrev_u32_e32 v8, 28, v7
	v_and_b32_e32 v4, 15, v4
	v_lshlrev_b32_sdwa v8, v8, v5 dst_sel:DWORD dst_unused:UNUSED_PAD src0_sel:DWORD src1_sel:WORD_1
	v_bfe_u32 v6, v5, 19, 4
	v_sub_u32_e32 v7, 29, v7
	v_and_b32_e32 v8, 7, v8
	v_cmp_eq_u16_e32 vcc, 0, v4
	v_cndmask_b32_e32 v3, v3, v8, vcc
	v_cndmask_b32_e32 v4, v6, v7, vcc
	v_lshlrev_b32_e32 v6, 8, v5
	v_mov_b32_e32 v7, 0x3b800000
	v_lshlrev_b32_e32 v3, 20, v3
	v_and_b32_e32 v6, 0x80000000, v6
	v_lshl_add_u32 v4, v4, 23, v7
	v_or3_b32 v4, v6, v4, v3
.LBB14_248:
	s_or_b64 exec, exec, s[6:7]
	s_nop 0
	v_mfma_f32_16x16x4f32 a[0:3], v2, v4, a[0:3]
	s_movk_i32 s4, 0x7f
	v_cmp_gt_i16_sdwa s[6:7], v9, s4 src0_sel:BYTE_3 src1_sel:DWORD
	s_mov_b64 s[4:5], 0
                                        ; implicit-def: $sgpr10
	s_and_saveexec_b64 s[8:9], s[6:7]
	s_xor_b64 s[6:7], exec, s[8:9]
	s_cbranch_execnz .LBB14_2297
; %bb.249:
	s_or_saveexec_b64 s[6:7], s[6:7]
	v_mov_b32_e32 v2, s10
	s_xor_b64 exec, exec, s[6:7]
	s_cbranch_execnz .LBB14_2300
.LBB14_250:
	s_or_b64 exec, exec, s[6:7]
	s_and_saveexec_b64 s[6:7], s[4:5]
	s_cbranch_execz .LBB14_252
.LBB14_251:
	v_bfe_u32 v2, v9, 24, 3
	v_ffbh_u32_e32 v7, v2
	v_min_u32_e32 v7, 32, v7
	v_lshrrev_b32_e32 v4, 27, v9
	v_subrev_u32_e32 v8, 28, v7
	v_and_b32_e32 v4, 15, v4
	v_lshlrev_b32_sdwa v8, v8, v9 dst_sel:DWORD dst_unused:UNUSED_PAD src0_sel:DWORD src1_sel:BYTE_3
	v_bfe_u32 v6, v9, 27, 4
	v_sub_u32_e32 v7, 29, v7
	v_and_b32_e32 v8, 7, v8
	v_cmp_eq_u16_e32 vcc, 0, v4
	v_cndmask_b32_e32 v2, v2, v8, vcc
	v_cndmask_b32_e32 v4, v6, v7, vcc
	v_mov_b32_e32 v6, 0x3b800000
	v_and_b32_e32 v3, 0x80000000, v9
	v_lshlrev_b32_e32 v2, 20, v2
	v_lshl_add_u32 v4, v4, 23, v6
	v_or3_b32 v2, v3, v4, v2
.LBB14_252:
	s_or_b64 exec, exec, s[6:7]
	s_movk_i32 s4, 0x7f
	v_cmp_gt_i16_sdwa s[6:7], v5, s4 src0_sel:BYTE_3 src1_sel:DWORD
	s_mov_b64 s[4:5], 0
                                        ; implicit-def: $sgpr10
	s_and_saveexec_b64 s[8:9], s[6:7]
	s_xor_b64 s[6:7], exec, s[8:9]
	s_cbranch_execnz .LBB14_2301
; %bb.253:
	s_or_saveexec_b64 s[6:7], s[6:7]
	v_mov_b32_e32 v3, s10
	s_xor_b64 exec, exec, s[6:7]
	s_cbranch_execnz .LBB14_2304
.LBB14_254:
	s_or_b64 exec, exec, s[6:7]
	s_and_saveexec_b64 s[6:7], s[4:5]
	s_cbranch_execz .LBB14_256
.LBB14_255:
	v_bfe_u32 v3, v5, 24, 3
	v_ffbh_u32_e32 v8, v3
	v_min_u32_e32 v8, 32, v8
	v_lshrrev_b32_e32 v6, 27, v5
	v_subrev_u32_e32 v9, 28, v8
	v_and_b32_e32 v4, 0x80000000, v5
	v_and_b32_e32 v6, 15, v6
	v_bfe_u32 v7, v5, 27, 4
	v_lshlrev_b32_sdwa v5, v9, v5 dst_sel:DWORD dst_unused:UNUSED_PAD src0_sel:DWORD src1_sel:BYTE_3
	v_sub_u32_e32 v8, 29, v8
	v_and_b32_e32 v5, 7, v5
	v_cmp_eq_u16_e32 vcc, 0, v6
	v_cndmask_b32_e32 v3, v3, v5, vcc
	v_cndmask_b32_e32 v5, v7, v8, vcc
	v_mov_b32_e32 v6, 0x3b800000
	v_lshlrev_b32_e32 v3, 20, v3
	v_lshl_add_u32 v5, v5, 23, v6
	v_or3_b32 v3, v4, v5, v3
.LBB14_256:
	s_or_b64 exec, exec, s[6:7]
	s_nop 0
	v_mfma_f32_16x16x4f32 a[0:3], v2, v3, a[0:3]
	s_movk_i32 s4, 0x7f
                                        ; implicit-def: $sgpr10
	s_nop 7
	s_nop 1
	flat_store_dwordx4 v[10:11], a[0:3] offset:16
	flat_load_dwordx4 v[12:15], v[0:1] offset:8
	s_nop 0
	flat_load_dwordx2 v[10:11], v[0:1] offset:32
	s_waitcnt vmcnt(0) lgkmcnt(0)
	flat_load_dwordx4 v[6:9], v[12:13]
	flat_load_dwordx4 v[2:5], v[14:15] offset:64
	s_waitcnt vmcnt(0) lgkmcnt(0)
	v_cmp_gt_i16_sdwa s[6:7], v6, s4 src0_sel:BYTE_0 src1_sel:DWORD
	s_mov_b64 s[4:5], 0
	s_and_saveexec_b64 s[8:9], s[6:7]
	s_xor_b64 s[6:7], exec, s[8:9]
	s_cbranch_execnz .LBB14_2305
; %bb.257:
	s_or_saveexec_b64 s[6:7], s[6:7]
	v_mov_b32_e32 v12, s10
	s_xor_b64 exec, exec, s[6:7]
	s_cbranch_execnz .LBB14_2308
.LBB14_258:
	s_or_b64 exec, exec, s[6:7]
	s_and_saveexec_b64 s[6:7], s[4:5]
	s_cbranch_execz .LBB14_260
.LBB14_259:
	v_and_b32_e32 v12, 7, v6
	v_ffbh_u32_e32 v14, v12
	v_min_u32_e32 v14, 32, v14
	v_lshrrev_b16_e32 v13, 3, v6
	v_subrev_u32_e32 v15, 28, v14
	v_and_b32_e32 v13, 15, v13
	v_lshlrev_b32_e32 v15, v15, v6
	v_sub_u32_e32 v14, 29, v14
	v_and_b32_e32 v15, 7, v15
	v_cmp_eq_u16_e32 vcc, 0, v13
	v_cndmask_b32_e32 v12, v12, v15, vcc
	v_cndmask_b32_e32 v13, v13, v14, vcc
	v_lshlrev_b32_e32 v14, 24, v6
	v_mov_b32_e32 v15, 0x3b800000
	v_lshlrev_b32_e32 v12, 20, v12
	v_and_b32_e32 v14, 0x80000000, v14
	v_lshl_add_u32 v13, v13, 23, v15
	v_or3_b32 v12, v14, v13, v12
.LBB14_260:
	s_or_b64 exec, exec, s[6:7]
	s_movk_i32 s4, 0x7f
	v_cmp_gt_i16_sdwa s[6:7], v2, s4 src0_sel:BYTE_0 src1_sel:DWORD
	s_mov_b64 s[4:5], 0
                                        ; implicit-def: $sgpr10
	s_and_saveexec_b64 s[8:9], s[6:7]
	s_xor_b64 s[6:7], exec, s[8:9]
	s_cbranch_execnz .LBB14_2309
; %bb.261:
	s_or_saveexec_b64 s[6:7], s[6:7]
	v_mov_b32_e32 v13, s10
	s_xor_b64 exec, exec, s[6:7]
	s_cbranch_execnz .LBB14_2312
.LBB14_262:
	s_or_b64 exec, exec, s[6:7]
	s_and_saveexec_b64 s[6:7], s[4:5]
	s_cbranch_execz .LBB14_264
.LBB14_263:
	v_and_b32_e32 v13, 7, v2
	v_ffbh_u32_e32 v15, v13
	v_min_u32_e32 v15, 32, v15
	v_lshrrev_b16_e32 v14, 3, v2
	v_subrev_u32_e32 v16, 28, v15
	v_and_b32_e32 v14, 15, v14
	v_lshlrev_b32_e32 v16, v16, v2
	v_sub_u32_e32 v15, 29, v15
	v_and_b32_e32 v16, 7, v16
	v_cmp_eq_u16_e32 vcc, 0, v14
	v_cndmask_b32_e32 v13, v13, v16, vcc
	v_cndmask_b32_e32 v14, v14, v15, vcc
	v_lshlrev_b32_e32 v15, 24, v2
	v_mov_b32_e32 v16, 0x3b800000
	v_lshlrev_b32_e32 v13, 20, v13
	v_and_b32_e32 v15, 0x80000000, v15
	v_lshl_add_u32 v14, v14, 23, v16
	v_or3_b32 v13, v15, v14, v13
.LBB14_264:
	s_or_b64 exec, exec, s[6:7]
	flat_load_dwordx4 a[0:3], v[10:11] offset:32
	s_movk_i32 s4, 0x7f
                                        ; implicit-def: $sgpr10
	s_waitcnt vmcnt(0) lgkmcnt(0)
	v_mfma_f32_16x16x4f32 a[0:3], v12, v13, a[0:3]
	v_lshrrev_b32_e32 v13, 8, v6
	v_cmp_gt_i16_sdwa s[6:7], v13, s4 src0_sel:BYTE_0 src1_sel:DWORD
	s_mov_b64 s[4:5], 0
	s_and_saveexec_b64 s[8:9], s[6:7]
	s_xor_b64 s[6:7], exec, s[8:9]
	s_cbranch_execnz .LBB14_2313
; %bb.265:
	s_or_saveexec_b64 s[6:7], s[6:7]
	v_mov_b32_e32 v12, s10
	s_xor_b64 exec, exec, s[6:7]
	s_cbranch_execnz .LBB14_2316
.LBB14_266:
	s_or_b64 exec, exec, s[6:7]
	s_and_saveexec_b64 s[6:7], s[4:5]
	s_cbranch_execz .LBB14_268
.LBB14_267:
	v_bfe_u32 v12, v6, 8, 3
	v_ffbh_u32_e32 v15, v12
	v_min_u32_e32 v15, 32, v15
	v_lshrrev_b16_e32 v14, 3, v13
	v_subrev_u32_e32 v16, 28, v15
	v_and_b32_e32 v14, 15, v14
	v_lshlrev_b32_e32 v13, v16, v13
	v_sub_u32_e32 v15, 29, v15
	v_and_b32_e32 v13, 7, v13
	v_cmp_eq_u16_e32 vcc, 0, v14
	v_cndmask_b32_e32 v12, v12, v13, vcc
	v_cndmask_b32_e32 v13, v14, v15, vcc
	v_lshlrev_b32_e32 v14, 16, v6
	v_mov_b32_e32 v15, 0x3b800000
	v_lshlrev_b32_e32 v12, 20, v12
	v_and_b32_e32 v14, 0x80000000, v14
	v_lshl_add_u32 v13, v13, 23, v15
	v_or3_b32 v12, v14, v13, v12
.LBB14_268:
	s_or_b64 exec, exec, s[6:7]
	v_lshrrev_b32_e32 v13, 8, v2
	s_movk_i32 s4, 0x7f
	v_cmp_gt_i16_sdwa s[6:7], v13, s4 src0_sel:BYTE_0 src1_sel:DWORD
	s_mov_b64 s[4:5], 0
                                        ; implicit-def: $sgpr10
	s_and_saveexec_b64 s[8:9], s[6:7]
	s_xor_b64 s[6:7], exec, s[8:9]
	s_cbranch_execnz .LBB14_2317
; %bb.269:
	s_or_saveexec_b64 s[6:7], s[6:7]
	v_mov_b32_e32 v14, s10
	s_xor_b64 exec, exec, s[6:7]
	s_cbranch_execnz .LBB14_2320
.LBB14_270:
	s_or_b64 exec, exec, s[6:7]
	s_and_saveexec_b64 s[6:7], s[4:5]
	s_cbranch_execz .LBB14_272
.LBB14_271:
	v_bfe_u32 v14, v2, 8, 3
	v_ffbh_u32_e32 v16, v14
	v_min_u32_e32 v16, 32, v16
	v_lshrrev_b16_e32 v15, 3, v13
	v_subrev_u32_e32 v17, 28, v16
	v_and_b32_e32 v15, 15, v15
	v_lshlrev_b32_e32 v13, v17, v13
	v_sub_u32_e32 v16, 29, v16
	v_and_b32_e32 v13, 7, v13
	v_cmp_eq_u16_e32 vcc, 0, v15
	v_cndmask_b32_e32 v13, v14, v13, vcc
	v_cndmask_b32_e32 v14, v15, v16, vcc
	v_lshlrev_b32_e32 v15, 16, v2
	v_mov_b32_e32 v16, 0x3b800000
	v_lshlrev_b32_e32 v13, 20, v13
	v_and_b32_e32 v15, 0x80000000, v15
	v_lshl_add_u32 v14, v14, 23, v16
	v_or3_b32 v14, v15, v14, v13
.LBB14_272:
	s_or_b64 exec, exec, s[6:7]
	s_nop 0
	v_mfma_f32_16x16x4f32 a[0:3], v12, v14, a[0:3]
	s_movk_i32 s4, 0xff
	v_and_b32_sdwa v13, v6, s4 dst_sel:DWORD dst_unused:UNUSED_PAD src0_sel:WORD_1 src1_sel:DWORD
	s_movk_i32 s4, 0x7f
	v_cmp_lt_i16_e32 vcc, s4, v13
	s_mov_b64 s[4:5], 0
                                        ; implicit-def: $sgpr10
	s_and_saveexec_b64 s[6:7], vcc
	s_xor_b64 s[6:7], exec, s[6:7]
	s_cbranch_execnz .LBB14_2321
; %bb.273:
	s_or_saveexec_b64 s[6:7], s[6:7]
	v_mov_b32_e32 v12, s10
	s_xor_b64 exec, exec, s[6:7]
	s_cbranch_execnz .LBB14_2324
.LBB14_274:
	s_or_b64 exec, exec, s[6:7]
	s_and_saveexec_b64 s[6:7], s[4:5]
	s_cbranch_execz .LBB14_276
.LBB14_275:
	v_bfe_u32 v12, v6, 16, 3
	v_ffbh_u32_e32 v15, v12
	v_min_u32_e32 v15, 32, v15
	v_lshrrev_b32_e32 v13, 19, v6
	v_subrev_u32_e32 v16, 28, v15
	v_and_b32_e32 v13, 15, v13
	v_lshlrev_b32_sdwa v16, v16, v6 dst_sel:DWORD dst_unused:UNUSED_PAD src0_sel:DWORD src1_sel:WORD_1
	v_bfe_u32 v14, v6, 19, 4
	v_sub_u32_e32 v15, 29, v15
	v_and_b32_e32 v16, 7, v16
	v_cmp_eq_u16_e32 vcc, 0, v13
	v_cndmask_b32_e32 v12, v12, v16, vcc
	v_cndmask_b32_e32 v13, v14, v15, vcc
	v_lshlrev_b32_e32 v14, 8, v6
	v_mov_b32_e32 v15, 0x3b800000
	v_lshlrev_b32_e32 v12, 20, v12
	v_and_b32_e32 v14, 0x80000000, v14
	v_lshl_add_u32 v13, v13, 23, v15
	v_or3_b32 v12, v14, v13, v12
.LBB14_276:
	s_or_b64 exec, exec, s[6:7]
	s_movk_i32 s4, 0xff
	v_and_b32_sdwa v13, v2, s4 dst_sel:DWORD dst_unused:UNUSED_PAD src0_sel:WORD_1 src1_sel:DWORD
	s_movk_i32 s4, 0x7f
	v_cmp_lt_i16_e32 vcc, s4, v13
	s_mov_b64 s[4:5], 0
                                        ; implicit-def: $sgpr10
	s_and_saveexec_b64 s[6:7], vcc
	s_xor_b64 s[6:7], exec, s[6:7]
	s_cbranch_execnz .LBB14_2325
; %bb.277:
	s_or_saveexec_b64 s[6:7], s[6:7]
	v_mov_b32_e32 v14, s10
	s_xor_b64 exec, exec, s[6:7]
	s_cbranch_execnz .LBB14_2328
.LBB14_278:
	s_or_b64 exec, exec, s[6:7]
	s_and_saveexec_b64 s[6:7], s[4:5]
	s_cbranch_execz .LBB14_280
.LBB14_279:
	v_bfe_u32 v13, v2, 16, 3
	v_ffbh_u32_e32 v16, v13
	v_min_u32_e32 v16, 32, v16
	v_lshrrev_b32_e32 v14, 19, v2
	v_subrev_u32_e32 v17, 28, v16
	v_and_b32_e32 v14, 15, v14
	v_lshlrev_b32_sdwa v17, v17, v2 dst_sel:DWORD dst_unused:UNUSED_PAD src0_sel:DWORD src1_sel:WORD_1
	v_bfe_u32 v15, v2, 19, 4
	v_sub_u32_e32 v16, 29, v16
	v_and_b32_e32 v17, 7, v17
	v_cmp_eq_u16_e32 vcc, 0, v14
	v_cndmask_b32_e32 v13, v13, v17, vcc
	v_cndmask_b32_e32 v14, v15, v16, vcc
	v_lshlrev_b32_e32 v15, 8, v2
	v_mov_b32_e32 v16, 0x3b800000
	v_lshlrev_b32_e32 v13, 20, v13
	v_and_b32_e32 v15, 0x80000000, v15
	v_lshl_add_u32 v14, v14, 23, v16
	v_or3_b32 v14, v15, v14, v13
.LBB14_280:
	s_or_b64 exec, exec, s[6:7]
	s_nop 0
	v_mfma_f32_16x16x4f32 a[0:3], v12, v14, a[0:3]
	s_movk_i32 s4, 0x7f
	v_cmp_gt_i16_sdwa s[6:7], v6, s4 src0_sel:BYTE_3 src1_sel:DWORD
	s_mov_b64 s[4:5], 0
                                        ; implicit-def: $sgpr10
	s_and_saveexec_b64 s[8:9], s[6:7]
	s_xor_b64 s[6:7], exec, s[8:9]
	s_cbranch_execnz .LBB14_2329
; %bb.281:
	s_or_saveexec_b64 s[6:7], s[6:7]
	v_mov_b32_e32 v12, s10
	s_xor_b64 exec, exec, s[6:7]
	s_cbranch_execnz .LBB14_2332
.LBB14_282:
	s_or_b64 exec, exec, s[6:7]
	s_and_saveexec_b64 s[6:7], s[4:5]
	s_cbranch_execz .LBB14_284
.LBB14_283:
	v_bfe_u32 v12, v6, 24, 3
	v_ffbh_u32_e32 v16, v12
	v_min_u32_e32 v16, 32, v16
	v_lshrrev_b32_e32 v14, 27, v6
	v_subrev_u32_e32 v17, 28, v16
	v_and_b32_e32 v13, 0x80000000, v6
	v_and_b32_e32 v14, 15, v14
	v_bfe_u32 v15, v6, 27, 4
	v_lshlrev_b32_sdwa v6, v17, v6 dst_sel:DWORD dst_unused:UNUSED_PAD src0_sel:DWORD src1_sel:BYTE_3
	v_sub_u32_e32 v16, 29, v16
	v_and_b32_e32 v6, 7, v6
	v_cmp_eq_u16_e32 vcc, 0, v14
	v_cndmask_b32_e32 v6, v12, v6, vcc
	v_cndmask_b32_e32 v12, v15, v16, vcc
	v_mov_b32_e32 v14, 0x3b800000
	v_lshlrev_b32_e32 v6, 20, v6
	v_lshl_add_u32 v12, v12, 23, v14
	v_or3_b32 v12, v13, v12, v6
.LBB14_284:
	s_or_b64 exec, exec, s[6:7]
	s_movk_i32 s4, 0x7f
	v_cmp_gt_i16_sdwa s[6:7], v2, s4 src0_sel:BYTE_3 src1_sel:DWORD
	s_mov_b64 s[4:5], 0
                                        ; implicit-def: $sgpr10
	s_and_saveexec_b64 s[8:9], s[6:7]
	s_xor_b64 s[6:7], exec, s[8:9]
	s_cbranch_execnz .LBB14_2333
; %bb.285:
	s_or_saveexec_b64 s[6:7], s[6:7]
	v_mov_b32_e32 v6, s10
	s_xor_b64 exec, exec, s[6:7]
	s_cbranch_execnz .LBB14_2336
.LBB14_286:
	s_or_b64 exec, exec, s[6:7]
	s_and_saveexec_b64 s[6:7], s[4:5]
	s_cbranch_execz .LBB14_288
.LBB14_287:
	v_bfe_u32 v6, v2, 24, 3
	v_ffbh_u32_e32 v16, v6
	v_min_u32_e32 v16, 32, v16
	v_lshrrev_b32_e32 v14, 27, v2
	v_subrev_u32_e32 v17, 28, v16
	v_and_b32_e32 v13, 0x80000000, v2
	v_and_b32_e32 v14, 15, v14
	v_bfe_u32 v15, v2, 27, 4
	v_lshlrev_b32_sdwa v2, v17, v2 dst_sel:DWORD dst_unused:UNUSED_PAD src0_sel:DWORD src1_sel:BYTE_3
	v_sub_u32_e32 v16, 29, v16
	v_and_b32_e32 v2, 7, v2
	v_cmp_eq_u16_e32 vcc, 0, v14
	v_cndmask_b32_e32 v2, v6, v2, vcc
	v_cndmask_b32_e32 v6, v15, v16, vcc
	v_mov_b32_e32 v14, 0x3b800000
	v_lshlrev_b32_e32 v2, 20, v2
	v_lshl_add_u32 v6, v6, 23, v14
	v_or3_b32 v6, v13, v6, v2
.LBB14_288:
	s_or_b64 exec, exec, s[6:7]
	s_nop 0
	v_mfma_f32_16x16x4f32 a[0:3], v12, v6, a[0:3]
	s_movk_i32 s4, 0x7f
	v_cmp_gt_i16_sdwa s[6:7], v7, s4 src0_sel:BYTE_0 src1_sel:DWORD
	s_mov_b64 s[4:5], 0
                                        ; implicit-def: $sgpr10
	s_and_saveexec_b64 s[8:9], s[6:7]
	s_xor_b64 s[6:7], exec, s[8:9]
	s_cbranch_execnz .LBB14_2337
; %bb.289:
	s_or_saveexec_b64 s[6:7], s[6:7]
	v_mov_b32_e32 v2, s10
	s_xor_b64 exec, exec, s[6:7]
	s_cbranch_execnz .LBB14_2340
.LBB14_290:
	s_or_b64 exec, exec, s[6:7]
	s_and_saveexec_b64 s[6:7], s[4:5]
	s_cbranch_execz .LBB14_292
.LBB14_291:
	v_and_b32_e32 v2, 7, v7
	v_ffbh_u32_e32 v12, v2
	v_min_u32_e32 v12, 32, v12
	v_lshrrev_b16_e32 v6, 3, v7
	v_subrev_u32_e32 v13, 28, v12
	v_and_b32_e32 v6, 15, v6
	v_lshlrev_b32_e32 v13, v13, v7
	v_sub_u32_e32 v12, 29, v12
	v_and_b32_e32 v13, 7, v13
	v_cmp_eq_u16_e32 vcc, 0, v6
	v_cndmask_b32_e32 v2, v2, v13, vcc
	v_cndmask_b32_e32 v6, v6, v12, vcc
	v_lshlrev_b32_e32 v12, 24, v7
	v_mov_b32_e32 v13, 0x3b800000
	v_lshlrev_b32_e32 v2, 20, v2
	v_and_b32_e32 v12, 0x80000000, v12
	v_lshl_add_u32 v6, v6, 23, v13
	v_or3_b32 v2, v12, v6, v2
.LBB14_292:
	s_or_b64 exec, exec, s[6:7]
	s_movk_i32 s4, 0x7f
	v_cmp_gt_i16_sdwa s[6:7], v3, s4 src0_sel:BYTE_0 src1_sel:DWORD
	s_mov_b64 s[4:5], 0
                                        ; implicit-def: $sgpr10
	s_and_saveexec_b64 s[8:9], s[6:7]
	s_xor_b64 s[6:7], exec, s[8:9]
	s_cbranch_execnz .LBB14_2341
; %bb.293:
	s_or_saveexec_b64 s[6:7], s[6:7]
	v_mov_b32_e32 v6, s10
	s_xor_b64 exec, exec, s[6:7]
	s_cbranch_execnz .LBB14_2344
.LBB14_294:
	s_or_b64 exec, exec, s[6:7]
	s_and_saveexec_b64 s[6:7], s[4:5]
	s_cbranch_execz .LBB14_296
.LBB14_295:
	v_and_b32_e32 v6, 7, v3
	v_ffbh_u32_e32 v13, v6
	v_min_u32_e32 v13, 32, v13
	v_lshrrev_b16_e32 v12, 3, v3
	v_subrev_u32_e32 v14, 28, v13
	v_and_b32_e32 v12, 15, v12
	v_lshlrev_b32_e32 v14, v14, v3
	v_sub_u32_e32 v13, 29, v13
	v_and_b32_e32 v14, 7, v14
	v_cmp_eq_u16_e32 vcc, 0, v12
	v_cndmask_b32_e32 v6, v6, v14, vcc
	v_cndmask_b32_e32 v12, v12, v13, vcc
	v_lshlrev_b32_e32 v13, 24, v3
	v_mov_b32_e32 v14, 0x3b800000
	v_lshlrev_b32_e32 v6, 20, v6
	v_and_b32_e32 v13, 0x80000000, v13
	v_lshl_add_u32 v12, v12, 23, v14
	v_or3_b32 v6, v13, v12, v6
.LBB14_296:
	s_or_b64 exec, exec, s[6:7]
	s_nop 0
	v_mfma_f32_16x16x4f32 a[0:3], v2, v6, a[0:3]
	v_lshrrev_b32_e32 v6, 8, v7
	s_movk_i32 s4, 0x7f
	v_cmp_gt_i16_sdwa s[6:7], v6, s4 src0_sel:BYTE_0 src1_sel:DWORD
	s_mov_b64 s[4:5], 0
                                        ; implicit-def: $sgpr10
	s_and_saveexec_b64 s[8:9], s[6:7]
	s_xor_b64 s[6:7], exec, s[8:9]
	s_cbranch_execnz .LBB14_2345
; %bb.297:
	s_or_saveexec_b64 s[6:7], s[6:7]
	v_mov_b32_e32 v2, s10
	s_xor_b64 exec, exec, s[6:7]
	s_cbranch_execnz .LBB14_2348
.LBB14_298:
	s_or_b64 exec, exec, s[6:7]
	s_and_saveexec_b64 s[6:7], s[4:5]
	s_cbranch_execz .LBB14_300
.LBB14_299:
	v_bfe_u32 v2, v7, 8, 3
	v_ffbh_u32_e32 v13, v2
	v_min_u32_e32 v13, 32, v13
	v_lshrrev_b16_e32 v12, 3, v6
	v_subrev_u32_e32 v14, 28, v13
	v_and_b32_e32 v12, 15, v12
	v_lshlrev_b32_e32 v6, v14, v6
	v_sub_u32_e32 v13, 29, v13
	v_and_b32_e32 v6, 7, v6
	v_cmp_eq_u16_e32 vcc, 0, v12
	v_cndmask_b32_e32 v2, v2, v6, vcc
	v_cndmask_b32_e32 v6, v12, v13, vcc
	v_lshlrev_b32_e32 v12, 16, v7
	v_mov_b32_e32 v13, 0x3b800000
	v_lshlrev_b32_e32 v2, 20, v2
	v_and_b32_e32 v12, 0x80000000, v12
	v_lshl_add_u32 v6, v6, 23, v13
	v_or3_b32 v2, v12, v6, v2
.LBB14_300:
	s_or_b64 exec, exec, s[6:7]
	v_lshrrev_b32_e32 v6, 8, v3
	s_movk_i32 s4, 0x7f
	v_cmp_gt_i16_sdwa s[6:7], v6, s4 src0_sel:BYTE_0 src1_sel:DWORD
	s_mov_b64 s[4:5], 0
                                        ; implicit-def: $sgpr10
	s_and_saveexec_b64 s[8:9], s[6:7]
	s_xor_b64 s[6:7], exec, s[8:9]
	s_cbranch_execnz .LBB14_2349
; %bb.301:
	s_or_saveexec_b64 s[6:7], s[6:7]
	v_mov_b32_e32 v12, s10
	s_xor_b64 exec, exec, s[6:7]
	s_cbranch_execnz .LBB14_2352
.LBB14_302:
	s_or_b64 exec, exec, s[6:7]
	s_and_saveexec_b64 s[6:7], s[4:5]
	s_cbranch_execz .LBB14_304
.LBB14_303:
	v_bfe_u32 v12, v3, 8, 3
	v_ffbh_u32_e32 v14, v12
	v_min_u32_e32 v14, 32, v14
	v_lshrrev_b16_e32 v13, 3, v6
	v_subrev_u32_e32 v15, 28, v14
	v_and_b32_e32 v13, 15, v13
	v_lshlrev_b32_e32 v6, v15, v6
	v_sub_u32_e32 v14, 29, v14
	v_and_b32_e32 v6, 7, v6
	v_cmp_eq_u16_e32 vcc, 0, v13
	v_cndmask_b32_e32 v6, v12, v6, vcc
	v_cndmask_b32_e32 v12, v13, v14, vcc
	v_lshlrev_b32_e32 v13, 16, v3
	v_mov_b32_e32 v14, 0x3b800000
	v_lshlrev_b32_e32 v6, 20, v6
	v_and_b32_e32 v13, 0x80000000, v13
	v_lshl_add_u32 v12, v12, 23, v14
	v_or3_b32 v12, v13, v12, v6
.LBB14_304:
	s_or_b64 exec, exec, s[6:7]
	s_nop 0
	v_mfma_f32_16x16x4f32 a[0:3], v2, v12, a[0:3]
	s_movk_i32 s4, 0xff
	v_and_b32_sdwa v6, v7, s4 dst_sel:DWORD dst_unused:UNUSED_PAD src0_sel:WORD_1 src1_sel:DWORD
	s_movk_i32 s4, 0x7f
	v_cmp_lt_i16_e32 vcc, s4, v6
	s_mov_b64 s[4:5], 0
                                        ; implicit-def: $sgpr10
	s_and_saveexec_b64 s[6:7], vcc
	s_xor_b64 s[6:7], exec, s[6:7]
	s_cbranch_execnz .LBB14_2353
; %bb.305:
	s_or_saveexec_b64 s[6:7], s[6:7]
	v_mov_b32_e32 v2, s10
	s_xor_b64 exec, exec, s[6:7]
	s_cbranch_execnz .LBB14_2356
.LBB14_306:
	s_or_b64 exec, exec, s[6:7]
	s_and_saveexec_b64 s[6:7], s[4:5]
	s_cbranch_execz .LBB14_308
.LBB14_307:
	v_bfe_u32 v2, v7, 16, 3
	v_ffbh_u32_e32 v13, v2
	v_min_u32_e32 v13, 32, v13
	v_lshrrev_b32_e32 v6, 19, v7
	v_subrev_u32_e32 v14, 28, v13
	v_and_b32_e32 v6, 15, v6
	v_lshlrev_b32_sdwa v14, v14, v7 dst_sel:DWORD dst_unused:UNUSED_PAD src0_sel:DWORD src1_sel:WORD_1
	v_bfe_u32 v12, v7, 19, 4
	v_sub_u32_e32 v13, 29, v13
	v_and_b32_e32 v14, 7, v14
	v_cmp_eq_u16_e32 vcc, 0, v6
	v_cndmask_b32_e32 v2, v2, v14, vcc
	v_cndmask_b32_e32 v6, v12, v13, vcc
	v_lshlrev_b32_e32 v12, 8, v7
	v_mov_b32_e32 v13, 0x3b800000
	v_lshlrev_b32_e32 v2, 20, v2
	v_and_b32_e32 v12, 0x80000000, v12
	v_lshl_add_u32 v6, v6, 23, v13
	v_or3_b32 v2, v12, v6, v2
.LBB14_308:
	s_or_b64 exec, exec, s[6:7]
	s_movk_i32 s4, 0xff
	v_and_b32_sdwa v6, v3, s4 dst_sel:DWORD dst_unused:UNUSED_PAD src0_sel:WORD_1 src1_sel:DWORD
	s_movk_i32 s4, 0x7f
	v_cmp_lt_i16_e32 vcc, s4, v6
	s_mov_b64 s[4:5], 0
                                        ; implicit-def: $sgpr10
	s_and_saveexec_b64 s[6:7], vcc
	s_xor_b64 s[6:7], exec, s[6:7]
	s_cbranch_execnz .LBB14_2357
; %bb.309:
	s_or_saveexec_b64 s[6:7], s[6:7]
	v_mov_b32_e32 v12, s10
	s_xor_b64 exec, exec, s[6:7]
	s_cbranch_execnz .LBB14_2360
.LBB14_310:
	s_or_b64 exec, exec, s[6:7]
	s_and_saveexec_b64 s[6:7], s[4:5]
	s_cbranch_execz .LBB14_312
.LBB14_311:
	v_bfe_u32 v6, v3, 16, 3
	v_ffbh_u32_e32 v14, v6
	v_min_u32_e32 v14, 32, v14
	v_lshrrev_b32_e32 v12, 19, v3
	v_subrev_u32_e32 v15, 28, v14
	v_and_b32_e32 v12, 15, v12
	v_lshlrev_b32_sdwa v15, v15, v3 dst_sel:DWORD dst_unused:UNUSED_PAD src0_sel:DWORD src1_sel:WORD_1
	v_bfe_u32 v13, v3, 19, 4
	v_sub_u32_e32 v14, 29, v14
	v_and_b32_e32 v15, 7, v15
	v_cmp_eq_u16_e32 vcc, 0, v12
	v_cndmask_b32_e32 v6, v6, v15, vcc
	v_cndmask_b32_e32 v12, v13, v14, vcc
	v_lshlrev_b32_e32 v13, 8, v3
	v_mov_b32_e32 v14, 0x3b800000
	v_lshlrev_b32_e32 v6, 20, v6
	v_and_b32_e32 v13, 0x80000000, v13
	v_lshl_add_u32 v12, v12, 23, v14
	v_or3_b32 v12, v13, v12, v6
.LBB14_312:
	s_or_b64 exec, exec, s[6:7]
	s_nop 0
	v_mfma_f32_16x16x4f32 a[0:3], v2, v12, a[0:3]
	s_movk_i32 s4, 0x7f
	v_cmp_gt_i16_sdwa s[6:7], v7, s4 src0_sel:BYTE_3 src1_sel:DWORD
	s_mov_b64 s[4:5], 0
                                        ; implicit-def: $sgpr10
	s_and_saveexec_b64 s[8:9], s[6:7]
	s_xor_b64 s[6:7], exec, s[8:9]
	s_cbranch_execnz .LBB14_2361
; %bb.313:
	s_or_saveexec_b64 s[6:7], s[6:7]
	v_mov_b32_e32 v2, s10
	s_xor_b64 exec, exec, s[6:7]
	s_cbranch_execnz .LBB14_2364
.LBB14_314:
	s_or_b64 exec, exec, s[6:7]
	s_and_saveexec_b64 s[6:7], s[4:5]
	s_cbranch_execz .LBB14_316
.LBB14_315:
	v_bfe_u32 v2, v7, 24, 3
	v_ffbh_u32_e32 v14, v2
	v_min_u32_e32 v14, 32, v14
	v_lshrrev_b32_e32 v12, 27, v7
	v_subrev_u32_e32 v15, 28, v14
	v_and_b32_e32 v6, 0x80000000, v7
	v_and_b32_e32 v12, 15, v12
	v_bfe_u32 v13, v7, 27, 4
	v_lshlrev_b32_sdwa v7, v15, v7 dst_sel:DWORD dst_unused:UNUSED_PAD src0_sel:DWORD src1_sel:BYTE_3
	v_sub_u32_e32 v14, 29, v14
	v_and_b32_e32 v7, 7, v7
	v_cmp_eq_u16_e32 vcc, 0, v12
	v_cndmask_b32_e32 v2, v2, v7, vcc
	v_cndmask_b32_e32 v7, v13, v14, vcc
	v_mov_b32_e32 v12, 0x3b800000
	v_lshlrev_b32_e32 v2, 20, v2
	v_lshl_add_u32 v7, v7, 23, v12
	v_or3_b32 v2, v6, v7, v2
.LBB14_316:
	s_or_b64 exec, exec, s[6:7]
	s_movk_i32 s4, 0x7f
	v_cmp_gt_i16_sdwa s[6:7], v3, s4 src0_sel:BYTE_3 src1_sel:DWORD
	s_mov_b64 s[4:5], 0
                                        ; implicit-def: $sgpr10
	s_and_saveexec_b64 s[8:9], s[6:7]
	s_xor_b64 s[6:7], exec, s[8:9]
	s_cbranch_execnz .LBB14_2365
; %bb.317:
	s_or_saveexec_b64 s[6:7], s[6:7]
	v_mov_b32_e32 v6, s10
	s_xor_b64 exec, exec, s[6:7]
	s_cbranch_execnz .LBB14_2368
.LBB14_318:
	s_or_b64 exec, exec, s[6:7]
	s_and_saveexec_b64 s[6:7], s[4:5]
	s_cbranch_execz .LBB14_320
.LBB14_319:
	v_bfe_u32 v6, v3, 24, 3
	v_ffbh_u32_e32 v14, v6
	v_min_u32_e32 v14, 32, v14
	v_lshrrev_b32_e32 v12, 27, v3
	v_subrev_u32_e32 v15, 28, v14
	v_and_b32_e32 v7, 0x80000000, v3
	v_and_b32_e32 v12, 15, v12
	v_bfe_u32 v13, v3, 27, 4
	v_lshlrev_b32_sdwa v3, v15, v3 dst_sel:DWORD dst_unused:UNUSED_PAD src0_sel:DWORD src1_sel:BYTE_3
	v_sub_u32_e32 v14, 29, v14
	v_and_b32_e32 v3, 7, v3
	v_cmp_eq_u16_e32 vcc, 0, v12
	v_cndmask_b32_e32 v3, v6, v3, vcc
	v_cndmask_b32_e32 v6, v13, v14, vcc
	v_mov_b32_e32 v12, 0x3b800000
	v_lshlrev_b32_e32 v3, 20, v3
	v_lshl_add_u32 v6, v6, 23, v12
	v_or3_b32 v6, v7, v6, v3
.LBB14_320:
	s_or_b64 exec, exec, s[6:7]
	s_nop 0
	v_mfma_f32_16x16x4f32 a[0:3], v2, v6, a[0:3]
	s_movk_i32 s4, 0x7f
	v_cmp_gt_i16_sdwa s[6:7], v8, s4 src0_sel:BYTE_0 src1_sel:DWORD
	s_mov_b64 s[4:5], 0
                                        ; implicit-def: $sgpr10
	s_and_saveexec_b64 s[8:9], s[6:7]
	s_xor_b64 s[6:7], exec, s[8:9]
	s_cbranch_execnz .LBB14_2369
; %bb.321:
	s_or_saveexec_b64 s[6:7], s[6:7]
	v_mov_b32_e32 v2, s10
	s_xor_b64 exec, exec, s[6:7]
	s_cbranch_execnz .LBB14_2372
.LBB14_322:
	s_or_b64 exec, exec, s[6:7]
	s_and_saveexec_b64 s[6:7], s[4:5]
	s_cbranch_execz .LBB14_324
.LBB14_323:
	v_and_b32_e32 v2, 7, v8
	v_ffbh_u32_e32 v6, v2
	v_min_u32_e32 v6, 32, v6
	v_lshrrev_b16_e32 v3, 3, v8
	v_subrev_u32_e32 v7, 28, v6
	v_and_b32_e32 v3, 15, v3
	v_lshlrev_b32_e32 v7, v7, v8
	v_sub_u32_e32 v6, 29, v6
	v_and_b32_e32 v7, 7, v7
	v_cmp_eq_u16_e32 vcc, 0, v3
	v_cndmask_b32_e32 v2, v2, v7, vcc
	v_cndmask_b32_e32 v3, v3, v6, vcc
	v_lshlrev_b32_e32 v6, 24, v8
	v_mov_b32_e32 v7, 0x3b800000
	v_lshlrev_b32_e32 v2, 20, v2
	v_and_b32_e32 v6, 0x80000000, v6
	v_lshl_add_u32 v3, v3, 23, v7
	v_or3_b32 v2, v6, v3, v2
.LBB14_324:
	s_or_b64 exec, exec, s[6:7]
	s_movk_i32 s4, 0x7f
	v_cmp_gt_i16_sdwa s[6:7], v4, s4 src0_sel:BYTE_0 src1_sel:DWORD
	s_mov_b64 s[4:5], 0
                                        ; implicit-def: $sgpr10
	s_and_saveexec_b64 s[8:9], s[6:7]
	s_xor_b64 s[6:7], exec, s[8:9]
	s_cbranch_execnz .LBB14_2373
; %bb.325:
	s_or_saveexec_b64 s[6:7], s[6:7]
	v_mov_b32_e32 v3, s10
	s_xor_b64 exec, exec, s[6:7]
	s_cbranch_execnz .LBB14_2376
.LBB14_326:
	s_or_b64 exec, exec, s[6:7]
	s_and_saveexec_b64 s[6:7], s[4:5]
	s_cbranch_execz .LBB14_328
.LBB14_327:
	v_and_b32_e32 v3, 7, v4
	v_ffbh_u32_e32 v7, v3
	v_min_u32_e32 v7, 32, v7
	v_lshrrev_b16_e32 v6, 3, v4
	v_subrev_u32_e32 v12, 28, v7
	v_and_b32_e32 v6, 15, v6
	v_lshlrev_b32_e32 v12, v12, v4
	v_sub_u32_e32 v7, 29, v7
	v_and_b32_e32 v12, 7, v12
	v_cmp_eq_u16_e32 vcc, 0, v6
	v_cndmask_b32_e32 v3, v3, v12, vcc
	v_cndmask_b32_e32 v6, v6, v7, vcc
	v_lshlrev_b32_e32 v7, 24, v4
	v_mov_b32_e32 v12, 0x3b800000
	v_lshlrev_b32_e32 v3, 20, v3
	v_and_b32_e32 v7, 0x80000000, v7
	v_lshl_add_u32 v6, v6, 23, v12
	v_or3_b32 v3, v7, v6, v3
.LBB14_328:
	s_or_b64 exec, exec, s[6:7]
	s_nop 0
	v_mfma_f32_16x16x4f32 a[0:3], v2, v3, a[0:3]
	v_lshrrev_b32_e32 v3, 8, v8
	s_movk_i32 s4, 0x7f
	v_cmp_gt_i16_sdwa s[6:7], v3, s4 src0_sel:BYTE_0 src1_sel:DWORD
	s_mov_b64 s[4:5], 0
                                        ; implicit-def: $sgpr10
	s_and_saveexec_b64 s[8:9], s[6:7]
	s_xor_b64 s[6:7], exec, s[8:9]
	s_cbranch_execnz .LBB14_2377
; %bb.329:
	s_or_saveexec_b64 s[6:7], s[6:7]
	v_mov_b32_e32 v2, s10
	s_xor_b64 exec, exec, s[6:7]
	s_cbranch_execnz .LBB14_2380
.LBB14_330:
	s_or_b64 exec, exec, s[6:7]
	s_and_saveexec_b64 s[6:7], s[4:5]
	s_cbranch_execz .LBB14_332
.LBB14_331:
	v_bfe_u32 v2, v8, 8, 3
	v_ffbh_u32_e32 v7, v2
	v_min_u32_e32 v7, 32, v7
	v_lshrrev_b16_e32 v6, 3, v3
	v_subrev_u32_e32 v12, 28, v7
	v_and_b32_e32 v6, 15, v6
	v_lshlrev_b32_e32 v3, v12, v3
	v_sub_u32_e32 v7, 29, v7
	v_and_b32_e32 v3, 7, v3
	v_cmp_eq_u16_e32 vcc, 0, v6
	v_cndmask_b32_e32 v2, v2, v3, vcc
	v_cndmask_b32_e32 v3, v6, v7, vcc
	v_lshlrev_b32_e32 v6, 16, v8
	v_mov_b32_e32 v7, 0x3b800000
	v_lshlrev_b32_e32 v2, 20, v2
	v_and_b32_e32 v6, 0x80000000, v6
	v_lshl_add_u32 v3, v3, 23, v7
	v_or3_b32 v2, v6, v3, v2
.LBB14_332:
	s_or_b64 exec, exec, s[6:7]
	v_lshrrev_b32_e32 v3, 8, v4
	s_movk_i32 s4, 0x7f
	v_cmp_gt_i16_sdwa s[6:7], v3, s4 src0_sel:BYTE_0 src1_sel:DWORD
	s_mov_b64 s[4:5], 0
                                        ; implicit-def: $sgpr10
	s_and_saveexec_b64 s[8:9], s[6:7]
	s_xor_b64 s[6:7], exec, s[8:9]
	s_cbranch_execnz .LBB14_2381
; %bb.333:
	s_or_saveexec_b64 s[6:7], s[6:7]
	v_mov_b32_e32 v6, s10
	s_xor_b64 exec, exec, s[6:7]
	s_cbranch_execnz .LBB14_2384
.LBB14_334:
	s_or_b64 exec, exec, s[6:7]
	s_and_saveexec_b64 s[6:7], s[4:5]
	s_cbranch_execz .LBB14_336
.LBB14_335:
	v_bfe_u32 v6, v4, 8, 3
	v_ffbh_u32_e32 v12, v6
	v_min_u32_e32 v12, 32, v12
	v_lshrrev_b16_e32 v7, 3, v3
	v_subrev_u32_e32 v13, 28, v12
	v_and_b32_e32 v7, 15, v7
	v_lshlrev_b32_e32 v3, v13, v3
	v_sub_u32_e32 v12, 29, v12
	v_and_b32_e32 v3, 7, v3
	v_cmp_eq_u16_e32 vcc, 0, v7
	v_cndmask_b32_e32 v3, v6, v3, vcc
	v_cndmask_b32_e32 v6, v7, v12, vcc
	v_lshlrev_b32_e32 v7, 16, v4
	v_mov_b32_e32 v12, 0x3b800000
	v_lshlrev_b32_e32 v3, 20, v3
	v_and_b32_e32 v7, 0x80000000, v7
	v_lshl_add_u32 v6, v6, 23, v12
	v_or3_b32 v6, v7, v6, v3
.LBB14_336:
	s_or_b64 exec, exec, s[6:7]
	s_nop 0
	v_mfma_f32_16x16x4f32 a[0:3], v2, v6, a[0:3]
	s_movk_i32 s4, 0xff
	v_and_b32_sdwa v3, v8, s4 dst_sel:DWORD dst_unused:UNUSED_PAD src0_sel:WORD_1 src1_sel:DWORD
	s_movk_i32 s4, 0x7f
	v_cmp_lt_i16_e32 vcc, s4, v3
	s_mov_b64 s[4:5], 0
                                        ; implicit-def: $sgpr10
	s_and_saveexec_b64 s[6:7], vcc
	s_xor_b64 s[6:7], exec, s[6:7]
	s_cbranch_execnz .LBB14_2385
; %bb.337:
	s_or_saveexec_b64 s[6:7], s[6:7]
	v_mov_b32_e32 v2, s10
	s_xor_b64 exec, exec, s[6:7]
	s_cbranch_execnz .LBB14_2388
.LBB14_338:
	s_or_b64 exec, exec, s[6:7]
	s_and_saveexec_b64 s[6:7], s[4:5]
	s_cbranch_execz .LBB14_340
.LBB14_339:
	v_bfe_u32 v2, v8, 16, 3
	v_ffbh_u32_e32 v7, v2
	v_min_u32_e32 v7, 32, v7
	v_lshrrev_b32_e32 v3, 19, v8
	v_subrev_u32_e32 v12, 28, v7
	v_and_b32_e32 v3, 15, v3
	v_lshlrev_b32_sdwa v12, v12, v8 dst_sel:DWORD dst_unused:UNUSED_PAD src0_sel:DWORD src1_sel:WORD_1
	v_bfe_u32 v6, v8, 19, 4
	v_sub_u32_e32 v7, 29, v7
	v_and_b32_e32 v12, 7, v12
	v_cmp_eq_u16_e32 vcc, 0, v3
	v_cndmask_b32_e32 v2, v2, v12, vcc
	v_cndmask_b32_e32 v3, v6, v7, vcc
	v_lshlrev_b32_e32 v6, 8, v8
	v_mov_b32_e32 v7, 0x3b800000
	v_lshlrev_b32_e32 v2, 20, v2
	v_and_b32_e32 v6, 0x80000000, v6
	v_lshl_add_u32 v3, v3, 23, v7
	v_or3_b32 v2, v6, v3, v2
.LBB14_340:
	s_or_b64 exec, exec, s[6:7]
	s_movk_i32 s4, 0xff
	v_and_b32_sdwa v3, v4, s4 dst_sel:DWORD dst_unused:UNUSED_PAD src0_sel:WORD_1 src1_sel:DWORD
	s_movk_i32 s4, 0x7f
	v_cmp_lt_i16_e32 vcc, s4, v3
	s_mov_b64 s[4:5], 0
                                        ; implicit-def: $sgpr10
	s_and_saveexec_b64 s[6:7], vcc
	s_xor_b64 s[6:7], exec, s[6:7]
	s_cbranch_execnz .LBB14_2389
; %bb.341:
	s_or_saveexec_b64 s[6:7], s[6:7]
	v_mov_b32_e32 v6, s10
	s_xor_b64 exec, exec, s[6:7]
	s_cbranch_execnz .LBB14_2392
.LBB14_342:
	s_or_b64 exec, exec, s[6:7]
	s_and_saveexec_b64 s[6:7], s[4:5]
	s_cbranch_execz .LBB14_344
.LBB14_343:
	v_bfe_u32 v3, v4, 16, 3
	v_ffbh_u32_e32 v12, v3
	v_min_u32_e32 v12, 32, v12
	v_lshrrev_b32_e32 v6, 19, v4
	v_subrev_u32_e32 v13, 28, v12
	v_and_b32_e32 v6, 15, v6
	v_lshlrev_b32_sdwa v13, v13, v4 dst_sel:DWORD dst_unused:UNUSED_PAD src0_sel:DWORD src1_sel:WORD_1
	v_bfe_u32 v7, v4, 19, 4
	v_sub_u32_e32 v12, 29, v12
	v_and_b32_e32 v13, 7, v13
	v_cmp_eq_u16_e32 vcc, 0, v6
	v_cndmask_b32_e32 v3, v3, v13, vcc
	v_cndmask_b32_e32 v6, v7, v12, vcc
	v_lshlrev_b32_e32 v7, 8, v4
	v_mov_b32_e32 v12, 0x3b800000
	v_lshlrev_b32_e32 v3, 20, v3
	v_and_b32_e32 v7, 0x80000000, v7
	v_lshl_add_u32 v6, v6, 23, v12
	v_or3_b32 v6, v7, v6, v3
.LBB14_344:
	s_or_b64 exec, exec, s[6:7]
	s_nop 0
	v_mfma_f32_16x16x4f32 a[0:3], v2, v6, a[0:3]
	s_movk_i32 s4, 0x7f
	v_cmp_gt_i16_sdwa s[6:7], v8, s4 src0_sel:BYTE_3 src1_sel:DWORD
	s_mov_b64 s[4:5], 0
                                        ; implicit-def: $sgpr10
	s_and_saveexec_b64 s[8:9], s[6:7]
	s_xor_b64 s[6:7], exec, s[8:9]
	s_cbranch_execnz .LBB14_2393
; %bb.345:
	s_or_saveexec_b64 s[6:7], s[6:7]
	v_mov_b32_e32 v2, s10
	s_xor_b64 exec, exec, s[6:7]
	s_cbranch_execnz .LBB14_2396
.LBB14_346:
	s_or_b64 exec, exec, s[6:7]
	s_and_saveexec_b64 s[6:7], s[4:5]
	s_cbranch_execz .LBB14_348
.LBB14_347:
	v_bfe_u32 v2, v8, 24, 3
	v_ffbh_u32_e32 v12, v2
	v_min_u32_e32 v12, 32, v12
	v_lshrrev_b32_e32 v6, 27, v8
	v_subrev_u32_e32 v13, 28, v12
	v_and_b32_e32 v3, 0x80000000, v8
	v_and_b32_e32 v6, 15, v6
	v_bfe_u32 v7, v8, 27, 4
	v_lshlrev_b32_sdwa v8, v13, v8 dst_sel:DWORD dst_unused:UNUSED_PAD src0_sel:DWORD src1_sel:BYTE_3
	v_sub_u32_e32 v12, 29, v12
	v_and_b32_e32 v8, 7, v8
	v_cmp_eq_u16_e32 vcc, 0, v6
	v_cndmask_b32_e32 v2, v2, v8, vcc
	v_cndmask_b32_e32 v6, v7, v12, vcc
	v_mov_b32_e32 v7, 0x3b800000
	v_lshlrev_b32_e32 v2, 20, v2
	v_lshl_add_u32 v6, v6, 23, v7
	v_or3_b32 v2, v3, v6, v2
.LBB14_348:
	s_or_b64 exec, exec, s[6:7]
	s_movk_i32 s4, 0x7f
	v_cmp_gt_i16_sdwa s[6:7], v4, s4 src0_sel:BYTE_3 src1_sel:DWORD
	s_mov_b64 s[4:5], 0
                                        ; implicit-def: $sgpr10
	s_and_saveexec_b64 s[8:9], s[6:7]
	s_xor_b64 s[6:7], exec, s[8:9]
	s_cbranch_execnz .LBB14_2397
; %bb.349:
	s_or_saveexec_b64 s[6:7], s[6:7]
	v_mov_b32_e32 v3, s10
	s_xor_b64 exec, exec, s[6:7]
	s_cbranch_execnz .LBB14_2400
.LBB14_350:
	s_or_b64 exec, exec, s[6:7]
	s_and_saveexec_b64 s[6:7], s[4:5]
	s_cbranch_execz .LBB14_352
.LBB14_351:
	v_bfe_u32 v3, v4, 24, 3
	v_ffbh_u32_e32 v12, v3
	v_min_u32_e32 v12, 32, v12
	v_lshrrev_b32_e32 v7, 27, v4
	v_subrev_u32_e32 v13, 28, v12
	v_and_b32_e32 v6, 0x80000000, v4
	v_and_b32_e32 v7, 15, v7
	v_bfe_u32 v8, v4, 27, 4
	v_lshlrev_b32_sdwa v4, v13, v4 dst_sel:DWORD dst_unused:UNUSED_PAD src0_sel:DWORD src1_sel:BYTE_3
	v_sub_u32_e32 v12, 29, v12
	v_and_b32_e32 v4, 7, v4
	v_cmp_eq_u16_e32 vcc, 0, v7
	v_cndmask_b32_e32 v3, v3, v4, vcc
	v_cndmask_b32_e32 v4, v8, v12, vcc
	v_mov_b32_e32 v7, 0x3b800000
	v_lshlrev_b32_e32 v3, 20, v3
	v_lshl_add_u32 v4, v4, 23, v7
	v_or3_b32 v3, v6, v4, v3
.LBB14_352:
	s_or_b64 exec, exec, s[6:7]
	s_nop 0
	v_mfma_f32_16x16x4f32 a[0:3], v2, v3, a[0:3]
	s_movk_i32 s4, 0x7f
	v_cmp_gt_i16_sdwa s[6:7], v9, s4 src0_sel:BYTE_0 src1_sel:DWORD
	s_mov_b64 s[4:5], 0
                                        ; implicit-def: $sgpr10
	s_and_saveexec_b64 s[8:9], s[6:7]
	s_xor_b64 s[6:7], exec, s[8:9]
	s_cbranch_execnz .LBB14_2401
; %bb.353:
	s_or_saveexec_b64 s[6:7], s[6:7]
	v_mov_b32_e32 v2, s10
	s_xor_b64 exec, exec, s[6:7]
	s_cbranch_execnz .LBB14_2404
.LBB14_354:
	s_or_b64 exec, exec, s[6:7]
	s_and_saveexec_b64 s[6:7], s[4:5]
	s_cbranch_execz .LBB14_356
.LBB14_355:
	v_mov_b32_e32 v2, 8
	v_and_b32_e32 v3, 7, v9
	v_lshrrev_b32_sdwa v2, v2, v9 dst_sel:BYTE_1 dst_unused:UNUSED_PAD src0_sel:DWORD src1_sel:DWORD
	v_ffbh_u32_e32 v4, v3
	v_or_b32_sdwa v2, v9, v2 dst_sel:DWORD dst_unused:UNUSED_PAD src0_sel:BYTE_0 src1_sel:DWORD
	v_min_u32_e32 v4, 32, v4
	v_lshrrev_b16_e32 v2, 3, v2
	v_subrev_u32_e32 v6, 28, v4
	v_and_b32_e32 v2, 15, v2
	v_lshlrev_b32_e32 v6, v6, v9
	v_sub_u32_e32 v4, 29, v4
	v_and_b32_e32 v6, 7, v6
	v_cmp_eq_u16_e32 vcc, 0, v2
	v_cndmask_b32_e32 v3, v3, v6, vcc
	v_cndmask_b32_e32 v2, v2, v4, vcc
	v_lshlrev_b32_e32 v4, 24, v9
	v_mov_b32_e32 v6, 0x3b800000
	v_lshlrev_b32_e32 v3, 20, v3
	v_and_b32_e32 v4, 0x80000000, v4
	v_lshl_add_u32 v2, v2, 23, v6
	v_or3_b32 v2, v4, v2, v3
.LBB14_356:
	s_or_b64 exec, exec, s[6:7]
	s_movk_i32 s4, 0x7f
	v_cmp_gt_i16_sdwa s[6:7], v5, s4 src0_sel:BYTE_0 src1_sel:DWORD
	s_mov_b64 s[4:5], 0
                                        ; implicit-def: $sgpr10
	s_and_saveexec_b64 s[8:9], s[6:7]
	s_xor_b64 s[6:7], exec, s[8:9]
	s_cbranch_execnz .LBB14_2405
; %bb.357:
	s_or_saveexec_b64 s[6:7], s[6:7]
	v_mov_b32_e32 v3, s10
	s_xor_b64 exec, exec, s[6:7]
	s_cbranch_execnz .LBB14_2408
.LBB14_358:
	s_or_b64 exec, exec, s[6:7]
	s_and_saveexec_b64 s[6:7], s[4:5]
	s_cbranch_execz .LBB14_360
.LBB14_359:
	v_mov_b32_e32 v3, 8
	v_and_b32_e32 v4, 7, v5
	v_lshrrev_b32_sdwa v3, v3, v5 dst_sel:BYTE_1 dst_unused:UNUSED_PAD src0_sel:DWORD src1_sel:DWORD
	v_ffbh_u32_e32 v6, v4
	v_or_b32_sdwa v3, v5, v3 dst_sel:DWORD dst_unused:UNUSED_PAD src0_sel:BYTE_0 src1_sel:DWORD
	v_min_u32_e32 v6, 32, v6
	v_lshrrev_b16_e32 v3, 3, v3
	v_subrev_u32_e32 v7, 28, v6
	v_and_b32_e32 v3, 15, v3
	v_lshlrev_b32_e32 v7, v7, v5
	v_sub_u32_e32 v6, 29, v6
	v_and_b32_e32 v7, 7, v7
	v_cmp_eq_u16_e32 vcc, 0, v3
	v_cndmask_b32_e32 v4, v4, v7, vcc
	v_cndmask_b32_e32 v3, v3, v6, vcc
	v_lshlrev_b32_e32 v6, 24, v5
	v_mov_b32_e32 v7, 0x3b800000
	v_lshlrev_b32_e32 v4, 20, v4
	v_and_b32_e32 v6, 0x80000000, v6
	v_lshl_add_u32 v3, v3, 23, v7
	v_or3_b32 v3, v6, v3, v4
.LBB14_360:
	s_or_b64 exec, exec, s[6:7]
	s_nop 0
	v_mfma_f32_16x16x4f32 a[0:3], v2, v3, a[0:3]
	v_lshrrev_b32_e32 v3, 8, v9
	s_movk_i32 s4, 0x7f
	v_cmp_gt_i16_sdwa s[6:7], v3, s4 src0_sel:BYTE_0 src1_sel:DWORD
	s_mov_b64 s[4:5], 0
                                        ; implicit-def: $sgpr10
	s_and_saveexec_b64 s[8:9], s[6:7]
	s_xor_b64 s[6:7], exec, s[8:9]
	s_cbranch_execnz .LBB14_2409
; %bb.361:
	s_or_saveexec_b64 s[6:7], s[6:7]
	v_mov_b32_e32 v2, s10
	s_xor_b64 exec, exec, s[6:7]
	s_cbranch_execnz .LBB14_2412
.LBB14_362:
	s_or_b64 exec, exec, s[6:7]
	s_and_saveexec_b64 s[6:7], s[4:5]
	s_cbranch_execz .LBB14_364
.LBB14_363:
	v_bfe_u32 v2, v9, 8, 3
	v_ffbh_u32_e32 v6, v2
	v_min_u32_e32 v6, 32, v6
	v_lshrrev_b16_e32 v4, 3, v3
	v_subrev_u32_e32 v7, 28, v6
	v_and_b32_e32 v4, 15, v4
	v_lshlrev_b32_e32 v3, v7, v3
	v_sub_u32_e32 v6, 29, v6
	v_and_b32_e32 v3, 7, v3
	v_cmp_eq_u16_e32 vcc, 0, v4
	v_cndmask_b32_e32 v2, v2, v3, vcc
	v_cndmask_b32_e32 v3, v4, v6, vcc
	v_lshlrev_b32_e32 v4, 16, v9
	v_mov_b32_e32 v6, 0x3b800000
	v_lshlrev_b32_e32 v2, 20, v2
	v_and_b32_e32 v4, 0x80000000, v4
	v_lshl_add_u32 v3, v3, 23, v6
	v_or3_b32 v2, v4, v3, v2
.LBB14_364:
	s_or_b64 exec, exec, s[6:7]
	v_lshrrev_b32_e32 v3, 8, v5
	s_movk_i32 s4, 0x7f
	v_cmp_gt_i16_sdwa s[6:7], v3, s4 src0_sel:BYTE_0 src1_sel:DWORD
	s_mov_b64 s[4:5], 0
                                        ; implicit-def: $sgpr10
	s_and_saveexec_b64 s[8:9], s[6:7]
	s_xor_b64 s[6:7], exec, s[8:9]
	s_cbranch_execnz .LBB14_2413
; %bb.365:
	s_or_saveexec_b64 s[6:7], s[6:7]
	v_mov_b32_e32 v4, s10
	s_xor_b64 exec, exec, s[6:7]
	s_cbranch_execnz .LBB14_2416
.LBB14_366:
	s_or_b64 exec, exec, s[6:7]
	s_and_saveexec_b64 s[6:7], s[4:5]
	s_cbranch_execz .LBB14_368
.LBB14_367:
	v_bfe_u32 v4, v5, 8, 3
	v_ffbh_u32_e32 v7, v4
	v_min_u32_e32 v7, 32, v7
	v_lshrrev_b16_e32 v6, 3, v3
	v_subrev_u32_e32 v8, 28, v7
	v_and_b32_e32 v6, 15, v6
	v_lshlrev_b32_e32 v3, v8, v3
	v_sub_u32_e32 v7, 29, v7
	v_and_b32_e32 v3, 7, v3
	v_cmp_eq_u16_e32 vcc, 0, v6
	v_cndmask_b32_e32 v3, v4, v3, vcc
	v_cndmask_b32_e32 v4, v6, v7, vcc
	v_lshlrev_b32_e32 v6, 16, v5
	v_mov_b32_e32 v7, 0x3b800000
	v_lshlrev_b32_e32 v3, 20, v3
	v_and_b32_e32 v6, 0x80000000, v6
	v_lshl_add_u32 v4, v4, 23, v7
	v_or3_b32 v4, v6, v4, v3
.LBB14_368:
	s_or_b64 exec, exec, s[6:7]
	s_nop 0
	v_mfma_f32_16x16x4f32 a[0:3], v2, v4, a[0:3]
	s_movk_i32 s4, 0xff
	v_and_b32_sdwa v3, v9, s4 dst_sel:DWORD dst_unused:UNUSED_PAD src0_sel:WORD_1 src1_sel:DWORD
	s_movk_i32 s4, 0x7f
	v_cmp_lt_i16_e32 vcc, s4, v3
	s_mov_b64 s[4:5], 0
                                        ; implicit-def: $sgpr10
	s_and_saveexec_b64 s[6:7], vcc
	s_xor_b64 s[6:7], exec, s[6:7]
	s_cbranch_execnz .LBB14_2417
; %bb.369:
	s_or_saveexec_b64 s[6:7], s[6:7]
	v_mov_b32_e32 v2, s10
	s_xor_b64 exec, exec, s[6:7]
	s_cbranch_execnz .LBB14_2420
.LBB14_370:
	s_or_b64 exec, exec, s[6:7]
	s_and_saveexec_b64 s[6:7], s[4:5]
	s_cbranch_execz .LBB14_372
.LBB14_371:
	v_bfe_u32 v2, v9, 16, 3
	v_ffbh_u32_e32 v6, v2
	v_min_u32_e32 v6, 32, v6
	v_lshrrev_b32_e32 v3, 19, v9
	v_subrev_u32_e32 v7, 28, v6
	v_and_b32_e32 v3, 15, v3
	v_lshlrev_b32_sdwa v7, v7, v9 dst_sel:DWORD dst_unused:UNUSED_PAD src0_sel:DWORD src1_sel:WORD_1
	v_bfe_u32 v4, v9, 19, 4
	v_sub_u32_e32 v6, 29, v6
	v_and_b32_e32 v7, 7, v7
	v_cmp_eq_u16_e32 vcc, 0, v3
	v_cndmask_b32_e32 v2, v2, v7, vcc
	v_cndmask_b32_e32 v3, v4, v6, vcc
	v_lshlrev_b32_e32 v4, 8, v9
	v_mov_b32_e32 v6, 0x3b800000
	v_lshlrev_b32_e32 v2, 20, v2
	v_and_b32_e32 v4, 0x80000000, v4
	v_lshl_add_u32 v3, v3, 23, v6
	v_or3_b32 v2, v4, v3, v2
.LBB14_372:
	s_or_b64 exec, exec, s[6:7]
	s_movk_i32 s4, 0xff
	v_and_b32_sdwa v3, v5, s4 dst_sel:DWORD dst_unused:UNUSED_PAD src0_sel:WORD_1 src1_sel:DWORD
	s_movk_i32 s4, 0x7f
	v_cmp_lt_i16_e32 vcc, s4, v3
	s_mov_b64 s[4:5], 0
                                        ; implicit-def: $sgpr10
	s_and_saveexec_b64 s[6:7], vcc
	s_xor_b64 s[6:7], exec, s[6:7]
	s_cbranch_execnz .LBB14_2421
; %bb.373:
	s_or_saveexec_b64 s[6:7], s[6:7]
	v_mov_b32_e32 v4, s10
	s_xor_b64 exec, exec, s[6:7]
	s_cbranch_execnz .LBB14_2424
.LBB14_374:
	s_or_b64 exec, exec, s[6:7]
	s_and_saveexec_b64 s[6:7], s[4:5]
	s_cbranch_execz .LBB14_376
.LBB14_375:
	v_bfe_u32 v3, v5, 16, 3
	v_ffbh_u32_e32 v7, v3
	v_min_u32_e32 v7, 32, v7
	v_lshrrev_b32_e32 v4, 19, v5
	v_subrev_u32_e32 v8, 28, v7
	v_and_b32_e32 v4, 15, v4
	v_lshlrev_b32_sdwa v8, v8, v5 dst_sel:DWORD dst_unused:UNUSED_PAD src0_sel:DWORD src1_sel:WORD_1
	v_bfe_u32 v6, v5, 19, 4
	v_sub_u32_e32 v7, 29, v7
	v_and_b32_e32 v8, 7, v8
	v_cmp_eq_u16_e32 vcc, 0, v4
	v_cndmask_b32_e32 v3, v3, v8, vcc
	v_cndmask_b32_e32 v4, v6, v7, vcc
	v_lshlrev_b32_e32 v6, 8, v5
	v_mov_b32_e32 v7, 0x3b800000
	v_lshlrev_b32_e32 v3, 20, v3
	v_and_b32_e32 v6, 0x80000000, v6
	v_lshl_add_u32 v4, v4, 23, v7
	v_or3_b32 v4, v6, v4, v3
.LBB14_376:
	s_or_b64 exec, exec, s[6:7]
	s_nop 0
	v_mfma_f32_16x16x4f32 a[0:3], v2, v4, a[0:3]
	s_movk_i32 s4, 0x7f
	v_cmp_gt_i16_sdwa s[6:7], v9, s4 src0_sel:BYTE_3 src1_sel:DWORD
	s_mov_b64 s[4:5], 0
                                        ; implicit-def: $sgpr10
	s_and_saveexec_b64 s[8:9], s[6:7]
	s_xor_b64 s[6:7], exec, s[8:9]
	s_cbranch_execnz .LBB14_2425
; %bb.377:
	s_or_saveexec_b64 s[6:7], s[6:7]
	v_mov_b32_e32 v2, s10
	s_xor_b64 exec, exec, s[6:7]
	s_cbranch_execnz .LBB14_2428
.LBB14_378:
	s_or_b64 exec, exec, s[6:7]
	s_and_saveexec_b64 s[6:7], s[4:5]
	s_cbranch_execz .LBB14_380
.LBB14_379:
	v_bfe_u32 v2, v9, 24, 3
	v_ffbh_u32_e32 v7, v2
	v_min_u32_e32 v7, 32, v7
	v_lshrrev_b32_e32 v4, 27, v9
	v_subrev_u32_e32 v8, 28, v7
	v_and_b32_e32 v4, 15, v4
	v_lshlrev_b32_sdwa v8, v8, v9 dst_sel:DWORD dst_unused:UNUSED_PAD src0_sel:DWORD src1_sel:BYTE_3
	v_bfe_u32 v6, v9, 27, 4
	v_sub_u32_e32 v7, 29, v7
	v_and_b32_e32 v8, 7, v8
	v_cmp_eq_u16_e32 vcc, 0, v4
	v_cndmask_b32_e32 v2, v2, v8, vcc
	v_cndmask_b32_e32 v4, v6, v7, vcc
	v_mov_b32_e32 v6, 0x3b800000
	v_and_b32_e32 v3, 0x80000000, v9
	v_lshlrev_b32_e32 v2, 20, v2
	v_lshl_add_u32 v4, v4, 23, v6
	v_or3_b32 v2, v3, v4, v2
.LBB14_380:
	s_or_b64 exec, exec, s[6:7]
	s_movk_i32 s4, 0x7f
	v_cmp_gt_i16_sdwa s[6:7], v5, s4 src0_sel:BYTE_3 src1_sel:DWORD
	s_mov_b64 s[4:5], 0
                                        ; implicit-def: $sgpr10
	s_and_saveexec_b64 s[8:9], s[6:7]
	s_xor_b64 s[6:7], exec, s[8:9]
	s_cbranch_execnz .LBB14_2429
; %bb.381:
	s_or_saveexec_b64 s[6:7], s[6:7]
	v_mov_b32_e32 v3, s10
	s_xor_b64 exec, exec, s[6:7]
	s_cbranch_execnz .LBB14_2432
.LBB14_382:
	s_or_b64 exec, exec, s[6:7]
	s_and_saveexec_b64 s[6:7], s[4:5]
	s_cbranch_execz .LBB14_384
.LBB14_383:
	v_bfe_u32 v3, v5, 24, 3
	v_ffbh_u32_e32 v8, v3
	v_min_u32_e32 v8, 32, v8
	v_lshrrev_b32_e32 v6, 27, v5
	v_subrev_u32_e32 v9, 28, v8
	v_and_b32_e32 v4, 0x80000000, v5
	v_and_b32_e32 v6, 15, v6
	v_bfe_u32 v7, v5, 27, 4
	v_lshlrev_b32_sdwa v5, v9, v5 dst_sel:DWORD dst_unused:UNUSED_PAD src0_sel:DWORD src1_sel:BYTE_3
	v_sub_u32_e32 v8, 29, v8
	v_and_b32_e32 v5, 7, v5
	v_cmp_eq_u16_e32 vcc, 0, v6
	v_cndmask_b32_e32 v3, v3, v5, vcc
	v_cndmask_b32_e32 v5, v7, v8, vcc
	v_mov_b32_e32 v6, 0x3b800000
	v_lshlrev_b32_e32 v3, 20, v3
	v_lshl_add_u32 v5, v5, 23, v6
	v_or3_b32 v3, v4, v5, v3
.LBB14_384:
	s_or_b64 exec, exec, s[6:7]
	s_nop 0
	v_mfma_f32_16x16x4f32 a[0:3], v2, v3, a[0:3]
	s_movk_i32 s4, 0x7f
                                        ; implicit-def: $sgpr10
	s_nop 7
	s_nop 1
	flat_store_dwordx4 v[10:11], a[0:3] offset:32
	flat_load_dwordx4 v[12:15], v[0:1] offset:8
	s_nop 0
	flat_load_dwordx2 v[10:11], v[0:1] offset:32
	s_waitcnt vmcnt(0) lgkmcnt(0)
	flat_load_dwordx4 v[6:9], v[12:13]
	flat_load_dwordx4 v[2:5], v[14:15] offset:96
	s_waitcnt vmcnt(0) lgkmcnt(0)
	v_cmp_gt_i16_sdwa s[6:7], v6, s4 src0_sel:BYTE_0 src1_sel:DWORD
	s_mov_b64 s[4:5], 0
	s_and_saveexec_b64 s[8:9], s[6:7]
	s_xor_b64 s[6:7], exec, s[8:9]
	s_cbranch_execnz .LBB14_2433
; %bb.385:
	s_or_saveexec_b64 s[6:7], s[6:7]
	v_mov_b32_e32 v12, s10
	s_xor_b64 exec, exec, s[6:7]
	s_cbranch_execnz .LBB14_2436
.LBB14_386:
	s_or_b64 exec, exec, s[6:7]
	s_and_saveexec_b64 s[6:7], s[4:5]
	s_cbranch_execz .LBB14_388
.LBB14_387:
	v_and_b32_e32 v12, 7, v6
	v_ffbh_u32_e32 v14, v12
	v_min_u32_e32 v14, 32, v14
	v_lshrrev_b16_e32 v13, 3, v6
	v_subrev_u32_e32 v15, 28, v14
	v_and_b32_e32 v13, 15, v13
	v_lshlrev_b32_e32 v15, v15, v6
	v_sub_u32_e32 v14, 29, v14
	v_and_b32_e32 v15, 7, v15
	v_cmp_eq_u16_e32 vcc, 0, v13
	v_cndmask_b32_e32 v12, v12, v15, vcc
	v_cndmask_b32_e32 v13, v13, v14, vcc
	v_lshlrev_b32_e32 v14, 24, v6
	v_mov_b32_e32 v15, 0x3b800000
	v_lshlrev_b32_e32 v12, 20, v12
	v_and_b32_e32 v14, 0x80000000, v14
	v_lshl_add_u32 v13, v13, 23, v15
	v_or3_b32 v12, v14, v13, v12
.LBB14_388:
	s_or_b64 exec, exec, s[6:7]
	s_movk_i32 s4, 0x7f
	v_cmp_gt_i16_sdwa s[6:7], v2, s4 src0_sel:BYTE_0 src1_sel:DWORD
	s_mov_b64 s[4:5], 0
                                        ; implicit-def: $sgpr10
	s_and_saveexec_b64 s[8:9], s[6:7]
	s_xor_b64 s[6:7], exec, s[8:9]
	s_cbranch_execnz .LBB14_2437
; %bb.389:
	s_or_saveexec_b64 s[6:7], s[6:7]
	v_mov_b32_e32 v13, s10
	s_xor_b64 exec, exec, s[6:7]
	s_cbranch_execnz .LBB14_2440
.LBB14_390:
	s_or_b64 exec, exec, s[6:7]
	s_and_saveexec_b64 s[6:7], s[4:5]
	s_cbranch_execz .LBB14_392
.LBB14_391:
	v_and_b32_e32 v13, 7, v2
	v_ffbh_u32_e32 v15, v13
	v_min_u32_e32 v15, 32, v15
	v_lshrrev_b16_e32 v14, 3, v2
	v_subrev_u32_e32 v16, 28, v15
	v_and_b32_e32 v14, 15, v14
	v_lshlrev_b32_e32 v16, v16, v2
	v_sub_u32_e32 v15, 29, v15
	v_and_b32_e32 v16, 7, v16
	v_cmp_eq_u16_e32 vcc, 0, v14
	v_cndmask_b32_e32 v13, v13, v16, vcc
	v_cndmask_b32_e32 v14, v14, v15, vcc
	v_lshlrev_b32_e32 v15, 24, v2
	v_mov_b32_e32 v16, 0x3b800000
	v_lshlrev_b32_e32 v13, 20, v13
	v_and_b32_e32 v15, 0x80000000, v15
	v_lshl_add_u32 v14, v14, 23, v16
	v_or3_b32 v13, v15, v14, v13
.LBB14_392:
	s_or_b64 exec, exec, s[6:7]
	flat_load_dwordx4 a[0:3], v[10:11] offset:48
	s_movk_i32 s4, 0x7f
                                        ; implicit-def: $sgpr10
	s_waitcnt vmcnt(0) lgkmcnt(0)
	v_mfma_f32_16x16x4f32 a[0:3], v12, v13, a[0:3]
	v_lshrrev_b32_e32 v13, 8, v6
	v_cmp_gt_i16_sdwa s[6:7], v13, s4 src0_sel:BYTE_0 src1_sel:DWORD
	s_mov_b64 s[4:5], 0
	s_and_saveexec_b64 s[8:9], s[6:7]
	s_xor_b64 s[6:7], exec, s[8:9]
	s_cbranch_execnz .LBB14_2441
; %bb.393:
	s_or_saveexec_b64 s[6:7], s[6:7]
	v_mov_b32_e32 v12, s10
	s_xor_b64 exec, exec, s[6:7]
	s_cbranch_execnz .LBB14_2444
.LBB14_394:
	s_or_b64 exec, exec, s[6:7]
	s_and_saveexec_b64 s[6:7], s[4:5]
	s_cbranch_execz .LBB14_396
.LBB14_395:
	v_bfe_u32 v12, v6, 8, 3
	v_ffbh_u32_e32 v15, v12
	v_min_u32_e32 v15, 32, v15
	v_lshrrev_b16_e32 v14, 3, v13
	v_subrev_u32_e32 v16, 28, v15
	v_and_b32_e32 v14, 15, v14
	v_lshlrev_b32_e32 v13, v16, v13
	v_sub_u32_e32 v15, 29, v15
	v_and_b32_e32 v13, 7, v13
	v_cmp_eq_u16_e32 vcc, 0, v14
	v_cndmask_b32_e32 v12, v12, v13, vcc
	v_cndmask_b32_e32 v13, v14, v15, vcc
	v_lshlrev_b32_e32 v14, 16, v6
	v_mov_b32_e32 v15, 0x3b800000
	v_lshlrev_b32_e32 v12, 20, v12
	v_and_b32_e32 v14, 0x80000000, v14
	v_lshl_add_u32 v13, v13, 23, v15
	v_or3_b32 v12, v14, v13, v12
.LBB14_396:
	s_or_b64 exec, exec, s[6:7]
	v_lshrrev_b32_e32 v13, 8, v2
	s_movk_i32 s4, 0x7f
	v_cmp_gt_i16_sdwa s[6:7], v13, s4 src0_sel:BYTE_0 src1_sel:DWORD
	s_mov_b64 s[4:5], 0
                                        ; implicit-def: $sgpr10
	s_and_saveexec_b64 s[8:9], s[6:7]
	s_xor_b64 s[6:7], exec, s[8:9]
	s_cbranch_execnz .LBB14_2445
; %bb.397:
	s_or_saveexec_b64 s[6:7], s[6:7]
	v_mov_b32_e32 v14, s10
	s_xor_b64 exec, exec, s[6:7]
	s_cbranch_execnz .LBB14_2448
.LBB14_398:
	s_or_b64 exec, exec, s[6:7]
	s_and_saveexec_b64 s[6:7], s[4:5]
	s_cbranch_execz .LBB14_400
.LBB14_399:
	v_bfe_u32 v14, v2, 8, 3
	v_ffbh_u32_e32 v16, v14
	v_min_u32_e32 v16, 32, v16
	v_lshrrev_b16_e32 v15, 3, v13
	v_subrev_u32_e32 v17, 28, v16
	v_and_b32_e32 v15, 15, v15
	v_lshlrev_b32_e32 v13, v17, v13
	v_sub_u32_e32 v16, 29, v16
	v_and_b32_e32 v13, 7, v13
	v_cmp_eq_u16_e32 vcc, 0, v15
	v_cndmask_b32_e32 v13, v14, v13, vcc
	v_cndmask_b32_e32 v14, v15, v16, vcc
	v_lshlrev_b32_e32 v15, 16, v2
	v_mov_b32_e32 v16, 0x3b800000
	v_lshlrev_b32_e32 v13, 20, v13
	v_and_b32_e32 v15, 0x80000000, v15
	v_lshl_add_u32 v14, v14, 23, v16
	v_or3_b32 v14, v15, v14, v13
.LBB14_400:
	s_or_b64 exec, exec, s[6:7]
	s_nop 0
	v_mfma_f32_16x16x4f32 a[0:3], v12, v14, a[0:3]
	s_movk_i32 s4, 0xff
	v_and_b32_sdwa v13, v6, s4 dst_sel:DWORD dst_unused:UNUSED_PAD src0_sel:WORD_1 src1_sel:DWORD
	s_movk_i32 s4, 0x7f
	v_cmp_lt_i16_e32 vcc, s4, v13
	s_mov_b64 s[4:5], 0
                                        ; implicit-def: $sgpr10
	s_and_saveexec_b64 s[6:7], vcc
	s_xor_b64 s[6:7], exec, s[6:7]
	s_cbranch_execnz .LBB14_2449
; %bb.401:
	s_or_saveexec_b64 s[6:7], s[6:7]
	v_mov_b32_e32 v12, s10
	s_xor_b64 exec, exec, s[6:7]
	s_cbranch_execnz .LBB14_2452
.LBB14_402:
	s_or_b64 exec, exec, s[6:7]
	s_and_saveexec_b64 s[6:7], s[4:5]
	s_cbranch_execz .LBB14_404
.LBB14_403:
	v_bfe_u32 v12, v6, 16, 3
	v_ffbh_u32_e32 v15, v12
	v_min_u32_e32 v15, 32, v15
	v_lshrrev_b32_e32 v13, 19, v6
	v_subrev_u32_e32 v16, 28, v15
	v_and_b32_e32 v13, 15, v13
	v_lshlrev_b32_sdwa v16, v16, v6 dst_sel:DWORD dst_unused:UNUSED_PAD src0_sel:DWORD src1_sel:WORD_1
	v_bfe_u32 v14, v6, 19, 4
	v_sub_u32_e32 v15, 29, v15
	v_and_b32_e32 v16, 7, v16
	v_cmp_eq_u16_e32 vcc, 0, v13
	v_cndmask_b32_e32 v12, v12, v16, vcc
	v_cndmask_b32_e32 v13, v14, v15, vcc
	v_lshlrev_b32_e32 v14, 8, v6
	v_mov_b32_e32 v15, 0x3b800000
	v_lshlrev_b32_e32 v12, 20, v12
	v_and_b32_e32 v14, 0x80000000, v14
	v_lshl_add_u32 v13, v13, 23, v15
	v_or3_b32 v12, v14, v13, v12
.LBB14_404:
	s_or_b64 exec, exec, s[6:7]
	s_movk_i32 s4, 0xff
	v_and_b32_sdwa v13, v2, s4 dst_sel:DWORD dst_unused:UNUSED_PAD src0_sel:WORD_1 src1_sel:DWORD
	s_movk_i32 s4, 0x7f
	v_cmp_lt_i16_e32 vcc, s4, v13
	s_mov_b64 s[4:5], 0
                                        ; implicit-def: $sgpr10
	s_and_saveexec_b64 s[6:7], vcc
	s_xor_b64 s[6:7], exec, s[6:7]
	s_cbranch_execnz .LBB14_2453
; %bb.405:
	s_or_saveexec_b64 s[6:7], s[6:7]
	v_mov_b32_e32 v14, s10
	s_xor_b64 exec, exec, s[6:7]
	s_cbranch_execnz .LBB14_2456
.LBB14_406:
	s_or_b64 exec, exec, s[6:7]
	s_and_saveexec_b64 s[6:7], s[4:5]
	s_cbranch_execz .LBB14_408
.LBB14_407:
	v_bfe_u32 v13, v2, 16, 3
	v_ffbh_u32_e32 v16, v13
	v_min_u32_e32 v16, 32, v16
	v_lshrrev_b32_e32 v14, 19, v2
	v_subrev_u32_e32 v17, 28, v16
	v_and_b32_e32 v14, 15, v14
	v_lshlrev_b32_sdwa v17, v17, v2 dst_sel:DWORD dst_unused:UNUSED_PAD src0_sel:DWORD src1_sel:WORD_1
	v_bfe_u32 v15, v2, 19, 4
	v_sub_u32_e32 v16, 29, v16
	v_and_b32_e32 v17, 7, v17
	v_cmp_eq_u16_e32 vcc, 0, v14
	v_cndmask_b32_e32 v13, v13, v17, vcc
	v_cndmask_b32_e32 v14, v15, v16, vcc
	v_lshlrev_b32_e32 v15, 8, v2
	v_mov_b32_e32 v16, 0x3b800000
	v_lshlrev_b32_e32 v13, 20, v13
	v_and_b32_e32 v15, 0x80000000, v15
	v_lshl_add_u32 v14, v14, 23, v16
	v_or3_b32 v14, v15, v14, v13
.LBB14_408:
	s_or_b64 exec, exec, s[6:7]
	s_nop 0
	v_mfma_f32_16x16x4f32 a[0:3], v12, v14, a[0:3]
	s_movk_i32 s4, 0x7f
	v_cmp_gt_i16_sdwa s[6:7], v6, s4 src0_sel:BYTE_3 src1_sel:DWORD
	s_mov_b64 s[4:5], 0
                                        ; implicit-def: $sgpr10
	s_and_saveexec_b64 s[8:9], s[6:7]
	s_xor_b64 s[6:7], exec, s[8:9]
	s_cbranch_execnz .LBB14_2457
; %bb.409:
	s_or_saveexec_b64 s[6:7], s[6:7]
	v_mov_b32_e32 v12, s10
	s_xor_b64 exec, exec, s[6:7]
	s_cbranch_execnz .LBB14_2460
.LBB14_410:
	s_or_b64 exec, exec, s[6:7]
	s_and_saveexec_b64 s[6:7], s[4:5]
	s_cbranch_execz .LBB14_412
.LBB14_411:
	v_bfe_u32 v12, v6, 24, 3
	v_ffbh_u32_e32 v16, v12
	v_min_u32_e32 v16, 32, v16
	v_lshrrev_b32_e32 v14, 27, v6
	v_subrev_u32_e32 v17, 28, v16
	v_and_b32_e32 v13, 0x80000000, v6
	v_and_b32_e32 v14, 15, v14
	v_bfe_u32 v15, v6, 27, 4
	v_lshlrev_b32_sdwa v6, v17, v6 dst_sel:DWORD dst_unused:UNUSED_PAD src0_sel:DWORD src1_sel:BYTE_3
	v_sub_u32_e32 v16, 29, v16
	v_and_b32_e32 v6, 7, v6
	v_cmp_eq_u16_e32 vcc, 0, v14
	v_cndmask_b32_e32 v6, v12, v6, vcc
	v_cndmask_b32_e32 v12, v15, v16, vcc
	v_mov_b32_e32 v14, 0x3b800000
	v_lshlrev_b32_e32 v6, 20, v6
	v_lshl_add_u32 v12, v12, 23, v14
	v_or3_b32 v12, v13, v12, v6
.LBB14_412:
	s_or_b64 exec, exec, s[6:7]
	s_movk_i32 s4, 0x7f
	v_cmp_gt_i16_sdwa s[6:7], v2, s4 src0_sel:BYTE_3 src1_sel:DWORD
	s_mov_b64 s[4:5], 0
                                        ; implicit-def: $sgpr10
	s_and_saveexec_b64 s[8:9], s[6:7]
	s_xor_b64 s[6:7], exec, s[8:9]
	s_cbranch_execnz .LBB14_2461
; %bb.413:
	s_or_saveexec_b64 s[6:7], s[6:7]
	v_mov_b32_e32 v6, s10
	s_xor_b64 exec, exec, s[6:7]
	s_cbranch_execnz .LBB14_2464
.LBB14_414:
	s_or_b64 exec, exec, s[6:7]
	s_and_saveexec_b64 s[6:7], s[4:5]
	s_cbranch_execz .LBB14_416
.LBB14_415:
	v_bfe_u32 v6, v2, 24, 3
	v_ffbh_u32_e32 v16, v6
	v_min_u32_e32 v16, 32, v16
	v_lshrrev_b32_e32 v14, 27, v2
	v_subrev_u32_e32 v17, 28, v16
	v_and_b32_e32 v13, 0x80000000, v2
	v_and_b32_e32 v14, 15, v14
	v_bfe_u32 v15, v2, 27, 4
	v_lshlrev_b32_sdwa v2, v17, v2 dst_sel:DWORD dst_unused:UNUSED_PAD src0_sel:DWORD src1_sel:BYTE_3
	v_sub_u32_e32 v16, 29, v16
	v_and_b32_e32 v2, 7, v2
	v_cmp_eq_u16_e32 vcc, 0, v14
	v_cndmask_b32_e32 v2, v6, v2, vcc
	v_cndmask_b32_e32 v6, v15, v16, vcc
	v_mov_b32_e32 v14, 0x3b800000
	v_lshlrev_b32_e32 v2, 20, v2
	v_lshl_add_u32 v6, v6, 23, v14
	v_or3_b32 v6, v13, v6, v2
.LBB14_416:
	s_or_b64 exec, exec, s[6:7]
	s_nop 0
	v_mfma_f32_16x16x4f32 a[0:3], v12, v6, a[0:3]
	s_movk_i32 s4, 0x7f
	v_cmp_gt_i16_sdwa s[6:7], v7, s4 src0_sel:BYTE_0 src1_sel:DWORD
	s_mov_b64 s[4:5], 0
                                        ; implicit-def: $sgpr10
	s_and_saveexec_b64 s[8:9], s[6:7]
	s_xor_b64 s[6:7], exec, s[8:9]
	s_cbranch_execnz .LBB14_2465
; %bb.417:
	s_or_saveexec_b64 s[6:7], s[6:7]
	v_mov_b32_e32 v2, s10
	s_xor_b64 exec, exec, s[6:7]
	s_cbranch_execnz .LBB14_2468
.LBB14_418:
	s_or_b64 exec, exec, s[6:7]
	s_and_saveexec_b64 s[6:7], s[4:5]
	s_cbranch_execz .LBB14_420
.LBB14_419:
	v_and_b32_e32 v2, 7, v7
	v_ffbh_u32_e32 v12, v2
	v_min_u32_e32 v12, 32, v12
	v_lshrrev_b16_e32 v6, 3, v7
	v_subrev_u32_e32 v13, 28, v12
	v_and_b32_e32 v6, 15, v6
	v_lshlrev_b32_e32 v13, v13, v7
	v_sub_u32_e32 v12, 29, v12
	v_and_b32_e32 v13, 7, v13
	v_cmp_eq_u16_e32 vcc, 0, v6
	v_cndmask_b32_e32 v2, v2, v13, vcc
	v_cndmask_b32_e32 v6, v6, v12, vcc
	v_lshlrev_b32_e32 v12, 24, v7
	v_mov_b32_e32 v13, 0x3b800000
	v_lshlrev_b32_e32 v2, 20, v2
	v_and_b32_e32 v12, 0x80000000, v12
	v_lshl_add_u32 v6, v6, 23, v13
	v_or3_b32 v2, v12, v6, v2
.LBB14_420:
	s_or_b64 exec, exec, s[6:7]
	s_movk_i32 s4, 0x7f
	v_cmp_gt_i16_sdwa s[6:7], v3, s4 src0_sel:BYTE_0 src1_sel:DWORD
	s_mov_b64 s[4:5], 0
                                        ; implicit-def: $sgpr10
	s_and_saveexec_b64 s[8:9], s[6:7]
	s_xor_b64 s[6:7], exec, s[8:9]
	s_cbranch_execnz .LBB14_2469
; %bb.421:
	s_or_saveexec_b64 s[6:7], s[6:7]
	v_mov_b32_e32 v6, s10
	s_xor_b64 exec, exec, s[6:7]
	s_cbranch_execnz .LBB14_2472
.LBB14_422:
	s_or_b64 exec, exec, s[6:7]
	s_and_saveexec_b64 s[6:7], s[4:5]
	s_cbranch_execz .LBB14_424
.LBB14_423:
	v_and_b32_e32 v6, 7, v3
	v_ffbh_u32_e32 v13, v6
	v_min_u32_e32 v13, 32, v13
	v_lshrrev_b16_e32 v12, 3, v3
	v_subrev_u32_e32 v14, 28, v13
	v_and_b32_e32 v12, 15, v12
	v_lshlrev_b32_e32 v14, v14, v3
	v_sub_u32_e32 v13, 29, v13
	v_and_b32_e32 v14, 7, v14
	v_cmp_eq_u16_e32 vcc, 0, v12
	v_cndmask_b32_e32 v6, v6, v14, vcc
	v_cndmask_b32_e32 v12, v12, v13, vcc
	v_lshlrev_b32_e32 v13, 24, v3
	v_mov_b32_e32 v14, 0x3b800000
	v_lshlrev_b32_e32 v6, 20, v6
	v_and_b32_e32 v13, 0x80000000, v13
	v_lshl_add_u32 v12, v12, 23, v14
	v_or3_b32 v6, v13, v12, v6
.LBB14_424:
	s_or_b64 exec, exec, s[6:7]
	s_nop 0
	v_mfma_f32_16x16x4f32 a[0:3], v2, v6, a[0:3]
	v_lshrrev_b32_e32 v6, 8, v7
	s_movk_i32 s4, 0x7f
	v_cmp_gt_i16_sdwa s[6:7], v6, s4 src0_sel:BYTE_0 src1_sel:DWORD
	s_mov_b64 s[4:5], 0
                                        ; implicit-def: $sgpr10
	s_and_saveexec_b64 s[8:9], s[6:7]
	s_xor_b64 s[6:7], exec, s[8:9]
	s_cbranch_execnz .LBB14_2473
; %bb.425:
	s_or_saveexec_b64 s[6:7], s[6:7]
	v_mov_b32_e32 v2, s10
	s_xor_b64 exec, exec, s[6:7]
	s_cbranch_execnz .LBB14_2476
.LBB14_426:
	s_or_b64 exec, exec, s[6:7]
	s_and_saveexec_b64 s[6:7], s[4:5]
	s_cbranch_execz .LBB14_428
.LBB14_427:
	v_bfe_u32 v2, v7, 8, 3
	v_ffbh_u32_e32 v13, v2
	v_min_u32_e32 v13, 32, v13
	v_lshrrev_b16_e32 v12, 3, v6
	v_subrev_u32_e32 v14, 28, v13
	v_and_b32_e32 v12, 15, v12
	v_lshlrev_b32_e32 v6, v14, v6
	v_sub_u32_e32 v13, 29, v13
	v_and_b32_e32 v6, 7, v6
	v_cmp_eq_u16_e32 vcc, 0, v12
	v_cndmask_b32_e32 v2, v2, v6, vcc
	v_cndmask_b32_e32 v6, v12, v13, vcc
	v_lshlrev_b32_e32 v12, 16, v7
	v_mov_b32_e32 v13, 0x3b800000
	v_lshlrev_b32_e32 v2, 20, v2
	v_and_b32_e32 v12, 0x80000000, v12
	v_lshl_add_u32 v6, v6, 23, v13
	v_or3_b32 v2, v12, v6, v2
.LBB14_428:
	s_or_b64 exec, exec, s[6:7]
	v_lshrrev_b32_e32 v6, 8, v3
	s_movk_i32 s4, 0x7f
	v_cmp_gt_i16_sdwa s[6:7], v6, s4 src0_sel:BYTE_0 src1_sel:DWORD
	s_mov_b64 s[4:5], 0
                                        ; implicit-def: $sgpr10
	s_and_saveexec_b64 s[8:9], s[6:7]
	s_xor_b64 s[6:7], exec, s[8:9]
	s_cbranch_execnz .LBB14_2477
; %bb.429:
	s_or_saveexec_b64 s[6:7], s[6:7]
	v_mov_b32_e32 v12, s10
	s_xor_b64 exec, exec, s[6:7]
	s_cbranch_execnz .LBB14_2480
.LBB14_430:
	s_or_b64 exec, exec, s[6:7]
	s_and_saveexec_b64 s[6:7], s[4:5]
	s_cbranch_execz .LBB14_432
.LBB14_431:
	v_bfe_u32 v12, v3, 8, 3
	v_ffbh_u32_e32 v14, v12
	v_min_u32_e32 v14, 32, v14
	v_lshrrev_b16_e32 v13, 3, v6
	v_subrev_u32_e32 v15, 28, v14
	v_and_b32_e32 v13, 15, v13
	v_lshlrev_b32_e32 v6, v15, v6
	v_sub_u32_e32 v14, 29, v14
	v_and_b32_e32 v6, 7, v6
	v_cmp_eq_u16_e32 vcc, 0, v13
	v_cndmask_b32_e32 v6, v12, v6, vcc
	v_cndmask_b32_e32 v12, v13, v14, vcc
	v_lshlrev_b32_e32 v13, 16, v3
	v_mov_b32_e32 v14, 0x3b800000
	v_lshlrev_b32_e32 v6, 20, v6
	v_and_b32_e32 v13, 0x80000000, v13
	v_lshl_add_u32 v12, v12, 23, v14
	v_or3_b32 v12, v13, v12, v6
.LBB14_432:
	s_or_b64 exec, exec, s[6:7]
	s_nop 0
	v_mfma_f32_16x16x4f32 a[0:3], v2, v12, a[0:3]
	s_movk_i32 s4, 0xff
	v_and_b32_sdwa v6, v7, s4 dst_sel:DWORD dst_unused:UNUSED_PAD src0_sel:WORD_1 src1_sel:DWORD
	s_movk_i32 s4, 0x7f
	v_cmp_lt_i16_e32 vcc, s4, v6
	s_mov_b64 s[4:5], 0
                                        ; implicit-def: $sgpr10
	s_and_saveexec_b64 s[6:7], vcc
	s_xor_b64 s[6:7], exec, s[6:7]
	s_cbranch_execnz .LBB14_2481
; %bb.433:
	s_or_saveexec_b64 s[6:7], s[6:7]
	v_mov_b32_e32 v2, s10
	s_xor_b64 exec, exec, s[6:7]
	s_cbranch_execnz .LBB14_2484
.LBB14_434:
	s_or_b64 exec, exec, s[6:7]
	s_and_saveexec_b64 s[6:7], s[4:5]
	s_cbranch_execz .LBB14_436
.LBB14_435:
	v_bfe_u32 v2, v7, 16, 3
	v_ffbh_u32_e32 v13, v2
	v_min_u32_e32 v13, 32, v13
	v_lshrrev_b32_e32 v6, 19, v7
	v_subrev_u32_e32 v14, 28, v13
	v_and_b32_e32 v6, 15, v6
	v_lshlrev_b32_sdwa v14, v14, v7 dst_sel:DWORD dst_unused:UNUSED_PAD src0_sel:DWORD src1_sel:WORD_1
	v_bfe_u32 v12, v7, 19, 4
	v_sub_u32_e32 v13, 29, v13
	v_and_b32_e32 v14, 7, v14
	v_cmp_eq_u16_e32 vcc, 0, v6
	v_cndmask_b32_e32 v2, v2, v14, vcc
	v_cndmask_b32_e32 v6, v12, v13, vcc
	v_lshlrev_b32_e32 v12, 8, v7
	v_mov_b32_e32 v13, 0x3b800000
	v_lshlrev_b32_e32 v2, 20, v2
	v_and_b32_e32 v12, 0x80000000, v12
	v_lshl_add_u32 v6, v6, 23, v13
	v_or3_b32 v2, v12, v6, v2
.LBB14_436:
	s_or_b64 exec, exec, s[6:7]
	s_movk_i32 s4, 0xff
	v_and_b32_sdwa v6, v3, s4 dst_sel:DWORD dst_unused:UNUSED_PAD src0_sel:WORD_1 src1_sel:DWORD
	s_movk_i32 s4, 0x7f
	v_cmp_lt_i16_e32 vcc, s4, v6
	s_mov_b64 s[4:5], 0
                                        ; implicit-def: $sgpr10
	s_and_saveexec_b64 s[6:7], vcc
	s_xor_b64 s[6:7], exec, s[6:7]
	s_cbranch_execnz .LBB14_2485
; %bb.437:
	s_or_saveexec_b64 s[6:7], s[6:7]
	v_mov_b32_e32 v12, s10
	s_xor_b64 exec, exec, s[6:7]
	s_cbranch_execnz .LBB14_2488
.LBB14_438:
	s_or_b64 exec, exec, s[6:7]
	s_and_saveexec_b64 s[6:7], s[4:5]
	s_cbranch_execz .LBB14_440
.LBB14_439:
	v_bfe_u32 v6, v3, 16, 3
	v_ffbh_u32_e32 v14, v6
	v_min_u32_e32 v14, 32, v14
	v_lshrrev_b32_e32 v12, 19, v3
	v_subrev_u32_e32 v15, 28, v14
	v_and_b32_e32 v12, 15, v12
	v_lshlrev_b32_sdwa v15, v15, v3 dst_sel:DWORD dst_unused:UNUSED_PAD src0_sel:DWORD src1_sel:WORD_1
	v_bfe_u32 v13, v3, 19, 4
	v_sub_u32_e32 v14, 29, v14
	v_and_b32_e32 v15, 7, v15
	v_cmp_eq_u16_e32 vcc, 0, v12
	v_cndmask_b32_e32 v6, v6, v15, vcc
	v_cndmask_b32_e32 v12, v13, v14, vcc
	v_lshlrev_b32_e32 v13, 8, v3
	v_mov_b32_e32 v14, 0x3b800000
	v_lshlrev_b32_e32 v6, 20, v6
	v_and_b32_e32 v13, 0x80000000, v13
	v_lshl_add_u32 v12, v12, 23, v14
	v_or3_b32 v12, v13, v12, v6
.LBB14_440:
	s_or_b64 exec, exec, s[6:7]
	s_nop 0
	v_mfma_f32_16x16x4f32 a[0:3], v2, v12, a[0:3]
	s_movk_i32 s4, 0x7f
	v_cmp_gt_i16_sdwa s[6:7], v7, s4 src0_sel:BYTE_3 src1_sel:DWORD
	s_mov_b64 s[4:5], 0
                                        ; implicit-def: $sgpr10
	s_and_saveexec_b64 s[8:9], s[6:7]
	s_xor_b64 s[6:7], exec, s[8:9]
	s_cbranch_execnz .LBB14_2489
; %bb.441:
	s_or_saveexec_b64 s[6:7], s[6:7]
	v_mov_b32_e32 v2, s10
	s_xor_b64 exec, exec, s[6:7]
	s_cbranch_execnz .LBB14_2492
.LBB14_442:
	s_or_b64 exec, exec, s[6:7]
	s_and_saveexec_b64 s[6:7], s[4:5]
	s_cbranch_execz .LBB14_444
.LBB14_443:
	v_bfe_u32 v2, v7, 24, 3
	v_ffbh_u32_e32 v14, v2
	v_min_u32_e32 v14, 32, v14
	v_lshrrev_b32_e32 v12, 27, v7
	v_subrev_u32_e32 v15, 28, v14
	v_and_b32_e32 v6, 0x80000000, v7
	v_and_b32_e32 v12, 15, v12
	v_bfe_u32 v13, v7, 27, 4
	v_lshlrev_b32_sdwa v7, v15, v7 dst_sel:DWORD dst_unused:UNUSED_PAD src0_sel:DWORD src1_sel:BYTE_3
	v_sub_u32_e32 v14, 29, v14
	v_and_b32_e32 v7, 7, v7
	v_cmp_eq_u16_e32 vcc, 0, v12
	v_cndmask_b32_e32 v2, v2, v7, vcc
	v_cndmask_b32_e32 v7, v13, v14, vcc
	v_mov_b32_e32 v12, 0x3b800000
	v_lshlrev_b32_e32 v2, 20, v2
	v_lshl_add_u32 v7, v7, 23, v12
	v_or3_b32 v2, v6, v7, v2
.LBB14_444:
	s_or_b64 exec, exec, s[6:7]
	s_movk_i32 s4, 0x7f
	v_cmp_gt_i16_sdwa s[6:7], v3, s4 src0_sel:BYTE_3 src1_sel:DWORD
	s_mov_b64 s[4:5], 0
                                        ; implicit-def: $sgpr10
	s_and_saveexec_b64 s[8:9], s[6:7]
	s_xor_b64 s[6:7], exec, s[8:9]
	s_cbranch_execnz .LBB14_2493
; %bb.445:
	s_or_saveexec_b64 s[6:7], s[6:7]
	v_mov_b32_e32 v6, s10
	s_xor_b64 exec, exec, s[6:7]
	s_cbranch_execnz .LBB14_2496
.LBB14_446:
	s_or_b64 exec, exec, s[6:7]
	s_and_saveexec_b64 s[6:7], s[4:5]
	s_cbranch_execz .LBB14_448
.LBB14_447:
	v_bfe_u32 v6, v3, 24, 3
	v_ffbh_u32_e32 v14, v6
	v_min_u32_e32 v14, 32, v14
	v_lshrrev_b32_e32 v12, 27, v3
	v_subrev_u32_e32 v15, 28, v14
	v_and_b32_e32 v7, 0x80000000, v3
	v_and_b32_e32 v12, 15, v12
	v_bfe_u32 v13, v3, 27, 4
	v_lshlrev_b32_sdwa v3, v15, v3 dst_sel:DWORD dst_unused:UNUSED_PAD src0_sel:DWORD src1_sel:BYTE_3
	v_sub_u32_e32 v14, 29, v14
	v_and_b32_e32 v3, 7, v3
	v_cmp_eq_u16_e32 vcc, 0, v12
	v_cndmask_b32_e32 v3, v6, v3, vcc
	v_cndmask_b32_e32 v6, v13, v14, vcc
	v_mov_b32_e32 v12, 0x3b800000
	v_lshlrev_b32_e32 v3, 20, v3
	v_lshl_add_u32 v6, v6, 23, v12
	v_or3_b32 v6, v7, v6, v3
.LBB14_448:
	s_or_b64 exec, exec, s[6:7]
	s_nop 0
	v_mfma_f32_16x16x4f32 a[0:3], v2, v6, a[0:3]
	s_movk_i32 s4, 0x7f
	v_cmp_gt_i16_sdwa s[6:7], v8, s4 src0_sel:BYTE_0 src1_sel:DWORD
	s_mov_b64 s[4:5], 0
                                        ; implicit-def: $sgpr10
	s_and_saveexec_b64 s[8:9], s[6:7]
	s_xor_b64 s[6:7], exec, s[8:9]
	s_cbranch_execnz .LBB14_2497
; %bb.449:
	s_or_saveexec_b64 s[6:7], s[6:7]
	v_mov_b32_e32 v2, s10
	s_xor_b64 exec, exec, s[6:7]
	s_cbranch_execnz .LBB14_2500
.LBB14_450:
	s_or_b64 exec, exec, s[6:7]
	s_and_saveexec_b64 s[6:7], s[4:5]
	s_cbranch_execz .LBB14_452
.LBB14_451:
	v_and_b32_e32 v2, 7, v8
	v_ffbh_u32_e32 v6, v2
	v_min_u32_e32 v6, 32, v6
	v_lshrrev_b16_e32 v3, 3, v8
	v_subrev_u32_e32 v7, 28, v6
	v_and_b32_e32 v3, 15, v3
	v_lshlrev_b32_e32 v7, v7, v8
	v_sub_u32_e32 v6, 29, v6
	v_and_b32_e32 v7, 7, v7
	v_cmp_eq_u16_e32 vcc, 0, v3
	v_cndmask_b32_e32 v2, v2, v7, vcc
	v_cndmask_b32_e32 v3, v3, v6, vcc
	v_lshlrev_b32_e32 v6, 24, v8
	v_mov_b32_e32 v7, 0x3b800000
	v_lshlrev_b32_e32 v2, 20, v2
	v_and_b32_e32 v6, 0x80000000, v6
	v_lshl_add_u32 v3, v3, 23, v7
	v_or3_b32 v2, v6, v3, v2
.LBB14_452:
	s_or_b64 exec, exec, s[6:7]
	s_movk_i32 s4, 0x7f
	v_cmp_gt_i16_sdwa s[6:7], v4, s4 src0_sel:BYTE_0 src1_sel:DWORD
	s_mov_b64 s[4:5], 0
                                        ; implicit-def: $sgpr10
	s_and_saveexec_b64 s[8:9], s[6:7]
	s_xor_b64 s[6:7], exec, s[8:9]
	s_cbranch_execnz .LBB14_2501
; %bb.453:
	s_or_saveexec_b64 s[6:7], s[6:7]
	v_mov_b32_e32 v3, s10
	s_xor_b64 exec, exec, s[6:7]
	s_cbranch_execnz .LBB14_2504
.LBB14_454:
	s_or_b64 exec, exec, s[6:7]
	s_and_saveexec_b64 s[6:7], s[4:5]
	s_cbranch_execz .LBB14_456
.LBB14_455:
	v_and_b32_e32 v3, 7, v4
	v_ffbh_u32_e32 v7, v3
	v_min_u32_e32 v7, 32, v7
	v_lshrrev_b16_e32 v6, 3, v4
	v_subrev_u32_e32 v12, 28, v7
	v_and_b32_e32 v6, 15, v6
	v_lshlrev_b32_e32 v12, v12, v4
	v_sub_u32_e32 v7, 29, v7
	v_and_b32_e32 v12, 7, v12
	v_cmp_eq_u16_e32 vcc, 0, v6
	v_cndmask_b32_e32 v3, v3, v12, vcc
	v_cndmask_b32_e32 v6, v6, v7, vcc
	v_lshlrev_b32_e32 v7, 24, v4
	v_mov_b32_e32 v12, 0x3b800000
	v_lshlrev_b32_e32 v3, 20, v3
	v_and_b32_e32 v7, 0x80000000, v7
	v_lshl_add_u32 v6, v6, 23, v12
	v_or3_b32 v3, v7, v6, v3
.LBB14_456:
	s_or_b64 exec, exec, s[6:7]
	s_nop 0
	v_mfma_f32_16x16x4f32 a[0:3], v2, v3, a[0:3]
	v_lshrrev_b32_e32 v3, 8, v8
	s_movk_i32 s4, 0x7f
	v_cmp_gt_i16_sdwa s[6:7], v3, s4 src0_sel:BYTE_0 src1_sel:DWORD
	s_mov_b64 s[4:5], 0
                                        ; implicit-def: $sgpr10
	s_and_saveexec_b64 s[8:9], s[6:7]
	s_xor_b64 s[6:7], exec, s[8:9]
	s_cbranch_execnz .LBB14_2505
; %bb.457:
	s_or_saveexec_b64 s[6:7], s[6:7]
	v_mov_b32_e32 v2, s10
	s_xor_b64 exec, exec, s[6:7]
	s_cbranch_execnz .LBB14_2508
.LBB14_458:
	s_or_b64 exec, exec, s[6:7]
	s_and_saveexec_b64 s[6:7], s[4:5]
	s_cbranch_execz .LBB14_460
.LBB14_459:
	v_bfe_u32 v2, v8, 8, 3
	v_ffbh_u32_e32 v7, v2
	v_min_u32_e32 v7, 32, v7
	v_lshrrev_b16_e32 v6, 3, v3
	v_subrev_u32_e32 v12, 28, v7
	v_and_b32_e32 v6, 15, v6
	v_lshlrev_b32_e32 v3, v12, v3
	v_sub_u32_e32 v7, 29, v7
	v_and_b32_e32 v3, 7, v3
	v_cmp_eq_u16_e32 vcc, 0, v6
	v_cndmask_b32_e32 v2, v2, v3, vcc
	v_cndmask_b32_e32 v3, v6, v7, vcc
	v_lshlrev_b32_e32 v6, 16, v8
	v_mov_b32_e32 v7, 0x3b800000
	v_lshlrev_b32_e32 v2, 20, v2
	v_and_b32_e32 v6, 0x80000000, v6
	v_lshl_add_u32 v3, v3, 23, v7
	v_or3_b32 v2, v6, v3, v2
.LBB14_460:
	s_or_b64 exec, exec, s[6:7]
	v_lshrrev_b32_e32 v3, 8, v4
	s_movk_i32 s4, 0x7f
	v_cmp_gt_i16_sdwa s[6:7], v3, s4 src0_sel:BYTE_0 src1_sel:DWORD
	s_mov_b64 s[4:5], 0
                                        ; implicit-def: $sgpr10
	s_and_saveexec_b64 s[8:9], s[6:7]
	s_xor_b64 s[6:7], exec, s[8:9]
	s_cbranch_execnz .LBB14_2509
; %bb.461:
	s_or_saveexec_b64 s[6:7], s[6:7]
	v_mov_b32_e32 v6, s10
	s_xor_b64 exec, exec, s[6:7]
	s_cbranch_execnz .LBB14_2512
.LBB14_462:
	s_or_b64 exec, exec, s[6:7]
	s_and_saveexec_b64 s[6:7], s[4:5]
	s_cbranch_execz .LBB14_464
.LBB14_463:
	v_bfe_u32 v6, v4, 8, 3
	v_ffbh_u32_e32 v12, v6
	v_min_u32_e32 v12, 32, v12
	v_lshrrev_b16_e32 v7, 3, v3
	v_subrev_u32_e32 v13, 28, v12
	v_and_b32_e32 v7, 15, v7
	v_lshlrev_b32_e32 v3, v13, v3
	v_sub_u32_e32 v12, 29, v12
	v_and_b32_e32 v3, 7, v3
	v_cmp_eq_u16_e32 vcc, 0, v7
	v_cndmask_b32_e32 v3, v6, v3, vcc
	v_cndmask_b32_e32 v6, v7, v12, vcc
	v_lshlrev_b32_e32 v7, 16, v4
	v_mov_b32_e32 v12, 0x3b800000
	v_lshlrev_b32_e32 v3, 20, v3
	v_and_b32_e32 v7, 0x80000000, v7
	v_lshl_add_u32 v6, v6, 23, v12
	v_or3_b32 v6, v7, v6, v3
.LBB14_464:
	s_or_b64 exec, exec, s[6:7]
	s_nop 0
	v_mfma_f32_16x16x4f32 a[0:3], v2, v6, a[0:3]
	s_movk_i32 s4, 0xff
	v_and_b32_sdwa v3, v8, s4 dst_sel:DWORD dst_unused:UNUSED_PAD src0_sel:WORD_1 src1_sel:DWORD
	s_movk_i32 s4, 0x7f
	v_cmp_lt_i16_e32 vcc, s4, v3
	s_mov_b64 s[4:5], 0
                                        ; implicit-def: $sgpr10
	s_and_saveexec_b64 s[6:7], vcc
	s_xor_b64 s[6:7], exec, s[6:7]
	s_cbranch_execnz .LBB14_2513
; %bb.465:
	s_or_saveexec_b64 s[6:7], s[6:7]
	v_mov_b32_e32 v2, s10
	s_xor_b64 exec, exec, s[6:7]
	s_cbranch_execnz .LBB14_2516
.LBB14_466:
	s_or_b64 exec, exec, s[6:7]
	s_and_saveexec_b64 s[6:7], s[4:5]
	s_cbranch_execz .LBB14_468
.LBB14_467:
	v_bfe_u32 v2, v8, 16, 3
	v_ffbh_u32_e32 v7, v2
	v_min_u32_e32 v7, 32, v7
	v_lshrrev_b32_e32 v3, 19, v8
	v_subrev_u32_e32 v12, 28, v7
	v_and_b32_e32 v3, 15, v3
	v_lshlrev_b32_sdwa v12, v12, v8 dst_sel:DWORD dst_unused:UNUSED_PAD src0_sel:DWORD src1_sel:WORD_1
	v_bfe_u32 v6, v8, 19, 4
	v_sub_u32_e32 v7, 29, v7
	v_and_b32_e32 v12, 7, v12
	v_cmp_eq_u16_e32 vcc, 0, v3
	v_cndmask_b32_e32 v2, v2, v12, vcc
	v_cndmask_b32_e32 v3, v6, v7, vcc
	v_lshlrev_b32_e32 v6, 8, v8
	v_mov_b32_e32 v7, 0x3b800000
	v_lshlrev_b32_e32 v2, 20, v2
	v_and_b32_e32 v6, 0x80000000, v6
	v_lshl_add_u32 v3, v3, 23, v7
	v_or3_b32 v2, v6, v3, v2
.LBB14_468:
	s_or_b64 exec, exec, s[6:7]
	s_movk_i32 s4, 0xff
	v_and_b32_sdwa v3, v4, s4 dst_sel:DWORD dst_unused:UNUSED_PAD src0_sel:WORD_1 src1_sel:DWORD
	s_movk_i32 s4, 0x7f
	v_cmp_lt_i16_e32 vcc, s4, v3
	s_mov_b64 s[4:5], 0
                                        ; implicit-def: $sgpr10
	s_and_saveexec_b64 s[6:7], vcc
	s_xor_b64 s[6:7], exec, s[6:7]
	s_cbranch_execnz .LBB14_2517
; %bb.469:
	s_or_saveexec_b64 s[6:7], s[6:7]
	v_mov_b32_e32 v6, s10
	s_xor_b64 exec, exec, s[6:7]
	s_cbranch_execnz .LBB14_2520
.LBB14_470:
	s_or_b64 exec, exec, s[6:7]
	s_and_saveexec_b64 s[6:7], s[4:5]
	s_cbranch_execz .LBB14_472
.LBB14_471:
	v_bfe_u32 v3, v4, 16, 3
	v_ffbh_u32_e32 v12, v3
	v_min_u32_e32 v12, 32, v12
	v_lshrrev_b32_e32 v6, 19, v4
	v_subrev_u32_e32 v13, 28, v12
	v_and_b32_e32 v6, 15, v6
	v_lshlrev_b32_sdwa v13, v13, v4 dst_sel:DWORD dst_unused:UNUSED_PAD src0_sel:DWORD src1_sel:WORD_1
	v_bfe_u32 v7, v4, 19, 4
	v_sub_u32_e32 v12, 29, v12
	v_and_b32_e32 v13, 7, v13
	v_cmp_eq_u16_e32 vcc, 0, v6
	v_cndmask_b32_e32 v3, v3, v13, vcc
	v_cndmask_b32_e32 v6, v7, v12, vcc
	v_lshlrev_b32_e32 v7, 8, v4
	v_mov_b32_e32 v12, 0x3b800000
	v_lshlrev_b32_e32 v3, 20, v3
	v_and_b32_e32 v7, 0x80000000, v7
	v_lshl_add_u32 v6, v6, 23, v12
	v_or3_b32 v6, v7, v6, v3
.LBB14_472:
	s_or_b64 exec, exec, s[6:7]
	s_nop 0
	v_mfma_f32_16x16x4f32 a[0:3], v2, v6, a[0:3]
	s_movk_i32 s4, 0x7f
	v_cmp_gt_i16_sdwa s[6:7], v8, s4 src0_sel:BYTE_3 src1_sel:DWORD
	s_mov_b64 s[4:5], 0
                                        ; implicit-def: $sgpr10
	s_and_saveexec_b64 s[8:9], s[6:7]
	s_xor_b64 s[6:7], exec, s[8:9]
	s_cbranch_execnz .LBB14_2521
; %bb.473:
	s_or_saveexec_b64 s[6:7], s[6:7]
	v_mov_b32_e32 v2, s10
	s_xor_b64 exec, exec, s[6:7]
	s_cbranch_execnz .LBB14_2524
.LBB14_474:
	s_or_b64 exec, exec, s[6:7]
	s_and_saveexec_b64 s[6:7], s[4:5]
	s_cbranch_execz .LBB14_476
.LBB14_475:
	v_bfe_u32 v2, v8, 24, 3
	v_ffbh_u32_e32 v12, v2
	v_min_u32_e32 v12, 32, v12
	v_lshrrev_b32_e32 v6, 27, v8
	v_subrev_u32_e32 v13, 28, v12
	v_and_b32_e32 v3, 0x80000000, v8
	v_and_b32_e32 v6, 15, v6
	v_bfe_u32 v7, v8, 27, 4
	v_lshlrev_b32_sdwa v8, v13, v8 dst_sel:DWORD dst_unused:UNUSED_PAD src0_sel:DWORD src1_sel:BYTE_3
	v_sub_u32_e32 v12, 29, v12
	v_and_b32_e32 v8, 7, v8
	v_cmp_eq_u16_e32 vcc, 0, v6
	v_cndmask_b32_e32 v2, v2, v8, vcc
	v_cndmask_b32_e32 v6, v7, v12, vcc
	v_mov_b32_e32 v7, 0x3b800000
	v_lshlrev_b32_e32 v2, 20, v2
	v_lshl_add_u32 v6, v6, 23, v7
	v_or3_b32 v2, v3, v6, v2
.LBB14_476:
	s_or_b64 exec, exec, s[6:7]
	s_movk_i32 s4, 0x7f
	v_cmp_gt_i16_sdwa s[6:7], v4, s4 src0_sel:BYTE_3 src1_sel:DWORD
	s_mov_b64 s[4:5], 0
                                        ; implicit-def: $sgpr10
	s_and_saveexec_b64 s[8:9], s[6:7]
	s_xor_b64 s[6:7], exec, s[8:9]
	s_cbranch_execnz .LBB14_2525
; %bb.477:
	s_or_saveexec_b64 s[6:7], s[6:7]
	v_mov_b32_e32 v3, s10
	s_xor_b64 exec, exec, s[6:7]
	s_cbranch_execnz .LBB14_2528
.LBB14_478:
	s_or_b64 exec, exec, s[6:7]
	s_and_saveexec_b64 s[6:7], s[4:5]
	s_cbranch_execz .LBB14_480
.LBB14_479:
	v_bfe_u32 v3, v4, 24, 3
	v_ffbh_u32_e32 v12, v3
	v_min_u32_e32 v12, 32, v12
	v_lshrrev_b32_e32 v7, 27, v4
	v_subrev_u32_e32 v13, 28, v12
	v_and_b32_e32 v6, 0x80000000, v4
	v_and_b32_e32 v7, 15, v7
	v_bfe_u32 v8, v4, 27, 4
	v_lshlrev_b32_sdwa v4, v13, v4 dst_sel:DWORD dst_unused:UNUSED_PAD src0_sel:DWORD src1_sel:BYTE_3
	v_sub_u32_e32 v12, 29, v12
	v_and_b32_e32 v4, 7, v4
	v_cmp_eq_u16_e32 vcc, 0, v7
	v_cndmask_b32_e32 v3, v3, v4, vcc
	v_cndmask_b32_e32 v4, v8, v12, vcc
	v_mov_b32_e32 v7, 0x3b800000
	v_lshlrev_b32_e32 v3, 20, v3
	v_lshl_add_u32 v4, v4, 23, v7
	v_or3_b32 v3, v6, v4, v3
.LBB14_480:
	s_or_b64 exec, exec, s[6:7]
	s_nop 0
	v_mfma_f32_16x16x4f32 a[0:3], v2, v3, a[0:3]
	s_movk_i32 s4, 0x7f
	v_cmp_gt_i16_sdwa s[6:7], v9, s4 src0_sel:BYTE_0 src1_sel:DWORD
	s_mov_b64 s[4:5], 0
                                        ; implicit-def: $sgpr10
	s_and_saveexec_b64 s[8:9], s[6:7]
	s_xor_b64 s[6:7], exec, s[8:9]
	s_cbranch_execnz .LBB14_2529
; %bb.481:
	s_or_saveexec_b64 s[6:7], s[6:7]
	v_mov_b32_e32 v2, s10
	s_xor_b64 exec, exec, s[6:7]
	s_cbranch_execnz .LBB14_2532
.LBB14_482:
	s_or_b64 exec, exec, s[6:7]
	s_and_saveexec_b64 s[6:7], s[4:5]
	s_cbranch_execz .LBB14_484
.LBB14_483:
	v_mov_b32_e32 v2, 8
	v_and_b32_e32 v3, 7, v9
	v_lshrrev_b32_sdwa v2, v2, v9 dst_sel:BYTE_1 dst_unused:UNUSED_PAD src0_sel:DWORD src1_sel:DWORD
	v_ffbh_u32_e32 v4, v3
	v_or_b32_sdwa v2, v9, v2 dst_sel:DWORD dst_unused:UNUSED_PAD src0_sel:BYTE_0 src1_sel:DWORD
	v_min_u32_e32 v4, 32, v4
	v_lshrrev_b16_e32 v2, 3, v2
	v_subrev_u32_e32 v6, 28, v4
	v_and_b32_e32 v2, 15, v2
	v_lshlrev_b32_e32 v6, v6, v9
	v_sub_u32_e32 v4, 29, v4
	v_and_b32_e32 v6, 7, v6
	v_cmp_eq_u16_e32 vcc, 0, v2
	v_cndmask_b32_e32 v3, v3, v6, vcc
	v_cndmask_b32_e32 v2, v2, v4, vcc
	v_lshlrev_b32_e32 v4, 24, v9
	v_mov_b32_e32 v6, 0x3b800000
	v_lshlrev_b32_e32 v3, 20, v3
	v_and_b32_e32 v4, 0x80000000, v4
	v_lshl_add_u32 v2, v2, 23, v6
	v_or3_b32 v2, v4, v2, v3
.LBB14_484:
	s_or_b64 exec, exec, s[6:7]
	s_movk_i32 s4, 0x7f
	v_cmp_gt_i16_sdwa s[6:7], v5, s4 src0_sel:BYTE_0 src1_sel:DWORD
	s_mov_b64 s[4:5], 0
                                        ; implicit-def: $sgpr10
	s_and_saveexec_b64 s[8:9], s[6:7]
	s_xor_b64 s[6:7], exec, s[8:9]
	s_cbranch_execnz .LBB14_2533
; %bb.485:
	s_or_saveexec_b64 s[6:7], s[6:7]
	v_mov_b32_e32 v3, s10
	s_xor_b64 exec, exec, s[6:7]
	s_cbranch_execnz .LBB14_2536
.LBB14_486:
	s_or_b64 exec, exec, s[6:7]
	s_and_saveexec_b64 s[6:7], s[4:5]
	s_cbranch_execz .LBB14_488
.LBB14_487:
	v_mov_b32_e32 v3, 8
	v_and_b32_e32 v4, 7, v5
	v_lshrrev_b32_sdwa v3, v3, v5 dst_sel:BYTE_1 dst_unused:UNUSED_PAD src0_sel:DWORD src1_sel:DWORD
	v_ffbh_u32_e32 v6, v4
	v_or_b32_sdwa v3, v5, v3 dst_sel:DWORD dst_unused:UNUSED_PAD src0_sel:BYTE_0 src1_sel:DWORD
	v_min_u32_e32 v6, 32, v6
	v_lshrrev_b16_e32 v3, 3, v3
	v_subrev_u32_e32 v7, 28, v6
	v_and_b32_e32 v3, 15, v3
	v_lshlrev_b32_e32 v7, v7, v5
	v_sub_u32_e32 v6, 29, v6
	v_and_b32_e32 v7, 7, v7
	v_cmp_eq_u16_e32 vcc, 0, v3
	v_cndmask_b32_e32 v4, v4, v7, vcc
	v_cndmask_b32_e32 v3, v3, v6, vcc
	v_lshlrev_b32_e32 v6, 24, v5
	v_mov_b32_e32 v7, 0x3b800000
	v_lshlrev_b32_e32 v4, 20, v4
	v_and_b32_e32 v6, 0x80000000, v6
	v_lshl_add_u32 v3, v3, 23, v7
	v_or3_b32 v3, v6, v3, v4
.LBB14_488:
	s_or_b64 exec, exec, s[6:7]
	s_nop 0
	v_mfma_f32_16x16x4f32 a[0:3], v2, v3, a[0:3]
	v_lshrrev_b32_e32 v3, 8, v9
	s_movk_i32 s4, 0x7f
	v_cmp_gt_i16_sdwa s[6:7], v3, s4 src0_sel:BYTE_0 src1_sel:DWORD
	s_mov_b64 s[4:5], 0
                                        ; implicit-def: $sgpr10
	s_and_saveexec_b64 s[8:9], s[6:7]
	s_xor_b64 s[6:7], exec, s[8:9]
	s_cbranch_execnz .LBB14_2537
; %bb.489:
	s_or_saveexec_b64 s[6:7], s[6:7]
	v_mov_b32_e32 v2, s10
	s_xor_b64 exec, exec, s[6:7]
	s_cbranch_execnz .LBB14_2540
.LBB14_490:
	s_or_b64 exec, exec, s[6:7]
	s_and_saveexec_b64 s[6:7], s[4:5]
	s_cbranch_execz .LBB14_492
.LBB14_491:
	v_bfe_u32 v2, v9, 8, 3
	v_ffbh_u32_e32 v6, v2
	v_min_u32_e32 v6, 32, v6
	v_lshrrev_b16_e32 v4, 3, v3
	v_subrev_u32_e32 v7, 28, v6
	v_and_b32_e32 v4, 15, v4
	v_lshlrev_b32_e32 v3, v7, v3
	v_sub_u32_e32 v6, 29, v6
	v_and_b32_e32 v3, 7, v3
	v_cmp_eq_u16_e32 vcc, 0, v4
	v_cndmask_b32_e32 v2, v2, v3, vcc
	v_cndmask_b32_e32 v3, v4, v6, vcc
	v_lshlrev_b32_e32 v4, 16, v9
	v_mov_b32_e32 v6, 0x3b800000
	v_lshlrev_b32_e32 v2, 20, v2
	v_and_b32_e32 v4, 0x80000000, v4
	v_lshl_add_u32 v3, v3, 23, v6
	v_or3_b32 v2, v4, v3, v2
.LBB14_492:
	s_or_b64 exec, exec, s[6:7]
	v_lshrrev_b32_e32 v3, 8, v5
	s_movk_i32 s4, 0x7f
	v_cmp_gt_i16_sdwa s[6:7], v3, s4 src0_sel:BYTE_0 src1_sel:DWORD
	s_mov_b64 s[4:5], 0
                                        ; implicit-def: $sgpr10
	s_and_saveexec_b64 s[8:9], s[6:7]
	s_xor_b64 s[6:7], exec, s[8:9]
	s_cbranch_execnz .LBB14_2541
; %bb.493:
	s_or_saveexec_b64 s[6:7], s[6:7]
	v_mov_b32_e32 v4, s10
	s_xor_b64 exec, exec, s[6:7]
	s_cbranch_execnz .LBB14_2544
.LBB14_494:
	s_or_b64 exec, exec, s[6:7]
	s_and_saveexec_b64 s[6:7], s[4:5]
	s_cbranch_execz .LBB14_496
.LBB14_495:
	v_bfe_u32 v4, v5, 8, 3
	v_ffbh_u32_e32 v7, v4
	v_min_u32_e32 v7, 32, v7
	v_lshrrev_b16_e32 v6, 3, v3
	v_subrev_u32_e32 v8, 28, v7
	v_and_b32_e32 v6, 15, v6
	v_lshlrev_b32_e32 v3, v8, v3
	v_sub_u32_e32 v7, 29, v7
	v_and_b32_e32 v3, 7, v3
	v_cmp_eq_u16_e32 vcc, 0, v6
	v_cndmask_b32_e32 v3, v4, v3, vcc
	v_cndmask_b32_e32 v4, v6, v7, vcc
	v_lshlrev_b32_e32 v6, 16, v5
	v_mov_b32_e32 v7, 0x3b800000
	v_lshlrev_b32_e32 v3, 20, v3
	v_and_b32_e32 v6, 0x80000000, v6
	v_lshl_add_u32 v4, v4, 23, v7
	v_or3_b32 v4, v6, v4, v3
.LBB14_496:
	s_or_b64 exec, exec, s[6:7]
	s_nop 0
	v_mfma_f32_16x16x4f32 a[0:3], v2, v4, a[0:3]
	s_movk_i32 s4, 0xff
	v_and_b32_sdwa v3, v9, s4 dst_sel:DWORD dst_unused:UNUSED_PAD src0_sel:WORD_1 src1_sel:DWORD
	s_movk_i32 s4, 0x7f
	v_cmp_lt_i16_e32 vcc, s4, v3
	s_mov_b64 s[4:5], 0
                                        ; implicit-def: $sgpr10
	s_and_saveexec_b64 s[6:7], vcc
	s_xor_b64 s[6:7], exec, s[6:7]
	s_cbranch_execnz .LBB14_2545
; %bb.497:
	s_or_saveexec_b64 s[6:7], s[6:7]
	v_mov_b32_e32 v2, s10
	s_xor_b64 exec, exec, s[6:7]
	s_cbranch_execnz .LBB14_2548
.LBB14_498:
	s_or_b64 exec, exec, s[6:7]
	s_and_saveexec_b64 s[6:7], s[4:5]
	s_cbranch_execz .LBB14_500
.LBB14_499:
	v_bfe_u32 v2, v9, 16, 3
	v_ffbh_u32_e32 v6, v2
	v_min_u32_e32 v6, 32, v6
	v_lshrrev_b32_e32 v3, 19, v9
	v_subrev_u32_e32 v7, 28, v6
	v_and_b32_e32 v3, 15, v3
	v_lshlrev_b32_sdwa v7, v7, v9 dst_sel:DWORD dst_unused:UNUSED_PAD src0_sel:DWORD src1_sel:WORD_1
	v_bfe_u32 v4, v9, 19, 4
	v_sub_u32_e32 v6, 29, v6
	v_and_b32_e32 v7, 7, v7
	v_cmp_eq_u16_e32 vcc, 0, v3
	v_cndmask_b32_e32 v2, v2, v7, vcc
	v_cndmask_b32_e32 v3, v4, v6, vcc
	v_lshlrev_b32_e32 v4, 8, v9
	v_mov_b32_e32 v6, 0x3b800000
	v_lshlrev_b32_e32 v2, 20, v2
	v_and_b32_e32 v4, 0x80000000, v4
	v_lshl_add_u32 v3, v3, 23, v6
	v_or3_b32 v2, v4, v3, v2
.LBB14_500:
	s_or_b64 exec, exec, s[6:7]
	s_movk_i32 s4, 0xff
	v_and_b32_sdwa v3, v5, s4 dst_sel:DWORD dst_unused:UNUSED_PAD src0_sel:WORD_1 src1_sel:DWORD
	s_movk_i32 s4, 0x7f
	v_cmp_lt_i16_e32 vcc, s4, v3
	s_mov_b64 s[4:5], 0
                                        ; implicit-def: $sgpr10
	s_and_saveexec_b64 s[6:7], vcc
	s_xor_b64 s[6:7], exec, s[6:7]
	s_cbranch_execnz .LBB14_2549
; %bb.501:
	s_or_saveexec_b64 s[6:7], s[6:7]
	v_mov_b32_e32 v4, s10
	s_xor_b64 exec, exec, s[6:7]
	s_cbranch_execnz .LBB14_2552
.LBB14_502:
	s_or_b64 exec, exec, s[6:7]
	s_and_saveexec_b64 s[6:7], s[4:5]
	s_cbranch_execz .LBB14_504
.LBB14_503:
	v_bfe_u32 v3, v5, 16, 3
	v_ffbh_u32_e32 v7, v3
	v_min_u32_e32 v7, 32, v7
	v_lshrrev_b32_e32 v4, 19, v5
	v_subrev_u32_e32 v8, 28, v7
	v_and_b32_e32 v4, 15, v4
	v_lshlrev_b32_sdwa v8, v8, v5 dst_sel:DWORD dst_unused:UNUSED_PAD src0_sel:DWORD src1_sel:WORD_1
	v_bfe_u32 v6, v5, 19, 4
	v_sub_u32_e32 v7, 29, v7
	v_and_b32_e32 v8, 7, v8
	v_cmp_eq_u16_e32 vcc, 0, v4
	v_cndmask_b32_e32 v3, v3, v8, vcc
	v_cndmask_b32_e32 v4, v6, v7, vcc
	v_lshlrev_b32_e32 v6, 8, v5
	v_mov_b32_e32 v7, 0x3b800000
	v_lshlrev_b32_e32 v3, 20, v3
	v_and_b32_e32 v6, 0x80000000, v6
	v_lshl_add_u32 v4, v4, 23, v7
	v_or3_b32 v4, v6, v4, v3
.LBB14_504:
	s_or_b64 exec, exec, s[6:7]
	s_nop 0
	v_mfma_f32_16x16x4f32 a[0:3], v2, v4, a[0:3]
	s_movk_i32 s4, 0x7f
	v_cmp_gt_i16_sdwa s[6:7], v9, s4 src0_sel:BYTE_3 src1_sel:DWORD
	s_mov_b64 s[4:5], 0
                                        ; implicit-def: $sgpr10
	s_and_saveexec_b64 s[8:9], s[6:7]
	s_xor_b64 s[6:7], exec, s[8:9]
	s_cbranch_execnz .LBB14_2553
; %bb.505:
	s_or_saveexec_b64 s[6:7], s[6:7]
	v_mov_b32_e32 v2, s10
	s_xor_b64 exec, exec, s[6:7]
	s_cbranch_execnz .LBB14_2556
.LBB14_506:
	s_or_b64 exec, exec, s[6:7]
	s_and_saveexec_b64 s[6:7], s[4:5]
	s_cbranch_execz .LBB14_508
.LBB14_507:
	v_bfe_u32 v2, v9, 24, 3
	v_ffbh_u32_e32 v7, v2
	v_min_u32_e32 v7, 32, v7
	v_lshrrev_b32_e32 v4, 27, v9
	v_subrev_u32_e32 v8, 28, v7
	v_and_b32_e32 v4, 15, v4
	v_lshlrev_b32_sdwa v8, v8, v9 dst_sel:DWORD dst_unused:UNUSED_PAD src0_sel:DWORD src1_sel:BYTE_3
	v_bfe_u32 v6, v9, 27, 4
	v_sub_u32_e32 v7, 29, v7
	v_and_b32_e32 v8, 7, v8
	v_cmp_eq_u16_e32 vcc, 0, v4
	v_cndmask_b32_e32 v2, v2, v8, vcc
	v_cndmask_b32_e32 v4, v6, v7, vcc
	v_mov_b32_e32 v6, 0x3b800000
	v_and_b32_e32 v3, 0x80000000, v9
	v_lshlrev_b32_e32 v2, 20, v2
	v_lshl_add_u32 v4, v4, 23, v6
	v_or3_b32 v2, v3, v4, v2
.LBB14_508:
	s_or_b64 exec, exec, s[6:7]
	s_movk_i32 s4, 0x7f
	v_cmp_gt_i16_sdwa s[6:7], v5, s4 src0_sel:BYTE_3 src1_sel:DWORD
	s_mov_b64 s[4:5], 0
                                        ; implicit-def: $sgpr10
	s_and_saveexec_b64 s[8:9], s[6:7]
	s_xor_b64 s[6:7], exec, s[8:9]
	s_cbranch_execnz .LBB14_2557
; %bb.509:
	s_or_saveexec_b64 s[6:7], s[6:7]
	v_mov_b32_e32 v3, s10
	s_xor_b64 exec, exec, s[6:7]
	s_cbranch_execnz .LBB14_2560
.LBB14_510:
	s_or_b64 exec, exec, s[6:7]
	s_and_saveexec_b64 s[6:7], s[4:5]
	s_cbranch_execz .LBB14_512
.LBB14_511:
	v_bfe_u32 v3, v5, 24, 3
	v_ffbh_u32_e32 v8, v3
	v_min_u32_e32 v8, 32, v8
	v_lshrrev_b32_e32 v6, 27, v5
	v_subrev_u32_e32 v9, 28, v8
	v_and_b32_e32 v4, 0x80000000, v5
	v_and_b32_e32 v6, 15, v6
	v_bfe_u32 v7, v5, 27, 4
	v_lshlrev_b32_sdwa v5, v9, v5 dst_sel:DWORD dst_unused:UNUSED_PAD src0_sel:DWORD src1_sel:BYTE_3
	v_sub_u32_e32 v8, 29, v8
	v_and_b32_e32 v5, 7, v5
	v_cmp_eq_u16_e32 vcc, 0, v6
	v_cndmask_b32_e32 v3, v3, v5, vcc
	v_cndmask_b32_e32 v5, v7, v8, vcc
	v_mov_b32_e32 v6, 0x3b800000
	v_lshlrev_b32_e32 v3, 20, v3
	v_lshl_add_u32 v5, v5, 23, v6
	v_or3_b32 v3, v4, v5, v3
.LBB14_512:
	s_or_b64 exec, exec, s[6:7]
	s_nop 0
	v_mfma_f32_16x16x4f32 a[0:3], v2, v3, a[0:3]
	s_movk_i32 s4, 0x7f
                                        ; implicit-def: $sgpr10
	s_nop 7
	s_nop 1
	flat_store_dwordx4 v[10:11], a[0:3] offset:48
	flat_load_dwordx4 v[12:15], v[0:1] offset:8
	s_nop 0
	flat_load_dwordx2 v[10:11], v[0:1] offset:32
	s_waitcnt vmcnt(0) lgkmcnt(0)
	flat_load_dwordx4 v[6:9], v[12:13] offset:32
	flat_load_dwordx4 v[2:5], v[14:15]
	s_waitcnt vmcnt(0) lgkmcnt(0)
	v_cmp_gt_i16_sdwa s[6:7], v6, s4 src0_sel:BYTE_0 src1_sel:DWORD
	s_mov_b64 s[4:5], 0
	s_and_saveexec_b64 s[8:9], s[6:7]
	s_xor_b64 s[6:7], exec, s[8:9]
	s_cbranch_execnz .LBB14_2561
; %bb.513:
	s_or_saveexec_b64 s[6:7], s[6:7]
	v_mov_b32_e32 v12, s10
	s_xor_b64 exec, exec, s[6:7]
	s_cbranch_execnz .LBB14_2564
.LBB14_514:
	s_or_b64 exec, exec, s[6:7]
	s_and_saveexec_b64 s[6:7], s[4:5]
	s_cbranch_execz .LBB14_516
.LBB14_515:
	v_and_b32_e32 v12, 7, v6
	v_ffbh_u32_e32 v14, v12
	v_min_u32_e32 v14, 32, v14
	v_lshrrev_b16_e32 v13, 3, v6
	v_subrev_u32_e32 v15, 28, v14
	v_and_b32_e32 v13, 15, v13
	v_lshlrev_b32_e32 v15, v15, v6
	v_sub_u32_e32 v14, 29, v14
	v_and_b32_e32 v15, 7, v15
	v_cmp_eq_u16_e32 vcc, 0, v13
	v_cndmask_b32_e32 v12, v12, v15, vcc
	v_cndmask_b32_e32 v13, v13, v14, vcc
	v_lshlrev_b32_e32 v14, 24, v6
	v_mov_b32_e32 v15, 0x3b800000
	v_lshlrev_b32_e32 v12, 20, v12
	v_and_b32_e32 v14, 0x80000000, v14
	v_lshl_add_u32 v13, v13, 23, v15
	v_or3_b32 v12, v14, v13, v12
.LBB14_516:
	s_or_b64 exec, exec, s[6:7]
	s_movk_i32 s4, 0x7f
	v_cmp_gt_i16_sdwa s[6:7], v2, s4 src0_sel:BYTE_0 src1_sel:DWORD
	s_mov_b64 s[4:5], 0
                                        ; implicit-def: $sgpr10
	s_and_saveexec_b64 s[8:9], s[6:7]
	s_xor_b64 s[6:7], exec, s[8:9]
	s_cbranch_execnz .LBB14_2565
; %bb.517:
	s_or_saveexec_b64 s[6:7], s[6:7]
	v_mov_b32_e32 v13, s10
	s_xor_b64 exec, exec, s[6:7]
	s_cbranch_execnz .LBB14_2568
.LBB14_518:
	s_or_b64 exec, exec, s[6:7]
	s_and_saveexec_b64 s[6:7], s[4:5]
	s_cbranch_execz .LBB14_520
.LBB14_519:
	v_and_b32_e32 v13, 7, v2
	v_ffbh_u32_e32 v15, v13
	v_min_u32_e32 v15, 32, v15
	v_lshrrev_b16_e32 v14, 3, v2
	v_subrev_u32_e32 v16, 28, v15
	v_and_b32_e32 v14, 15, v14
	v_lshlrev_b32_e32 v16, v16, v2
	v_sub_u32_e32 v15, 29, v15
	v_and_b32_e32 v16, 7, v16
	v_cmp_eq_u16_e32 vcc, 0, v14
	v_cndmask_b32_e32 v13, v13, v16, vcc
	v_cndmask_b32_e32 v14, v14, v15, vcc
	v_lshlrev_b32_e32 v15, 24, v2
	v_mov_b32_e32 v16, 0x3b800000
	v_lshlrev_b32_e32 v13, 20, v13
	v_and_b32_e32 v15, 0x80000000, v15
	v_lshl_add_u32 v14, v14, 23, v16
	v_or3_b32 v13, v15, v14, v13
.LBB14_520:
	s_or_b64 exec, exec, s[6:7]
	flat_load_dwordx4 a[0:3], v[10:11] offset:64
	s_movk_i32 s4, 0x7f
                                        ; implicit-def: $sgpr10
	s_waitcnt vmcnt(0) lgkmcnt(0)
	v_mfma_f32_16x16x4f32 a[0:3], v12, v13, a[0:3]
	v_lshrrev_b32_e32 v13, 8, v6
	v_cmp_gt_i16_sdwa s[6:7], v13, s4 src0_sel:BYTE_0 src1_sel:DWORD
	s_mov_b64 s[4:5], 0
	s_and_saveexec_b64 s[8:9], s[6:7]
	s_xor_b64 s[6:7], exec, s[8:9]
	s_cbranch_execnz .LBB14_2569
; %bb.521:
	s_or_saveexec_b64 s[6:7], s[6:7]
	v_mov_b32_e32 v12, s10
	s_xor_b64 exec, exec, s[6:7]
	s_cbranch_execnz .LBB14_2572
.LBB14_522:
	s_or_b64 exec, exec, s[6:7]
	s_and_saveexec_b64 s[6:7], s[4:5]
	s_cbranch_execz .LBB14_524
.LBB14_523:
	v_bfe_u32 v12, v6, 8, 3
	v_ffbh_u32_e32 v15, v12
	v_min_u32_e32 v15, 32, v15
	v_lshrrev_b16_e32 v14, 3, v13
	v_subrev_u32_e32 v16, 28, v15
	v_and_b32_e32 v14, 15, v14
	v_lshlrev_b32_e32 v13, v16, v13
	v_sub_u32_e32 v15, 29, v15
	v_and_b32_e32 v13, 7, v13
	v_cmp_eq_u16_e32 vcc, 0, v14
	v_cndmask_b32_e32 v12, v12, v13, vcc
	v_cndmask_b32_e32 v13, v14, v15, vcc
	v_lshlrev_b32_e32 v14, 16, v6
	v_mov_b32_e32 v15, 0x3b800000
	v_lshlrev_b32_e32 v12, 20, v12
	v_and_b32_e32 v14, 0x80000000, v14
	v_lshl_add_u32 v13, v13, 23, v15
	v_or3_b32 v12, v14, v13, v12
.LBB14_524:
	s_or_b64 exec, exec, s[6:7]
	v_lshrrev_b32_e32 v13, 8, v2
	s_movk_i32 s4, 0x7f
	v_cmp_gt_i16_sdwa s[6:7], v13, s4 src0_sel:BYTE_0 src1_sel:DWORD
	s_mov_b64 s[4:5], 0
                                        ; implicit-def: $sgpr10
	s_and_saveexec_b64 s[8:9], s[6:7]
	s_xor_b64 s[6:7], exec, s[8:9]
	s_cbranch_execnz .LBB14_2573
; %bb.525:
	s_or_saveexec_b64 s[6:7], s[6:7]
	v_mov_b32_e32 v14, s10
	s_xor_b64 exec, exec, s[6:7]
	s_cbranch_execnz .LBB14_2576
.LBB14_526:
	s_or_b64 exec, exec, s[6:7]
	s_and_saveexec_b64 s[6:7], s[4:5]
	s_cbranch_execz .LBB14_528
.LBB14_527:
	v_bfe_u32 v14, v2, 8, 3
	v_ffbh_u32_e32 v16, v14
	v_min_u32_e32 v16, 32, v16
	v_lshrrev_b16_e32 v15, 3, v13
	v_subrev_u32_e32 v17, 28, v16
	v_and_b32_e32 v15, 15, v15
	v_lshlrev_b32_e32 v13, v17, v13
	v_sub_u32_e32 v16, 29, v16
	v_and_b32_e32 v13, 7, v13
	v_cmp_eq_u16_e32 vcc, 0, v15
	v_cndmask_b32_e32 v13, v14, v13, vcc
	v_cndmask_b32_e32 v14, v15, v16, vcc
	v_lshlrev_b32_e32 v15, 16, v2
	v_mov_b32_e32 v16, 0x3b800000
	v_lshlrev_b32_e32 v13, 20, v13
	v_and_b32_e32 v15, 0x80000000, v15
	v_lshl_add_u32 v14, v14, 23, v16
	v_or3_b32 v14, v15, v14, v13
.LBB14_528:
	s_or_b64 exec, exec, s[6:7]
	s_nop 0
	v_mfma_f32_16x16x4f32 a[0:3], v12, v14, a[0:3]
	s_movk_i32 s4, 0xff
	v_and_b32_sdwa v13, v6, s4 dst_sel:DWORD dst_unused:UNUSED_PAD src0_sel:WORD_1 src1_sel:DWORD
	s_movk_i32 s4, 0x7f
	v_cmp_lt_i16_e32 vcc, s4, v13
	s_mov_b64 s[4:5], 0
                                        ; implicit-def: $sgpr10
	s_and_saveexec_b64 s[6:7], vcc
	s_xor_b64 s[6:7], exec, s[6:7]
	s_cbranch_execnz .LBB14_2577
; %bb.529:
	s_or_saveexec_b64 s[6:7], s[6:7]
	v_mov_b32_e32 v12, s10
	s_xor_b64 exec, exec, s[6:7]
	s_cbranch_execnz .LBB14_2580
.LBB14_530:
	s_or_b64 exec, exec, s[6:7]
	s_and_saveexec_b64 s[6:7], s[4:5]
	s_cbranch_execz .LBB14_532
.LBB14_531:
	v_bfe_u32 v12, v6, 16, 3
	v_ffbh_u32_e32 v15, v12
	v_min_u32_e32 v15, 32, v15
	v_lshrrev_b32_e32 v13, 19, v6
	v_subrev_u32_e32 v16, 28, v15
	v_and_b32_e32 v13, 15, v13
	v_lshlrev_b32_sdwa v16, v16, v6 dst_sel:DWORD dst_unused:UNUSED_PAD src0_sel:DWORD src1_sel:WORD_1
	v_bfe_u32 v14, v6, 19, 4
	v_sub_u32_e32 v15, 29, v15
	v_and_b32_e32 v16, 7, v16
	v_cmp_eq_u16_e32 vcc, 0, v13
	v_cndmask_b32_e32 v12, v12, v16, vcc
	v_cndmask_b32_e32 v13, v14, v15, vcc
	v_lshlrev_b32_e32 v14, 8, v6
	v_mov_b32_e32 v15, 0x3b800000
	v_lshlrev_b32_e32 v12, 20, v12
	v_and_b32_e32 v14, 0x80000000, v14
	v_lshl_add_u32 v13, v13, 23, v15
	v_or3_b32 v12, v14, v13, v12
.LBB14_532:
	s_or_b64 exec, exec, s[6:7]
	s_movk_i32 s4, 0xff
	v_and_b32_sdwa v13, v2, s4 dst_sel:DWORD dst_unused:UNUSED_PAD src0_sel:WORD_1 src1_sel:DWORD
	s_movk_i32 s4, 0x7f
	v_cmp_lt_i16_e32 vcc, s4, v13
	s_mov_b64 s[4:5], 0
                                        ; implicit-def: $sgpr10
	s_and_saveexec_b64 s[6:7], vcc
	s_xor_b64 s[6:7], exec, s[6:7]
	s_cbranch_execnz .LBB14_2581
; %bb.533:
	s_or_saveexec_b64 s[6:7], s[6:7]
	v_mov_b32_e32 v14, s10
	s_xor_b64 exec, exec, s[6:7]
	s_cbranch_execnz .LBB14_2584
.LBB14_534:
	s_or_b64 exec, exec, s[6:7]
	s_and_saveexec_b64 s[6:7], s[4:5]
	s_cbranch_execz .LBB14_536
.LBB14_535:
	v_bfe_u32 v13, v2, 16, 3
	v_ffbh_u32_e32 v16, v13
	v_min_u32_e32 v16, 32, v16
	v_lshrrev_b32_e32 v14, 19, v2
	v_subrev_u32_e32 v17, 28, v16
	v_and_b32_e32 v14, 15, v14
	v_lshlrev_b32_sdwa v17, v17, v2 dst_sel:DWORD dst_unused:UNUSED_PAD src0_sel:DWORD src1_sel:WORD_1
	v_bfe_u32 v15, v2, 19, 4
	v_sub_u32_e32 v16, 29, v16
	v_and_b32_e32 v17, 7, v17
	v_cmp_eq_u16_e32 vcc, 0, v14
	v_cndmask_b32_e32 v13, v13, v17, vcc
	v_cndmask_b32_e32 v14, v15, v16, vcc
	v_lshlrev_b32_e32 v15, 8, v2
	v_mov_b32_e32 v16, 0x3b800000
	v_lshlrev_b32_e32 v13, 20, v13
	v_and_b32_e32 v15, 0x80000000, v15
	v_lshl_add_u32 v14, v14, 23, v16
	v_or3_b32 v14, v15, v14, v13
.LBB14_536:
	s_or_b64 exec, exec, s[6:7]
	s_nop 0
	v_mfma_f32_16x16x4f32 a[0:3], v12, v14, a[0:3]
	s_movk_i32 s4, 0x7f
	v_cmp_gt_i16_sdwa s[6:7], v6, s4 src0_sel:BYTE_3 src1_sel:DWORD
	s_mov_b64 s[4:5], 0
                                        ; implicit-def: $sgpr10
	s_and_saveexec_b64 s[8:9], s[6:7]
	s_xor_b64 s[6:7], exec, s[8:9]
	s_cbranch_execnz .LBB14_2585
; %bb.537:
	s_or_saveexec_b64 s[6:7], s[6:7]
	v_mov_b32_e32 v12, s10
	s_xor_b64 exec, exec, s[6:7]
	s_cbranch_execnz .LBB14_2588
.LBB14_538:
	s_or_b64 exec, exec, s[6:7]
	s_and_saveexec_b64 s[6:7], s[4:5]
	s_cbranch_execz .LBB14_540
.LBB14_539:
	v_bfe_u32 v12, v6, 24, 3
	v_ffbh_u32_e32 v16, v12
	v_min_u32_e32 v16, 32, v16
	v_lshrrev_b32_e32 v14, 27, v6
	v_subrev_u32_e32 v17, 28, v16
	v_and_b32_e32 v13, 0x80000000, v6
	v_and_b32_e32 v14, 15, v14
	v_bfe_u32 v15, v6, 27, 4
	v_lshlrev_b32_sdwa v6, v17, v6 dst_sel:DWORD dst_unused:UNUSED_PAD src0_sel:DWORD src1_sel:BYTE_3
	v_sub_u32_e32 v16, 29, v16
	v_and_b32_e32 v6, 7, v6
	v_cmp_eq_u16_e32 vcc, 0, v14
	v_cndmask_b32_e32 v6, v12, v6, vcc
	v_cndmask_b32_e32 v12, v15, v16, vcc
	v_mov_b32_e32 v14, 0x3b800000
	v_lshlrev_b32_e32 v6, 20, v6
	v_lshl_add_u32 v12, v12, 23, v14
	v_or3_b32 v12, v13, v12, v6
.LBB14_540:
	s_or_b64 exec, exec, s[6:7]
	s_movk_i32 s4, 0x7f
	v_cmp_gt_i16_sdwa s[6:7], v2, s4 src0_sel:BYTE_3 src1_sel:DWORD
	s_mov_b64 s[4:5], 0
                                        ; implicit-def: $sgpr10
	s_and_saveexec_b64 s[8:9], s[6:7]
	s_xor_b64 s[6:7], exec, s[8:9]
	s_cbranch_execnz .LBB14_2589
; %bb.541:
	s_or_saveexec_b64 s[6:7], s[6:7]
	v_mov_b32_e32 v6, s10
	s_xor_b64 exec, exec, s[6:7]
	s_cbranch_execnz .LBB14_2592
.LBB14_542:
	s_or_b64 exec, exec, s[6:7]
	s_and_saveexec_b64 s[6:7], s[4:5]
	s_cbranch_execz .LBB14_544
.LBB14_543:
	v_bfe_u32 v6, v2, 24, 3
	v_ffbh_u32_e32 v16, v6
	v_min_u32_e32 v16, 32, v16
	v_lshrrev_b32_e32 v14, 27, v2
	v_subrev_u32_e32 v17, 28, v16
	v_and_b32_e32 v13, 0x80000000, v2
	v_and_b32_e32 v14, 15, v14
	v_bfe_u32 v15, v2, 27, 4
	v_lshlrev_b32_sdwa v2, v17, v2 dst_sel:DWORD dst_unused:UNUSED_PAD src0_sel:DWORD src1_sel:BYTE_3
	v_sub_u32_e32 v16, 29, v16
	v_and_b32_e32 v2, 7, v2
	v_cmp_eq_u16_e32 vcc, 0, v14
	v_cndmask_b32_e32 v2, v6, v2, vcc
	v_cndmask_b32_e32 v6, v15, v16, vcc
	v_mov_b32_e32 v14, 0x3b800000
	v_lshlrev_b32_e32 v2, 20, v2
	v_lshl_add_u32 v6, v6, 23, v14
	v_or3_b32 v6, v13, v6, v2
.LBB14_544:
	s_or_b64 exec, exec, s[6:7]
	s_nop 0
	v_mfma_f32_16x16x4f32 a[0:3], v12, v6, a[0:3]
	s_movk_i32 s4, 0x7f
	v_cmp_gt_i16_sdwa s[6:7], v7, s4 src0_sel:BYTE_0 src1_sel:DWORD
	s_mov_b64 s[4:5], 0
                                        ; implicit-def: $sgpr10
	s_and_saveexec_b64 s[8:9], s[6:7]
	s_xor_b64 s[6:7], exec, s[8:9]
	s_cbranch_execnz .LBB14_2593
; %bb.545:
	s_or_saveexec_b64 s[6:7], s[6:7]
	v_mov_b32_e32 v2, s10
	s_xor_b64 exec, exec, s[6:7]
	s_cbranch_execnz .LBB14_2596
.LBB14_546:
	s_or_b64 exec, exec, s[6:7]
	s_and_saveexec_b64 s[6:7], s[4:5]
	s_cbranch_execz .LBB14_548
.LBB14_547:
	v_and_b32_e32 v2, 7, v7
	v_ffbh_u32_e32 v12, v2
	v_min_u32_e32 v12, 32, v12
	v_lshrrev_b16_e32 v6, 3, v7
	v_subrev_u32_e32 v13, 28, v12
	v_and_b32_e32 v6, 15, v6
	v_lshlrev_b32_e32 v13, v13, v7
	v_sub_u32_e32 v12, 29, v12
	v_and_b32_e32 v13, 7, v13
	v_cmp_eq_u16_e32 vcc, 0, v6
	v_cndmask_b32_e32 v2, v2, v13, vcc
	v_cndmask_b32_e32 v6, v6, v12, vcc
	v_lshlrev_b32_e32 v12, 24, v7
	v_mov_b32_e32 v13, 0x3b800000
	v_lshlrev_b32_e32 v2, 20, v2
	v_and_b32_e32 v12, 0x80000000, v12
	v_lshl_add_u32 v6, v6, 23, v13
	v_or3_b32 v2, v12, v6, v2
.LBB14_548:
	s_or_b64 exec, exec, s[6:7]
	s_movk_i32 s4, 0x7f
	v_cmp_gt_i16_sdwa s[6:7], v3, s4 src0_sel:BYTE_0 src1_sel:DWORD
	s_mov_b64 s[4:5], 0
                                        ; implicit-def: $sgpr10
	s_and_saveexec_b64 s[8:9], s[6:7]
	s_xor_b64 s[6:7], exec, s[8:9]
	s_cbranch_execnz .LBB14_2597
; %bb.549:
	s_or_saveexec_b64 s[6:7], s[6:7]
	v_mov_b32_e32 v6, s10
	s_xor_b64 exec, exec, s[6:7]
	s_cbranch_execnz .LBB14_2600
.LBB14_550:
	s_or_b64 exec, exec, s[6:7]
	s_and_saveexec_b64 s[6:7], s[4:5]
	s_cbranch_execz .LBB14_552
.LBB14_551:
	v_and_b32_e32 v6, 7, v3
	v_ffbh_u32_e32 v13, v6
	v_min_u32_e32 v13, 32, v13
	v_lshrrev_b16_e32 v12, 3, v3
	v_subrev_u32_e32 v14, 28, v13
	v_and_b32_e32 v12, 15, v12
	v_lshlrev_b32_e32 v14, v14, v3
	v_sub_u32_e32 v13, 29, v13
	v_and_b32_e32 v14, 7, v14
	v_cmp_eq_u16_e32 vcc, 0, v12
	v_cndmask_b32_e32 v6, v6, v14, vcc
	v_cndmask_b32_e32 v12, v12, v13, vcc
	v_lshlrev_b32_e32 v13, 24, v3
	v_mov_b32_e32 v14, 0x3b800000
	v_lshlrev_b32_e32 v6, 20, v6
	v_and_b32_e32 v13, 0x80000000, v13
	v_lshl_add_u32 v12, v12, 23, v14
	v_or3_b32 v6, v13, v12, v6
.LBB14_552:
	s_or_b64 exec, exec, s[6:7]
	s_nop 0
	v_mfma_f32_16x16x4f32 a[0:3], v2, v6, a[0:3]
	v_lshrrev_b32_e32 v6, 8, v7
	s_movk_i32 s4, 0x7f
	v_cmp_gt_i16_sdwa s[6:7], v6, s4 src0_sel:BYTE_0 src1_sel:DWORD
	s_mov_b64 s[4:5], 0
                                        ; implicit-def: $sgpr10
	s_and_saveexec_b64 s[8:9], s[6:7]
	s_xor_b64 s[6:7], exec, s[8:9]
	s_cbranch_execnz .LBB14_2601
; %bb.553:
	s_or_saveexec_b64 s[6:7], s[6:7]
	v_mov_b32_e32 v2, s10
	s_xor_b64 exec, exec, s[6:7]
	s_cbranch_execnz .LBB14_2604
.LBB14_554:
	s_or_b64 exec, exec, s[6:7]
	s_and_saveexec_b64 s[6:7], s[4:5]
	s_cbranch_execz .LBB14_556
.LBB14_555:
	v_bfe_u32 v2, v7, 8, 3
	v_ffbh_u32_e32 v13, v2
	v_min_u32_e32 v13, 32, v13
	v_lshrrev_b16_e32 v12, 3, v6
	v_subrev_u32_e32 v14, 28, v13
	v_and_b32_e32 v12, 15, v12
	v_lshlrev_b32_e32 v6, v14, v6
	v_sub_u32_e32 v13, 29, v13
	v_and_b32_e32 v6, 7, v6
	v_cmp_eq_u16_e32 vcc, 0, v12
	v_cndmask_b32_e32 v2, v2, v6, vcc
	v_cndmask_b32_e32 v6, v12, v13, vcc
	v_lshlrev_b32_e32 v12, 16, v7
	v_mov_b32_e32 v13, 0x3b800000
	v_lshlrev_b32_e32 v2, 20, v2
	v_and_b32_e32 v12, 0x80000000, v12
	v_lshl_add_u32 v6, v6, 23, v13
	v_or3_b32 v2, v12, v6, v2
.LBB14_556:
	s_or_b64 exec, exec, s[6:7]
	v_lshrrev_b32_e32 v6, 8, v3
	s_movk_i32 s4, 0x7f
	v_cmp_gt_i16_sdwa s[6:7], v6, s4 src0_sel:BYTE_0 src1_sel:DWORD
	s_mov_b64 s[4:5], 0
                                        ; implicit-def: $sgpr10
	s_and_saveexec_b64 s[8:9], s[6:7]
	s_xor_b64 s[6:7], exec, s[8:9]
	s_cbranch_execnz .LBB14_2605
; %bb.557:
	s_or_saveexec_b64 s[6:7], s[6:7]
	v_mov_b32_e32 v12, s10
	s_xor_b64 exec, exec, s[6:7]
	s_cbranch_execnz .LBB14_2608
.LBB14_558:
	s_or_b64 exec, exec, s[6:7]
	s_and_saveexec_b64 s[6:7], s[4:5]
	s_cbranch_execz .LBB14_560
.LBB14_559:
	v_bfe_u32 v12, v3, 8, 3
	v_ffbh_u32_e32 v14, v12
	v_min_u32_e32 v14, 32, v14
	v_lshrrev_b16_e32 v13, 3, v6
	v_subrev_u32_e32 v15, 28, v14
	v_and_b32_e32 v13, 15, v13
	v_lshlrev_b32_e32 v6, v15, v6
	v_sub_u32_e32 v14, 29, v14
	v_and_b32_e32 v6, 7, v6
	v_cmp_eq_u16_e32 vcc, 0, v13
	v_cndmask_b32_e32 v6, v12, v6, vcc
	v_cndmask_b32_e32 v12, v13, v14, vcc
	v_lshlrev_b32_e32 v13, 16, v3
	v_mov_b32_e32 v14, 0x3b800000
	v_lshlrev_b32_e32 v6, 20, v6
	v_and_b32_e32 v13, 0x80000000, v13
	v_lshl_add_u32 v12, v12, 23, v14
	v_or3_b32 v12, v13, v12, v6
.LBB14_560:
	s_or_b64 exec, exec, s[6:7]
	s_nop 0
	v_mfma_f32_16x16x4f32 a[0:3], v2, v12, a[0:3]
	s_movk_i32 s4, 0xff
	v_and_b32_sdwa v6, v7, s4 dst_sel:DWORD dst_unused:UNUSED_PAD src0_sel:WORD_1 src1_sel:DWORD
	s_movk_i32 s4, 0x7f
	v_cmp_lt_i16_e32 vcc, s4, v6
	s_mov_b64 s[4:5], 0
                                        ; implicit-def: $sgpr10
	s_and_saveexec_b64 s[6:7], vcc
	s_xor_b64 s[6:7], exec, s[6:7]
	s_cbranch_execnz .LBB14_2609
; %bb.561:
	s_or_saveexec_b64 s[6:7], s[6:7]
	v_mov_b32_e32 v2, s10
	s_xor_b64 exec, exec, s[6:7]
	s_cbranch_execnz .LBB14_2612
.LBB14_562:
	s_or_b64 exec, exec, s[6:7]
	s_and_saveexec_b64 s[6:7], s[4:5]
	s_cbranch_execz .LBB14_564
.LBB14_563:
	v_bfe_u32 v2, v7, 16, 3
	v_ffbh_u32_e32 v13, v2
	v_min_u32_e32 v13, 32, v13
	v_lshrrev_b32_e32 v6, 19, v7
	v_subrev_u32_e32 v14, 28, v13
	v_and_b32_e32 v6, 15, v6
	v_lshlrev_b32_sdwa v14, v14, v7 dst_sel:DWORD dst_unused:UNUSED_PAD src0_sel:DWORD src1_sel:WORD_1
	v_bfe_u32 v12, v7, 19, 4
	v_sub_u32_e32 v13, 29, v13
	v_and_b32_e32 v14, 7, v14
	v_cmp_eq_u16_e32 vcc, 0, v6
	v_cndmask_b32_e32 v2, v2, v14, vcc
	v_cndmask_b32_e32 v6, v12, v13, vcc
	v_lshlrev_b32_e32 v12, 8, v7
	v_mov_b32_e32 v13, 0x3b800000
	v_lshlrev_b32_e32 v2, 20, v2
	v_and_b32_e32 v12, 0x80000000, v12
	v_lshl_add_u32 v6, v6, 23, v13
	v_or3_b32 v2, v12, v6, v2
.LBB14_564:
	s_or_b64 exec, exec, s[6:7]
	s_movk_i32 s4, 0xff
	v_and_b32_sdwa v6, v3, s4 dst_sel:DWORD dst_unused:UNUSED_PAD src0_sel:WORD_1 src1_sel:DWORD
	s_movk_i32 s4, 0x7f
	v_cmp_lt_i16_e32 vcc, s4, v6
	s_mov_b64 s[4:5], 0
                                        ; implicit-def: $sgpr10
	s_and_saveexec_b64 s[6:7], vcc
	s_xor_b64 s[6:7], exec, s[6:7]
	s_cbranch_execnz .LBB14_2613
; %bb.565:
	s_or_saveexec_b64 s[6:7], s[6:7]
	v_mov_b32_e32 v12, s10
	s_xor_b64 exec, exec, s[6:7]
	s_cbranch_execnz .LBB14_2616
.LBB14_566:
	s_or_b64 exec, exec, s[6:7]
	s_and_saveexec_b64 s[6:7], s[4:5]
	s_cbranch_execz .LBB14_568
.LBB14_567:
	v_bfe_u32 v6, v3, 16, 3
	v_ffbh_u32_e32 v14, v6
	v_min_u32_e32 v14, 32, v14
	v_lshrrev_b32_e32 v12, 19, v3
	v_subrev_u32_e32 v15, 28, v14
	v_and_b32_e32 v12, 15, v12
	v_lshlrev_b32_sdwa v15, v15, v3 dst_sel:DWORD dst_unused:UNUSED_PAD src0_sel:DWORD src1_sel:WORD_1
	v_bfe_u32 v13, v3, 19, 4
	v_sub_u32_e32 v14, 29, v14
	v_and_b32_e32 v15, 7, v15
	v_cmp_eq_u16_e32 vcc, 0, v12
	v_cndmask_b32_e32 v6, v6, v15, vcc
	v_cndmask_b32_e32 v12, v13, v14, vcc
	v_lshlrev_b32_e32 v13, 8, v3
	v_mov_b32_e32 v14, 0x3b800000
	v_lshlrev_b32_e32 v6, 20, v6
	v_and_b32_e32 v13, 0x80000000, v13
	v_lshl_add_u32 v12, v12, 23, v14
	v_or3_b32 v12, v13, v12, v6
.LBB14_568:
	s_or_b64 exec, exec, s[6:7]
	s_nop 0
	v_mfma_f32_16x16x4f32 a[0:3], v2, v12, a[0:3]
	s_movk_i32 s4, 0x7f
	v_cmp_gt_i16_sdwa s[6:7], v7, s4 src0_sel:BYTE_3 src1_sel:DWORD
	s_mov_b64 s[4:5], 0
                                        ; implicit-def: $sgpr10
	s_and_saveexec_b64 s[8:9], s[6:7]
	s_xor_b64 s[6:7], exec, s[8:9]
	s_cbranch_execnz .LBB14_2617
; %bb.569:
	s_or_saveexec_b64 s[6:7], s[6:7]
	v_mov_b32_e32 v2, s10
	s_xor_b64 exec, exec, s[6:7]
	s_cbranch_execnz .LBB14_2620
.LBB14_570:
	s_or_b64 exec, exec, s[6:7]
	s_and_saveexec_b64 s[6:7], s[4:5]
	s_cbranch_execz .LBB14_572
.LBB14_571:
	v_bfe_u32 v2, v7, 24, 3
	v_ffbh_u32_e32 v14, v2
	v_min_u32_e32 v14, 32, v14
	v_lshrrev_b32_e32 v12, 27, v7
	v_subrev_u32_e32 v15, 28, v14
	v_and_b32_e32 v6, 0x80000000, v7
	v_and_b32_e32 v12, 15, v12
	v_bfe_u32 v13, v7, 27, 4
	v_lshlrev_b32_sdwa v7, v15, v7 dst_sel:DWORD dst_unused:UNUSED_PAD src0_sel:DWORD src1_sel:BYTE_3
	v_sub_u32_e32 v14, 29, v14
	v_and_b32_e32 v7, 7, v7
	v_cmp_eq_u16_e32 vcc, 0, v12
	v_cndmask_b32_e32 v2, v2, v7, vcc
	v_cndmask_b32_e32 v7, v13, v14, vcc
	v_mov_b32_e32 v12, 0x3b800000
	v_lshlrev_b32_e32 v2, 20, v2
	v_lshl_add_u32 v7, v7, 23, v12
	v_or3_b32 v2, v6, v7, v2
.LBB14_572:
	s_or_b64 exec, exec, s[6:7]
	s_movk_i32 s4, 0x7f
	v_cmp_gt_i16_sdwa s[6:7], v3, s4 src0_sel:BYTE_3 src1_sel:DWORD
	s_mov_b64 s[4:5], 0
                                        ; implicit-def: $sgpr10
	s_and_saveexec_b64 s[8:9], s[6:7]
	s_xor_b64 s[6:7], exec, s[8:9]
	s_cbranch_execnz .LBB14_2621
; %bb.573:
	s_or_saveexec_b64 s[6:7], s[6:7]
	v_mov_b32_e32 v6, s10
	s_xor_b64 exec, exec, s[6:7]
	s_cbranch_execnz .LBB14_2624
.LBB14_574:
	s_or_b64 exec, exec, s[6:7]
	s_and_saveexec_b64 s[6:7], s[4:5]
	s_cbranch_execz .LBB14_576
.LBB14_575:
	v_bfe_u32 v6, v3, 24, 3
	v_ffbh_u32_e32 v14, v6
	v_min_u32_e32 v14, 32, v14
	v_lshrrev_b32_e32 v12, 27, v3
	v_subrev_u32_e32 v15, 28, v14
	v_and_b32_e32 v7, 0x80000000, v3
	v_and_b32_e32 v12, 15, v12
	v_bfe_u32 v13, v3, 27, 4
	v_lshlrev_b32_sdwa v3, v15, v3 dst_sel:DWORD dst_unused:UNUSED_PAD src0_sel:DWORD src1_sel:BYTE_3
	v_sub_u32_e32 v14, 29, v14
	v_and_b32_e32 v3, 7, v3
	v_cmp_eq_u16_e32 vcc, 0, v12
	v_cndmask_b32_e32 v3, v6, v3, vcc
	v_cndmask_b32_e32 v6, v13, v14, vcc
	v_mov_b32_e32 v12, 0x3b800000
	v_lshlrev_b32_e32 v3, 20, v3
	v_lshl_add_u32 v6, v6, 23, v12
	v_or3_b32 v6, v7, v6, v3
.LBB14_576:
	s_or_b64 exec, exec, s[6:7]
	s_nop 0
	v_mfma_f32_16x16x4f32 a[0:3], v2, v6, a[0:3]
	s_movk_i32 s4, 0x7f
	v_cmp_gt_i16_sdwa s[6:7], v8, s4 src0_sel:BYTE_0 src1_sel:DWORD
	s_mov_b64 s[4:5], 0
                                        ; implicit-def: $sgpr10
	s_and_saveexec_b64 s[8:9], s[6:7]
	s_xor_b64 s[6:7], exec, s[8:9]
	s_cbranch_execnz .LBB14_2625
; %bb.577:
	s_or_saveexec_b64 s[6:7], s[6:7]
	v_mov_b32_e32 v2, s10
	s_xor_b64 exec, exec, s[6:7]
	s_cbranch_execnz .LBB14_2628
.LBB14_578:
	s_or_b64 exec, exec, s[6:7]
	s_and_saveexec_b64 s[6:7], s[4:5]
	s_cbranch_execz .LBB14_580
.LBB14_579:
	v_and_b32_e32 v2, 7, v8
	v_ffbh_u32_e32 v6, v2
	v_min_u32_e32 v6, 32, v6
	v_lshrrev_b16_e32 v3, 3, v8
	v_subrev_u32_e32 v7, 28, v6
	v_and_b32_e32 v3, 15, v3
	v_lshlrev_b32_e32 v7, v7, v8
	v_sub_u32_e32 v6, 29, v6
	v_and_b32_e32 v7, 7, v7
	v_cmp_eq_u16_e32 vcc, 0, v3
	v_cndmask_b32_e32 v2, v2, v7, vcc
	v_cndmask_b32_e32 v3, v3, v6, vcc
	v_lshlrev_b32_e32 v6, 24, v8
	v_mov_b32_e32 v7, 0x3b800000
	v_lshlrev_b32_e32 v2, 20, v2
	v_and_b32_e32 v6, 0x80000000, v6
	v_lshl_add_u32 v3, v3, 23, v7
	v_or3_b32 v2, v6, v3, v2
.LBB14_580:
	s_or_b64 exec, exec, s[6:7]
	s_movk_i32 s4, 0x7f
	v_cmp_gt_i16_sdwa s[6:7], v4, s4 src0_sel:BYTE_0 src1_sel:DWORD
	s_mov_b64 s[4:5], 0
                                        ; implicit-def: $sgpr10
	s_and_saveexec_b64 s[8:9], s[6:7]
	s_xor_b64 s[6:7], exec, s[8:9]
	s_cbranch_execnz .LBB14_2629
; %bb.581:
	s_or_saveexec_b64 s[6:7], s[6:7]
	v_mov_b32_e32 v3, s10
	s_xor_b64 exec, exec, s[6:7]
	s_cbranch_execnz .LBB14_2632
.LBB14_582:
	s_or_b64 exec, exec, s[6:7]
	s_and_saveexec_b64 s[6:7], s[4:5]
	s_cbranch_execz .LBB14_584
.LBB14_583:
	v_and_b32_e32 v3, 7, v4
	v_ffbh_u32_e32 v7, v3
	v_min_u32_e32 v7, 32, v7
	v_lshrrev_b16_e32 v6, 3, v4
	v_subrev_u32_e32 v12, 28, v7
	v_and_b32_e32 v6, 15, v6
	v_lshlrev_b32_e32 v12, v12, v4
	v_sub_u32_e32 v7, 29, v7
	v_and_b32_e32 v12, 7, v12
	v_cmp_eq_u16_e32 vcc, 0, v6
	v_cndmask_b32_e32 v3, v3, v12, vcc
	v_cndmask_b32_e32 v6, v6, v7, vcc
	v_lshlrev_b32_e32 v7, 24, v4
	v_mov_b32_e32 v12, 0x3b800000
	v_lshlrev_b32_e32 v3, 20, v3
	v_and_b32_e32 v7, 0x80000000, v7
	v_lshl_add_u32 v6, v6, 23, v12
	v_or3_b32 v3, v7, v6, v3
.LBB14_584:
	s_or_b64 exec, exec, s[6:7]
	s_nop 0
	v_mfma_f32_16x16x4f32 a[0:3], v2, v3, a[0:3]
	v_lshrrev_b32_e32 v3, 8, v8
	s_movk_i32 s4, 0x7f
	v_cmp_gt_i16_sdwa s[6:7], v3, s4 src0_sel:BYTE_0 src1_sel:DWORD
	s_mov_b64 s[4:5], 0
                                        ; implicit-def: $sgpr10
	s_and_saveexec_b64 s[8:9], s[6:7]
	s_xor_b64 s[6:7], exec, s[8:9]
	s_cbranch_execnz .LBB14_2633
; %bb.585:
	s_or_saveexec_b64 s[6:7], s[6:7]
	v_mov_b32_e32 v2, s10
	s_xor_b64 exec, exec, s[6:7]
	s_cbranch_execnz .LBB14_2636
.LBB14_586:
	s_or_b64 exec, exec, s[6:7]
	s_and_saveexec_b64 s[6:7], s[4:5]
	s_cbranch_execz .LBB14_588
.LBB14_587:
	v_bfe_u32 v2, v8, 8, 3
	v_ffbh_u32_e32 v7, v2
	v_min_u32_e32 v7, 32, v7
	v_lshrrev_b16_e32 v6, 3, v3
	v_subrev_u32_e32 v12, 28, v7
	v_and_b32_e32 v6, 15, v6
	v_lshlrev_b32_e32 v3, v12, v3
	v_sub_u32_e32 v7, 29, v7
	v_and_b32_e32 v3, 7, v3
	v_cmp_eq_u16_e32 vcc, 0, v6
	v_cndmask_b32_e32 v2, v2, v3, vcc
	v_cndmask_b32_e32 v3, v6, v7, vcc
	v_lshlrev_b32_e32 v6, 16, v8
	v_mov_b32_e32 v7, 0x3b800000
	v_lshlrev_b32_e32 v2, 20, v2
	v_and_b32_e32 v6, 0x80000000, v6
	v_lshl_add_u32 v3, v3, 23, v7
	v_or3_b32 v2, v6, v3, v2
.LBB14_588:
	s_or_b64 exec, exec, s[6:7]
	v_lshrrev_b32_e32 v3, 8, v4
	s_movk_i32 s4, 0x7f
	v_cmp_gt_i16_sdwa s[6:7], v3, s4 src0_sel:BYTE_0 src1_sel:DWORD
	s_mov_b64 s[4:5], 0
                                        ; implicit-def: $sgpr10
	s_and_saveexec_b64 s[8:9], s[6:7]
	s_xor_b64 s[6:7], exec, s[8:9]
	s_cbranch_execnz .LBB14_2637
; %bb.589:
	s_or_saveexec_b64 s[6:7], s[6:7]
	v_mov_b32_e32 v6, s10
	s_xor_b64 exec, exec, s[6:7]
	s_cbranch_execnz .LBB14_2640
.LBB14_590:
	s_or_b64 exec, exec, s[6:7]
	s_and_saveexec_b64 s[6:7], s[4:5]
	s_cbranch_execz .LBB14_592
.LBB14_591:
	v_bfe_u32 v6, v4, 8, 3
	v_ffbh_u32_e32 v12, v6
	v_min_u32_e32 v12, 32, v12
	v_lshrrev_b16_e32 v7, 3, v3
	v_subrev_u32_e32 v13, 28, v12
	v_and_b32_e32 v7, 15, v7
	v_lshlrev_b32_e32 v3, v13, v3
	v_sub_u32_e32 v12, 29, v12
	v_and_b32_e32 v3, 7, v3
	v_cmp_eq_u16_e32 vcc, 0, v7
	v_cndmask_b32_e32 v3, v6, v3, vcc
	v_cndmask_b32_e32 v6, v7, v12, vcc
	v_lshlrev_b32_e32 v7, 16, v4
	v_mov_b32_e32 v12, 0x3b800000
	v_lshlrev_b32_e32 v3, 20, v3
	v_and_b32_e32 v7, 0x80000000, v7
	v_lshl_add_u32 v6, v6, 23, v12
	v_or3_b32 v6, v7, v6, v3
.LBB14_592:
	s_or_b64 exec, exec, s[6:7]
	s_nop 0
	v_mfma_f32_16x16x4f32 a[0:3], v2, v6, a[0:3]
	s_movk_i32 s4, 0xff
	v_and_b32_sdwa v3, v8, s4 dst_sel:DWORD dst_unused:UNUSED_PAD src0_sel:WORD_1 src1_sel:DWORD
	s_movk_i32 s4, 0x7f
	v_cmp_lt_i16_e32 vcc, s4, v3
	s_mov_b64 s[4:5], 0
                                        ; implicit-def: $sgpr10
	s_and_saveexec_b64 s[6:7], vcc
	s_xor_b64 s[6:7], exec, s[6:7]
	s_cbranch_execnz .LBB14_2641
; %bb.593:
	s_or_saveexec_b64 s[6:7], s[6:7]
	v_mov_b32_e32 v2, s10
	s_xor_b64 exec, exec, s[6:7]
	s_cbranch_execnz .LBB14_2644
.LBB14_594:
	s_or_b64 exec, exec, s[6:7]
	s_and_saveexec_b64 s[6:7], s[4:5]
	s_cbranch_execz .LBB14_596
.LBB14_595:
	v_bfe_u32 v2, v8, 16, 3
	v_ffbh_u32_e32 v7, v2
	v_min_u32_e32 v7, 32, v7
	v_lshrrev_b32_e32 v3, 19, v8
	v_subrev_u32_e32 v12, 28, v7
	v_and_b32_e32 v3, 15, v3
	v_lshlrev_b32_sdwa v12, v12, v8 dst_sel:DWORD dst_unused:UNUSED_PAD src0_sel:DWORD src1_sel:WORD_1
	v_bfe_u32 v6, v8, 19, 4
	v_sub_u32_e32 v7, 29, v7
	v_and_b32_e32 v12, 7, v12
	v_cmp_eq_u16_e32 vcc, 0, v3
	v_cndmask_b32_e32 v2, v2, v12, vcc
	v_cndmask_b32_e32 v3, v6, v7, vcc
	v_lshlrev_b32_e32 v6, 8, v8
	v_mov_b32_e32 v7, 0x3b800000
	v_lshlrev_b32_e32 v2, 20, v2
	v_and_b32_e32 v6, 0x80000000, v6
	v_lshl_add_u32 v3, v3, 23, v7
	v_or3_b32 v2, v6, v3, v2
.LBB14_596:
	s_or_b64 exec, exec, s[6:7]
	s_movk_i32 s4, 0xff
	v_and_b32_sdwa v3, v4, s4 dst_sel:DWORD dst_unused:UNUSED_PAD src0_sel:WORD_1 src1_sel:DWORD
	s_movk_i32 s4, 0x7f
	v_cmp_lt_i16_e32 vcc, s4, v3
	s_mov_b64 s[4:5], 0
                                        ; implicit-def: $sgpr10
	s_and_saveexec_b64 s[6:7], vcc
	s_xor_b64 s[6:7], exec, s[6:7]
	s_cbranch_execnz .LBB14_2645
; %bb.597:
	s_or_saveexec_b64 s[6:7], s[6:7]
	v_mov_b32_e32 v6, s10
	s_xor_b64 exec, exec, s[6:7]
	s_cbranch_execnz .LBB14_2648
.LBB14_598:
	s_or_b64 exec, exec, s[6:7]
	s_and_saveexec_b64 s[6:7], s[4:5]
	s_cbranch_execz .LBB14_600
.LBB14_599:
	v_bfe_u32 v3, v4, 16, 3
	v_ffbh_u32_e32 v12, v3
	v_min_u32_e32 v12, 32, v12
	v_lshrrev_b32_e32 v6, 19, v4
	v_subrev_u32_e32 v13, 28, v12
	v_and_b32_e32 v6, 15, v6
	v_lshlrev_b32_sdwa v13, v13, v4 dst_sel:DWORD dst_unused:UNUSED_PAD src0_sel:DWORD src1_sel:WORD_1
	v_bfe_u32 v7, v4, 19, 4
	v_sub_u32_e32 v12, 29, v12
	v_and_b32_e32 v13, 7, v13
	v_cmp_eq_u16_e32 vcc, 0, v6
	v_cndmask_b32_e32 v3, v3, v13, vcc
	v_cndmask_b32_e32 v6, v7, v12, vcc
	v_lshlrev_b32_e32 v7, 8, v4
	v_mov_b32_e32 v12, 0x3b800000
	v_lshlrev_b32_e32 v3, 20, v3
	v_and_b32_e32 v7, 0x80000000, v7
	v_lshl_add_u32 v6, v6, 23, v12
	v_or3_b32 v6, v7, v6, v3
.LBB14_600:
	s_or_b64 exec, exec, s[6:7]
	s_nop 0
	v_mfma_f32_16x16x4f32 a[0:3], v2, v6, a[0:3]
	s_movk_i32 s4, 0x7f
	v_cmp_gt_i16_sdwa s[6:7], v8, s4 src0_sel:BYTE_3 src1_sel:DWORD
	s_mov_b64 s[4:5], 0
                                        ; implicit-def: $sgpr10
	s_and_saveexec_b64 s[8:9], s[6:7]
	s_xor_b64 s[6:7], exec, s[8:9]
	s_cbranch_execnz .LBB14_2649
; %bb.601:
	s_or_saveexec_b64 s[6:7], s[6:7]
	v_mov_b32_e32 v2, s10
	s_xor_b64 exec, exec, s[6:7]
	s_cbranch_execnz .LBB14_2652
.LBB14_602:
	s_or_b64 exec, exec, s[6:7]
	s_and_saveexec_b64 s[6:7], s[4:5]
	s_cbranch_execz .LBB14_604
.LBB14_603:
	v_bfe_u32 v2, v8, 24, 3
	v_ffbh_u32_e32 v12, v2
	v_min_u32_e32 v12, 32, v12
	v_lshrrev_b32_e32 v6, 27, v8
	v_subrev_u32_e32 v13, 28, v12
	v_and_b32_e32 v3, 0x80000000, v8
	v_and_b32_e32 v6, 15, v6
	v_bfe_u32 v7, v8, 27, 4
	v_lshlrev_b32_sdwa v8, v13, v8 dst_sel:DWORD dst_unused:UNUSED_PAD src0_sel:DWORD src1_sel:BYTE_3
	v_sub_u32_e32 v12, 29, v12
	v_and_b32_e32 v8, 7, v8
	v_cmp_eq_u16_e32 vcc, 0, v6
	v_cndmask_b32_e32 v2, v2, v8, vcc
	v_cndmask_b32_e32 v6, v7, v12, vcc
	v_mov_b32_e32 v7, 0x3b800000
	v_lshlrev_b32_e32 v2, 20, v2
	v_lshl_add_u32 v6, v6, 23, v7
	v_or3_b32 v2, v3, v6, v2
.LBB14_604:
	s_or_b64 exec, exec, s[6:7]
	s_movk_i32 s4, 0x7f
	v_cmp_gt_i16_sdwa s[6:7], v4, s4 src0_sel:BYTE_3 src1_sel:DWORD
	s_mov_b64 s[4:5], 0
                                        ; implicit-def: $sgpr10
	s_and_saveexec_b64 s[8:9], s[6:7]
	s_xor_b64 s[6:7], exec, s[8:9]
	s_cbranch_execnz .LBB14_2653
; %bb.605:
	s_or_saveexec_b64 s[6:7], s[6:7]
	v_mov_b32_e32 v3, s10
	s_xor_b64 exec, exec, s[6:7]
	s_cbranch_execnz .LBB14_2656
.LBB14_606:
	s_or_b64 exec, exec, s[6:7]
	s_and_saveexec_b64 s[6:7], s[4:5]
	s_cbranch_execz .LBB14_608
.LBB14_607:
	v_bfe_u32 v3, v4, 24, 3
	v_ffbh_u32_e32 v12, v3
	v_min_u32_e32 v12, 32, v12
	v_lshrrev_b32_e32 v7, 27, v4
	v_subrev_u32_e32 v13, 28, v12
	v_and_b32_e32 v6, 0x80000000, v4
	v_and_b32_e32 v7, 15, v7
	v_bfe_u32 v8, v4, 27, 4
	v_lshlrev_b32_sdwa v4, v13, v4 dst_sel:DWORD dst_unused:UNUSED_PAD src0_sel:DWORD src1_sel:BYTE_3
	v_sub_u32_e32 v12, 29, v12
	v_and_b32_e32 v4, 7, v4
	v_cmp_eq_u16_e32 vcc, 0, v7
	v_cndmask_b32_e32 v3, v3, v4, vcc
	v_cndmask_b32_e32 v4, v8, v12, vcc
	v_mov_b32_e32 v7, 0x3b800000
	v_lshlrev_b32_e32 v3, 20, v3
	v_lshl_add_u32 v4, v4, 23, v7
	v_or3_b32 v3, v6, v4, v3
.LBB14_608:
	s_or_b64 exec, exec, s[6:7]
	s_nop 0
	v_mfma_f32_16x16x4f32 a[0:3], v2, v3, a[0:3]
	s_movk_i32 s4, 0x7f
	v_cmp_gt_i16_sdwa s[6:7], v9, s4 src0_sel:BYTE_0 src1_sel:DWORD
	s_mov_b64 s[4:5], 0
                                        ; implicit-def: $sgpr10
	s_and_saveexec_b64 s[8:9], s[6:7]
	s_xor_b64 s[6:7], exec, s[8:9]
	s_cbranch_execnz .LBB14_2657
; %bb.609:
	s_or_saveexec_b64 s[6:7], s[6:7]
	v_mov_b32_e32 v2, s10
	s_xor_b64 exec, exec, s[6:7]
	s_cbranch_execnz .LBB14_2660
.LBB14_610:
	s_or_b64 exec, exec, s[6:7]
	s_and_saveexec_b64 s[6:7], s[4:5]
	s_cbranch_execz .LBB14_612
.LBB14_611:
	v_mov_b32_e32 v2, 8
	v_and_b32_e32 v3, 7, v9
	v_lshrrev_b32_sdwa v2, v2, v9 dst_sel:BYTE_1 dst_unused:UNUSED_PAD src0_sel:DWORD src1_sel:DWORD
	v_ffbh_u32_e32 v4, v3
	v_or_b32_sdwa v2, v9, v2 dst_sel:DWORD dst_unused:UNUSED_PAD src0_sel:BYTE_0 src1_sel:DWORD
	v_min_u32_e32 v4, 32, v4
	v_lshrrev_b16_e32 v2, 3, v2
	v_subrev_u32_e32 v6, 28, v4
	v_and_b32_e32 v2, 15, v2
	v_lshlrev_b32_e32 v6, v6, v9
	v_sub_u32_e32 v4, 29, v4
	v_and_b32_e32 v6, 7, v6
	v_cmp_eq_u16_e32 vcc, 0, v2
	v_cndmask_b32_e32 v3, v3, v6, vcc
	v_cndmask_b32_e32 v2, v2, v4, vcc
	v_lshlrev_b32_e32 v4, 24, v9
	v_mov_b32_e32 v6, 0x3b800000
	v_lshlrev_b32_e32 v3, 20, v3
	v_and_b32_e32 v4, 0x80000000, v4
	v_lshl_add_u32 v2, v2, 23, v6
	v_or3_b32 v2, v4, v2, v3
.LBB14_612:
	s_or_b64 exec, exec, s[6:7]
	s_movk_i32 s4, 0x7f
	v_cmp_gt_i16_sdwa s[6:7], v5, s4 src0_sel:BYTE_0 src1_sel:DWORD
	s_mov_b64 s[4:5], 0
                                        ; implicit-def: $sgpr10
	s_and_saveexec_b64 s[8:9], s[6:7]
	s_xor_b64 s[6:7], exec, s[8:9]
	s_cbranch_execnz .LBB14_2661
; %bb.613:
	s_or_saveexec_b64 s[6:7], s[6:7]
	v_mov_b32_e32 v3, s10
	s_xor_b64 exec, exec, s[6:7]
	s_cbranch_execnz .LBB14_2664
.LBB14_614:
	s_or_b64 exec, exec, s[6:7]
	s_and_saveexec_b64 s[6:7], s[4:5]
	s_cbranch_execz .LBB14_616
.LBB14_615:
	v_mov_b32_e32 v3, 8
	v_and_b32_e32 v4, 7, v5
	v_lshrrev_b32_sdwa v3, v3, v5 dst_sel:BYTE_1 dst_unused:UNUSED_PAD src0_sel:DWORD src1_sel:DWORD
	v_ffbh_u32_e32 v6, v4
	v_or_b32_sdwa v3, v5, v3 dst_sel:DWORD dst_unused:UNUSED_PAD src0_sel:BYTE_0 src1_sel:DWORD
	v_min_u32_e32 v6, 32, v6
	v_lshrrev_b16_e32 v3, 3, v3
	v_subrev_u32_e32 v7, 28, v6
	v_and_b32_e32 v3, 15, v3
	v_lshlrev_b32_e32 v7, v7, v5
	v_sub_u32_e32 v6, 29, v6
	v_and_b32_e32 v7, 7, v7
	v_cmp_eq_u16_e32 vcc, 0, v3
	v_cndmask_b32_e32 v4, v4, v7, vcc
	v_cndmask_b32_e32 v3, v3, v6, vcc
	v_lshlrev_b32_e32 v6, 24, v5
	v_mov_b32_e32 v7, 0x3b800000
	v_lshlrev_b32_e32 v4, 20, v4
	v_and_b32_e32 v6, 0x80000000, v6
	v_lshl_add_u32 v3, v3, 23, v7
	v_or3_b32 v3, v6, v3, v4
.LBB14_616:
	s_or_b64 exec, exec, s[6:7]
	s_nop 0
	v_mfma_f32_16x16x4f32 a[0:3], v2, v3, a[0:3]
	v_lshrrev_b32_e32 v3, 8, v9
	s_movk_i32 s4, 0x7f
	v_cmp_gt_i16_sdwa s[6:7], v3, s4 src0_sel:BYTE_0 src1_sel:DWORD
	s_mov_b64 s[4:5], 0
                                        ; implicit-def: $sgpr10
	s_and_saveexec_b64 s[8:9], s[6:7]
	s_xor_b64 s[6:7], exec, s[8:9]
	s_cbranch_execnz .LBB14_2665
; %bb.617:
	s_or_saveexec_b64 s[6:7], s[6:7]
	v_mov_b32_e32 v2, s10
	s_xor_b64 exec, exec, s[6:7]
	s_cbranch_execnz .LBB14_2668
.LBB14_618:
	s_or_b64 exec, exec, s[6:7]
	s_and_saveexec_b64 s[6:7], s[4:5]
	s_cbranch_execz .LBB14_620
.LBB14_619:
	v_bfe_u32 v2, v9, 8, 3
	v_ffbh_u32_e32 v6, v2
	v_min_u32_e32 v6, 32, v6
	v_lshrrev_b16_e32 v4, 3, v3
	v_subrev_u32_e32 v7, 28, v6
	v_and_b32_e32 v4, 15, v4
	v_lshlrev_b32_e32 v3, v7, v3
	v_sub_u32_e32 v6, 29, v6
	v_and_b32_e32 v3, 7, v3
	v_cmp_eq_u16_e32 vcc, 0, v4
	v_cndmask_b32_e32 v2, v2, v3, vcc
	v_cndmask_b32_e32 v3, v4, v6, vcc
	v_lshlrev_b32_e32 v4, 16, v9
	v_mov_b32_e32 v6, 0x3b800000
	v_lshlrev_b32_e32 v2, 20, v2
	v_and_b32_e32 v4, 0x80000000, v4
	v_lshl_add_u32 v3, v3, 23, v6
	v_or3_b32 v2, v4, v3, v2
.LBB14_620:
	s_or_b64 exec, exec, s[6:7]
	v_lshrrev_b32_e32 v3, 8, v5
	s_movk_i32 s4, 0x7f
	v_cmp_gt_i16_sdwa s[6:7], v3, s4 src0_sel:BYTE_0 src1_sel:DWORD
	s_mov_b64 s[4:5], 0
                                        ; implicit-def: $sgpr10
	s_and_saveexec_b64 s[8:9], s[6:7]
	s_xor_b64 s[6:7], exec, s[8:9]
	s_cbranch_execnz .LBB14_2669
; %bb.621:
	s_or_saveexec_b64 s[6:7], s[6:7]
	v_mov_b32_e32 v4, s10
	s_xor_b64 exec, exec, s[6:7]
	s_cbranch_execnz .LBB14_2672
.LBB14_622:
	s_or_b64 exec, exec, s[6:7]
	s_and_saveexec_b64 s[6:7], s[4:5]
	s_cbranch_execz .LBB14_624
.LBB14_623:
	v_bfe_u32 v4, v5, 8, 3
	v_ffbh_u32_e32 v7, v4
	v_min_u32_e32 v7, 32, v7
	v_lshrrev_b16_e32 v6, 3, v3
	v_subrev_u32_e32 v8, 28, v7
	v_and_b32_e32 v6, 15, v6
	v_lshlrev_b32_e32 v3, v8, v3
	v_sub_u32_e32 v7, 29, v7
	v_and_b32_e32 v3, 7, v3
	v_cmp_eq_u16_e32 vcc, 0, v6
	v_cndmask_b32_e32 v3, v4, v3, vcc
	v_cndmask_b32_e32 v4, v6, v7, vcc
	v_lshlrev_b32_e32 v6, 16, v5
	v_mov_b32_e32 v7, 0x3b800000
	v_lshlrev_b32_e32 v3, 20, v3
	v_and_b32_e32 v6, 0x80000000, v6
	v_lshl_add_u32 v4, v4, 23, v7
	v_or3_b32 v4, v6, v4, v3
.LBB14_624:
	s_or_b64 exec, exec, s[6:7]
	s_nop 0
	v_mfma_f32_16x16x4f32 a[0:3], v2, v4, a[0:3]
	s_movk_i32 s4, 0xff
	v_and_b32_sdwa v3, v9, s4 dst_sel:DWORD dst_unused:UNUSED_PAD src0_sel:WORD_1 src1_sel:DWORD
	s_movk_i32 s4, 0x7f
	v_cmp_lt_i16_e32 vcc, s4, v3
	s_mov_b64 s[4:5], 0
                                        ; implicit-def: $sgpr10
	s_and_saveexec_b64 s[6:7], vcc
	s_xor_b64 s[6:7], exec, s[6:7]
	s_cbranch_execnz .LBB14_2673
; %bb.625:
	s_or_saveexec_b64 s[6:7], s[6:7]
	v_mov_b32_e32 v2, s10
	s_xor_b64 exec, exec, s[6:7]
	s_cbranch_execnz .LBB14_2676
.LBB14_626:
	s_or_b64 exec, exec, s[6:7]
	s_and_saveexec_b64 s[6:7], s[4:5]
	s_cbranch_execz .LBB14_628
.LBB14_627:
	v_bfe_u32 v2, v9, 16, 3
	v_ffbh_u32_e32 v6, v2
	v_min_u32_e32 v6, 32, v6
	v_lshrrev_b32_e32 v3, 19, v9
	v_subrev_u32_e32 v7, 28, v6
	v_and_b32_e32 v3, 15, v3
	v_lshlrev_b32_sdwa v7, v7, v9 dst_sel:DWORD dst_unused:UNUSED_PAD src0_sel:DWORD src1_sel:WORD_1
	v_bfe_u32 v4, v9, 19, 4
	v_sub_u32_e32 v6, 29, v6
	v_and_b32_e32 v7, 7, v7
	v_cmp_eq_u16_e32 vcc, 0, v3
	v_cndmask_b32_e32 v2, v2, v7, vcc
	v_cndmask_b32_e32 v3, v4, v6, vcc
	v_lshlrev_b32_e32 v4, 8, v9
	v_mov_b32_e32 v6, 0x3b800000
	v_lshlrev_b32_e32 v2, 20, v2
	v_and_b32_e32 v4, 0x80000000, v4
	v_lshl_add_u32 v3, v3, 23, v6
	v_or3_b32 v2, v4, v3, v2
.LBB14_628:
	s_or_b64 exec, exec, s[6:7]
	s_movk_i32 s4, 0xff
	v_and_b32_sdwa v3, v5, s4 dst_sel:DWORD dst_unused:UNUSED_PAD src0_sel:WORD_1 src1_sel:DWORD
	s_movk_i32 s4, 0x7f
	v_cmp_lt_i16_e32 vcc, s4, v3
	s_mov_b64 s[4:5], 0
                                        ; implicit-def: $sgpr10
	s_and_saveexec_b64 s[6:7], vcc
	s_xor_b64 s[6:7], exec, s[6:7]
	s_cbranch_execnz .LBB14_2677
; %bb.629:
	s_or_saveexec_b64 s[6:7], s[6:7]
	v_mov_b32_e32 v4, s10
	s_xor_b64 exec, exec, s[6:7]
	s_cbranch_execnz .LBB14_2680
.LBB14_630:
	s_or_b64 exec, exec, s[6:7]
	s_and_saveexec_b64 s[6:7], s[4:5]
	s_cbranch_execz .LBB14_632
.LBB14_631:
	v_bfe_u32 v3, v5, 16, 3
	v_ffbh_u32_e32 v7, v3
	v_min_u32_e32 v7, 32, v7
	v_lshrrev_b32_e32 v4, 19, v5
	v_subrev_u32_e32 v8, 28, v7
	v_and_b32_e32 v4, 15, v4
	v_lshlrev_b32_sdwa v8, v8, v5 dst_sel:DWORD dst_unused:UNUSED_PAD src0_sel:DWORD src1_sel:WORD_1
	v_bfe_u32 v6, v5, 19, 4
	v_sub_u32_e32 v7, 29, v7
	v_and_b32_e32 v8, 7, v8
	v_cmp_eq_u16_e32 vcc, 0, v4
	v_cndmask_b32_e32 v3, v3, v8, vcc
	v_cndmask_b32_e32 v4, v6, v7, vcc
	v_lshlrev_b32_e32 v6, 8, v5
	v_mov_b32_e32 v7, 0x3b800000
	v_lshlrev_b32_e32 v3, 20, v3
	v_and_b32_e32 v6, 0x80000000, v6
	v_lshl_add_u32 v4, v4, 23, v7
	v_or3_b32 v4, v6, v4, v3
.LBB14_632:
	s_or_b64 exec, exec, s[6:7]
	s_nop 0
	v_mfma_f32_16x16x4f32 a[0:3], v2, v4, a[0:3]
	s_movk_i32 s4, 0x7f
	v_cmp_gt_i16_sdwa s[6:7], v9, s4 src0_sel:BYTE_3 src1_sel:DWORD
	s_mov_b64 s[4:5], 0
                                        ; implicit-def: $sgpr10
	s_and_saveexec_b64 s[8:9], s[6:7]
	s_xor_b64 s[6:7], exec, s[8:9]
	s_cbranch_execnz .LBB14_2681
; %bb.633:
	s_or_saveexec_b64 s[6:7], s[6:7]
	v_mov_b32_e32 v2, s10
	s_xor_b64 exec, exec, s[6:7]
	s_cbranch_execnz .LBB14_2684
.LBB14_634:
	s_or_b64 exec, exec, s[6:7]
	s_and_saveexec_b64 s[6:7], s[4:5]
	s_cbranch_execz .LBB14_636
.LBB14_635:
	v_bfe_u32 v2, v9, 24, 3
	v_ffbh_u32_e32 v7, v2
	v_min_u32_e32 v7, 32, v7
	v_lshrrev_b32_e32 v4, 27, v9
	v_subrev_u32_e32 v8, 28, v7
	v_and_b32_e32 v4, 15, v4
	v_lshlrev_b32_sdwa v8, v8, v9 dst_sel:DWORD dst_unused:UNUSED_PAD src0_sel:DWORD src1_sel:BYTE_3
	v_bfe_u32 v6, v9, 27, 4
	v_sub_u32_e32 v7, 29, v7
	v_and_b32_e32 v8, 7, v8
	v_cmp_eq_u16_e32 vcc, 0, v4
	v_cndmask_b32_e32 v2, v2, v8, vcc
	v_cndmask_b32_e32 v4, v6, v7, vcc
	v_mov_b32_e32 v6, 0x3b800000
	v_and_b32_e32 v3, 0x80000000, v9
	v_lshlrev_b32_e32 v2, 20, v2
	v_lshl_add_u32 v4, v4, 23, v6
	v_or3_b32 v2, v3, v4, v2
.LBB14_636:
	s_or_b64 exec, exec, s[6:7]
	s_movk_i32 s4, 0x7f
	v_cmp_gt_i16_sdwa s[6:7], v5, s4 src0_sel:BYTE_3 src1_sel:DWORD
	s_mov_b64 s[4:5], 0
                                        ; implicit-def: $sgpr10
	s_and_saveexec_b64 s[8:9], s[6:7]
	s_xor_b64 s[6:7], exec, s[8:9]
	s_cbranch_execnz .LBB14_2685
; %bb.637:
	s_or_saveexec_b64 s[6:7], s[6:7]
	v_mov_b32_e32 v3, s10
	s_xor_b64 exec, exec, s[6:7]
	s_cbranch_execnz .LBB14_2688
.LBB14_638:
	s_or_b64 exec, exec, s[6:7]
	s_and_saveexec_b64 s[6:7], s[4:5]
	s_cbranch_execz .LBB14_640
.LBB14_639:
	v_bfe_u32 v3, v5, 24, 3
	v_ffbh_u32_e32 v8, v3
	v_min_u32_e32 v8, 32, v8
	v_lshrrev_b32_e32 v6, 27, v5
	v_subrev_u32_e32 v9, 28, v8
	v_and_b32_e32 v4, 0x80000000, v5
	v_and_b32_e32 v6, 15, v6
	v_bfe_u32 v7, v5, 27, 4
	v_lshlrev_b32_sdwa v5, v9, v5 dst_sel:DWORD dst_unused:UNUSED_PAD src0_sel:DWORD src1_sel:BYTE_3
	v_sub_u32_e32 v8, 29, v8
	v_and_b32_e32 v5, 7, v5
	v_cmp_eq_u16_e32 vcc, 0, v6
	v_cndmask_b32_e32 v3, v3, v5, vcc
	v_cndmask_b32_e32 v5, v7, v8, vcc
	v_mov_b32_e32 v6, 0x3b800000
	v_lshlrev_b32_e32 v3, 20, v3
	v_lshl_add_u32 v5, v5, 23, v6
	v_or3_b32 v3, v4, v5, v3
.LBB14_640:
	s_or_b64 exec, exec, s[6:7]
	s_nop 0
	v_mfma_f32_16x16x4f32 a[0:3], v2, v3, a[0:3]
	s_movk_i32 s4, 0x7f
                                        ; implicit-def: $sgpr10
	s_nop 7
	s_nop 1
	flat_store_dwordx4 v[10:11], a[0:3] offset:64
	flat_load_dwordx4 v[12:15], v[0:1] offset:8
	s_nop 0
	flat_load_dwordx2 v[10:11], v[0:1] offset:32
	s_waitcnt vmcnt(0) lgkmcnt(0)
	flat_load_dwordx4 v[6:9], v[12:13] offset:32
	flat_load_dwordx4 v[2:5], v[14:15] offset:32
	s_waitcnt vmcnt(0) lgkmcnt(0)
	v_cmp_gt_i16_sdwa s[6:7], v6, s4 src0_sel:BYTE_0 src1_sel:DWORD
	s_mov_b64 s[4:5], 0
	s_and_saveexec_b64 s[8:9], s[6:7]
	s_xor_b64 s[6:7], exec, s[8:9]
	s_cbranch_execnz .LBB14_2689
; %bb.641:
	s_or_saveexec_b64 s[6:7], s[6:7]
	v_mov_b32_e32 v12, s10
	s_xor_b64 exec, exec, s[6:7]
	s_cbranch_execnz .LBB14_2692
.LBB14_642:
	s_or_b64 exec, exec, s[6:7]
	s_and_saveexec_b64 s[6:7], s[4:5]
	s_cbranch_execz .LBB14_644
.LBB14_643:
	v_and_b32_e32 v12, 7, v6
	v_ffbh_u32_e32 v14, v12
	v_min_u32_e32 v14, 32, v14
	v_lshrrev_b16_e32 v13, 3, v6
	v_subrev_u32_e32 v15, 28, v14
	v_and_b32_e32 v13, 15, v13
	v_lshlrev_b32_e32 v15, v15, v6
	v_sub_u32_e32 v14, 29, v14
	v_and_b32_e32 v15, 7, v15
	v_cmp_eq_u16_e32 vcc, 0, v13
	v_cndmask_b32_e32 v12, v12, v15, vcc
	v_cndmask_b32_e32 v13, v13, v14, vcc
	v_lshlrev_b32_e32 v14, 24, v6
	v_mov_b32_e32 v15, 0x3b800000
	v_lshlrev_b32_e32 v12, 20, v12
	v_and_b32_e32 v14, 0x80000000, v14
	v_lshl_add_u32 v13, v13, 23, v15
	v_or3_b32 v12, v14, v13, v12
.LBB14_644:
	s_or_b64 exec, exec, s[6:7]
	s_movk_i32 s4, 0x7f
	v_cmp_gt_i16_sdwa s[6:7], v2, s4 src0_sel:BYTE_0 src1_sel:DWORD
	s_mov_b64 s[4:5], 0
                                        ; implicit-def: $sgpr10
	s_and_saveexec_b64 s[8:9], s[6:7]
	s_xor_b64 s[6:7], exec, s[8:9]
	s_cbranch_execnz .LBB14_2693
; %bb.645:
	s_or_saveexec_b64 s[6:7], s[6:7]
	v_mov_b32_e32 v13, s10
	s_xor_b64 exec, exec, s[6:7]
	s_cbranch_execnz .LBB14_2696
.LBB14_646:
	s_or_b64 exec, exec, s[6:7]
	s_and_saveexec_b64 s[6:7], s[4:5]
	s_cbranch_execz .LBB14_648
.LBB14_647:
	v_and_b32_e32 v13, 7, v2
	v_ffbh_u32_e32 v15, v13
	v_min_u32_e32 v15, 32, v15
	v_lshrrev_b16_e32 v14, 3, v2
	v_subrev_u32_e32 v16, 28, v15
	v_and_b32_e32 v14, 15, v14
	v_lshlrev_b32_e32 v16, v16, v2
	v_sub_u32_e32 v15, 29, v15
	v_and_b32_e32 v16, 7, v16
	v_cmp_eq_u16_e32 vcc, 0, v14
	v_cndmask_b32_e32 v13, v13, v16, vcc
	v_cndmask_b32_e32 v14, v14, v15, vcc
	v_lshlrev_b32_e32 v15, 24, v2
	v_mov_b32_e32 v16, 0x3b800000
	v_lshlrev_b32_e32 v13, 20, v13
	v_and_b32_e32 v15, 0x80000000, v15
	v_lshl_add_u32 v14, v14, 23, v16
	v_or3_b32 v13, v15, v14, v13
.LBB14_648:
	s_or_b64 exec, exec, s[6:7]
	flat_load_dwordx4 a[0:3], v[10:11] offset:80
	s_movk_i32 s4, 0x7f
                                        ; implicit-def: $sgpr10
	s_waitcnt vmcnt(0) lgkmcnt(0)
	v_mfma_f32_16x16x4f32 a[0:3], v12, v13, a[0:3]
	v_lshrrev_b32_e32 v13, 8, v6
	v_cmp_gt_i16_sdwa s[6:7], v13, s4 src0_sel:BYTE_0 src1_sel:DWORD
	s_mov_b64 s[4:5], 0
	s_and_saveexec_b64 s[8:9], s[6:7]
	s_xor_b64 s[6:7], exec, s[8:9]
	s_cbranch_execnz .LBB14_2697
; %bb.649:
	s_or_saveexec_b64 s[6:7], s[6:7]
	v_mov_b32_e32 v12, s10
	s_xor_b64 exec, exec, s[6:7]
	s_cbranch_execnz .LBB14_2700
.LBB14_650:
	s_or_b64 exec, exec, s[6:7]
	s_and_saveexec_b64 s[6:7], s[4:5]
	s_cbranch_execz .LBB14_652
.LBB14_651:
	v_bfe_u32 v12, v6, 8, 3
	v_ffbh_u32_e32 v15, v12
	v_min_u32_e32 v15, 32, v15
	v_lshrrev_b16_e32 v14, 3, v13
	v_subrev_u32_e32 v16, 28, v15
	v_and_b32_e32 v14, 15, v14
	v_lshlrev_b32_e32 v13, v16, v13
	v_sub_u32_e32 v15, 29, v15
	v_and_b32_e32 v13, 7, v13
	v_cmp_eq_u16_e32 vcc, 0, v14
	v_cndmask_b32_e32 v12, v12, v13, vcc
	v_cndmask_b32_e32 v13, v14, v15, vcc
	v_lshlrev_b32_e32 v14, 16, v6
	v_mov_b32_e32 v15, 0x3b800000
	v_lshlrev_b32_e32 v12, 20, v12
	v_and_b32_e32 v14, 0x80000000, v14
	v_lshl_add_u32 v13, v13, 23, v15
	v_or3_b32 v12, v14, v13, v12
.LBB14_652:
	s_or_b64 exec, exec, s[6:7]
	v_lshrrev_b32_e32 v13, 8, v2
	s_movk_i32 s4, 0x7f
	v_cmp_gt_i16_sdwa s[6:7], v13, s4 src0_sel:BYTE_0 src1_sel:DWORD
	s_mov_b64 s[4:5], 0
                                        ; implicit-def: $sgpr10
	s_and_saveexec_b64 s[8:9], s[6:7]
	s_xor_b64 s[6:7], exec, s[8:9]
	s_cbranch_execnz .LBB14_2701
; %bb.653:
	s_or_saveexec_b64 s[6:7], s[6:7]
	v_mov_b32_e32 v14, s10
	s_xor_b64 exec, exec, s[6:7]
	s_cbranch_execnz .LBB14_2704
.LBB14_654:
	s_or_b64 exec, exec, s[6:7]
	s_and_saveexec_b64 s[6:7], s[4:5]
	s_cbranch_execz .LBB14_656
.LBB14_655:
	v_bfe_u32 v14, v2, 8, 3
	v_ffbh_u32_e32 v16, v14
	v_min_u32_e32 v16, 32, v16
	v_lshrrev_b16_e32 v15, 3, v13
	v_subrev_u32_e32 v17, 28, v16
	v_and_b32_e32 v15, 15, v15
	v_lshlrev_b32_e32 v13, v17, v13
	v_sub_u32_e32 v16, 29, v16
	v_and_b32_e32 v13, 7, v13
	v_cmp_eq_u16_e32 vcc, 0, v15
	v_cndmask_b32_e32 v13, v14, v13, vcc
	v_cndmask_b32_e32 v14, v15, v16, vcc
	v_lshlrev_b32_e32 v15, 16, v2
	v_mov_b32_e32 v16, 0x3b800000
	v_lshlrev_b32_e32 v13, 20, v13
	v_and_b32_e32 v15, 0x80000000, v15
	v_lshl_add_u32 v14, v14, 23, v16
	v_or3_b32 v14, v15, v14, v13
.LBB14_656:
	s_or_b64 exec, exec, s[6:7]
	s_nop 0
	v_mfma_f32_16x16x4f32 a[0:3], v12, v14, a[0:3]
	s_movk_i32 s4, 0xff
	v_and_b32_sdwa v13, v6, s4 dst_sel:DWORD dst_unused:UNUSED_PAD src0_sel:WORD_1 src1_sel:DWORD
	s_movk_i32 s4, 0x7f
	v_cmp_lt_i16_e32 vcc, s4, v13
	s_mov_b64 s[4:5], 0
                                        ; implicit-def: $sgpr10
	s_and_saveexec_b64 s[6:7], vcc
	s_xor_b64 s[6:7], exec, s[6:7]
	s_cbranch_execnz .LBB14_2705
; %bb.657:
	s_or_saveexec_b64 s[6:7], s[6:7]
	v_mov_b32_e32 v12, s10
	s_xor_b64 exec, exec, s[6:7]
	s_cbranch_execnz .LBB14_2708
.LBB14_658:
	s_or_b64 exec, exec, s[6:7]
	s_and_saveexec_b64 s[6:7], s[4:5]
	s_cbranch_execz .LBB14_660
.LBB14_659:
	v_bfe_u32 v12, v6, 16, 3
	v_ffbh_u32_e32 v15, v12
	v_min_u32_e32 v15, 32, v15
	v_lshrrev_b32_e32 v13, 19, v6
	v_subrev_u32_e32 v16, 28, v15
	v_and_b32_e32 v13, 15, v13
	v_lshlrev_b32_sdwa v16, v16, v6 dst_sel:DWORD dst_unused:UNUSED_PAD src0_sel:DWORD src1_sel:WORD_1
	v_bfe_u32 v14, v6, 19, 4
	v_sub_u32_e32 v15, 29, v15
	v_and_b32_e32 v16, 7, v16
	v_cmp_eq_u16_e32 vcc, 0, v13
	v_cndmask_b32_e32 v12, v12, v16, vcc
	v_cndmask_b32_e32 v13, v14, v15, vcc
	v_lshlrev_b32_e32 v14, 8, v6
	v_mov_b32_e32 v15, 0x3b800000
	v_lshlrev_b32_e32 v12, 20, v12
	v_and_b32_e32 v14, 0x80000000, v14
	v_lshl_add_u32 v13, v13, 23, v15
	v_or3_b32 v12, v14, v13, v12
.LBB14_660:
	s_or_b64 exec, exec, s[6:7]
	s_movk_i32 s4, 0xff
	v_and_b32_sdwa v13, v2, s4 dst_sel:DWORD dst_unused:UNUSED_PAD src0_sel:WORD_1 src1_sel:DWORD
	s_movk_i32 s4, 0x7f
	v_cmp_lt_i16_e32 vcc, s4, v13
	s_mov_b64 s[4:5], 0
                                        ; implicit-def: $sgpr10
	s_and_saveexec_b64 s[6:7], vcc
	s_xor_b64 s[6:7], exec, s[6:7]
	s_cbranch_execnz .LBB14_2709
; %bb.661:
	s_or_saveexec_b64 s[6:7], s[6:7]
	v_mov_b32_e32 v14, s10
	s_xor_b64 exec, exec, s[6:7]
	s_cbranch_execnz .LBB14_2712
.LBB14_662:
	s_or_b64 exec, exec, s[6:7]
	s_and_saveexec_b64 s[6:7], s[4:5]
	s_cbranch_execz .LBB14_664
.LBB14_663:
	v_bfe_u32 v13, v2, 16, 3
	v_ffbh_u32_e32 v16, v13
	v_min_u32_e32 v16, 32, v16
	v_lshrrev_b32_e32 v14, 19, v2
	v_subrev_u32_e32 v17, 28, v16
	v_and_b32_e32 v14, 15, v14
	v_lshlrev_b32_sdwa v17, v17, v2 dst_sel:DWORD dst_unused:UNUSED_PAD src0_sel:DWORD src1_sel:WORD_1
	v_bfe_u32 v15, v2, 19, 4
	v_sub_u32_e32 v16, 29, v16
	v_and_b32_e32 v17, 7, v17
	v_cmp_eq_u16_e32 vcc, 0, v14
	v_cndmask_b32_e32 v13, v13, v17, vcc
	v_cndmask_b32_e32 v14, v15, v16, vcc
	v_lshlrev_b32_e32 v15, 8, v2
	v_mov_b32_e32 v16, 0x3b800000
	v_lshlrev_b32_e32 v13, 20, v13
	v_and_b32_e32 v15, 0x80000000, v15
	v_lshl_add_u32 v14, v14, 23, v16
	v_or3_b32 v14, v15, v14, v13
.LBB14_664:
	s_or_b64 exec, exec, s[6:7]
	s_nop 0
	v_mfma_f32_16x16x4f32 a[0:3], v12, v14, a[0:3]
	s_movk_i32 s4, 0x7f
	v_cmp_gt_i16_sdwa s[6:7], v6, s4 src0_sel:BYTE_3 src1_sel:DWORD
	s_mov_b64 s[4:5], 0
                                        ; implicit-def: $sgpr10
	s_and_saveexec_b64 s[8:9], s[6:7]
	s_xor_b64 s[6:7], exec, s[8:9]
	s_cbranch_execnz .LBB14_2713
; %bb.665:
	s_or_saveexec_b64 s[6:7], s[6:7]
	v_mov_b32_e32 v12, s10
	s_xor_b64 exec, exec, s[6:7]
	s_cbranch_execnz .LBB14_2716
.LBB14_666:
	s_or_b64 exec, exec, s[6:7]
	s_and_saveexec_b64 s[6:7], s[4:5]
	s_cbranch_execz .LBB14_668
.LBB14_667:
	v_bfe_u32 v12, v6, 24, 3
	v_ffbh_u32_e32 v16, v12
	v_min_u32_e32 v16, 32, v16
	v_lshrrev_b32_e32 v14, 27, v6
	v_subrev_u32_e32 v17, 28, v16
	v_and_b32_e32 v13, 0x80000000, v6
	v_and_b32_e32 v14, 15, v14
	v_bfe_u32 v15, v6, 27, 4
	v_lshlrev_b32_sdwa v6, v17, v6 dst_sel:DWORD dst_unused:UNUSED_PAD src0_sel:DWORD src1_sel:BYTE_3
	v_sub_u32_e32 v16, 29, v16
	v_and_b32_e32 v6, 7, v6
	v_cmp_eq_u16_e32 vcc, 0, v14
	v_cndmask_b32_e32 v6, v12, v6, vcc
	v_cndmask_b32_e32 v12, v15, v16, vcc
	v_mov_b32_e32 v14, 0x3b800000
	v_lshlrev_b32_e32 v6, 20, v6
	v_lshl_add_u32 v12, v12, 23, v14
	v_or3_b32 v12, v13, v12, v6
.LBB14_668:
	s_or_b64 exec, exec, s[6:7]
	s_movk_i32 s4, 0x7f
	v_cmp_gt_i16_sdwa s[6:7], v2, s4 src0_sel:BYTE_3 src1_sel:DWORD
	s_mov_b64 s[4:5], 0
                                        ; implicit-def: $sgpr10
	s_and_saveexec_b64 s[8:9], s[6:7]
	s_xor_b64 s[6:7], exec, s[8:9]
	s_cbranch_execnz .LBB14_2717
; %bb.669:
	s_or_saveexec_b64 s[6:7], s[6:7]
	v_mov_b32_e32 v6, s10
	s_xor_b64 exec, exec, s[6:7]
	s_cbranch_execnz .LBB14_2720
.LBB14_670:
	s_or_b64 exec, exec, s[6:7]
	s_and_saveexec_b64 s[6:7], s[4:5]
	s_cbranch_execz .LBB14_672
.LBB14_671:
	v_bfe_u32 v6, v2, 24, 3
	v_ffbh_u32_e32 v16, v6
	v_min_u32_e32 v16, 32, v16
	v_lshrrev_b32_e32 v14, 27, v2
	v_subrev_u32_e32 v17, 28, v16
	v_and_b32_e32 v13, 0x80000000, v2
	v_and_b32_e32 v14, 15, v14
	v_bfe_u32 v15, v2, 27, 4
	v_lshlrev_b32_sdwa v2, v17, v2 dst_sel:DWORD dst_unused:UNUSED_PAD src0_sel:DWORD src1_sel:BYTE_3
	v_sub_u32_e32 v16, 29, v16
	v_and_b32_e32 v2, 7, v2
	v_cmp_eq_u16_e32 vcc, 0, v14
	v_cndmask_b32_e32 v2, v6, v2, vcc
	v_cndmask_b32_e32 v6, v15, v16, vcc
	v_mov_b32_e32 v14, 0x3b800000
	v_lshlrev_b32_e32 v2, 20, v2
	v_lshl_add_u32 v6, v6, 23, v14
	v_or3_b32 v6, v13, v6, v2
.LBB14_672:
	s_or_b64 exec, exec, s[6:7]
	s_nop 0
	v_mfma_f32_16x16x4f32 a[0:3], v12, v6, a[0:3]
	s_movk_i32 s4, 0x7f
	v_cmp_gt_i16_sdwa s[6:7], v7, s4 src0_sel:BYTE_0 src1_sel:DWORD
	s_mov_b64 s[4:5], 0
                                        ; implicit-def: $sgpr10
	s_and_saveexec_b64 s[8:9], s[6:7]
	s_xor_b64 s[6:7], exec, s[8:9]
	s_cbranch_execnz .LBB14_2721
; %bb.673:
	s_or_saveexec_b64 s[6:7], s[6:7]
	v_mov_b32_e32 v2, s10
	s_xor_b64 exec, exec, s[6:7]
	s_cbranch_execnz .LBB14_2724
.LBB14_674:
	s_or_b64 exec, exec, s[6:7]
	s_and_saveexec_b64 s[6:7], s[4:5]
	s_cbranch_execz .LBB14_676
.LBB14_675:
	v_and_b32_e32 v2, 7, v7
	v_ffbh_u32_e32 v12, v2
	v_min_u32_e32 v12, 32, v12
	v_lshrrev_b16_e32 v6, 3, v7
	v_subrev_u32_e32 v13, 28, v12
	v_and_b32_e32 v6, 15, v6
	v_lshlrev_b32_e32 v13, v13, v7
	v_sub_u32_e32 v12, 29, v12
	v_and_b32_e32 v13, 7, v13
	v_cmp_eq_u16_e32 vcc, 0, v6
	v_cndmask_b32_e32 v2, v2, v13, vcc
	v_cndmask_b32_e32 v6, v6, v12, vcc
	v_lshlrev_b32_e32 v12, 24, v7
	v_mov_b32_e32 v13, 0x3b800000
	v_lshlrev_b32_e32 v2, 20, v2
	v_and_b32_e32 v12, 0x80000000, v12
	v_lshl_add_u32 v6, v6, 23, v13
	v_or3_b32 v2, v12, v6, v2
.LBB14_676:
	s_or_b64 exec, exec, s[6:7]
	s_movk_i32 s4, 0x7f
	v_cmp_gt_i16_sdwa s[6:7], v3, s4 src0_sel:BYTE_0 src1_sel:DWORD
	s_mov_b64 s[4:5], 0
                                        ; implicit-def: $sgpr10
	s_and_saveexec_b64 s[8:9], s[6:7]
	s_xor_b64 s[6:7], exec, s[8:9]
	s_cbranch_execnz .LBB14_2725
; %bb.677:
	s_or_saveexec_b64 s[6:7], s[6:7]
	v_mov_b32_e32 v6, s10
	s_xor_b64 exec, exec, s[6:7]
	s_cbranch_execnz .LBB14_2728
.LBB14_678:
	s_or_b64 exec, exec, s[6:7]
	s_and_saveexec_b64 s[6:7], s[4:5]
	s_cbranch_execz .LBB14_680
.LBB14_679:
	v_and_b32_e32 v6, 7, v3
	v_ffbh_u32_e32 v13, v6
	v_min_u32_e32 v13, 32, v13
	v_lshrrev_b16_e32 v12, 3, v3
	v_subrev_u32_e32 v14, 28, v13
	v_and_b32_e32 v12, 15, v12
	v_lshlrev_b32_e32 v14, v14, v3
	v_sub_u32_e32 v13, 29, v13
	v_and_b32_e32 v14, 7, v14
	v_cmp_eq_u16_e32 vcc, 0, v12
	v_cndmask_b32_e32 v6, v6, v14, vcc
	v_cndmask_b32_e32 v12, v12, v13, vcc
	v_lshlrev_b32_e32 v13, 24, v3
	v_mov_b32_e32 v14, 0x3b800000
	v_lshlrev_b32_e32 v6, 20, v6
	v_and_b32_e32 v13, 0x80000000, v13
	v_lshl_add_u32 v12, v12, 23, v14
	v_or3_b32 v6, v13, v12, v6
.LBB14_680:
	s_or_b64 exec, exec, s[6:7]
	s_nop 0
	v_mfma_f32_16x16x4f32 a[0:3], v2, v6, a[0:3]
	v_lshrrev_b32_e32 v6, 8, v7
	s_movk_i32 s4, 0x7f
	v_cmp_gt_i16_sdwa s[6:7], v6, s4 src0_sel:BYTE_0 src1_sel:DWORD
	s_mov_b64 s[4:5], 0
                                        ; implicit-def: $sgpr10
	s_and_saveexec_b64 s[8:9], s[6:7]
	s_xor_b64 s[6:7], exec, s[8:9]
	s_cbranch_execnz .LBB14_2729
; %bb.681:
	s_or_saveexec_b64 s[6:7], s[6:7]
	v_mov_b32_e32 v2, s10
	s_xor_b64 exec, exec, s[6:7]
	s_cbranch_execnz .LBB14_2732
.LBB14_682:
	s_or_b64 exec, exec, s[6:7]
	s_and_saveexec_b64 s[6:7], s[4:5]
	s_cbranch_execz .LBB14_684
.LBB14_683:
	v_bfe_u32 v2, v7, 8, 3
	v_ffbh_u32_e32 v13, v2
	v_min_u32_e32 v13, 32, v13
	v_lshrrev_b16_e32 v12, 3, v6
	v_subrev_u32_e32 v14, 28, v13
	v_and_b32_e32 v12, 15, v12
	v_lshlrev_b32_e32 v6, v14, v6
	v_sub_u32_e32 v13, 29, v13
	v_and_b32_e32 v6, 7, v6
	v_cmp_eq_u16_e32 vcc, 0, v12
	v_cndmask_b32_e32 v2, v2, v6, vcc
	v_cndmask_b32_e32 v6, v12, v13, vcc
	v_lshlrev_b32_e32 v12, 16, v7
	v_mov_b32_e32 v13, 0x3b800000
	v_lshlrev_b32_e32 v2, 20, v2
	v_and_b32_e32 v12, 0x80000000, v12
	v_lshl_add_u32 v6, v6, 23, v13
	v_or3_b32 v2, v12, v6, v2
.LBB14_684:
	s_or_b64 exec, exec, s[6:7]
	v_lshrrev_b32_e32 v6, 8, v3
	s_movk_i32 s4, 0x7f
	v_cmp_gt_i16_sdwa s[6:7], v6, s4 src0_sel:BYTE_0 src1_sel:DWORD
	s_mov_b64 s[4:5], 0
                                        ; implicit-def: $sgpr10
	s_and_saveexec_b64 s[8:9], s[6:7]
	s_xor_b64 s[6:7], exec, s[8:9]
	s_cbranch_execnz .LBB14_2733
; %bb.685:
	s_or_saveexec_b64 s[6:7], s[6:7]
	v_mov_b32_e32 v12, s10
	s_xor_b64 exec, exec, s[6:7]
	s_cbranch_execnz .LBB14_2736
.LBB14_686:
	s_or_b64 exec, exec, s[6:7]
	s_and_saveexec_b64 s[6:7], s[4:5]
	s_cbranch_execz .LBB14_688
.LBB14_687:
	v_bfe_u32 v12, v3, 8, 3
	v_ffbh_u32_e32 v14, v12
	v_min_u32_e32 v14, 32, v14
	v_lshrrev_b16_e32 v13, 3, v6
	v_subrev_u32_e32 v15, 28, v14
	v_and_b32_e32 v13, 15, v13
	v_lshlrev_b32_e32 v6, v15, v6
	v_sub_u32_e32 v14, 29, v14
	v_and_b32_e32 v6, 7, v6
	v_cmp_eq_u16_e32 vcc, 0, v13
	v_cndmask_b32_e32 v6, v12, v6, vcc
	v_cndmask_b32_e32 v12, v13, v14, vcc
	v_lshlrev_b32_e32 v13, 16, v3
	v_mov_b32_e32 v14, 0x3b800000
	v_lshlrev_b32_e32 v6, 20, v6
	v_and_b32_e32 v13, 0x80000000, v13
	v_lshl_add_u32 v12, v12, 23, v14
	v_or3_b32 v12, v13, v12, v6
.LBB14_688:
	s_or_b64 exec, exec, s[6:7]
	s_nop 0
	v_mfma_f32_16x16x4f32 a[0:3], v2, v12, a[0:3]
	s_movk_i32 s4, 0xff
	v_and_b32_sdwa v6, v7, s4 dst_sel:DWORD dst_unused:UNUSED_PAD src0_sel:WORD_1 src1_sel:DWORD
	s_movk_i32 s4, 0x7f
	v_cmp_lt_i16_e32 vcc, s4, v6
	s_mov_b64 s[4:5], 0
                                        ; implicit-def: $sgpr10
	s_and_saveexec_b64 s[6:7], vcc
	s_xor_b64 s[6:7], exec, s[6:7]
	s_cbranch_execnz .LBB14_2737
; %bb.689:
	s_or_saveexec_b64 s[6:7], s[6:7]
	v_mov_b32_e32 v2, s10
	s_xor_b64 exec, exec, s[6:7]
	s_cbranch_execnz .LBB14_2740
.LBB14_690:
	s_or_b64 exec, exec, s[6:7]
	s_and_saveexec_b64 s[6:7], s[4:5]
	s_cbranch_execz .LBB14_692
.LBB14_691:
	v_bfe_u32 v2, v7, 16, 3
	v_ffbh_u32_e32 v13, v2
	v_min_u32_e32 v13, 32, v13
	v_lshrrev_b32_e32 v6, 19, v7
	v_subrev_u32_e32 v14, 28, v13
	v_and_b32_e32 v6, 15, v6
	v_lshlrev_b32_sdwa v14, v14, v7 dst_sel:DWORD dst_unused:UNUSED_PAD src0_sel:DWORD src1_sel:WORD_1
	v_bfe_u32 v12, v7, 19, 4
	v_sub_u32_e32 v13, 29, v13
	v_and_b32_e32 v14, 7, v14
	v_cmp_eq_u16_e32 vcc, 0, v6
	v_cndmask_b32_e32 v2, v2, v14, vcc
	v_cndmask_b32_e32 v6, v12, v13, vcc
	v_lshlrev_b32_e32 v12, 8, v7
	v_mov_b32_e32 v13, 0x3b800000
	v_lshlrev_b32_e32 v2, 20, v2
	v_and_b32_e32 v12, 0x80000000, v12
	v_lshl_add_u32 v6, v6, 23, v13
	v_or3_b32 v2, v12, v6, v2
.LBB14_692:
	s_or_b64 exec, exec, s[6:7]
	s_movk_i32 s4, 0xff
	v_and_b32_sdwa v6, v3, s4 dst_sel:DWORD dst_unused:UNUSED_PAD src0_sel:WORD_1 src1_sel:DWORD
	s_movk_i32 s4, 0x7f
	v_cmp_lt_i16_e32 vcc, s4, v6
	s_mov_b64 s[4:5], 0
                                        ; implicit-def: $sgpr10
	s_and_saveexec_b64 s[6:7], vcc
	s_xor_b64 s[6:7], exec, s[6:7]
	s_cbranch_execnz .LBB14_2741
; %bb.693:
	s_or_saveexec_b64 s[6:7], s[6:7]
	v_mov_b32_e32 v12, s10
	s_xor_b64 exec, exec, s[6:7]
	s_cbranch_execnz .LBB14_2744
.LBB14_694:
	s_or_b64 exec, exec, s[6:7]
	s_and_saveexec_b64 s[6:7], s[4:5]
	s_cbranch_execz .LBB14_696
.LBB14_695:
	v_bfe_u32 v6, v3, 16, 3
	v_ffbh_u32_e32 v14, v6
	v_min_u32_e32 v14, 32, v14
	v_lshrrev_b32_e32 v12, 19, v3
	v_subrev_u32_e32 v15, 28, v14
	v_and_b32_e32 v12, 15, v12
	v_lshlrev_b32_sdwa v15, v15, v3 dst_sel:DWORD dst_unused:UNUSED_PAD src0_sel:DWORD src1_sel:WORD_1
	v_bfe_u32 v13, v3, 19, 4
	v_sub_u32_e32 v14, 29, v14
	v_and_b32_e32 v15, 7, v15
	v_cmp_eq_u16_e32 vcc, 0, v12
	v_cndmask_b32_e32 v6, v6, v15, vcc
	v_cndmask_b32_e32 v12, v13, v14, vcc
	v_lshlrev_b32_e32 v13, 8, v3
	v_mov_b32_e32 v14, 0x3b800000
	v_lshlrev_b32_e32 v6, 20, v6
	v_and_b32_e32 v13, 0x80000000, v13
	v_lshl_add_u32 v12, v12, 23, v14
	v_or3_b32 v12, v13, v12, v6
.LBB14_696:
	s_or_b64 exec, exec, s[6:7]
	s_nop 0
	v_mfma_f32_16x16x4f32 a[0:3], v2, v12, a[0:3]
	s_movk_i32 s4, 0x7f
	v_cmp_gt_i16_sdwa s[6:7], v7, s4 src0_sel:BYTE_3 src1_sel:DWORD
	s_mov_b64 s[4:5], 0
                                        ; implicit-def: $sgpr10
	s_and_saveexec_b64 s[8:9], s[6:7]
	s_xor_b64 s[6:7], exec, s[8:9]
	s_cbranch_execnz .LBB14_2745
; %bb.697:
	s_or_saveexec_b64 s[6:7], s[6:7]
	v_mov_b32_e32 v2, s10
	s_xor_b64 exec, exec, s[6:7]
	s_cbranch_execnz .LBB14_2748
.LBB14_698:
	s_or_b64 exec, exec, s[6:7]
	s_and_saveexec_b64 s[6:7], s[4:5]
	s_cbranch_execz .LBB14_700
.LBB14_699:
	v_bfe_u32 v2, v7, 24, 3
	v_ffbh_u32_e32 v14, v2
	v_min_u32_e32 v14, 32, v14
	v_lshrrev_b32_e32 v12, 27, v7
	v_subrev_u32_e32 v15, 28, v14
	v_and_b32_e32 v6, 0x80000000, v7
	v_and_b32_e32 v12, 15, v12
	v_bfe_u32 v13, v7, 27, 4
	v_lshlrev_b32_sdwa v7, v15, v7 dst_sel:DWORD dst_unused:UNUSED_PAD src0_sel:DWORD src1_sel:BYTE_3
	v_sub_u32_e32 v14, 29, v14
	v_and_b32_e32 v7, 7, v7
	v_cmp_eq_u16_e32 vcc, 0, v12
	v_cndmask_b32_e32 v2, v2, v7, vcc
	v_cndmask_b32_e32 v7, v13, v14, vcc
	v_mov_b32_e32 v12, 0x3b800000
	v_lshlrev_b32_e32 v2, 20, v2
	v_lshl_add_u32 v7, v7, 23, v12
	v_or3_b32 v2, v6, v7, v2
.LBB14_700:
	s_or_b64 exec, exec, s[6:7]
	s_movk_i32 s4, 0x7f
	v_cmp_gt_i16_sdwa s[6:7], v3, s4 src0_sel:BYTE_3 src1_sel:DWORD
	s_mov_b64 s[4:5], 0
                                        ; implicit-def: $sgpr10
	s_and_saveexec_b64 s[8:9], s[6:7]
	s_xor_b64 s[6:7], exec, s[8:9]
	s_cbranch_execnz .LBB14_2749
; %bb.701:
	s_or_saveexec_b64 s[6:7], s[6:7]
	v_mov_b32_e32 v6, s10
	s_xor_b64 exec, exec, s[6:7]
	s_cbranch_execnz .LBB14_2752
.LBB14_702:
	s_or_b64 exec, exec, s[6:7]
	s_and_saveexec_b64 s[6:7], s[4:5]
	s_cbranch_execz .LBB14_704
.LBB14_703:
	v_bfe_u32 v6, v3, 24, 3
	v_ffbh_u32_e32 v14, v6
	v_min_u32_e32 v14, 32, v14
	v_lshrrev_b32_e32 v12, 27, v3
	v_subrev_u32_e32 v15, 28, v14
	v_and_b32_e32 v7, 0x80000000, v3
	v_and_b32_e32 v12, 15, v12
	v_bfe_u32 v13, v3, 27, 4
	v_lshlrev_b32_sdwa v3, v15, v3 dst_sel:DWORD dst_unused:UNUSED_PAD src0_sel:DWORD src1_sel:BYTE_3
	v_sub_u32_e32 v14, 29, v14
	v_and_b32_e32 v3, 7, v3
	v_cmp_eq_u16_e32 vcc, 0, v12
	v_cndmask_b32_e32 v3, v6, v3, vcc
	v_cndmask_b32_e32 v6, v13, v14, vcc
	v_mov_b32_e32 v12, 0x3b800000
	v_lshlrev_b32_e32 v3, 20, v3
	v_lshl_add_u32 v6, v6, 23, v12
	v_or3_b32 v6, v7, v6, v3
.LBB14_704:
	s_or_b64 exec, exec, s[6:7]
	s_nop 0
	v_mfma_f32_16x16x4f32 a[0:3], v2, v6, a[0:3]
	s_movk_i32 s4, 0x7f
	v_cmp_gt_i16_sdwa s[6:7], v8, s4 src0_sel:BYTE_0 src1_sel:DWORD
	s_mov_b64 s[4:5], 0
                                        ; implicit-def: $sgpr10
	s_and_saveexec_b64 s[8:9], s[6:7]
	s_xor_b64 s[6:7], exec, s[8:9]
	s_cbranch_execnz .LBB14_2753
; %bb.705:
	s_or_saveexec_b64 s[6:7], s[6:7]
	v_mov_b32_e32 v2, s10
	s_xor_b64 exec, exec, s[6:7]
	s_cbranch_execnz .LBB14_2756
.LBB14_706:
	s_or_b64 exec, exec, s[6:7]
	s_and_saveexec_b64 s[6:7], s[4:5]
	s_cbranch_execz .LBB14_708
.LBB14_707:
	v_and_b32_e32 v2, 7, v8
	v_ffbh_u32_e32 v6, v2
	v_min_u32_e32 v6, 32, v6
	v_lshrrev_b16_e32 v3, 3, v8
	v_subrev_u32_e32 v7, 28, v6
	v_and_b32_e32 v3, 15, v3
	v_lshlrev_b32_e32 v7, v7, v8
	v_sub_u32_e32 v6, 29, v6
	v_and_b32_e32 v7, 7, v7
	v_cmp_eq_u16_e32 vcc, 0, v3
	v_cndmask_b32_e32 v2, v2, v7, vcc
	v_cndmask_b32_e32 v3, v3, v6, vcc
	v_lshlrev_b32_e32 v6, 24, v8
	v_mov_b32_e32 v7, 0x3b800000
	v_lshlrev_b32_e32 v2, 20, v2
	v_and_b32_e32 v6, 0x80000000, v6
	v_lshl_add_u32 v3, v3, 23, v7
	v_or3_b32 v2, v6, v3, v2
.LBB14_708:
	s_or_b64 exec, exec, s[6:7]
	s_movk_i32 s4, 0x7f
	v_cmp_gt_i16_sdwa s[6:7], v4, s4 src0_sel:BYTE_0 src1_sel:DWORD
	s_mov_b64 s[4:5], 0
                                        ; implicit-def: $sgpr10
	s_and_saveexec_b64 s[8:9], s[6:7]
	s_xor_b64 s[6:7], exec, s[8:9]
	s_cbranch_execnz .LBB14_2757
; %bb.709:
	s_or_saveexec_b64 s[6:7], s[6:7]
	v_mov_b32_e32 v3, s10
	s_xor_b64 exec, exec, s[6:7]
	s_cbranch_execnz .LBB14_2760
.LBB14_710:
	s_or_b64 exec, exec, s[6:7]
	s_and_saveexec_b64 s[6:7], s[4:5]
	s_cbranch_execz .LBB14_712
.LBB14_711:
	v_and_b32_e32 v3, 7, v4
	v_ffbh_u32_e32 v7, v3
	v_min_u32_e32 v7, 32, v7
	v_lshrrev_b16_e32 v6, 3, v4
	v_subrev_u32_e32 v12, 28, v7
	v_and_b32_e32 v6, 15, v6
	v_lshlrev_b32_e32 v12, v12, v4
	v_sub_u32_e32 v7, 29, v7
	v_and_b32_e32 v12, 7, v12
	v_cmp_eq_u16_e32 vcc, 0, v6
	v_cndmask_b32_e32 v3, v3, v12, vcc
	v_cndmask_b32_e32 v6, v6, v7, vcc
	v_lshlrev_b32_e32 v7, 24, v4
	v_mov_b32_e32 v12, 0x3b800000
	v_lshlrev_b32_e32 v3, 20, v3
	v_and_b32_e32 v7, 0x80000000, v7
	v_lshl_add_u32 v6, v6, 23, v12
	v_or3_b32 v3, v7, v6, v3
.LBB14_712:
	s_or_b64 exec, exec, s[6:7]
	s_nop 0
	v_mfma_f32_16x16x4f32 a[0:3], v2, v3, a[0:3]
	v_lshrrev_b32_e32 v3, 8, v8
	s_movk_i32 s4, 0x7f
	v_cmp_gt_i16_sdwa s[6:7], v3, s4 src0_sel:BYTE_0 src1_sel:DWORD
	s_mov_b64 s[4:5], 0
                                        ; implicit-def: $sgpr10
	s_and_saveexec_b64 s[8:9], s[6:7]
	s_xor_b64 s[6:7], exec, s[8:9]
	s_cbranch_execnz .LBB14_2761
; %bb.713:
	s_or_saveexec_b64 s[6:7], s[6:7]
	v_mov_b32_e32 v2, s10
	s_xor_b64 exec, exec, s[6:7]
	s_cbranch_execnz .LBB14_2764
.LBB14_714:
	s_or_b64 exec, exec, s[6:7]
	s_and_saveexec_b64 s[6:7], s[4:5]
	s_cbranch_execz .LBB14_716
.LBB14_715:
	v_bfe_u32 v2, v8, 8, 3
	v_ffbh_u32_e32 v7, v2
	v_min_u32_e32 v7, 32, v7
	v_lshrrev_b16_e32 v6, 3, v3
	v_subrev_u32_e32 v12, 28, v7
	v_and_b32_e32 v6, 15, v6
	v_lshlrev_b32_e32 v3, v12, v3
	v_sub_u32_e32 v7, 29, v7
	v_and_b32_e32 v3, 7, v3
	v_cmp_eq_u16_e32 vcc, 0, v6
	v_cndmask_b32_e32 v2, v2, v3, vcc
	v_cndmask_b32_e32 v3, v6, v7, vcc
	v_lshlrev_b32_e32 v6, 16, v8
	v_mov_b32_e32 v7, 0x3b800000
	v_lshlrev_b32_e32 v2, 20, v2
	v_and_b32_e32 v6, 0x80000000, v6
	v_lshl_add_u32 v3, v3, 23, v7
	v_or3_b32 v2, v6, v3, v2
.LBB14_716:
	s_or_b64 exec, exec, s[6:7]
	v_lshrrev_b32_e32 v3, 8, v4
	s_movk_i32 s4, 0x7f
	v_cmp_gt_i16_sdwa s[6:7], v3, s4 src0_sel:BYTE_0 src1_sel:DWORD
	s_mov_b64 s[4:5], 0
                                        ; implicit-def: $sgpr10
	s_and_saveexec_b64 s[8:9], s[6:7]
	s_xor_b64 s[6:7], exec, s[8:9]
	s_cbranch_execnz .LBB14_2765
; %bb.717:
	s_or_saveexec_b64 s[6:7], s[6:7]
	v_mov_b32_e32 v6, s10
	s_xor_b64 exec, exec, s[6:7]
	s_cbranch_execnz .LBB14_2768
.LBB14_718:
	s_or_b64 exec, exec, s[6:7]
	s_and_saveexec_b64 s[6:7], s[4:5]
	s_cbranch_execz .LBB14_720
.LBB14_719:
	v_bfe_u32 v6, v4, 8, 3
	v_ffbh_u32_e32 v12, v6
	v_min_u32_e32 v12, 32, v12
	v_lshrrev_b16_e32 v7, 3, v3
	v_subrev_u32_e32 v13, 28, v12
	v_and_b32_e32 v7, 15, v7
	v_lshlrev_b32_e32 v3, v13, v3
	v_sub_u32_e32 v12, 29, v12
	v_and_b32_e32 v3, 7, v3
	v_cmp_eq_u16_e32 vcc, 0, v7
	v_cndmask_b32_e32 v3, v6, v3, vcc
	v_cndmask_b32_e32 v6, v7, v12, vcc
	v_lshlrev_b32_e32 v7, 16, v4
	v_mov_b32_e32 v12, 0x3b800000
	v_lshlrev_b32_e32 v3, 20, v3
	v_and_b32_e32 v7, 0x80000000, v7
	v_lshl_add_u32 v6, v6, 23, v12
	v_or3_b32 v6, v7, v6, v3
.LBB14_720:
	s_or_b64 exec, exec, s[6:7]
	s_nop 0
	v_mfma_f32_16x16x4f32 a[0:3], v2, v6, a[0:3]
	s_movk_i32 s4, 0xff
	v_and_b32_sdwa v3, v8, s4 dst_sel:DWORD dst_unused:UNUSED_PAD src0_sel:WORD_1 src1_sel:DWORD
	s_movk_i32 s4, 0x7f
	v_cmp_lt_i16_e32 vcc, s4, v3
	s_mov_b64 s[4:5], 0
                                        ; implicit-def: $sgpr10
	s_and_saveexec_b64 s[6:7], vcc
	s_xor_b64 s[6:7], exec, s[6:7]
	s_cbranch_execnz .LBB14_2769
; %bb.721:
	s_or_saveexec_b64 s[6:7], s[6:7]
	v_mov_b32_e32 v2, s10
	s_xor_b64 exec, exec, s[6:7]
	s_cbranch_execnz .LBB14_2772
.LBB14_722:
	s_or_b64 exec, exec, s[6:7]
	s_and_saveexec_b64 s[6:7], s[4:5]
	s_cbranch_execz .LBB14_724
.LBB14_723:
	v_bfe_u32 v2, v8, 16, 3
	v_ffbh_u32_e32 v7, v2
	v_min_u32_e32 v7, 32, v7
	v_lshrrev_b32_e32 v3, 19, v8
	v_subrev_u32_e32 v12, 28, v7
	v_and_b32_e32 v3, 15, v3
	v_lshlrev_b32_sdwa v12, v12, v8 dst_sel:DWORD dst_unused:UNUSED_PAD src0_sel:DWORD src1_sel:WORD_1
	v_bfe_u32 v6, v8, 19, 4
	v_sub_u32_e32 v7, 29, v7
	v_and_b32_e32 v12, 7, v12
	v_cmp_eq_u16_e32 vcc, 0, v3
	v_cndmask_b32_e32 v2, v2, v12, vcc
	v_cndmask_b32_e32 v3, v6, v7, vcc
	v_lshlrev_b32_e32 v6, 8, v8
	v_mov_b32_e32 v7, 0x3b800000
	v_lshlrev_b32_e32 v2, 20, v2
	v_and_b32_e32 v6, 0x80000000, v6
	v_lshl_add_u32 v3, v3, 23, v7
	v_or3_b32 v2, v6, v3, v2
.LBB14_724:
	s_or_b64 exec, exec, s[6:7]
	s_movk_i32 s4, 0xff
	v_and_b32_sdwa v3, v4, s4 dst_sel:DWORD dst_unused:UNUSED_PAD src0_sel:WORD_1 src1_sel:DWORD
	s_movk_i32 s4, 0x7f
	v_cmp_lt_i16_e32 vcc, s4, v3
	s_mov_b64 s[4:5], 0
                                        ; implicit-def: $sgpr10
	s_and_saveexec_b64 s[6:7], vcc
	s_xor_b64 s[6:7], exec, s[6:7]
	s_cbranch_execnz .LBB14_2773
; %bb.725:
	s_or_saveexec_b64 s[6:7], s[6:7]
	v_mov_b32_e32 v6, s10
	s_xor_b64 exec, exec, s[6:7]
	s_cbranch_execnz .LBB14_2776
.LBB14_726:
	s_or_b64 exec, exec, s[6:7]
	s_and_saveexec_b64 s[6:7], s[4:5]
	s_cbranch_execz .LBB14_728
.LBB14_727:
	v_bfe_u32 v3, v4, 16, 3
	v_ffbh_u32_e32 v12, v3
	v_min_u32_e32 v12, 32, v12
	v_lshrrev_b32_e32 v6, 19, v4
	v_subrev_u32_e32 v13, 28, v12
	v_and_b32_e32 v6, 15, v6
	v_lshlrev_b32_sdwa v13, v13, v4 dst_sel:DWORD dst_unused:UNUSED_PAD src0_sel:DWORD src1_sel:WORD_1
	v_bfe_u32 v7, v4, 19, 4
	v_sub_u32_e32 v12, 29, v12
	v_and_b32_e32 v13, 7, v13
	v_cmp_eq_u16_e32 vcc, 0, v6
	v_cndmask_b32_e32 v3, v3, v13, vcc
	v_cndmask_b32_e32 v6, v7, v12, vcc
	v_lshlrev_b32_e32 v7, 8, v4
	v_mov_b32_e32 v12, 0x3b800000
	v_lshlrev_b32_e32 v3, 20, v3
	v_and_b32_e32 v7, 0x80000000, v7
	v_lshl_add_u32 v6, v6, 23, v12
	v_or3_b32 v6, v7, v6, v3
.LBB14_728:
	s_or_b64 exec, exec, s[6:7]
	s_nop 0
	v_mfma_f32_16x16x4f32 a[0:3], v2, v6, a[0:3]
	s_movk_i32 s4, 0x7f
	v_cmp_gt_i16_sdwa s[6:7], v8, s4 src0_sel:BYTE_3 src1_sel:DWORD
	s_mov_b64 s[4:5], 0
                                        ; implicit-def: $sgpr10
	s_and_saveexec_b64 s[8:9], s[6:7]
	s_xor_b64 s[6:7], exec, s[8:9]
	s_cbranch_execnz .LBB14_2777
; %bb.729:
	s_or_saveexec_b64 s[6:7], s[6:7]
	v_mov_b32_e32 v2, s10
	s_xor_b64 exec, exec, s[6:7]
	s_cbranch_execnz .LBB14_2780
.LBB14_730:
	s_or_b64 exec, exec, s[6:7]
	s_and_saveexec_b64 s[6:7], s[4:5]
	s_cbranch_execz .LBB14_732
.LBB14_731:
	v_bfe_u32 v2, v8, 24, 3
	v_ffbh_u32_e32 v12, v2
	v_min_u32_e32 v12, 32, v12
	v_lshrrev_b32_e32 v6, 27, v8
	v_subrev_u32_e32 v13, 28, v12
	v_and_b32_e32 v3, 0x80000000, v8
	v_and_b32_e32 v6, 15, v6
	v_bfe_u32 v7, v8, 27, 4
	v_lshlrev_b32_sdwa v8, v13, v8 dst_sel:DWORD dst_unused:UNUSED_PAD src0_sel:DWORD src1_sel:BYTE_3
	v_sub_u32_e32 v12, 29, v12
	v_and_b32_e32 v8, 7, v8
	v_cmp_eq_u16_e32 vcc, 0, v6
	v_cndmask_b32_e32 v2, v2, v8, vcc
	v_cndmask_b32_e32 v6, v7, v12, vcc
	v_mov_b32_e32 v7, 0x3b800000
	v_lshlrev_b32_e32 v2, 20, v2
	v_lshl_add_u32 v6, v6, 23, v7
	v_or3_b32 v2, v3, v6, v2
.LBB14_732:
	s_or_b64 exec, exec, s[6:7]
	s_movk_i32 s4, 0x7f
	v_cmp_gt_i16_sdwa s[6:7], v4, s4 src0_sel:BYTE_3 src1_sel:DWORD
	s_mov_b64 s[4:5], 0
                                        ; implicit-def: $sgpr10
	s_and_saveexec_b64 s[8:9], s[6:7]
	s_xor_b64 s[6:7], exec, s[8:9]
	s_cbranch_execnz .LBB14_2781
; %bb.733:
	s_or_saveexec_b64 s[6:7], s[6:7]
	v_mov_b32_e32 v3, s10
	s_xor_b64 exec, exec, s[6:7]
	s_cbranch_execnz .LBB14_2784
.LBB14_734:
	s_or_b64 exec, exec, s[6:7]
	s_and_saveexec_b64 s[6:7], s[4:5]
	s_cbranch_execz .LBB14_736
.LBB14_735:
	v_bfe_u32 v3, v4, 24, 3
	v_ffbh_u32_e32 v12, v3
	v_min_u32_e32 v12, 32, v12
	v_lshrrev_b32_e32 v7, 27, v4
	v_subrev_u32_e32 v13, 28, v12
	v_and_b32_e32 v6, 0x80000000, v4
	v_and_b32_e32 v7, 15, v7
	v_bfe_u32 v8, v4, 27, 4
	v_lshlrev_b32_sdwa v4, v13, v4 dst_sel:DWORD dst_unused:UNUSED_PAD src0_sel:DWORD src1_sel:BYTE_3
	v_sub_u32_e32 v12, 29, v12
	v_and_b32_e32 v4, 7, v4
	v_cmp_eq_u16_e32 vcc, 0, v7
	v_cndmask_b32_e32 v3, v3, v4, vcc
	v_cndmask_b32_e32 v4, v8, v12, vcc
	v_mov_b32_e32 v7, 0x3b800000
	v_lshlrev_b32_e32 v3, 20, v3
	v_lshl_add_u32 v4, v4, 23, v7
	v_or3_b32 v3, v6, v4, v3
.LBB14_736:
	s_or_b64 exec, exec, s[6:7]
	s_nop 0
	v_mfma_f32_16x16x4f32 a[0:3], v2, v3, a[0:3]
	s_movk_i32 s4, 0x7f
	v_cmp_gt_i16_sdwa s[6:7], v9, s4 src0_sel:BYTE_0 src1_sel:DWORD
	s_mov_b64 s[4:5], 0
                                        ; implicit-def: $sgpr10
	s_and_saveexec_b64 s[8:9], s[6:7]
	s_xor_b64 s[6:7], exec, s[8:9]
	s_cbranch_execnz .LBB14_2785
; %bb.737:
	s_or_saveexec_b64 s[6:7], s[6:7]
	v_mov_b32_e32 v2, s10
	s_xor_b64 exec, exec, s[6:7]
	s_cbranch_execnz .LBB14_2788
.LBB14_738:
	s_or_b64 exec, exec, s[6:7]
	s_and_saveexec_b64 s[6:7], s[4:5]
	s_cbranch_execz .LBB14_740
.LBB14_739:
	v_mov_b32_e32 v2, 8
	v_and_b32_e32 v3, 7, v9
	v_lshrrev_b32_sdwa v2, v2, v9 dst_sel:BYTE_1 dst_unused:UNUSED_PAD src0_sel:DWORD src1_sel:DWORD
	v_ffbh_u32_e32 v4, v3
	v_or_b32_sdwa v2, v9, v2 dst_sel:DWORD dst_unused:UNUSED_PAD src0_sel:BYTE_0 src1_sel:DWORD
	v_min_u32_e32 v4, 32, v4
	v_lshrrev_b16_e32 v2, 3, v2
	v_subrev_u32_e32 v6, 28, v4
	v_and_b32_e32 v2, 15, v2
	v_lshlrev_b32_e32 v6, v6, v9
	v_sub_u32_e32 v4, 29, v4
	v_and_b32_e32 v6, 7, v6
	v_cmp_eq_u16_e32 vcc, 0, v2
	v_cndmask_b32_e32 v3, v3, v6, vcc
	v_cndmask_b32_e32 v2, v2, v4, vcc
	v_lshlrev_b32_e32 v4, 24, v9
	v_mov_b32_e32 v6, 0x3b800000
	v_lshlrev_b32_e32 v3, 20, v3
	v_and_b32_e32 v4, 0x80000000, v4
	v_lshl_add_u32 v2, v2, 23, v6
	v_or3_b32 v2, v4, v2, v3
.LBB14_740:
	s_or_b64 exec, exec, s[6:7]
	s_movk_i32 s4, 0x7f
	v_cmp_gt_i16_sdwa s[6:7], v5, s4 src0_sel:BYTE_0 src1_sel:DWORD
	s_mov_b64 s[4:5], 0
                                        ; implicit-def: $sgpr10
	s_and_saveexec_b64 s[8:9], s[6:7]
	s_xor_b64 s[6:7], exec, s[8:9]
	s_cbranch_execnz .LBB14_2789
; %bb.741:
	s_or_saveexec_b64 s[6:7], s[6:7]
	v_mov_b32_e32 v3, s10
	s_xor_b64 exec, exec, s[6:7]
	s_cbranch_execnz .LBB14_2792
.LBB14_742:
	s_or_b64 exec, exec, s[6:7]
	s_and_saveexec_b64 s[6:7], s[4:5]
	s_cbranch_execz .LBB14_744
.LBB14_743:
	v_mov_b32_e32 v3, 8
	v_and_b32_e32 v4, 7, v5
	v_lshrrev_b32_sdwa v3, v3, v5 dst_sel:BYTE_1 dst_unused:UNUSED_PAD src0_sel:DWORD src1_sel:DWORD
	v_ffbh_u32_e32 v6, v4
	v_or_b32_sdwa v3, v5, v3 dst_sel:DWORD dst_unused:UNUSED_PAD src0_sel:BYTE_0 src1_sel:DWORD
	v_min_u32_e32 v6, 32, v6
	v_lshrrev_b16_e32 v3, 3, v3
	v_subrev_u32_e32 v7, 28, v6
	v_and_b32_e32 v3, 15, v3
	v_lshlrev_b32_e32 v7, v7, v5
	v_sub_u32_e32 v6, 29, v6
	v_and_b32_e32 v7, 7, v7
	v_cmp_eq_u16_e32 vcc, 0, v3
	v_cndmask_b32_e32 v4, v4, v7, vcc
	v_cndmask_b32_e32 v3, v3, v6, vcc
	v_lshlrev_b32_e32 v6, 24, v5
	v_mov_b32_e32 v7, 0x3b800000
	v_lshlrev_b32_e32 v4, 20, v4
	v_and_b32_e32 v6, 0x80000000, v6
	v_lshl_add_u32 v3, v3, 23, v7
	v_or3_b32 v3, v6, v3, v4
.LBB14_744:
	s_or_b64 exec, exec, s[6:7]
	s_nop 0
	v_mfma_f32_16x16x4f32 a[0:3], v2, v3, a[0:3]
	v_lshrrev_b32_e32 v3, 8, v9
	s_movk_i32 s4, 0x7f
	v_cmp_gt_i16_sdwa s[6:7], v3, s4 src0_sel:BYTE_0 src1_sel:DWORD
	s_mov_b64 s[4:5], 0
                                        ; implicit-def: $sgpr10
	s_and_saveexec_b64 s[8:9], s[6:7]
	s_xor_b64 s[6:7], exec, s[8:9]
	s_cbranch_execnz .LBB14_2793
; %bb.745:
	s_or_saveexec_b64 s[6:7], s[6:7]
	v_mov_b32_e32 v2, s10
	s_xor_b64 exec, exec, s[6:7]
	s_cbranch_execnz .LBB14_2796
.LBB14_746:
	s_or_b64 exec, exec, s[6:7]
	s_and_saveexec_b64 s[6:7], s[4:5]
	s_cbranch_execz .LBB14_748
.LBB14_747:
	v_bfe_u32 v2, v9, 8, 3
	v_ffbh_u32_e32 v6, v2
	v_min_u32_e32 v6, 32, v6
	v_lshrrev_b16_e32 v4, 3, v3
	v_subrev_u32_e32 v7, 28, v6
	v_and_b32_e32 v4, 15, v4
	v_lshlrev_b32_e32 v3, v7, v3
	v_sub_u32_e32 v6, 29, v6
	v_and_b32_e32 v3, 7, v3
	v_cmp_eq_u16_e32 vcc, 0, v4
	v_cndmask_b32_e32 v2, v2, v3, vcc
	v_cndmask_b32_e32 v3, v4, v6, vcc
	v_lshlrev_b32_e32 v4, 16, v9
	v_mov_b32_e32 v6, 0x3b800000
	v_lshlrev_b32_e32 v2, 20, v2
	v_and_b32_e32 v4, 0x80000000, v4
	v_lshl_add_u32 v3, v3, 23, v6
	v_or3_b32 v2, v4, v3, v2
.LBB14_748:
	s_or_b64 exec, exec, s[6:7]
	v_lshrrev_b32_e32 v3, 8, v5
	s_movk_i32 s4, 0x7f
	v_cmp_gt_i16_sdwa s[6:7], v3, s4 src0_sel:BYTE_0 src1_sel:DWORD
	s_mov_b64 s[4:5], 0
                                        ; implicit-def: $sgpr10
	s_and_saveexec_b64 s[8:9], s[6:7]
	s_xor_b64 s[6:7], exec, s[8:9]
	s_cbranch_execnz .LBB14_2797
; %bb.749:
	s_or_saveexec_b64 s[6:7], s[6:7]
	v_mov_b32_e32 v4, s10
	s_xor_b64 exec, exec, s[6:7]
	s_cbranch_execnz .LBB14_2800
.LBB14_750:
	s_or_b64 exec, exec, s[6:7]
	s_and_saveexec_b64 s[6:7], s[4:5]
	s_cbranch_execz .LBB14_752
.LBB14_751:
	v_bfe_u32 v4, v5, 8, 3
	v_ffbh_u32_e32 v7, v4
	v_min_u32_e32 v7, 32, v7
	v_lshrrev_b16_e32 v6, 3, v3
	v_subrev_u32_e32 v8, 28, v7
	v_and_b32_e32 v6, 15, v6
	v_lshlrev_b32_e32 v3, v8, v3
	v_sub_u32_e32 v7, 29, v7
	v_and_b32_e32 v3, 7, v3
	v_cmp_eq_u16_e32 vcc, 0, v6
	v_cndmask_b32_e32 v3, v4, v3, vcc
	v_cndmask_b32_e32 v4, v6, v7, vcc
	v_lshlrev_b32_e32 v6, 16, v5
	v_mov_b32_e32 v7, 0x3b800000
	v_lshlrev_b32_e32 v3, 20, v3
	v_and_b32_e32 v6, 0x80000000, v6
	v_lshl_add_u32 v4, v4, 23, v7
	v_or3_b32 v4, v6, v4, v3
.LBB14_752:
	s_or_b64 exec, exec, s[6:7]
	s_nop 0
	v_mfma_f32_16x16x4f32 a[0:3], v2, v4, a[0:3]
	s_movk_i32 s4, 0xff
	v_and_b32_sdwa v3, v9, s4 dst_sel:DWORD dst_unused:UNUSED_PAD src0_sel:WORD_1 src1_sel:DWORD
	s_movk_i32 s4, 0x7f
	v_cmp_lt_i16_e32 vcc, s4, v3
	s_mov_b64 s[4:5], 0
                                        ; implicit-def: $sgpr10
	s_and_saveexec_b64 s[6:7], vcc
	s_xor_b64 s[6:7], exec, s[6:7]
	s_cbranch_execnz .LBB14_2801
; %bb.753:
	s_or_saveexec_b64 s[6:7], s[6:7]
	v_mov_b32_e32 v2, s10
	s_xor_b64 exec, exec, s[6:7]
	s_cbranch_execnz .LBB14_2804
.LBB14_754:
	s_or_b64 exec, exec, s[6:7]
	s_and_saveexec_b64 s[6:7], s[4:5]
	s_cbranch_execz .LBB14_756
.LBB14_755:
	v_bfe_u32 v2, v9, 16, 3
	v_ffbh_u32_e32 v6, v2
	v_min_u32_e32 v6, 32, v6
	v_lshrrev_b32_e32 v3, 19, v9
	v_subrev_u32_e32 v7, 28, v6
	v_and_b32_e32 v3, 15, v3
	v_lshlrev_b32_sdwa v7, v7, v9 dst_sel:DWORD dst_unused:UNUSED_PAD src0_sel:DWORD src1_sel:WORD_1
	v_bfe_u32 v4, v9, 19, 4
	v_sub_u32_e32 v6, 29, v6
	v_and_b32_e32 v7, 7, v7
	v_cmp_eq_u16_e32 vcc, 0, v3
	v_cndmask_b32_e32 v2, v2, v7, vcc
	v_cndmask_b32_e32 v3, v4, v6, vcc
	v_lshlrev_b32_e32 v4, 8, v9
	v_mov_b32_e32 v6, 0x3b800000
	v_lshlrev_b32_e32 v2, 20, v2
	v_and_b32_e32 v4, 0x80000000, v4
	v_lshl_add_u32 v3, v3, 23, v6
	v_or3_b32 v2, v4, v3, v2
.LBB14_756:
	s_or_b64 exec, exec, s[6:7]
	s_movk_i32 s4, 0xff
	v_and_b32_sdwa v3, v5, s4 dst_sel:DWORD dst_unused:UNUSED_PAD src0_sel:WORD_1 src1_sel:DWORD
	s_movk_i32 s4, 0x7f
	v_cmp_lt_i16_e32 vcc, s4, v3
	s_mov_b64 s[4:5], 0
                                        ; implicit-def: $sgpr10
	s_and_saveexec_b64 s[6:7], vcc
	s_xor_b64 s[6:7], exec, s[6:7]
	s_cbranch_execnz .LBB14_2805
; %bb.757:
	s_or_saveexec_b64 s[6:7], s[6:7]
	v_mov_b32_e32 v4, s10
	s_xor_b64 exec, exec, s[6:7]
	s_cbranch_execnz .LBB14_2808
.LBB14_758:
	s_or_b64 exec, exec, s[6:7]
	s_and_saveexec_b64 s[6:7], s[4:5]
	s_cbranch_execz .LBB14_760
.LBB14_759:
	v_bfe_u32 v3, v5, 16, 3
	v_ffbh_u32_e32 v7, v3
	v_min_u32_e32 v7, 32, v7
	v_lshrrev_b32_e32 v4, 19, v5
	v_subrev_u32_e32 v8, 28, v7
	v_and_b32_e32 v4, 15, v4
	v_lshlrev_b32_sdwa v8, v8, v5 dst_sel:DWORD dst_unused:UNUSED_PAD src0_sel:DWORD src1_sel:WORD_1
	v_bfe_u32 v6, v5, 19, 4
	v_sub_u32_e32 v7, 29, v7
	v_and_b32_e32 v8, 7, v8
	v_cmp_eq_u16_e32 vcc, 0, v4
	v_cndmask_b32_e32 v3, v3, v8, vcc
	v_cndmask_b32_e32 v4, v6, v7, vcc
	v_lshlrev_b32_e32 v6, 8, v5
	v_mov_b32_e32 v7, 0x3b800000
	v_lshlrev_b32_e32 v3, 20, v3
	v_and_b32_e32 v6, 0x80000000, v6
	v_lshl_add_u32 v4, v4, 23, v7
	v_or3_b32 v4, v6, v4, v3
.LBB14_760:
	s_or_b64 exec, exec, s[6:7]
	s_nop 0
	v_mfma_f32_16x16x4f32 a[0:3], v2, v4, a[0:3]
	s_movk_i32 s4, 0x7f
	v_cmp_gt_i16_sdwa s[6:7], v9, s4 src0_sel:BYTE_3 src1_sel:DWORD
	s_mov_b64 s[4:5], 0
                                        ; implicit-def: $sgpr10
	s_and_saveexec_b64 s[8:9], s[6:7]
	s_xor_b64 s[6:7], exec, s[8:9]
	s_cbranch_execnz .LBB14_2809
; %bb.761:
	s_or_saveexec_b64 s[6:7], s[6:7]
	v_mov_b32_e32 v2, s10
	s_xor_b64 exec, exec, s[6:7]
	s_cbranch_execnz .LBB14_2812
.LBB14_762:
	s_or_b64 exec, exec, s[6:7]
	s_and_saveexec_b64 s[6:7], s[4:5]
	s_cbranch_execz .LBB14_764
.LBB14_763:
	v_bfe_u32 v2, v9, 24, 3
	v_ffbh_u32_e32 v7, v2
	v_min_u32_e32 v7, 32, v7
	v_lshrrev_b32_e32 v4, 27, v9
	v_subrev_u32_e32 v8, 28, v7
	v_and_b32_e32 v4, 15, v4
	v_lshlrev_b32_sdwa v8, v8, v9 dst_sel:DWORD dst_unused:UNUSED_PAD src0_sel:DWORD src1_sel:BYTE_3
	v_bfe_u32 v6, v9, 27, 4
	v_sub_u32_e32 v7, 29, v7
	v_and_b32_e32 v8, 7, v8
	v_cmp_eq_u16_e32 vcc, 0, v4
	v_cndmask_b32_e32 v2, v2, v8, vcc
	v_cndmask_b32_e32 v4, v6, v7, vcc
	v_mov_b32_e32 v6, 0x3b800000
	v_and_b32_e32 v3, 0x80000000, v9
	v_lshlrev_b32_e32 v2, 20, v2
	v_lshl_add_u32 v4, v4, 23, v6
	v_or3_b32 v2, v3, v4, v2
.LBB14_764:
	s_or_b64 exec, exec, s[6:7]
	s_movk_i32 s4, 0x7f
	v_cmp_gt_i16_sdwa s[6:7], v5, s4 src0_sel:BYTE_3 src1_sel:DWORD
	s_mov_b64 s[4:5], 0
                                        ; implicit-def: $sgpr10
	s_and_saveexec_b64 s[8:9], s[6:7]
	s_xor_b64 s[6:7], exec, s[8:9]
	s_cbranch_execnz .LBB14_2813
; %bb.765:
	s_or_saveexec_b64 s[6:7], s[6:7]
	v_mov_b32_e32 v3, s10
	s_xor_b64 exec, exec, s[6:7]
	s_cbranch_execnz .LBB14_2816
.LBB14_766:
	s_or_b64 exec, exec, s[6:7]
	s_and_saveexec_b64 s[6:7], s[4:5]
	s_cbranch_execz .LBB14_768
.LBB14_767:
	v_bfe_u32 v3, v5, 24, 3
	v_ffbh_u32_e32 v8, v3
	v_min_u32_e32 v8, 32, v8
	v_lshrrev_b32_e32 v6, 27, v5
	v_subrev_u32_e32 v9, 28, v8
	v_and_b32_e32 v4, 0x80000000, v5
	v_and_b32_e32 v6, 15, v6
	v_bfe_u32 v7, v5, 27, 4
	v_lshlrev_b32_sdwa v5, v9, v5 dst_sel:DWORD dst_unused:UNUSED_PAD src0_sel:DWORD src1_sel:BYTE_3
	v_sub_u32_e32 v8, 29, v8
	v_and_b32_e32 v5, 7, v5
	v_cmp_eq_u16_e32 vcc, 0, v6
	v_cndmask_b32_e32 v3, v3, v5, vcc
	v_cndmask_b32_e32 v5, v7, v8, vcc
	v_mov_b32_e32 v6, 0x3b800000
	v_lshlrev_b32_e32 v3, 20, v3
	v_lshl_add_u32 v5, v5, 23, v6
	v_or3_b32 v3, v4, v5, v3
.LBB14_768:
	s_or_b64 exec, exec, s[6:7]
	s_nop 0
	v_mfma_f32_16x16x4f32 a[0:3], v2, v3, a[0:3]
	s_movk_i32 s4, 0x7f
                                        ; implicit-def: $sgpr10
	s_nop 7
	s_nop 1
	flat_store_dwordx4 v[10:11], a[0:3] offset:80
	flat_load_dwordx4 v[12:15], v[0:1] offset:8
	s_nop 0
	flat_load_dwordx2 v[10:11], v[0:1] offset:32
	s_waitcnt vmcnt(0) lgkmcnt(0)
	flat_load_dwordx4 v[6:9], v[12:13] offset:32
	flat_load_dwordx4 v[2:5], v[14:15] offset:64
	s_waitcnt vmcnt(0) lgkmcnt(0)
	v_cmp_gt_i16_sdwa s[6:7], v6, s4 src0_sel:BYTE_0 src1_sel:DWORD
	s_mov_b64 s[4:5], 0
	s_and_saveexec_b64 s[8:9], s[6:7]
	s_xor_b64 s[6:7], exec, s[8:9]
	s_cbranch_execnz .LBB14_2817
; %bb.769:
	s_or_saveexec_b64 s[6:7], s[6:7]
	v_mov_b32_e32 v12, s10
	s_xor_b64 exec, exec, s[6:7]
	s_cbranch_execnz .LBB14_2820
.LBB14_770:
	s_or_b64 exec, exec, s[6:7]
	s_and_saveexec_b64 s[6:7], s[4:5]
	s_cbranch_execz .LBB14_772
.LBB14_771:
	v_and_b32_e32 v12, 7, v6
	v_ffbh_u32_e32 v14, v12
	v_min_u32_e32 v14, 32, v14
	v_lshrrev_b16_e32 v13, 3, v6
	v_subrev_u32_e32 v15, 28, v14
	v_and_b32_e32 v13, 15, v13
	v_lshlrev_b32_e32 v15, v15, v6
	v_sub_u32_e32 v14, 29, v14
	v_and_b32_e32 v15, 7, v15
	v_cmp_eq_u16_e32 vcc, 0, v13
	v_cndmask_b32_e32 v12, v12, v15, vcc
	v_cndmask_b32_e32 v13, v13, v14, vcc
	v_lshlrev_b32_e32 v14, 24, v6
	v_mov_b32_e32 v15, 0x3b800000
	v_lshlrev_b32_e32 v12, 20, v12
	v_and_b32_e32 v14, 0x80000000, v14
	v_lshl_add_u32 v13, v13, 23, v15
	v_or3_b32 v12, v14, v13, v12
.LBB14_772:
	s_or_b64 exec, exec, s[6:7]
	s_movk_i32 s4, 0x7f
	v_cmp_gt_i16_sdwa s[6:7], v2, s4 src0_sel:BYTE_0 src1_sel:DWORD
	s_mov_b64 s[4:5], 0
                                        ; implicit-def: $sgpr10
	s_and_saveexec_b64 s[8:9], s[6:7]
	s_xor_b64 s[6:7], exec, s[8:9]
	s_cbranch_execnz .LBB14_2821
; %bb.773:
	s_or_saveexec_b64 s[6:7], s[6:7]
	v_mov_b32_e32 v13, s10
	s_xor_b64 exec, exec, s[6:7]
	s_cbranch_execnz .LBB14_2824
.LBB14_774:
	s_or_b64 exec, exec, s[6:7]
	s_and_saveexec_b64 s[6:7], s[4:5]
	s_cbranch_execz .LBB14_776
.LBB14_775:
	v_and_b32_e32 v13, 7, v2
	v_ffbh_u32_e32 v15, v13
	v_min_u32_e32 v15, 32, v15
	v_lshrrev_b16_e32 v14, 3, v2
	v_subrev_u32_e32 v16, 28, v15
	v_and_b32_e32 v14, 15, v14
	v_lshlrev_b32_e32 v16, v16, v2
	v_sub_u32_e32 v15, 29, v15
	v_and_b32_e32 v16, 7, v16
	v_cmp_eq_u16_e32 vcc, 0, v14
	v_cndmask_b32_e32 v13, v13, v16, vcc
	v_cndmask_b32_e32 v14, v14, v15, vcc
	v_lshlrev_b32_e32 v15, 24, v2
	v_mov_b32_e32 v16, 0x3b800000
	v_lshlrev_b32_e32 v13, 20, v13
	v_and_b32_e32 v15, 0x80000000, v15
	v_lshl_add_u32 v14, v14, 23, v16
	v_or3_b32 v13, v15, v14, v13
.LBB14_776:
	s_or_b64 exec, exec, s[6:7]
	flat_load_dwordx4 a[0:3], v[10:11] offset:96
	s_movk_i32 s4, 0x7f
                                        ; implicit-def: $sgpr10
	s_waitcnt vmcnt(0) lgkmcnt(0)
	v_mfma_f32_16x16x4f32 a[0:3], v12, v13, a[0:3]
	v_lshrrev_b32_e32 v13, 8, v6
	v_cmp_gt_i16_sdwa s[6:7], v13, s4 src0_sel:BYTE_0 src1_sel:DWORD
	s_mov_b64 s[4:5], 0
	s_and_saveexec_b64 s[8:9], s[6:7]
	s_xor_b64 s[6:7], exec, s[8:9]
	s_cbranch_execnz .LBB14_2825
; %bb.777:
	s_or_saveexec_b64 s[6:7], s[6:7]
	v_mov_b32_e32 v12, s10
	s_xor_b64 exec, exec, s[6:7]
	s_cbranch_execnz .LBB14_2828
.LBB14_778:
	s_or_b64 exec, exec, s[6:7]
	s_and_saveexec_b64 s[6:7], s[4:5]
	s_cbranch_execz .LBB14_780
.LBB14_779:
	v_bfe_u32 v12, v6, 8, 3
	v_ffbh_u32_e32 v15, v12
	v_min_u32_e32 v15, 32, v15
	v_lshrrev_b16_e32 v14, 3, v13
	v_subrev_u32_e32 v16, 28, v15
	v_and_b32_e32 v14, 15, v14
	v_lshlrev_b32_e32 v13, v16, v13
	v_sub_u32_e32 v15, 29, v15
	v_and_b32_e32 v13, 7, v13
	v_cmp_eq_u16_e32 vcc, 0, v14
	v_cndmask_b32_e32 v12, v12, v13, vcc
	v_cndmask_b32_e32 v13, v14, v15, vcc
	v_lshlrev_b32_e32 v14, 16, v6
	v_mov_b32_e32 v15, 0x3b800000
	v_lshlrev_b32_e32 v12, 20, v12
	v_and_b32_e32 v14, 0x80000000, v14
	v_lshl_add_u32 v13, v13, 23, v15
	v_or3_b32 v12, v14, v13, v12
.LBB14_780:
	s_or_b64 exec, exec, s[6:7]
	v_lshrrev_b32_e32 v13, 8, v2
	s_movk_i32 s4, 0x7f
	v_cmp_gt_i16_sdwa s[6:7], v13, s4 src0_sel:BYTE_0 src1_sel:DWORD
	s_mov_b64 s[4:5], 0
                                        ; implicit-def: $sgpr10
	s_and_saveexec_b64 s[8:9], s[6:7]
	s_xor_b64 s[6:7], exec, s[8:9]
	s_cbranch_execnz .LBB14_2829
; %bb.781:
	s_or_saveexec_b64 s[6:7], s[6:7]
	v_mov_b32_e32 v14, s10
	s_xor_b64 exec, exec, s[6:7]
	s_cbranch_execnz .LBB14_2832
.LBB14_782:
	s_or_b64 exec, exec, s[6:7]
	s_and_saveexec_b64 s[6:7], s[4:5]
	s_cbranch_execz .LBB14_784
.LBB14_783:
	v_bfe_u32 v14, v2, 8, 3
	v_ffbh_u32_e32 v16, v14
	v_min_u32_e32 v16, 32, v16
	v_lshrrev_b16_e32 v15, 3, v13
	v_subrev_u32_e32 v17, 28, v16
	v_and_b32_e32 v15, 15, v15
	v_lshlrev_b32_e32 v13, v17, v13
	v_sub_u32_e32 v16, 29, v16
	v_and_b32_e32 v13, 7, v13
	v_cmp_eq_u16_e32 vcc, 0, v15
	v_cndmask_b32_e32 v13, v14, v13, vcc
	v_cndmask_b32_e32 v14, v15, v16, vcc
	v_lshlrev_b32_e32 v15, 16, v2
	v_mov_b32_e32 v16, 0x3b800000
	v_lshlrev_b32_e32 v13, 20, v13
	v_and_b32_e32 v15, 0x80000000, v15
	v_lshl_add_u32 v14, v14, 23, v16
	v_or3_b32 v14, v15, v14, v13
.LBB14_784:
	s_or_b64 exec, exec, s[6:7]
	s_nop 0
	v_mfma_f32_16x16x4f32 a[0:3], v12, v14, a[0:3]
	s_movk_i32 s4, 0xff
	v_and_b32_sdwa v13, v6, s4 dst_sel:DWORD dst_unused:UNUSED_PAD src0_sel:WORD_1 src1_sel:DWORD
	s_movk_i32 s4, 0x7f
	v_cmp_lt_i16_e32 vcc, s4, v13
	s_mov_b64 s[4:5], 0
                                        ; implicit-def: $sgpr10
	s_and_saveexec_b64 s[6:7], vcc
	s_xor_b64 s[6:7], exec, s[6:7]
	s_cbranch_execnz .LBB14_2833
; %bb.785:
	s_or_saveexec_b64 s[6:7], s[6:7]
	v_mov_b32_e32 v12, s10
	s_xor_b64 exec, exec, s[6:7]
	s_cbranch_execnz .LBB14_2836
.LBB14_786:
	s_or_b64 exec, exec, s[6:7]
	s_and_saveexec_b64 s[6:7], s[4:5]
	s_cbranch_execz .LBB14_788
.LBB14_787:
	v_bfe_u32 v12, v6, 16, 3
	v_ffbh_u32_e32 v15, v12
	v_min_u32_e32 v15, 32, v15
	v_lshrrev_b32_e32 v13, 19, v6
	v_subrev_u32_e32 v16, 28, v15
	v_and_b32_e32 v13, 15, v13
	v_lshlrev_b32_sdwa v16, v16, v6 dst_sel:DWORD dst_unused:UNUSED_PAD src0_sel:DWORD src1_sel:WORD_1
	v_bfe_u32 v14, v6, 19, 4
	v_sub_u32_e32 v15, 29, v15
	v_and_b32_e32 v16, 7, v16
	v_cmp_eq_u16_e32 vcc, 0, v13
	v_cndmask_b32_e32 v12, v12, v16, vcc
	v_cndmask_b32_e32 v13, v14, v15, vcc
	v_lshlrev_b32_e32 v14, 8, v6
	v_mov_b32_e32 v15, 0x3b800000
	v_lshlrev_b32_e32 v12, 20, v12
	v_and_b32_e32 v14, 0x80000000, v14
	v_lshl_add_u32 v13, v13, 23, v15
	v_or3_b32 v12, v14, v13, v12
.LBB14_788:
	s_or_b64 exec, exec, s[6:7]
	s_movk_i32 s4, 0xff
	v_and_b32_sdwa v13, v2, s4 dst_sel:DWORD dst_unused:UNUSED_PAD src0_sel:WORD_1 src1_sel:DWORD
	s_movk_i32 s4, 0x7f
	v_cmp_lt_i16_e32 vcc, s4, v13
	s_mov_b64 s[4:5], 0
                                        ; implicit-def: $sgpr10
	s_and_saveexec_b64 s[6:7], vcc
	s_xor_b64 s[6:7], exec, s[6:7]
	s_cbranch_execnz .LBB14_2837
; %bb.789:
	s_or_saveexec_b64 s[6:7], s[6:7]
	v_mov_b32_e32 v14, s10
	s_xor_b64 exec, exec, s[6:7]
	s_cbranch_execnz .LBB14_2840
.LBB14_790:
	s_or_b64 exec, exec, s[6:7]
	s_and_saveexec_b64 s[6:7], s[4:5]
	s_cbranch_execz .LBB14_792
.LBB14_791:
	v_bfe_u32 v13, v2, 16, 3
	v_ffbh_u32_e32 v16, v13
	v_min_u32_e32 v16, 32, v16
	v_lshrrev_b32_e32 v14, 19, v2
	v_subrev_u32_e32 v17, 28, v16
	v_and_b32_e32 v14, 15, v14
	v_lshlrev_b32_sdwa v17, v17, v2 dst_sel:DWORD dst_unused:UNUSED_PAD src0_sel:DWORD src1_sel:WORD_1
	v_bfe_u32 v15, v2, 19, 4
	v_sub_u32_e32 v16, 29, v16
	v_and_b32_e32 v17, 7, v17
	v_cmp_eq_u16_e32 vcc, 0, v14
	v_cndmask_b32_e32 v13, v13, v17, vcc
	v_cndmask_b32_e32 v14, v15, v16, vcc
	v_lshlrev_b32_e32 v15, 8, v2
	v_mov_b32_e32 v16, 0x3b800000
	v_lshlrev_b32_e32 v13, 20, v13
	v_and_b32_e32 v15, 0x80000000, v15
	v_lshl_add_u32 v14, v14, 23, v16
	v_or3_b32 v14, v15, v14, v13
.LBB14_792:
	s_or_b64 exec, exec, s[6:7]
	s_nop 0
	v_mfma_f32_16x16x4f32 a[0:3], v12, v14, a[0:3]
	s_movk_i32 s4, 0x7f
	v_cmp_gt_i16_sdwa s[6:7], v6, s4 src0_sel:BYTE_3 src1_sel:DWORD
	s_mov_b64 s[4:5], 0
                                        ; implicit-def: $sgpr10
	s_and_saveexec_b64 s[8:9], s[6:7]
	s_xor_b64 s[6:7], exec, s[8:9]
	s_cbranch_execnz .LBB14_2841
; %bb.793:
	s_or_saveexec_b64 s[6:7], s[6:7]
	v_mov_b32_e32 v12, s10
	s_xor_b64 exec, exec, s[6:7]
	s_cbranch_execnz .LBB14_2844
.LBB14_794:
	s_or_b64 exec, exec, s[6:7]
	s_and_saveexec_b64 s[6:7], s[4:5]
	s_cbranch_execz .LBB14_796
.LBB14_795:
	v_bfe_u32 v12, v6, 24, 3
	v_ffbh_u32_e32 v16, v12
	v_min_u32_e32 v16, 32, v16
	v_lshrrev_b32_e32 v14, 27, v6
	v_subrev_u32_e32 v17, 28, v16
	v_and_b32_e32 v13, 0x80000000, v6
	v_and_b32_e32 v14, 15, v14
	v_bfe_u32 v15, v6, 27, 4
	v_lshlrev_b32_sdwa v6, v17, v6 dst_sel:DWORD dst_unused:UNUSED_PAD src0_sel:DWORD src1_sel:BYTE_3
	v_sub_u32_e32 v16, 29, v16
	v_and_b32_e32 v6, 7, v6
	v_cmp_eq_u16_e32 vcc, 0, v14
	v_cndmask_b32_e32 v6, v12, v6, vcc
	v_cndmask_b32_e32 v12, v15, v16, vcc
	v_mov_b32_e32 v14, 0x3b800000
	v_lshlrev_b32_e32 v6, 20, v6
	v_lshl_add_u32 v12, v12, 23, v14
	v_or3_b32 v12, v13, v12, v6
.LBB14_796:
	s_or_b64 exec, exec, s[6:7]
	s_movk_i32 s4, 0x7f
	v_cmp_gt_i16_sdwa s[6:7], v2, s4 src0_sel:BYTE_3 src1_sel:DWORD
	s_mov_b64 s[4:5], 0
                                        ; implicit-def: $sgpr10
	s_and_saveexec_b64 s[8:9], s[6:7]
	s_xor_b64 s[6:7], exec, s[8:9]
	s_cbranch_execnz .LBB14_2845
; %bb.797:
	s_or_saveexec_b64 s[6:7], s[6:7]
	v_mov_b32_e32 v6, s10
	s_xor_b64 exec, exec, s[6:7]
	s_cbranch_execnz .LBB14_2848
.LBB14_798:
	s_or_b64 exec, exec, s[6:7]
	s_and_saveexec_b64 s[6:7], s[4:5]
	s_cbranch_execz .LBB14_800
.LBB14_799:
	v_bfe_u32 v6, v2, 24, 3
	v_ffbh_u32_e32 v16, v6
	v_min_u32_e32 v16, 32, v16
	v_lshrrev_b32_e32 v14, 27, v2
	v_subrev_u32_e32 v17, 28, v16
	v_and_b32_e32 v13, 0x80000000, v2
	v_and_b32_e32 v14, 15, v14
	v_bfe_u32 v15, v2, 27, 4
	v_lshlrev_b32_sdwa v2, v17, v2 dst_sel:DWORD dst_unused:UNUSED_PAD src0_sel:DWORD src1_sel:BYTE_3
	v_sub_u32_e32 v16, 29, v16
	v_and_b32_e32 v2, 7, v2
	v_cmp_eq_u16_e32 vcc, 0, v14
	v_cndmask_b32_e32 v2, v6, v2, vcc
	v_cndmask_b32_e32 v6, v15, v16, vcc
	v_mov_b32_e32 v14, 0x3b800000
	v_lshlrev_b32_e32 v2, 20, v2
	v_lshl_add_u32 v6, v6, 23, v14
	v_or3_b32 v6, v13, v6, v2
.LBB14_800:
	s_or_b64 exec, exec, s[6:7]
	s_nop 0
	v_mfma_f32_16x16x4f32 a[0:3], v12, v6, a[0:3]
	s_movk_i32 s4, 0x7f
	v_cmp_gt_i16_sdwa s[6:7], v7, s4 src0_sel:BYTE_0 src1_sel:DWORD
	s_mov_b64 s[4:5], 0
                                        ; implicit-def: $sgpr10
	s_and_saveexec_b64 s[8:9], s[6:7]
	s_xor_b64 s[6:7], exec, s[8:9]
	s_cbranch_execnz .LBB14_2849
; %bb.801:
	s_or_saveexec_b64 s[6:7], s[6:7]
	v_mov_b32_e32 v2, s10
	s_xor_b64 exec, exec, s[6:7]
	s_cbranch_execnz .LBB14_2852
.LBB14_802:
	s_or_b64 exec, exec, s[6:7]
	s_and_saveexec_b64 s[6:7], s[4:5]
	s_cbranch_execz .LBB14_804
.LBB14_803:
	v_and_b32_e32 v2, 7, v7
	v_ffbh_u32_e32 v12, v2
	v_min_u32_e32 v12, 32, v12
	v_lshrrev_b16_e32 v6, 3, v7
	v_subrev_u32_e32 v13, 28, v12
	v_and_b32_e32 v6, 15, v6
	v_lshlrev_b32_e32 v13, v13, v7
	v_sub_u32_e32 v12, 29, v12
	v_and_b32_e32 v13, 7, v13
	v_cmp_eq_u16_e32 vcc, 0, v6
	v_cndmask_b32_e32 v2, v2, v13, vcc
	v_cndmask_b32_e32 v6, v6, v12, vcc
	v_lshlrev_b32_e32 v12, 24, v7
	v_mov_b32_e32 v13, 0x3b800000
	v_lshlrev_b32_e32 v2, 20, v2
	v_and_b32_e32 v12, 0x80000000, v12
	v_lshl_add_u32 v6, v6, 23, v13
	v_or3_b32 v2, v12, v6, v2
.LBB14_804:
	s_or_b64 exec, exec, s[6:7]
	s_movk_i32 s4, 0x7f
	v_cmp_gt_i16_sdwa s[6:7], v3, s4 src0_sel:BYTE_0 src1_sel:DWORD
	s_mov_b64 s[4:5], 0
                                        ; implicit-def: $sgpr10
	s_and_saveexec_b64 s[8:9], s[6:7]
	s_xor_b64 s[6:7], exec, s[8:9]
	s_cbranch_execnz .LBB14_2853
; %bb.805:
	s_or_saveexec_b64 s[6:7], s[6:7]
	v_mov_b32_e32 v6, s10
	s_xor_b64 exec, exec, s[6:7]
	s_cbranch_execnz .LBB14_2856
.LBB14_806:
	s_or_b64 exec, exec, s[6:7]
	s_and_saveexec_b64 s[6:7], s[4:5]
	s_cbranch_execz .LBB14_808
.LBB14_807:
	v_and_b32_e32 v6, 7, v3
	v_ffbh_u32_e32 v13, v6
	v_min_u32_e32 v13, 32, v13
	v_lshrrev_b16_e32 v12, 3, v3
	v_subrev_u32_e32 v14, 28, v13
	v_and_b32_e32 v12, 15, v12
	v_lshlrev_b32_e32 v14, v14, v3
	v_sub_u32_e32 v13, 29, v13
	v_and_b32_e32 v14, 7, v14
	v_cmp_eq_u16_e32 vcc, 0, v12
	v_cndmask_b32_e32 v6, v6, v14, vcc
	v_cndmask_b32_e32 v12, v12, v13, vcc
	v_lshlrev_b32_e32 v13, 24, v3
	v_mov_b32_e32 v14, 0x3b800000
	v_lshlrev_b32_e32 v6, 20, v6
	v_and_b32_e32 v13, 0x80000000, v13
	v_lshl_add_u32 v12, v12, 23, v14
	v_or3_b32 v6, v13, v12, v6
.LBB14_808:
	s_or_b64 exec, exec, s[6:7]
	s_nop 0
	v_mfma_f32_16x16x4f32 a[0:3], v2, v6, a[0:3]
	v_lshrrev_b32_e32 v6, 8, v7
	s_movk_i32 s4, 0x7f
	v_cmp_gt_i16_sdwa s[6:7], v6, s4 src0_sel:BYTE_0 src1_sel:DWORD
	s_mov_b64 s[4:5], 0
                                        ; implicit-def: $sgpr10
	s_and_saveexec_b64 s[8:9], s[6:7]
	s_xor_b64 s[6:7], exec, s[8:9]
	s_cbranch_execnz .LBB14_2857
; %bb.809:
	s_or_saveexec_b64 s[6:7], s[6:7]
	v_mov_b32_e32 v2, s10
	s_xor_b64 exec, exec, s[6:7]
	s_cbranch_execnz .LBB14_2860
.LBB14_810:
	s_or_b64 exec, exec, s[6:7]
	s_and_saveexec_b64 s[6:7], s[4:5]
	s_cbranch_execz .LBB14_812
.LBB14_811:
	v_bfe_u32 v2, v7, 8, 3
	v_ffbh_u32_e32 v13, v2
	v_min_u32_e32 v13, 32, v13
	v_lshrrev_b16_e32 v12, 3, v6
	v_subrev_u32_e32 v14, 28, v13
	v_and_b32_e32 v12, 15, v12
	v_lshlrev_b32_e32 v6, v14, v6
	v_sub_u32_e32 v13, 29, v13
	v_and_b32_e32 v6, 7, v6
	v_cmp_eq_u16_e32 vcc, 0, v12
	v_cndmask_b32_e32 v2, v2, v6, vcc
	v_cndmask_b32_e32 v6, v12, v13, vcc
	v_lshlrev_b32_e32 v12, 16, v7
	v_mov_b32_e32 v13, 0x3b800000
	v_lshlrev_b32_e32 v2, 20, v2
	v_and_b32_e32 v12, 0x80000000, v12
	v_lshl_add_u32 v6, v6, 23, v13
	v_or3_b32 v2, v12, v6, v2
.LBB14_812:
	s_or_b64 exec, exec, s[6:7]
	v_lshrrev_b32_e32 v6, 8, v3
	s_movk_i32 s4, 0x7f
	v_cmp_gt_i16_sdwa s[6:7], v6, s4 src0_sel:BYTE_0 src1_sel:DWORD
	s_mov_b64 s[4:5], 0
                                        ; implicit-def: $sgpr10
	s_and_saveexec_b64 s[8:9], s[6:7]
	s_xor_b64 s[6:7], exec, s[8:9]
	s_cbranch_execnz .LBB14_2861
; %bb.813:
	s_or_saveexec_b64 s[6:7], s[6:7]
	v_mov_b32_e32 v12, s10
	s_xor_b64 exec, exec, s[6:7]
	s_cbranch_execnz .LBB14_2864
.LBB14_814:
	s_or_b64 exec, exec, s[6:7]
	s_and_saveexec_b64 s[6:7], s[4:5]
	s_cbranch_execz .LBB14_816
.LBB14_815:
	v_bfe_u32 v12, v3, 8, 3
	v_ffbh_u32_e32 v14, v12
	v_min_u32_e32 v14, 32, v14
	v_lshrrev_b16_e32 v13, 3, v6
	v_subrev_u32_e32 v15, 28, v14
	v_and_b32_e32 v13, 15, v13
	v_lshlrev_b32_e32 v6, v15, v6
	v_sub_u32_e32 v14, 29, v14
	v_and_b32_e32 v6, 7, v6
	v_cmp_eq_u16_e32 vcc, 0, v13
	v_cndmask_b32_e32 v6, v12, v6, vcc
	v_cndmask_b32_e32 v12, v13, v14, vcc
	v_lshlrev_b32_e32 v13, 16, v3
	v_mov_b32_e32 v14, 0x3b800000
	v_lshlrev_b32_e32 v6, 20, v6
	v_and_b32_e32 v13, 0x80000000, v13
	v_lshl_add_u32 v12, v12, 23, v14
	v_or3_b32 v12, v13, v12, v6
.LBB14_816:
	s_or_b64 exec, exec, s[6:7]
	s_nop 0
	v_mfma_f32_16x16x4f32 a[0:3], v2, v12, a[0:3]
	s_movk_i32 s4, 0xff
	v_and_b32_sdwa v6, v7, s4 dst_sel:DWORD dst_unused:UNUSED_PAD src0_sel:WORD_1 src1_sel:DWORD
	s_movk_i32 s4, 0x7f
	v_cmp_lt_i16_e32 vcc, s4, v6
	s_mov_b64 s[4:5], 0
                                        ; implicit-def: $sgpr10
	s_and_saveexec_b64 s[6:7], vcc
	s_xor_b64 s[6:7], exec, s[6:7]
	s_cbranch_execnz .LBB14_2865
; %bb.817:
	s_or_saveexec_b64 s[6:7], s[6:7]
	v_mov_b32_e32 v2, s10
	s_xor_b64 exec, exec, s[6:7]
	s_cbranch_execnz .LBB14_2868
.LBB14_818:
	s_or_b64 exec, exec, s[6:7]
	s_and_saveexec_b64 s[6:7], s[4:5]
	s_cbranch_execz .LBB14_820
.LBB14_819:
	v_bfe_u32 v2, v7, 16, 3
	v_ffbh_u32_e32 v13, v2
	v_min_u32_e32 v13, 32, v13
	v_lshrrev_b32_e32 v6, 19, v7
	v_subrev_u32_e32 v14, 28, v13
	v_and_b32_e32 v6, 15, v6
	v_lshlrev_b32_sdwa v14, v14, v7 dst_sel:DWORD dst_unused:UNUSED_PAD src0_sel:DWORD src1_sel:WORD_1
	v_bfe_u32 v12, v7, 19, 4
	v_sub_u32_e32 v13, 29, v13
	v_and_b32_e32 v14, 7, v14
	v_cmp_eq_u16_e32 vcc, 0, v6
	v_cndmask_b32_e32 v2, v2, v14, vcc
	v_cndmask_b32_e32 v6, v12, v13, vcc
	v_lshlrev_b32_e32 v12, 8, v7
	v_mov_b32_e32 v13, 0x3b800000
	v_lshlrev_b32_e32 v2, 20, v2
	v_and_b32_e32 v12, 0x80000000, v12
	v_lshl_add_u32 v6, v6, 23, v13
	v_or3_b32 v2, v12, v6, v2
.LBB14_820:
	s_or_b64 exec, exec, s[6:7]
	s_movk_i32 s4, 0xff
	v_and_b32_sdwa v6, v3, s4 dst_sel:DWORD dst_unused:UNUSED_PAD src0_sel:WORD_1 src1_sel:DWORD
	s_movk_i32 s4, 0x7f
	v_cmp_lt_i16_e32 vcc, s4, v6
	s_mov_b64 s[4:5], 0
                                        ; implicit-def: $sgpr10
	s_and_saveexec_b64 s[6:7], vcc
	s_xor_b64 s[6:7], exec, s[6:7]
	s_cbranch_execnz .LBB14_2869
; %bb.821:
	s_or_saveexec_b64 s[6:7], s[6:7]
	v_mov_b32_e32 v12, s10
	s_xor_b64 exec, exec, s[6:7]
	s_cbranch_execnz .LBB14_2872
.LBB14_822:
	s_or_b64 exec, exec, s[6:7]
	s_and_saveexec_b64 s[6:7], s[4:5]
	s_cbranch_execz .LBB14_824
.LBB14_823:
	v_bfe_u32 v6, v3, 16, 3
	v_ffbh_u32_e32 v14, v6
	v_min_u32_e32 v14, 32, v14
	v_lshrrev_b32_e32 v12, 19, v3
	v_subrev_u32_e32 v15, 28, v14
	v_and_b32_e32 v12, 15, v12
	v_lshlrev_b32_sdwa v15, v15, v3 dst_sel:DWORD dst_unused:UNUSED_PAD src0_sel:DWORD src1_sel:WORD_1
	v_bfe_u32 v13, v3, 19, 4
	v_sub_u32_e32 v14, 29, v14
	v_and_b32_e32 v15, 7, v15
	v_cmp_eq_u16_e32 vcc, 0, v12
	v_cndmask_b32_e32 v6, v6, v15, vcc
	v_cndmask_b32_e32 v12, v13, v14, vcc
	v_lshlrev_b32_e32 v13, 8, v3
	v_mov_b32_e32 v14, 0x3b800000
	v_lshlrev_b32_e32 v6, 20, v6
	v_and_b32_e32 v13, 0x80000000, v13
	v_lshl_add_u32 v12, v12, 23, v14
	v_or3_b32 v12, v13, v12, v6
.LBB14_824:
	s_or_b64 exec, exec, s[6:7]
	s_nop 0
	v_mfma_f32_16x16x4f32 a[0:3], v2, v12, a[0:3]
	s_movk_i32 s4, 0x7f
	v_cmp_gt_i16_sdwa s[6:7], v7, s4 src0_sel:BYTE_3 src1_sel:DWORD
	s_mov_b64 s[4:5], 0
                                        ; implicit-def: $sgpr10
	s_and_saveexec_b64 s[8:9], s[6:7]
	s_xor_b64 s[6:7], exec, s[8:9]
	s_cbranch_execnz .LBB14_2873
; %bb.825:
	s_or_saveexec_b64 s[6:7], s[6:7]
	v_mov_b32_e32 v2, s10
	s_xor_b64 exec, exec, s[6:7]
	s_cbranch_execnz .LBB14_2876
.LBB14_826:
	s_or_b64 exec, exec, s[6:7]
	s_and_saveexec_b64 s[6:7], s[4:5]
	s_cbranch_execz .LBB14_828
.LBB14_827:
	v_bfe_u32 v2, v7, 24, 3
	v_ffbh_u32_e32 v14, v2
	v_min_u32_e32 v14, 32, v14
	v_lshrrev_b32_e32 v12, 27, v7
	v_subrev_u32_e32 v15, 28, v14
	v_and_b32_e32 v6, 0x80000000, v7
	v_and_b32_e32 v12, 15, v12
	v_bfe_u32 v13, v7, 27, 4
	v_lshlrev_b32_sdwa v7, v15, v7 dst_sel:DWORD dst_unused:UNUSED_PAD src0_sel:DWORD src1_sel:BYTE_3
	v_sub_u32_e32 v14, 29, v14
	v_and_b32_e32 v7, 7, v7
	v_cmp_eq_u16_e32 vcc, 0, v12
	v_cndmask_b32_e32 v2, v2, v7, vcc
	v_cndmask_b32_e32 v7, v13, v14, vcc
	v_mov_b32_e32 v12, 0x3b800000
	v_lshlrev_b32_e32 v2, 20, v2
	v_lshl_add_u32 v7, v7, 23, v12
	v_or3_b32 v2, v6, v7, v2
.LBB14_828:
	s_or_b64 exec, exec, s[6:7]
	s_movk_i32 s4, 0x7f
	v_cmp_gt_i16_sdwa s[6:7], v3, s4 src0_sel:BYTE_3 src1_sel:DWORD
	s_mov_b64 s[4:5], 0
                                        ; implicit-def: $sgpr10
	s_and_saveexec_b64 s[8:9], s[6:7]
	s_xor_b64 s[6:7], exec, s[8:9]
	s_cbranch_execnz .LBB14_2877
; %bb.829:
	s_or_saveexec_b64 s[6:7], s[6:7]
	v_mov_b32_e32 v6, s10
	s_xor_b64 exec, exec, s[6:7]
	s_cbranch_execnz .LBB14_2880
.LBB14_830:
	s_or_b64 exec, exec, s[6:7]
	s_and_saveexec_b64 s[6:7], s[4:5]
	s_cbranch_execz .LBB14_832
.LBB14_831:
	v_bfe_u32 v6, v3, 24, 3
	v_ffbh_u32_e32 v14, v6
	v_min_u32_e32 v14, 32, v14
	v_lshrrev_b32_e32 v12, 27, v3
	v_subrev_u32_e32 v15, 28, v14
	v_and_b32_e32 v7, 0x80000000, v3
	v_and_b32_e32 v12, 15, v12
	v_bfe_u32 v13, v3, 27, 4
	v_lshlrev_b32_sdwa v3, v15, v3 dst_sel:DWORD dst_unused:UNUSED_PAD src0_sel:DWORD src1_sel:BYTE_3
	v_sub_u32_e32 v14, 29, v14
	v_and_b32_e32 v3, 7, v3
	v_cmp_eq_u16_e32 vcc, 0, v12
	v_cndmask_b32_e32 v3, v6, v3, vcc
	v_cndmask_b32_e32 v6, v13, v14, vcc
	v_mov_b32_e32 v12, 0x3b800000
	v_lshlrev_b32_e32 v3, 20, v3
	v_lshl_add_u32 v6, v6, 23, v12
	v_or3_b32 v6, v7, v6, v3
.LBB14_832:
	s_or_b64 exec, exec, s[6:7]
	s_nop 0
	v_mfma_f32_16x16x4f32 a[0:3], v2, v6, a[0:3]
	s_movk_i32 s4, 0x7f
	v_cmp_gt_i16_sdwa s[6:7], v8, s4 src0_sel:BYTE_0 src1_sel:DWORD
	s_mov_b64 s[4:5], 0
                                        ; implicit-def: $sgpr10
	s_and_saveexec_b64 s[8:9], s[6:7]
	s_xor_b64 s[6:7], exec, s[8:9]
	s_cbranch_execnz .LBB14_2881
; %bb.833:
	s_or_saveexec_b64 s[6:7], s[6:7]
	v_mov_b32_e32 v2, s10
	s_xor_b64 exec, exec, s[6:7]
	s_cbranch_execnz .LBB14_2884
.LBB14_834:
	s_or_b64 exec, exec, s[6:7]
	s_and_saveexec_b64 s[6:7], s[4:5]
	s_cbranch_execz .LBB14_836
.LBB14_835:
	v_and_b32_e32 v2, 7, v8
	v_ffbh_u32_e32 v6, v2
	v_min_u32_e32 v6, 32, v6
	v_lshrrev_b16_e32 v3, 3, v8
	v_subrev_u32_e32 v7, 28, v6
	v_and_b32_e32 v3, 15, v3
	v_lshlrev_b32_e32 v7, v7, v8
	v_sub_u32_e32 v6, 29, v6
	v_and_b32_e32 v7, 7, v7
	v_cmp_eq_u16_e32 vcc, 0, v3
	v_cndmask_b32_e32 v2, v2, v7, vcc
	v_cndmask_b32_e32 v3, v3, v6, vcc
	v_lshlrev_b32_e32 v6, 24, v8
	v_mov_b32_e32 v7, 0x3b800000
	v_lshlrev_b32_e32 v2, 20, v2
	v_and_b32_e32 v6, 0x80000000, v6
	v_lshl_add_u32 v3, v3, 23, v7
	v_or3_b32 v2, v6, v3, v2
.LBB14_836:
	s_or_b64 exec, exec, s[6:7]
	s_movk_i32 s4, 0x7f
	v_cmp_gt_i16_sdwa s[6:7], v4, s4 src0_sel:BYTE_0 src1_sel:DWORD
	s_mov_b64 s[4:5], 0
                                        ; implicit-def: $sgpr10
	s_and_saveexec_b64 s[8:9], s[6:7]
	s_xor_b64 s[6:7], exec, s[8:9]
	s_cbranch_execnz .LBB14_2885
; %bb.837:
	s_or_saveexec_b64 s[6:7], s[6:7]
	v_mov_b32_e32 v3, s10
	s_xor_b64 exec, exec, s[6:7]
	s_cbranch_execnz .LBB14_2888
.LBB14_838:
	s_or_b64 exec, exec, s[6:7]
	s_and_saveexec_b64 s[6:7], s[4:5]
	s_cbranch_execz .LBB14_840
.LBB14_839:
	v_and_b32_e32 v3, 7, v4
	v_ffbh_u32_e32 v7, v3
	v_min_u32_e32 v7, 32, v7
	v_lshrrev_b16_e32 v6, 3, v4
	v_subrev_u32_e32 v12, 28, v7
	v_and_b32_e32 v6, 15, v6
	v_lshlrev_b32_e32 v12, v12, v4
	v_sub_u32_e32 v7, 29, v7
	v_and_b32_e32 v12, 7, v12
	v_cmp_eq_u16_e32 vcc, 0, v6
	v_cndmask_b32_e32 v3, v3, v12, vcc
	v_cndmask_b32_e32 v6, v6, v7, vcc
	v_lshlrev_b32_e32 v7, 24, v4
	v_mov_b32_e32 v12, 0x3b800000
	v_lshlrev_b32_e32 v3, 20, v3
	v_and_b32_e32 v7, 0x80000000, v7
	v_lshl_add_u32 v6, v6, 23, v12
	v_or3_b32 v3, v7, v6, v3
.LBB14_840:
	s_or_b64 exec, exec, s[6:7]
	s_nop 0
	v_mfma_f32_16x16x4f32 a[0:3], v2, v3, a[0:3]
	v_lshrrev_b32_e32 v3, 8, v8
	s_movk_i32 s4, 0x7f
	v_cmp_gt_i16_sdwa s[6:7], v3, s4 src0_sel:BYTE_0 src1_sel:DWORD
	s_mov_b64 s[4:5], 0
                                        ; implicit-def: $sgpr10
	s_and_saveexec_b64 s[8:9], s[6:7]
	s_xor_b64 s[6:7], exec, s[8:9]
	s_cbranch_execnz .LBB14_2889
; %bb.841:
	s_or_saveexec_b64 s[6:7], s[6:7]
	v_mov_b32_e32 v2, s10
	s_xor_b64 exec, exec, s[6:7]
	s_cbranch_execnz .LBB14_2892
.LBB14_842:
	s_or_b64 exec, exec, s[6:7]
	s_and_saveexec_b64 s[6:7], s[4:5]
	s_cbranch_execz .LBB14_844
.LBB14_843:
	v_bfe_u32 v2, v8, 8, 3
	v_ffbh_u32_e32 v7, v2
	v_min_u32_e32 v7, 32, v7
	v_lshrrev_b16_e32 v6, 3, v3
	v_subrev_u32_e32 v12, 28, v7
	v_and_b32_e32 v6, 15, v6
	v_lshlrev_b32_e32 v3, v12, v3
	v_sub_u32_e32 v7, 29, v7
	v_and_b32_e32 v3, 7, v3
	v_cmp_eq_u16_e32 vcc, 0, v6
	v_cndmask_b32_e32 v2, v2, v3, vcc
	v_cndmask_b32_e32 v3, v6, v7, vcc
	v_lshlrev_b32_e32 v6, 16, v8
	v_mov_b32_e32 v7, 0x3b800000
	v_lshlrev_b32_e32 v2, 20, v2
	v_and_b32_e32 v6, 0x80000000, v6
	v_lshl_add_u32 v3, v3, 23, v7
	v_or3_b32 v2, v6, v3, v2
.LBB14_844:
	s_or_b64 exec, exec, s[6:7]
	v_lshrrev_b32_e32 v3, 8, v4
	s_movk_i32 s4, 0x7f
	v_cmp_gt_i16_sdwa s[6:7], v3, s4 src0_sel:BYTE_0 src1_sel:DWORD
	s_mov_b64 s[4:5], 0
                                        ; implicit-def: $sgpr10
	s_and_saveexec_b64 s[8:9], s[6:7]
	s_xor_b64 s[6:7], exec, s[8:9]
	s_cbranch_execnz .LBB14_2893
; %bb.845:
	s_or_saveexec_b64 s[6:7], s[6:7]
	v_mov_b32_e32 v6, s10
	s_xor_b64 exec, exec, s[6:7]
	s_cbranch_execnz .LBB14_2896
.LBB14_846:
	s_or_b64 exec, exec, s[6:7]
	s_and_saveexec_b64 s[6:7], s[4:5]
	s_cbranch_execz .LBB14_848
.LBB14_847:
	v_bfe_u32 v6, v4, 8, 3
	v_ffbh_u32_e32 v12, v6
	v_min_u32_e32 v12, 32, v12
	v_lshrrev_b16_e32 v7, 3, v3
	v_subrev_u32_e32 v13, 28, v12
	v_and_b32_e32 v7, 15, v7
	v_lshlrev_b32_e32 v3, v13, v3
	v_sub_u32_e32 v12, 29, v12
	v_and_b32_e32 v3, 7, v3
	v_cmp_eq_u16_e32 vcc, 0, v7
	v_cndmask_b32_e32 v3, v6, v3, vcc
	v_cndmask_b32_e32 v6, v7, v12, vcc
	v_lshlrev_b32_e32 v7, 16, v4
	v_mov_b32_e32 v12, 0x3b800000
	v_lshlrev_b32_e32 v3, 20, v3
	v_and_b32_e32 v7, 0x80000000, v7
	v_lshl_add_u32 v6, v6, 23, v12
	v_or3_b32 v6, v7, v6, v3
.LBB14_848:
	s_or_b64 exec, exec, s[6:7]
	s_nop 0
	v_mfma_f32_16x16x4f32 a[0:3], v2, v6, a[0:3]
	s_movk_i32 s4, 0xff
	v_and_b32_sdwa v3, v8, s4 dst_sel:DWORD dst_unused:UNUSED_PAD src0_sel:WORD_1 src1_sel:DWORD
	s_movk_i32 s4, 0x7f
	v_cmp_lt_i16_e32 vcc, s4, v3
	s_mov_b64 s[4:5], 0
                                        ; implicit-def: $sgpr10
	s_and_saveexec_b64 s[6:7], vcc
	s_xor_b64 s[6:7], exec, s[6:7]
	s_cbranch_execnz .LBB14_2897
; %bb.849:
	s_or_saveexec_b64 s[6:7], s[6:7]
	v_mov_b32_e32 v2, s10
	s_xor_b64 exec, exec, s[6:7]
	s_cbranch_execnz .LBB14_2900
.LBB14_850:
	s_or_b64 exec, exec, s[6:7]
	s_and_saveexec_b64 s[6:7], s[4:5]
	s_cbranch_execz .LBB14_852
.LBB14_851:
	v_bfe_u32 v2, v8, 16, 3
	v_ffbh_u32_e32 v7, v2
	v_min_u32_e32 v7, 32, v7
	v_lshrrev_b32_e32 v3, 19, v8
	v_subrev_u32_e32 v12, 28, v7
	v_and_b32_e32 v3, 15, v3
	v_lshlrev_b32_sdwa v12, v12, v8 dst_sel:DWORD dst_unused:UNUSED_PAD src0_sel:DWORD src1_sel:WORD_1
	v_bfe_u32 v6, v8, 19, 4
	v_sub_u32_e32 v7, 29, v7
	v_and_b32_e32 v12, 7, v12
	v_cmp_eq_u16_e32 vcc, 0, v3
	v_cndmask_b32_e32 v2, v2, v12, vcc
	v_cndmask_b32_e32 v3, v6, v7, vcc
	v_lshlrev_b32_e32 v6, 8, v8
	v_mov_b32_e32 v7, 0x3b800000
	v_lshlrev_b32_e32 v2, 20, v2
	v_and_b32_e32 v6, 0x80000000, v6
	v_lshl_add_u32 v3, v3, 23, v7
	v_or3_b32 v2, v6, v3, v2
.LBB14_852:
	s_or_b64 exec, exec, s[6:7]
	s_movk_i32 s4, 0xff
	v_and_b32_sdwa v3, v4, s4 dst_sel:DWORD dst_unused:UNUSED_PAD src0_sel:WORD_1 src1_sel:DWORD
	s_movk_i32 s4, 0x7f
	v_cmp_lt_i16_e32 vcc, s4, v3
	s_mov_b64 s[4:5], 0
                                        ; implicit-def: $sgpr10
	s_and_saveexec_b64 s[6:7], vcc
	s_xor_b64 s[6:7], exec, s[6:7]
	s_cbranch_execnz .LBB14_2901
; %bb.853:
	s_or_saveexec_b64 s[6:7], s[6:7]
	v_mov_b32_e32 v6, s10
	s_xor_b64 exec, exec, s[6:7]
	s_cbranch_execnz .LBB14_2904
.LBB14_854:
	s_or_b64 exec, exec, s[6:7]
	s_and_saveexec_b64 s[6:7], s[4:5]
	s_cbranch_execz .LBB14_856
.LBB14_855:
	v_bfe_u32 v3, v4, 16, 3
	v_ffbh_u32_e32 v12, v3
	v_min_u32_e32 v12, 32, v12
	v_lshrrev_b32_e32 v6, 19, v4
	v_subrev_u32_e32 v13, 28, v12
	v_and_b32_e32 v6, 15, v6
	v_lshlrev_b32_sdwa v13, v13, v4 dst_sel:DWORD dst_unused:UNUSED_PAD src0_sel:DWORD src1_sel:WORD_1
	v_bfe_u32 v7, v4, 19, 4
	v_sub_u32_e32 v12, 29, v12
	v_and_b32_e32 v13, 7, v13
	v_cmp_eq_u16_e32 vcc, 0, v6
	v_cndmask_b32_e32 v3, v3, v13, vcc
	v_cndmask_b32_e32 v6, v7, v12, vcc
	v_lshlrev_b32_e32 v7, 8, v4
	v_mov_b32_e32 v12, 0x3b800000
	v_lshlrev_b32_e32 v3, 20, v3
	v_and_b32_e32 v7, 0x80000000, v7
	v_lshl_add_u32 v6, v6, 23, v12
	v_or3_b32 v6, v7, v6, v3
.LBB14_856:
	s_or_b64 exec, exec, s[6:7]
	s_nop 0
	v_mfma_f32_16x16x4f32 a[0:3], v2, v6, a[0:3]
	s_movk_i32 s4, 0x7f
	v_cmp_gt_i16_sdwa s[6:7], v8, s4 src0_sel:BYTE_3 src1_sel:DWORD
	s_mov_b64 s[4:5], 0
                                        ; implicit-def: $sgpr10
	s_and_saveexec_b64 s[8:9], s[6:7]
	s_xor_b64 s[6:7], exec, s[8:9]
	s_cbranch_execnz .LBB14_2905
; %bb.857:
	s_or_saveexec_b64 s[6:7], s[6:7]
	v_mov_b32_e32 v2, s10
	s_xor_b64 exec, exec, s[6:7]
	s_cbranch_execnz .LBB14_2908
.LBB14_858:
	s_or_b64 exec, exec, s[6:7]
	s_and_saveexec_b64 s[6:7], s[4:5]
	s_cbranch_execz .LBB14_860
.LBB14_859:
	v_bfe_u32 v2, v8, 24, 3
	v_ffbh_u32_e32 v12, v2
	v_min_u32_e32 v12, 32, v12
	v_lshrrev_b32_e32 v6, 27, v8
	v_subrev_u32_e32 v13, 28, v12
	v_and_b32_e32 v3, 0x80000000, v8
	v_and_b32_e32 v6, 15, v6
	v_bfe_u32 v7, v8, 27, 4
	v_lshlrev_b32_sdwa v8, v13, v8 dst_sel:DWORD dst_unused:UNUSED_PAD src0_sel:DWORD src1_sel:BYTE_3
	v_sub_u32_e32 v12, 29, v12
	v_and_b32_e32 v8, 7, v8
	v_cmp_eq_u16_e32 vcc, 0, v6
	v_cndmask_b32_e32 v2, v2, v8, vcc
	v_cndmask_b32_e32 v6, v7, v12, vcc
	v_mov_b32_e32 v7, 0x3b800000
	v_lshlrev_b32_e32 v2, 20, v2
	v_lshl_add_u32 v6, v6, 23, v7
	v_or3_b32 v2, v3, v6, v2
.LBB14_860:
	s_or_b64 exec, exec, s[6:7]
	s_movk_i32 s4, 0x7f
	v_cmp_gt_i16_sdwa s[6:7], v4, s4 src0_sel:BYTE_3 src1_sel:DWORD
	s_mov_b64 s[4:5], 0
                                        ; implicit-def: $sgpr10
	s_and_saveexec_b64 s[8:9], s[6:7]
	s_xor_b64 s[6:7], exec, s[8:9]
	s_cbranch_execnz .LBB14_2909
; %bb.861:
	s_or_saveexec_b64 s[6:7], s[6:7]
	v_mov_b32_e32 v3, s10
	s_xor_b64 exec, exec, s[6:7]
	s_cbranch_execnz .LBB14_2912
.LBB14_862:
	s_or_b64 exec, exec, s[6:7]
	s_and_saveexec_b64 s[6:7], s[4:5]
	s_cbranch_execz .LBB14_864
.LBB14_863:
	v_bfe_u32 v3, v4, 24, 3
	v_ffbh_u32_e32 v12, v3
	v_min_u32_e32 v12, 32, v12
	v_lshrrev_b32_e32 v7, 27, v4
	v_subrev_u32_e32 v13, 28, v12
	v_and_b32_e32 v6, 0x80000000, v4
	v_and_b32_e32 v7, 15, v7
	v_bfe_u32 v8, v4, 27, 4
	v_lshlrev_b32_sdwa v4, v13, v4 dst_sel:DWORD dst_unused:UNUSED_PAD src0_sel:DWORD src1_sel:BYTE_3
	v_sub_u32_e32 v12, 29, v12
	v_and_b32_e32 v4, 7, v4
	v_cmp_eq_u16_e32 vcc, 0, v7
	v_cndmask_b32_e32 v3, v3, v4, vcc
	v_cndmask_b32_e32 v4, v8, v12, vcc
	v_mov_b32_e32 v7, 0x3b800000
	v_lshlrev_b32_e32 v3, 20, v3
	v_lshl_add_u32 v4, v4, 23, v7
	v_or3_b32 v3, v6, v4, v3
.LBB14_864:
	s_or_b64 exec, exec, s[6:7]
	s_nop 0
	v_mfma_f32_16x16x4f32 a[0:3], v2, v3, a[0:3]
	s_movk_i32 s4, 0x7f
	v_cmp_gt_i16_sdwa s[6:7], v9, s4 src0_sel:BYTE_0 src1_sel:DWORD
	s_mov_b64 s[4:5], 0
                                        ; implicit-def: $sgpr10
	s_and_saveexec_b64 s[8:9], s[6:7]
	s_xor_b64 s[6:7], exec, s[8:9]
	s_cbranch_execnz .LBB14_2913
; %bb.865:
	s_or_saveexec_b64 s[6:7], s[6:7]
	v_mov_b32_e32 v2, s10
	s_xor_b64 exec, exec, s[6:7]
	s_cbranch_execnz .LBB14_2916
.LBB14_866:
	s_or_b64 exec, exec, s[6:7]
	s_and_saveexec_b64 s[6:7], s[4:5]
	s_cbranch_execz .LBB14_868
.LBB14_867:
	v_mov_b32_e32 v2, 8
	v_and_b32_e32 v3, 7, v9
	v_lshrrev_b32_sdwa v2, v2, v9 dst_sel:BYTE_1 dst_unused:UNUSED_PAD src0_sel:DWORD src1_sel:DWORD
	v_ffbh_u32_e32 v4, v3
	v_or_b32_sdwa v2, v9, v2 dst_sel:DWORD dst_unused:UNUSED_PAD src0_sel:BYTE_0 src1_sel:DWORD
	v_min_u32_e32 v4, 32, v4
	v_lshrrev_b16_e32 v2, 3, v2
	v_subrev_u32_e32 v6, 28, v4
	v_and_b32_e32 v2, 15, v2
	v_lshlrev_b32_e32 v6, v6, v9
	v_sub_u32_e32 v4, 29, v4
	v_and_b32_e32 v6, 7, v6
	v_cmp_eq_u16_e32 vcc, 0, v2
	v_cndmask_b32_e32 v3, v3, v6, vcc
	v_cndmask_b32_e32 v2, v2, v4, vcc
	v_lshlrev_b32_e32 v4, 24, v9
	v_mov_b32_e32 v6, 0x3b800000
	v_lshlrev_b32_e32 v3, 20, v3
	v_and_b32_e32 v4, 0x80000000, v4
	v_lshl_add_u32 v2, v2, 23, v6
	v_or3_b32 v2, v4, v2, v3
.LBB14_868:
	s_or_b64 exec, exec, s[6:7]
	s_movk_i32 s4, 0x7f
	v_cmp_gt_i16_sdwa s[6:7], v5, s4 src0_sel:BYTE_0 src1_sel:DWORD
	s_mov_b64 s[4:5], 0
                                        ; implicit-def: $sgpr10
	s_and_saveexec_b64 s[8:9], s[6:7]
	s_xor_b64 s[6:7], exec, s[8:9]
	s_cbranch_execnz .LBB14_2917
; %bb.869:
	s_or_saveexec_b64 s[6:7], s[6:7]
	v_mov_b32_e32 v3, s10
	s_xor_b64 exec, exec, s[6:7]
	s_cbranch_execnz .LBB14_2920
.LBB14_870:
	s_or_b64 exec, exec, s[6:7]
	s_and_saveexec_b64 s[6:7], s[4:5]
	s_cbranch_execz .LBB14_872
.LBB14_871:
	v_mov_b32_e32 v3, 8
	v_and_b32_e32 v4, 7, v5
	v_lshrrev_b32_sdwa v3, v3, v5 dst_sel:BYTE_1 dst_unused:UNUSED_PAD src0_sel:DWORD src1_sel:DWORD
	v_ffbh_u32_e32 v6, v4
	v_or_b32_sdwa v3, v5, v3 dst_sel:DWORD dst_unused:UNUSED_PAD src0_sel:BYTE_0 src1_sel:DWORD
	v_min_u32_e32 v6, 32, v6
	v_lshrrev_b16_e32 v3, 3, v3
	v_subrev_u32_e32 v7, 28, v6
	v_and_b32_e32 v3, 15, v3
	v_lshlrev_b32_e32 v7, v7, v5
	v_sub_u32_e32 v6, 29, v6
	v_and_b32_e32 v7, 7, v7
	v_cmp_eq_u16_e32 vcc, 0, v3
	v_cndmask_b32_e32 v4, v4, v7, vcc
	v_cndmask_b32_e32 v3, v3, v6, vcc
	v_lshlrev_b32_e32 v6, 24, v5
	v_mov_b32_e32 v7, 0x3b800000
	v_lshlrev_b32_e32 v4, 20, v4
	v_and_b32_e32 v6, 0x80000000, v6
	v_lshl_add_u32 v3, v3, 23, v7
	v_or3_b32 v3, v6, v3, v4
.LBB14_872:
	s_or_b64 exec, exec, s[6:7]
	s_nop 0
	v_mfma_f32_16x16x4f32 a[0:3], v2, v3, a[0:3]
	v_lshrrev_b32_e32 v3, 8, v9
	s_movk_i32 s4, 0x7f
	v_cmp_gt_i16_sdwa s[6:7], v3, s4 src0_sel:BYTE_0 src1_sel:DWORD
	s_mov_b64 s[4:5], 0
                                        ; implicit-def: $sgpr10
	s_and_saveexec_b64 s[8:9], s[6:7]
	s_xor_b64 s[6:7], exec, s[8:9]
	s_cbranch_execnz .LBB14_2921
; %bb.873:
	s_or_saveexec_b64 s[6:7], s[6:7]
	v_mov_b32_e32 v2, s10
	s_xor_b64 exec, exec, s[6:7]
	s_cbranch_execnz .LBB14_2924
.LBB14_874:
	s_or_b64 exec, exec, s[6:7]
	s_and_saveexec_b64 s[6:7], s[4:5]
	s_cbranch_execz .LBB14_876
.LBB14_875:
	v_bfe_u32 v2, v9, 8, 3
	v_ffbh_u32_e32 v6, v2
	v_min_u32_e32 v6, 32, v6
	v_lshrrev_b16_e32 v4, 3, v3
	v_subrev_u32_e32 v7, 28, v6
	v_and_b32_e32 v4, 15, v4
	v_lshlrev_b32_e32 v3, v7, v3
	v_sub_u32_e32 v6, 29, v6
	v_and_b32_e32 v3, 7, v3
	v_cmp_eq_u16_e32 vcc, 0, v4
	v_cndmask_b32_e32 v2, v2, v3, vcc
	v_cndmask_b32_e32 v3, v4, v6, vcc
	v_lshlrev_b32_e32 v4, 16, v9
	v_mov_b32_e32 v6, 0x3b800000
	v_lshlrev_b32_e32 v2, 20, v2
	v_and_b32_e32 v4, 0x80000000, v4
	v_lshl_add_u32 v3, v3, 23, v6
	v_or3_b32 v2, v4, v3, v2
.LBB14_876:
	s_or_b64 exec, exec, s[6:7]
	v_lshrrev_b32_e32 v3, 8, v5
	s_movk_i32 s4, 0x7f
	v_cmp_gt_i16_sdwa s[6:7], v3, s4 src0_sel:BYTE_0 src1_sel:DWORD
	s_mov_b64 s[4:5], 0
                                        ; implicit-def: $sgpr10
	s_and_saveexec_b64 s[8:9], s[6:7]
	s_xor_b64 s[6:7], exec, s[8:9]
	s_cbranch_execnz .LBB14_2925
; %bb.877:
	s_or_saveexec_b64 s[6:7], s[6:7]
	v_mov_b32_e32 v4, s10
	s_xor_b64 exec, exec, s[6:7]
	s_cbranch_execnz .LBB14_2928
.LBB14_878:
	s_or_b64 exec, exec, s[6:7]
	s_and_saveexec_b64 s[6:7], s[4:5]
	s_cbranch_execz .LBB14_880
.LBB14_879:
	v_bfe_u32 v4, v5, 8, 3
	v_ffbh_u32_e32 v7, v4
	v_min_u32_e32 v7, 32, v7
	v_lshrrev_b16_e32 v6, 3, v3
	v_subrev_u32_e32 v8, 28, v7
	v_and_b32_e32 v6, 15, v6
	v_lshlrev_b32_e32 v3, v8, v3
	v_sub_u32_e32 v7, 29, v7
	v_and_b32_e32 v3, 7, v3
	v_cmp_eq_u16_e32 vcc, 0, v6
	v_cndmask_b32_e32 v3, v4, v3, vcc
	v_cndmask_b32_e32 v4, v6, v7, vcc
	v_lshlrev_b32_e32 v6, 16, v5
	v_mov_b32_e32 v7, 0x3b800000
	v_lshlrev_b32_e32 v3, 20, v3
	v_and_b32_e32 v6, 0x80000000, v6
	v_lshl_add_u32 v4, v4, 23, v7
	v_or3_b32 v4, v6, v4, v3
.LBB14_880:
	s_or_b64 exec, exec, s[6:7]
	s_nop 0
	v_mfma_f32_16x16x4f32 a[0:3], v2, v4, a[0:3]
	s_movk_i32 s4, 0xff
	v_and_b32_sdwa v3, v9, s4 dst_sel:DWORD dst_unused:UNUSED_PAD src0_sel:WORD_1 src1_sel:DWORD
	s_movk_i32 s4, 0x7f
	v_cmp_lt_i16_e32 vcc, s4, v3
	s_mov_b64 s[4:5], 0
                                        ; implicit-def: $sgpr10
	s_and_saveexec_b64 s[6:7], vcc
	s_xor_b64 s[6:7], exec, s[6:7]
	s_cbranch_execnz .LBB14_2929
; %bb.881:
	s_or_saveexec_b64 s[6:7], s[6:7]
	v_mov_b32_e32 v2, s10
	s_xor_b64 exec, exec, s[6:7]
	s_cbranch_execnz .LBB14_2932
.LBB14_882:
	s_or_b64 exec, exec, s[6:7]
	s_and_saveexec_b64 s[6:7], s[4:5]
	s_cbranch_execz .LBB14_884
.LBB14_883:
	v_bfe_u32 v2, v9, 16, 3
	v_ffbh_u32_e32 v6, v2
	v_min_u32_e32 v6, 32, v6
	v_lshrrev_b32_e32 v3, 19, v9
	v_subrev_u32_e32 v7, 28, v6
	v_and_b32_e32 v3, 15, v3
	v_lshlrev_b32_sdwa v7, v7, v9 dst_sel:DWORD dst_unused:UNUSED_PAD src0_sel:DWORD src1_sel:WORD_1
	v_bfe_u32 v4, v9, 19, 4
	v_sub_u32_e32 v6, 29, v6
	v_and_b32_e32 v7, 7, v7
	v_cmp_eq_u16_e32 vcc, 0, v3
	v_cndmask_b32_e32 v2, v2, v7, vcc
	v_cndmask_b32_e32 v3, v4, v6, vcc
	v_lshlrev_b32_e32 v4, 8, v9
	v_mov_b32_e32 v6, 0x3b800000
	v_lshlrev_b32_e32 v2, 20, v2
	v_and_b32_e32 v4, 0x80000000, v4
	v_lshl_add_u32 v3, v3, 23, v6
	v_or3_b32 v2, v4, v3, v2
.LBB14_884:
	s_or_b64 exec, exec, s[6:7]
	s_movk_i32 s4, 0xff
	v_and_b32_sdwa v3, v5, s4 dst_sel:DWORD dst_unused:UNUSED_PAD src0_sel:WORD_1 src1_sel:DWORD
	s_movk_i32 s4, 0x7f
	v_cmp_lt_i16_e32 vcc, s4, v3
	s_mov_b64 s[4:5], 0
                                        ; implicit-def: $sgpr10
	s_and_saveexec_b64 s[6:7], vcc
	s_xor_b64 s[6:7], exec, s[6:7]
	s_cbranch_execnz .LBB14_2933
; %bb.885:
	s_or_saveexec_b64 s[6:7], s[6:7]
	v_mov_b32_e32 v4, s10
	s_xor_b64 exec, exec, s[6:7]
	s_cbranch_execnz .LBB14_2936
.LBB14_886:
	s_or_b64 exec, exec, s[6:7]
	s_and_saveexec_b64 s[6:7], s[4:5]
	s_cbranch_execz .LBB14_888
.LBB14_887:
	v_bfe_u32 v3, v5, 16, 3
	v_ffbh_u32_e32 v7, v3
	v_min_u32_e32 v7, 32, v7
	v_lshrrev_b32_e32 v4, 19, v5
	v_subrev_u32_e32 v8, 28, v7
	v_and_b32_e32 v4, 15, v4
	v_lshlrev_b32_sdwa v8, v8, v5 dst_sel:DWORD dst_unused:UNUSED_PAD src0_sel:DWORD src1_sel:WORD_1
	v_bfe_u32 v6, v5, 19, 4
	v_sub_u32_e32 v7, 29, v7
	v_and_b32_e32 v8, 7, v8
	v_cmp_eq_u16_e32 vcc, 0, v4
	v_cndmask_b32_e32 v3, v3, v8, vcc
	v_cndmask_b32_e32 v4, v6, v7, vcc
	v_lshlrev_b32_e32 v6, 8, v5
	v_mov_b32_e32 v7, 0x3b800000
	v_lshlrev_b32_e32 v3, 20, v3
	v_and_b32_e32 v6, 0x80000000, v6
	v_lshl_add_u32 v4, v4, 23, v7
	v_or3_b32 v4, v6, v4, v3
.LBB14_888:
	s_or_b64 exec, exec, s[6:7]
	s_nop 0
	v_mfma_f32_16x16x4f32 a[0:3], v2, v4, a[0:3]
	s_movk_i32 s4, 0x7f
	v_cmp_gt_i16_sdwa s[6:7], v9, s4 src0_sel:BYTE_3 src1_sel:DWORD
	s_mov_b64 s[4:5], 0
                                        ; implicit-def: $sgpr10
	s_and_saveexec_b64 s[8:9], s[6:7]
	s_xor_b64 s[6:7], exec, s[8:9]
	s_cbranch_execnz .LBB14_2937
; %bb.889:
	s_or_saveexec_b64 s[6:7], s[6:7]
	v_mov_b32_e32 v2, s10
	s_xor_b64 exec, exec, s[6:7]
	s_cbranch_execnz .LBB14_2940
.LBB14_890:
	s_or_b64 exec, exec, s[6:7]
	s_and_saveexec_b64 s[6:7], s[4:5]
	s_cbranch_execz .LBB14_892
.LBB14_891:
	v_bfe_u32 v2, v9, 24, 3
	v_ffbh_u32_e32 v7, v2
	v_min_u32_e32 v7, 32, v7
	v_lshrrev_b32_e32 v4, 27, v9
	v_subrev_u32_e32 v8, 28, v7
	v_and_b32_e32 v4, 15, v4
	v_lshlrev_b32_sdwa v8, v8, v9 dst_sel:DWORD dst_unused:UNUSED_PAD src0_sel:DWORD src1_sel:BYTE_3
	v_bfe_u32 v6, v9, 27, 4
	v_sub_u32_e32 v7, 29, v7
	v_and_b32_e32 v8, 7, v8
	v_cmp_eq_u16_e32 vcc, 0, v4
	v_cndmask_b32_e32 v2, v2, v8, vcc
	v_cndmask_b32_e32 v4, v6, v7, vcc
	v_mov_b32_e32 v6, 0x3b800000
	v_and_b32_e32 v3, 0x80000000, v9
	v_lshlrev_b32_e32 v2, 20, v2
	v_lshl_add_u32 v4, v4, 23, v6
	v_or3_b32 v2, v3, v4, v2
.LBB14_892:
	s_or_b64 exec, exec, s[6:7]
	s_movk_i32 s4, 0x7f
	v_cmp_gt_i16_sdwa s[6:7], v5, s4 src0_sel:BYTE_3 src1_sel:DWORD
	s_mov_b64 s[4:5], 0
                                        ; implicit-def: $sgpr10
	s_and_saveexec_b64 s[8:9], s[6:7]
	s_xor_b64 s[6:7], exec, s[8:9]
	s_cbranch_execnz .LBB14_2941
; %bb.893:
	s_or_saveexec_b64 s[6:7], s[6:7]
	v_mov_b32_e32 v3, s10
	s_xor_b64 exec, exec, s[6:7]
	s_cbranch_execnz .LBB14_2944
.LBB14_894:
	s_or_b64 exec, exec, s[6:7]
	s_and_saveexec_b64 s[6:7], s[4:5]
	s_cbranch_execz .LBB14_896
.LBB14_895:
	v_bfe_u32 v3, v5, 24, 3
	v_ffbh_u32_e32 v8, v3
	v_min_u32_e32 v8, 32, v8
	v_lshrrev_b32_e32 v6, 27, v5
	v_subrev_u32_e32 v9, 28, v8
	v_and_b32_e32 v4, 0x80000000, v5
	v_and_b32_e32 v6, 15, v6
	v_bfe_u32 v7, v5, 27, 4
	v_lshlrev_b32_sdwa v5, v9, v5 dst_sel:DWORD dst_unused:UNUSED_PAD src0_sel:DWORD src1_sel:BYTE_3
	v_sub_u32_e32 v8, 29, v8
	v_and_b32_e32 v5, 7, v5
	v_cmp_eq_u16_e32 vcc, 0, v6
	v_cndmask_b32_e32 v3, v3, v5, vcc
	v_cndmask_b32_e32 v5, v7, v8, vcc
	v_mov_b32_e32 v6, 0x3b800000
	v_lshlrev_b32_e32 v3, 20, v3
	v_lshl_add_u32 v5, v5, 23, v6
	v_or3_b32 v3, v4, v5, v3
.LBB14_896:
	s_or_b64 exec, exec, s[6:7]
	s_nop 0
	v_mfma_f32_16x16x4f32 a[0:3], v2, v3, a[0:3]
	s_movk_i32 s4, 0x7f
                                        ; implicit-def: $sgpr10
	s_nop 7
	s_nop 1
	flat_store_dwordx4 v[10:11], a[0:3] offset:96
	flat_load_dwordx4 v[12:15], v[0:1] offset:8
	s_nop 0
	flat_load_dwordx2 v[10:11], v[0:1] offset:32
	s_waitcnt vmcnt(0) lgkmcnt(0)
	flat_load_dwordx4 v[6:9], v[12:13] offset:32
	flat_load_dwordx4 v[2:5], v[14:15] offset:96
	s_waitcnt vmcnt(0) lgkmcnt(0)
	v_cmp_gt_i16_sdwa s[6:7], v6, s4 src0_sel:BYTE_0 src1_sel:DWORD
	s_mov_b64 s[4:5], 0
	s_and_saveexec_b64 s[8:9], s[6:7]
	s_xor_b64 s[6:7], exec, s[8:9]
	s_cbranch_execnz .LBB14_2945
; %bb.897:
	s_or_saveexec_b64 s[6:7], s[6:7]
	v_mov_b32_e32 v12, s10
	s_xor_b64 exec, exec, s[6:7]
	s_cbranch_execnz .LBB14_2948
.LBB14_898:
	s_or_b64 exec, exec, s[6:7]
	s_and_saveexec_b64 s[6:7], s[4:5]
	s_cbranch_execz .LBB14_900
.LBB14_899:
	v_and_b32_e32 v12, 7, v6
	v_ffbh_u32_e32 v14, v12
	v_min_u32_e32 v14, 32, v14
	v_lshrrev_b16_e32 v13, 3, v6
	v_subrev_u32_e32 v15, 28, v14
	v_and_b32_e32 v13, 15, v13
	v_lshlrev_b32_e32 v15, v15, v6
	v_sub_u32_e32 v14, 29, v14
	v_and_b32_e32 v15, 7, v15
	v_cmp_eq_u16_e32 vcc, 0, v13
	v_cndmask_b32_e32 v12, v12, v15, vcc
	v_cndmask_b32_e32 v13, v13, v14, vcc
	v_lshlrev_b32_e32 v14, 24, v6
	v_mov_b32_e32 v15, 0x3b800000
	v_lshlrev_b32_e32 v12, 20, v12
	v_and_b32_e32 v14, 0x80000000, v14
	v_lshl_add_u32 v13, v13, 23, v15
	v_or3_b32 v12, v14, v13, v12
.LBB14_900:
	s_or_b64 exec, exec, s[6:7]
	s_movk_i32 s4, 0x7f
	v_cmp_gt_i16_sdwa s[6:7], v2, s4 src0_sel:BYTE_0 src1_sel:DWORD
	s_mov_b64 s[4:5], 0
                                        ; implicit-def: $sgpr10
	s_and_saveexec_b64 s[8:9], s[6:7]
	s_xor_b64 s[6:7], exec, s[8:9]
	s_cbranch_execnz .LBB14_2949
; %bb.901:
	s_or_saveexec_b64 s[6:7], s[6:7]
	v_mov_b32_e32 v13, s10
	s_xor_b64 exec, exec, s[6:7]
	s_cbranch_execnz .LBB14_2952
.LBB14_902:
	s_or_b64 exec, exec, s[6:7]
	s_and_saveexec_b64 s[6:7], s[4:5]
	s_cbranch_execz .LBB14_904
.LBB14_903:
	v_and_b32_e32 v13, 7, v2
	v_ffbh_u32_e32 v15, v13
	v_min_u32_e32 v15, 32, v15
	v_lshrrev_b16_e32 v14, 3, v2
	v_subrev_u32_e32 v16, 28, v15
	v_and_b32_e32 v14, 15, v14
	v_lshlrev_b32_e32 v16, v16, v2
	v_sub_u32_e32 v15, 29, v15
	v_and_b32_e32 v16, 7, v16
	v_cmp_eq_u16_e32 vcc, 0, v14
	v_cndmask_b32_e32 v13, v13, v16, vcc
	v_cndmask_b32_e32 v14, v14, v15, vcc
	v_lshlrev_b32_e32 v15, 24, v2
	v_mov_b32_e32 v16, 0x3b800000
	v_lshlrev_b32_e32 v13, 20, v13
	v_and_b32_e32 v15, 0x80000000, v15
	v_lshl_add_u32 v14, v14, 23, v16
	v_or3_b32 v13, v15, v14, v13
.LBB14_904:
	s_or_b64 exec, exec, s[6:7]
	flat_load_dwordx4 a[0:3], v[10:11] offset:112
	s_movk_i32 s4, 0x7f
                                        ; implicit-def: $sgpr10
	s_waitcnt vmcnt(0) lgkmcnt(0)
	v_mfma_f32_16x16x4f32 a[0:3], v12, v13, a[0:3]
	v_lshrrev_b32_e32 v13, 8, v6
	v_cmp_gt_i16_sdwa s[6:7], v13, s4 src0_sel:BYTE_0 src1_sel:DWORD
	s_mov_b64 s[4:5], 0
	s_and_saveexec_b64 s[8:9], s[6:7]
	s_xor_b64 s[6:7], exec, s[8:9]
	s_cbranch_execnz .LBB14_2953
; %bb.905:
	s_or_saveexec_b64 s[6:7], s[6:7]
	v_mov_b32_e32 v12, s10
	s_xor_b64 exec, exec, s[6:7]
	s_cbranch_execnz .LBB14_2956
.LBB14_906:
	s_or_b64 exec, exec, s[6:7]
	s_and_saveexec_b64 s[6:7], s[4:5]
	s_cbranch_execz .LBB14_908
.LBB14_907:
	v_bfe_u32 v12, v6, 8, 3
	v_ffbh_u32_e32 v15, v12
	v_min_u32_e32 v15, 32, v15
	v_lshrrev_b16_e32 v14, 3, v13
	v_subrev_u32_e32 v16, 28, v15
	v_and_b32_e32 v14, 15, v14
	v_lshlrev_b32_e32 v13, v16, v13
	v_sub_u32_e32 v15, 29, v15
	v_and_b32_e32 v13, 7, v13
	v_cmp_eq_u16_e32 vcc, 0, v14
	v_cndmask_b32_e32 v12, v12, v13, vcc
	v_cndmask_b32_e32 v13, v14, v15, vcc
	v_lshlrev_b32_e32 v14, 16, v6
	v_mov_b32_e32 v15, 0x3b800000
	v_lshlrev_b32_e32 v12, 20, v12
	v_and_b32_e32 v14, 0x80000000, v14
	v_lshl_add_u32 v13, v13, 23, v15
	v_or3_b32 v12, v14, v13, v12
.LBB14_908:
	s_or_b64 exec, exec, s[6:7]
	v_lshrrev_b32_e32 v13, 8, v2
	s_movk_i32 s4, 0x7f
	v_cmp_gt_i16_sdwa s[6:7], v13, s4 src0_sel:BYTE_0 src1_sel:DWORD
	s_mov_b64 s[4:5], 0
                                        ; implicit-def: $sgpr10
	s_and_saveexec_b64 s[8:9], s[6:7]
	s_xor_b64 s[6:7], exec, s[8:9]
	s_cbranch_execnz .LBB14_2957
; %bb.909:
	s_or_saveexec_b64 s[6:7], s[6:7]
	v_mov_b32_e32 v14, s10
	s_xor_b64 exec, exec, s[6:7]
	s_cbranch_execnz .LBB14_2960
.LBB14_910:
	s_or_b64 exec, exec, s[6:7]
	s_and_saveexec_b64 s[6:7], s[4:5]
	s_cbranch_execz .LBB14_912
.LBB14_911:
	v_bfe_u32 v14, v2, 8, 3
	v_ffbh_u32_e32 v16, v14
	v_min_u32_e32 v16, 32, v16
	v_lshrrev_b16_e32 v15, 3, v13
	v_subrev_u32_e32 v17, 28, v16
	v_and_b32_e32 v15, 15, v15
	v_lshlrev_b32_e32 v13, v17, v13
	v_sub_u32_e32 v16, 29, v16
	v_and_b32_e32 v13, 7, v13
	v_cmp_eq_u16_e32 vcc, 0, v15
	v_cndmask_b32_e32 v13, v14, v13, vcc
	v_cndmask_b32_e32 v14, v15, v16, vcc
	v_lshlrev_b32_e32 v15, 16, v2
	v_mov_b32_e32 v16, 0x3b800000
	v_lshlrev_b32_e32 v13, 20, v13
	v_and_b32_e32 v15, 0x80000000, v15
	v_lshl_add_u32 v14, v14, 23, v16
	v_or3_b32 v14, v15, v14, v13
.LBB14_912:
	s_or_b64 exec, exec, s[6:7]
	s_nop 0
	v_mfma_f32_16x16x4f32 a[0:3], v12, v14, a[0:3]
	s_movk_i32 s4, 0xff
	v_and_b32_sdwa v13, v6, s4 dst_sel:DWORD dst_unused:UNUSED_PAD src0_sel:WORD_1 src1_sel:DWORD
	s_movk_i32 s4, 0x7f
	v_cmp_lt_i16_e32 vcc, s4, v13
	s_mov_b64 s[4:5], 0
                                        ; implicit-def: $sgpr10
	s_and_saveexec_b64 s[6:7], vcc
	s_xor_b64 s[6:7], exec, s[6:7]
	s_cbranch_execnz .LBB14_2961
; %bb.913:
	s_or_saveexec_b64 s[6:7], s[6:7]
	v_mov_b32_e32 v12, s10
	s_xor_b64 exec, exec, s[6:7]
	s_cbranch_execnz .LBB14_2964
.LBB14_914:
	s_or_b64 exec, exec, s[6:7]
	s_and_saveexec_b64 s[6:7], s[4:5]
	s_cbranch_execz .LBB14_916
.LBB14_915:
	v_bfe_u32 v12, v6, 16, 3
	v_ffbh_u32_e32 v15, v12
	v_min_u32_e32 v15, 32, v15
	v_lshrrev_b32_e32 v13, 19, v6
	v_subrev_u32_e32 v16, 28, v15
	v_and_b32_e32 v13, 15, v13
	v_lshlrev_b32_sdwa v16, v16, v6 dst_sel:DWORD dst_unused:UNUSED_PAD src0_sel:DWORD src1_sel:WORD_1
	v_bfe_u32 v14, v6, 19, 4
	v_sub_u32_e32 v15, 29, v15
	v_and_b32_e32 v16, 7, v16
	v_cmp_eq_u16_e32 vcc, 0, v13
	v_cndmask_b32_e32 v12, v12, v16, vcc
	v_cndmask_b32_e32 v13, v14, v15, vcc
	v_lshlrev_b32_e32 v14, 8, v6
	v_mov_b32_e32 v15, 0x3b800000
	v_lshlrev_b32_e32 v12, 20, v12
	v_and_b32_e32 v14, 0x80000000, v14
	v_lshl_add_u32 v13, v13, 23, v15
	v_or3_b32 v12, v14, v13, v12
.LBB14_916:
	s_or_b64 exec, exec, s[6:7]
	s_movk_i32 s4, 0xff
	v_and_b32_sdwa v13, v2, s4 dst_sel:DWORD dst_unused:UNUSED_PAD src0_sel:WORD_1 src1_sel:DWORD
	s_movk_i32 s4, 0x7f
	v_cmp_lt_i16_e32 vcc, s4, v13
	s_mov_b64 s[4:5], 0
                                        ; implicit-def: $sgpr10
	s_and_saveexec_b64 s[6:7], vcc
	s_xor_b64 s[6:7], exec, s[6:7]
	s_cbranch_execnz .LBB14_2965
; %bb.917:
	s_or_saveexec_b64 s[6:7], s[6:7]
	v_mov_b32_e32 v14, s10
	s_xor_b64 exec, exec, s[6:7]
	s_cbranch_execnz .LBB14_2968
.LBB14_918:
	s_or_b64 exec, exec, s[6:7]
	s_and_saveexec_b64 s[6:7], s[4:5]
	s_cbranch_execz .LBB14_920
.LBB14_919:
	v_bfe_u32 v13, v2, 16, 3
	v_ffbh_u32_e32 v16, v13
	v_min_u32_e32 v16, 32, v16
	v_lshrrev_b32_e32 v14, 19, v2
	v_subrev_u32_e32 v17, 28, v16
	v_and_b32_e32 v14, 15, v14
	v_lshlrev_b32_sdwa v17, v17, v2 dst_sel:DWORD dst_unused:UNUSED_PAD src0_sel:DWORD src1_sel:WORD_1
	v_bfe_u32 v15, v2, 19, 4
	v_sub_u32_e32 v16, 29, v16
	v_and_b32_e32 v17, 7, v17
	v_cmp_eq_u16_e32 vcc, 0, v14
	v_cndmask_b32_e32 v13, v13, v17, vcc
	v_cndmask_b32_e32 v14, v15, v16, vcc
	v_lshlrev_b32_e32 v15, 8, v2
	v_mov_b32_e32 v16, 0x3b800000
	v_lshlrev_b32_e32 v13, 20, v13
	v_and_b32_e32 v15, 0x80000000, v15
	v_lshl_add_u32 v14, v14, 23, v16
	v_or3_b32 v14, v15, v14, v13
.LBB14_920:
	s_or_b64 exec, exec, s[6:7]
	s_nop 0
	v_mfma_f32_16x16x4f32 a[0:3], v12, v14, a[0:3]
	s_movk_i32 s4, 0x7f
	v_cmp_gt_i16_sdwa s[6:7], v6, s4 src0_sel:BYTE_3 src1_sel:DWORD
	s_mov_b64 s[4:5], 0
                                        ; implicit-def: $sgpr10
	s_and_saveexec_b64 s[8:9], s[6:7]
	s_xor_b64 s[6:7], exec, s[8:9]
	s_cbranch_execnz .LBB14_2969
; %bb.921:
	s_or_saveexec_b64 s[6:7], s[6:7]
	v_mov_b32_e32 v12, s10
	s_xor_b64 exec, exec, s[6:7]
	s_cbranch_execnz .LBB14_2972
.LBB14_922:
	s_or_b64 exec, exec, s[6:7]
	s_and_saveexec_b64 s[6:7], s[4:5]
	s_cbranch_execz .LBB14_924
.LBB14_923:
	v_bfe_u32 v12, v6, 24, 3
	v_ffbh_u32_e32 v16, v12
	v_min_u32_e32 v16, 32, v16
	v_lshrrev_b32_e32 v14, 27, v6
	v_subrev_u32_e32 v17, 28, v16
	v_and_b32_e32 v13, 0x80000000, v6
	v_and_b32_e32 v14, 15, v14
	v_bfe_u32 v15, v6, 27, 4
	v_lshlrev_b32_sdwa v6, v17, v6 dst_sel:DWORD dst_unused:UNUSED_PAD src0_sel:DWORD src1_sel:BYTE_3
	v_sub_u32_e32 v16, 29, v16
	v_and_b32_e32 v6, 7, v6
	v_cmp_eq_u16_e32 vcc, 0, v14
	v_cndmask_b32_e32 v6, v12, v6, vcc
	v_cndmask_b32_e32 v12, v15, v16, vcc
	v_mov_b32_e32 v14, 0x3b800000
	v_lshlrev_b32_e32 v6, 20, v6
	v_lshl_add_u32 v12, v12, 23, v14
	v_or3_b32 v12, v13, v12, v6
.LBB14_924:
	s_or_b64 exec, exec, s[6:7]
	s_movk_i32 s4, 0x7f
	v_cmp_gt_i16_sdwa s[6:7], v2, s4 src0_sel:BYTE_3 src1_sel:DWORD
	s_mov_b64 s[4:5], 0
                                        ; implicit-def: $sgpr10
	s_and_saveexec_b64 s[8:9], s[6:7]
	s_xor_b64 s[6:7], exec, s[8:9]
	s_cbranch_execnz .LBB14_2973
; %bb.925:
	s_or_saveexec_b64 s[6:7], s[6:7]
	v_mov_b32_e32 v6, s10
	s_xor_b64 exec, exec, s[6:7]
	s_cbranch_execnz .LBB14_2976
.LBB14_926:
	s_or_b64 exec, exec, s[6:7]
	s_and_saveexec_b64 s[6:7], s[4:5]
	s_cbranch_execz .LBB14_928
.LBB14_927:
	v_bfe_u32 v6, v2, 24, 3
	v_ffbh_u32_e32 v16, v6
	v_min_u32_e32 v16, 32, v16
	v_lshrrev_b32_e32 v14, 27, v2
	v_subrev_u32_e32 v17, 28, v16
	v_and_b32_e32 v13, 0x80000000, v2
	v_and_b32_e32 v14, 15, v14
	v_bfe_u32 v15, v2, 27, 4
	v_lshlrev_b32_sdwa v2, v17, v2 dst_sel:DWORD dst_unused:UNUSED_PAD src0_sel:DWORD src1_sel:BYTE_3
	v_sub_u32_e32 v16, 29, v16
	v_and_b32_e32 v2, 7, v2
	v_cmp_eq_u16_e32 vcc, 0, v14
	v_cndmask_b32_e32 v2, v6, v2, vcc
	v_cndmask_b32_e32 v6, v15, v16, vcc
	v_mov_b32_e32 v14, 0x3b800000
	v_lshlrev_b32_e32 v2, 20, v2
	v_lshl_add_u32 v6, v6, 23, v14
	v_or3_b32 v6, v13, v6, v2
.LBB14_928:
	s_or_b64 exec, exec, s[6:7]
	s_nop 0
	v_mfma_f32_16x16x4f32 a[0:3], v12, v6, a[0:3]
	s_movk_i32 s4, 0x7f
	v_cmp_gt_i16_sdwa s[6:7], v7, s4 src0_sel:BYTE_0 src1_sel:DWORD
	s_mov_b64 s[4:5], 0
                                        ; implicit-def: $sgpr10
	s_and_saveexec_b64 s[8:9], s[6:7]
	s_xor_b64 s[6:7], exec, s[8:9]
	s_cbranch_execnz .LBB14_2977
; %bb.929:
	s_or_saveexec_b64 s[6:7], s[6:7]
	v_mov_b32_e32 v2, s10
	s_xor_b64 exec, exec, s[6:7]
	s_cbranch_execnz .LBB14_2980
.LBB14_930:
	s_or_b64 exec, exec, s[6:7]
	s_and_saveexec_b64 s[6:7], s[4:5]
	s_cbranch_execz .LBB14_932
.LBB14_931:
	v_and_b32_e32 v2, 7, v7
	v_ffbh_u32_e32 v12, v2
	v_min_u32_e32 v12, 32, v12
	v_lshrrev_b16_e32 v6, 3, v7
	v_subrev_u32_e32 v13, 28, v12
	v_and_b32_e32 v6, 15, v6
	v_lshlrev_b32_e32 v13, v13, v7
	v_sub_u32_e32 v12, 29, v12
	v_and_b32_e32 v13, 7, v13
	v_cmp_eq_u16_e32 vcc, 0, v6
	v_cndmask_b32_e32 v2, v2, v13, vcc
	v_cndmask_b32_e32 v6, v6, v12, vcc
	v_lshlrev_b32_e32 v12, 24, v7
	v_mov_b32_e32 v13, 0x3b800000
	v_lshlrev_b32_e32 v2, 20, v2
	v_and_b32_e32 v12, 0x80000000, v12
	v_lshl_add_u32 v6, v6, 23, v13
	v_or3_b32 v2, v12, v6, v2
.LBB14_932:
	s_or_b64 exec, exec, s[6:7]
	s_movk_i32 s4, 0x7f
	v_cmp_gt_i16_sdwa s[6:7], v3, s4 src0_sel:BYTE_0 src1_sel:DWORD
	s_mov_b64 s[4:5], 0
                                        ; implicit-def: $sgpr10
	s_and_saveexec_b64 s[8:9], s[6:7]
	s_xor_b64 s[6:7], exec, s[8:9]
	s_cbranch_execnz .LBB14_2981
; %bb.933:
	s_or_saveexec_b64 s[6:7], s[6:7]
	v_mov_b32_e32 v6, s10
	s_xor_b64 exec, exec, s[6:7]
	s_cbranch_execnz .LBB14_2984
.LBB14_934:
	s_or_b64 exec, exec, s[6:7]
	s_and_saveexec_b64 s[6:7], s[4:5]
	s_cbranch_execz .LBB14_936
.LBB14_935:
	v_and_b32_e32 v6, 7, v3
	v_ffbh_u32_e32 v13, v6
	v_min_u32_e32 v13, 32, v13
	v_lshrrev_b16_e32 v12, 3, v3
	v_subrev_u32_e32 v14, 28, v13
	v_and_b32_e32 v12, 15, v12
	v_lshlrev_b32_e32 v14, v14, v3
	v_sub_u32_e32 v13, 29, v13
	v_and_b32_e32 v14, 7, v14
	v_cmp_eq_u16_e32 vcc, 0, v12
	v_cndmask_b32_e32 v6, v6, v14, vcc
	v_cndmask_b32_e32 v12, v12, v13, vcc
	v_lshlrev_b32_e32 v13, 24, v3
	v_mov_b32_e32 v14, 0x3b800000
	v_lshlrev_b32_e32 v6, 20, v6
	v_and_b32_e32 v13, 0x80000000, v13
	v_lshl_add_u32 v12, v12, 23, v14
	v_or3_b32 v6, v13, v12, v6
.LBB14_936:
	s_or_b64 exec, exec, s[6:7]
	s_nop 0
	v_mfma_f32_16x16x4f32 a[0:3], v2, v6, a[0:3]
	v_lshrrev_b32_e32 v6, 8, v7
	s_movk_i32 s4, 0x7f
	v_cmp_gt_i16_sdwa s[6:7], v6, s4 src0_sel:BYTE_0 src1_sel:DWORD
	s_mov_b64 s[4:5], 0
                                        ; implicit-def: $sgpr10
	s_and_saveexec_b64 s[8:9], s[6:7]
	s_xor_b64 s[6:7], exec, s[8:9]
	s_cbranch_execnz .LBB14_2985
; %bb.937:
	s_or_saveexec_b64 s[6:7], s[6:7]
	v_mov_b32_e32 v2, s10
	s_xor_b64 exec, exec, s[6:7]
	s_cbranch_execnz .LBB14_2988
.LBB14_938:
	s_or_b64 exec, exec, s[6:7]
	s_and_saveexec_b64 s[6:7], s[4:5]
	s_cbranch_execz .LBB14_940
.LBB14_939:
	v_bfe_u32 v2, v7, 8, 3
	v_ffbh_u32_e32 v13, v2
	v_min_u32_e32 v13, 32, v13
	v_lshrrev_b16_e32 v12, 3, v6
	v_subrev_u32_e32 v14, 28, v13
	v_and_b32_e32 v12, 15, v12
	v_lshlrev_b32_e32 v6, v14, v6
	v_sub_u32_e32 v13, 29, v13
	v_and_b32_e32 v6, 7, v6
	v_cmp_eq_u16_e32 vcc, 0, v12
	v_cndmask_b32_e32 v2, v2, v6, vcc
	v_cndmask_b32_e32 v6, v12, v13, vcc
	v_lshlrev_b32_e32 v12, 16, v7
	v_mov_b32_e32 v13, 0x3b800000
	v_lshlrev_b32_e32 v2, 20, v2
	v_and_b32_e32 v12, 0x80000000, v12
	v_lshl_add_u32 v6, v6, 23, v13
	v_or3_b32 v2, v12, v6, v2
.LBB14_940:
	s_or_b64 exec, exec, s[6:7]
	v_lshrrev_b32_e32 v6, 8, v3
	s_movk_i32 s4, 0x7f
	v_cmp_gt_i16_sdwa s[6:7], v6, s4 src0_sel:BYTE_0 src1_sel:DWORD
	s_mov_b64 s[4:5], 0
                                        ; implicit-def: $sgpr10
	s_and_saveexec_b64 s[8:9], s[6:7]
	s_xor_b64 s[6:7], exec, s[8:9]
	s_cbranch_execnz .LBB14_2989
; %bb.941:
	s_or_saveexec_b64 s[6:7], s[6:7]
	v_mov_b32_e32 v12, s10
	s_xor_b64 exec, exec, s[6:7]
	s_cbranch_execnz .LBB14_2992
.LBB14_942:
	s_or_b64 exec, exec, s[6:7]
	s_and_saveexec_b64 s[6:7], s[4:5]
	s_cbranch_execz .LBB14_944
.LBB14_943:
	v_bfe_u32 v12, v3, 8, 3
	v_ffbh_u32_e32 v14, v12
	v_min_u32_e32 v14, 32, v14
	v_lshrrev_b16_e32 v13, 3, v6
	v_subrev_u32_e32 v15, 28, v14
	v_and_b32_e32 v13, 15, v13
	v_lshlrev_b32_e32 v6, v15, v6
	v_sub_u32_e32 v14, 29, v14
	v_and_b32_e32 v6, 7, v6
	v_cmp_eq_u16_e32 vcc, 0, v13
	v_cndmask_b32_e32 v6, v12, v6, vcc
	v_cndmask_b32_e32 v12, v13, v14, vcc
	v_lshlrev_b32_e32 v13, 16, v3
	v_mov_b32_e32 v14, 0x3b800000
	v_lshlrev_b32_e32 v6, 20, v6
	v_and_b32_e32 v13, 0x80000000, v13
	v_lshl_add_u32 v12, v12, 23, v14
	v_or3_b32 v12, v13, v12, v6
.LBB14_944:
	s_or_b64 exec, exec, s[6:7]
	s_nop 0
	v_mfma_f32_16x16x4f32 a[0:3], v2, v12, a[0:3]
	s_movk_i32 s4, 0xff
	v_and_b32_sdwa v6, v7, s4 dst_sel:DWORD dst_unused:UNUSED_PAD src0_sel:WORD_1 src1_sel:DWORD
	s_movk_i32 s4, 0x7f
	v_cmp_lt_i16_e32 vcc, s4, v6
	s_mov_b64 s[4:5], 0
                                        ; implicit-def: $sgpr10
	s_and_saveexec_b64 s[6:7], vcc
	s_xor_b64 s[6:7], exec, s[6:7]
	s_cbranch_execnz .LBB14_2993
; %bb.945:
	s_or_saveexec_b64 s[6:7], s[6:7]
	v_mov_b32_e32 v2, s10
	s_xor_b64 exec, exec, s[6:7]
	s_cbranch_execnz .LBB14_2996
.LBB14_946:
	s_or_b64 exec, exec, s[6:7]
	s_and_saveexec_b64 s[6:7], s[4:5]
	s_cbranch_execz .LBB14_948
.LBB14_947:
	v_bfe_u32 v2, v7, 16, 3
	v_ffbh_u32_e32 v13, v2
	v_min_u32_e32 v13, 32, v13
	v_lshrrev_b32_e32 v6, 19, v7
	v_subrev_u32_e32 v14, 28, v13
	v_and_b32_e32 v6, 15, v6
	v_lshlrev_b32_sdwa v14, v14, v7 dst_sel:DWORD dst_unused:UNUSED_PAD src0_sel:DWORD src1_sel:WORD_1
	v_bfe_u32 v12, v7, 19, 4
	v_sub_u32_e32 v13, 29, v13
	v_and_b32_e32 v14, 7, v14
	v_cmp_eq_u16_e32 vcc, 0, v6
	v_cndmask_b32_e32 v2, v2, v14, vcc
	v_cndmask_b32_e32 v6, v12, v13, vcc
	v_lshlrev_b32_e32 v12, 8, v7
	v_mov_b32_e32 v13, 0x3b800000
	v_lshlrev_b32_e32 v2, 20, v2
	v_and_b32_e32 v12, 0x80000000, v12
	v_lshl_add_u32 v6, v6, 23, v13
	v_or3_b32 v2, v12, v6, v2
.LBB14_948:
	s_or_b64 exec, exec, s[6:7]
	s_movk_i32 s4, 0xff
	v_and_b32_sdwa v6, v3, s4 dst_sel:DWORD dst_unused:UNUSED_PAD src0_sel:WORD_1 src1_sel:DWORD
	s_movk_i32 s4, 0x7f
	v_cmp_lt_i16_e32 vcc, s4, v6
	s_mov_b64 s[4:5], 0
                                        ; implicit-def: $sgpr10
	s_and_saveexec_b64 s[6:7], vcc
	s_xor_b64 s[6:7], exec, s[6:7]
	s_cbranch_execnz .LBB14_2997
; %bb.949:
	s_or_saveexec_b64 s[6:7], s[6:7]
	v_mov_b32_e32 v12, s10
	s_xor_b64 exec, exec, s[6:7]
	s_cbranch_execnz .LBB14_3000
.LBB14_950:
	s_or_b64 exec, exec, s[6:7]
	s_and_saveexec_b64 s[6:7], s[4:5]
	s_cbranch_execz .LBB14_952
.LBB14_951:
	v_bfe_u32 v6, v3, 16, 3
	v_ffbh_u32_e32 v14, v6
	v_min_u32_e32 v14, 32, v14
	v_lshrrev_b32_e32 v12, 19, v3
	v_subrev_u32_e32 v15, 28, v14
	v_and_b32_e32 v12, 15, v12
	v_lshlrev_b32_sdwa v15, v15, v3 dst_sel:DWORD dst_unused:UNUSED_PAD src0_sel:DWORD src1_sel:WORD_1
	v_bfe_u32 v13, v3, 19, 4
	v_sub_u32_e32 v14, 29, v14
	v_and_b32_e32 v15, 7, v15
	v_cmp_eq_u16_e32 vcc, 0, v12
	v_cndmask_b32_e32 v6, v6, v15, vcc
	v_cndmask_b32_e32 v12, v13, v14, vcc
	v_lshlrev_b32_e32 v13, 8, v3
	v_mov_b32_e32 v14, 0x3b800000
	v_lshlrev_b32_e32 v6, 20, v6
	v_and_b32_e32 v13, 0x80000000, v13
	v_lshl_add_u32 v12, v12, 23, v14
	v_or3_b32 v12, v13, v12, v6
.LBB14_952:
	s_or_b64 exec, exec, s[6:7]
	s_nop 0
	v_mfma_f32_16x16x4f32 a[0:3], v2, v12, a[0:3]
	s_movk_i32 s4, 0x7f
	v_cmp_gt_i16_sdwa s[6:7], v7, s4 src0_sel:BYTE_3 src1_sel:DWORD
	s_mov_b64 s[4:5], 0
                                        ; implicit-def: $sgpr10
	s_and_saveexec_b64 s[8:9], s[6:7]
	s_xor_b64 s[6:7], exec, s[8:9]
	s_cbranch_execnz .LBB14_3001
; %bb.953:
	s_or_saveexec_b64 s[6:7], s[6:7]
	v_mov_b32_e32 v2, s10
	s_xor_b64 exec, exec, s[6:7]
	s_cbranch_execnz .LBB14_3004
.LBB14_954:
	s_or_b64 exec, exec, s[6:7]
	s_and_saveexec_b64 s[6:7], s[4:5]
	s_cbranch_execz .LBB14_956
.LBB14_955:
	v_bfe_u32 v2, v7, 24, 3
	v_ffbh_u32_e32 v14, v2
	v_min_u32_e32 v14, 32, v14
	v_lshrrev_b32_e32 v12, 27, v7
	v_subrev_u32_e32 v15, 28, v14
	v_and_b32_e32 v6, 0x80000000, v7
	v_and_b32_e32 v12, 15, v12
	v_bfe_u32 v13, v7, 27, 4
	v_lshlrev_b32_sdwa v7, v15, v7 dst_sel:DWORD dst_unused:UNUSED_PAD src0_sel:DWORD src1_sel:BYTE_3
	v_sub_u32_e32 v14, 29, v14
	v_and_b32_e32 v7, 7, v7
	v_cmp_eq_u16_e32 vcc, 0, v12
	v_cndmask_b32_e32 v2, v2, v7, vcc
	v_cndmask_b32_e32 v7, v13, v14, vcc
	v_mov_b32_e32 v12, 0x3b800000
	v_lshlrev_b32_e32 v2, 20, v2
	v_lshl_add_u32 v7, v7, 23, v12
	v_or3_b32 v2, v6, v7, v2
.LBB14_956:
	s_or_b64 exec, exec, s[6:7]
	s_movk_i32 s4, 0x7f
	v_cmp_gt_i16_sdwa s[6:7], v3, s4 src0_sel:BYTE_3 src1_sel:DWORD
	s_mov_b64 s[4:5], 0
                                        ; implicit-def: $sgpr10
	s_and_saveexec_b64 s[8:9], s[6:7]
	s_xor_b64 s[6:7], exec, s[8:9]
	s_cbranch_execnz .LBB14_3005
; %bb.957:
	s_or_saveexec_b64 s[6:7], s[6:7]
	v_mov_b32_e32 v6, s10
	s_xor_b64 exec, exec, s[6:7]
	s_cbranch_execnz .LBB14_3008
.LBB14_958:
	s_or_b64 exec, exec, s[6:7]
	s_and_saveexec_b64 s[6:7], s[4:5]
	s_cbranch_execz .LBB14_960
.LBB14_959:
	v_bfe_u32 v6, v3, 24, 3
	v_ffbh_u32_e32 v14, v6
	v_min_u32_e32 v14, 32, v14
	v_lshrrev_b32_e32 v12, 27, v3
	v_subrev_u32_e32 v15, 28, v14
	v_and_b32_e32 v7, 0x80000000, v3
	v_and_b32_e32 v12, 15, v12
	v_bfe_u32 v13, v3, 27, 4
	v_lshlrev_b32_sdwa v3, v15, v3 dst_sel:DWORD dst_unused:UNUSED_PAD src0_sel:DWORD src1_sel:BYTE_3
	v_sub_u32_e32 v14, 29, v14
	v_and_b32_e32 v3, 7, v3
	v_cmp_eq_u16_e32 vcc, 0, v12
	v_cndmask_b32_e32 v3, v6, v3, vcc
	v_cndmask_b32_e32 v6, v13, v14, vcc
	v_mov_b32_e32 v12, 0x3b800000
	v_lshlrev_b32_e32 v3, 20, v3
	v_lshl_add_u32 v6, v6, 23, v12
	v_or3_b32 v6, v7, v6, v3
.LBB14_960:
	s_or_b64 exec, exec, s[6:7]
	s_nop 0
	v_mfma_f32_16x16x4f32 a[0:3], v2, v6, a[0:3]
	s_movk_i32 s4, 0x7f
	v_cmp_gt_i16_sdwa s[6:7], v8, s4 src0_sel:BYTE_0 src1_sel:DWORD
	s_mov_b64 s[4:5], 0
                                        ; implicit-def: $sgpr10
	s_and_saveexec_b64 s[8:9], s[6:7]
	s_xor_b64 s[6:7], exec, s[8:9]
	s_cbranch_execnz .LBB14_3009
; %bb.961:
	s_or_saveexec_b64 s[6:7], s[6:7]
	v_mov_b32_e32 v2, s10
	s_xor_b64 exec, exec, s[6:7]
	s_cbranch_execnz .LBB14_3012
.LBB14_962:
	s_or_b64 exec, exec, s[6:7]
	s_and_saveexec_b64 s[6:7], s[4:5]
	s_cbranch_execz .LBB14_964
.LBB14_963:
	v_and_b32_e32 v2, 7, v8
	v_ffbh_u32_e32 v6, v2
	v_min_u32_e32 v6, 32, v6
	v_lshrrev_b16_e32 v3, 3, v8
	v_subrev_u32_e32 v7, 28, v6
	v_and_b32_e32 v3, 15, v3
	v_lshlrev_b32_e32 v7, v7, v8
	v_sub_u32_e32 v6, 29, v6
	v_and_b32_e32 v7, 7, v7
	v_cmp_eq_u16_e32 vcc, 0, v3
	v_cndmask_b32_e32 v2, v2, v7, vcc
	v_cndmask_b32_e32 v3, v3, v6, vcc
	v_lshlrev_b32_e32 v6, 24, v8
	v_mov_b32_e32 v7, 0x3b800000
	v_lshlrev_b32_e32 v2, 20, v2
	v_and_b32_e32 v6, 0x80000000, v6
	v_lshl_add_u32 v3, v3, 23, v7
	v_or3_b32 v2, v6, v3, v2
.LBB14_964:
	s_or_b64 exec, exec, s[6:7]
	s_movk_i32 s4, 0x7f
	v_cmp_gt_i16_sdwa s[6:7], v4, s4 src0_sel:BYTE_0 src1_sel:DWORD
	s_mov_b64 s[4:5], 0
                                        ; implicit-def: $sgpr10
	s_and_saveexec_b64 s[8:9], s[6:7]
	s_xor_b64 s[6:7], exec, s[8:9]
	s_cbranch_execnz .LBB14_3013
; %bb.965:
	s_or_saveexec_b64 s[6:7], s[6:7]
	v_mov_b32_e32 v3, s10
	s_xor_b64 exec, exec, s[6:7]
	s_cbranch_execnz .LBB14_3016
.LBB14_966:
	s_or_b64 exec, exec, s[6:7]
	s_and_saveexec_b64 s[6:7], s[4:5]
	s_cbranch_execz .LBB14_968
.LBB14_967:
	v_and_b32_e32 v3, 7, v4
	v_ffbh_u32_e32 v7, v3
	v_min_u32_e32 v7, 32, v7
	v_lshrrev_b16_e32 v6, 3, v4
	v_subrev_u32_e32 v12, 28, v7
	v_and_b32_e32 v6, 15, v6
	v_lshlrev_b32_e32 v12, v12, v4
	v_sub_u32_e32 v7, 29, v7
	v_and_b32_e32 v12, 7, v12
	v_cmp_eq_u16_e32 vcc, 0, v6
	v_cndmask_b32_e32 v3, v3, v12, vcc
	v_cndmask_b32_e32 v6, v6, v7, vcc
	v_lshlrev_b32_e32 v7, 24, v4
	v_mov_b32_e32 v12, 0x3b800000
	v_lshlrev_b32_e32 v3, 20, v3
	v_and_b32_e32 v7, 0x80000000, v7
	v_lshl_add_u32 v6, v6, 23, v12
	v_or3_b32 v3, v7, v6, v3
.LBB14_968:
	s_or_b64 exec, exec, s[6:7]
	s_nop 0
	v_mfma_f32_16x16x4f32 a[0:3], v2, v3, a[0:3]
	v_lshrrev_b32_e32 v3, 8, v8
	s_movk_i32 s4, 0x7f
	v_cmp_gt_i16_sdwa s[6:7], v3, s4 src0_sel:BYTE_0 src1_sel:DWORD
	s_mov_b64 s[4:5], 0
                                        ; implicit-def: $sgpr10
	s_and_saveexec_b64 s[8:9], s[6:7]
	s_xor_b64 s[6:7], exec, s[8:9]
	s_cbranch_execnz .LBB14_3017
; %bb.969:
	s_or_saveexec_b64 s[6:7], s[6:7]
	v_mov_b32_e32 v2, s10
	s_xor_b64 exec, exec, s[6:7]
	s_cbranch_execnz .LBB14_3020
.LBB14_970:
	s_or_b64 exec, exec, s[6:7]
	s_and_saveexec_b64 s[6:7], s[4:5]
	s_cbranch_execz .LBB14_972
.LBB14_971:
	v_bfe_u32 v2, v8, 8, 3
	v_ffbh_u32_e32 v7, v2
	v_min_u32_e32 v7, 32, v7
	v_lshrrev_b16_e32 v6, 3, v3
	v_subrev_u32_e32 v12, 28, v7
	v_and_b32_e32 v6, 15, v6
	v_lshlrev_b32_e32 v3, v12, v3
	v_sub_u32_e32 v7, 29, v7
	v_and_b32_e32 v3, 7, v3
	v_cmp_eq_u16_e32 vcc, 0, v6
	v_cndmask_b32_e32 v2, v2, v3, vcc
	v_cndmask_b32_e32 v3, v6, v7, vcc
	v_lshlrev_b32_e32 v6, 16, v8
	v_mov_b32_e32 v7, 0x3b800000
	v_lshlrev_b32_e32 v2, 20, v2
	v_and_b32_e32 v6, 0x80000000, v6
	v_lshl_add_u32 v3, v3, 23, v7
	v_or3_b32 v2, v6, v3, v2
.LBB14_972:
	s_or_b64 exec, exec, s[6:7]
	v_lshrrev_b32_e32 v3, 8, v4
	s_movk_i32 s4, 0x7f
	v_cmp_gt_i16_sdwa s[6:7], v3, s4 src0_sel:BYTE_0 src1_sel:DWORD
	s_mov_b64 s[4:5], 0
                                        ; implicit-def: $sgpr10
	s_and_saveexec_b64 s[8:9], s[6:7]
	s_xor_b64 s[6:7], exec, s[8:9]
	s_cbranch_execnz .LBB14_3021
; %bb.973:
	s_or_saveexec_b64 s[6:7], s[6:7]
	v_mov_b32_e32 v6, s10
	s_xor_b64 exec, exec, s[6:7]
	s_cbranch_execnz .LBB14_3024
.LBB14_974:
	s_or_b64 exec, exec, s[6:7]
	s_and_saveexec_b64 s[6:7], s[4:5]
	s_cbranch_execz .LBB14_976
.LBB14_975:
	v_bfe_u32 v6, v4, 8, 3
	v_ffbh_u32_e32 v12, v6
	v_min_u32_e32 v12, 32, v12
	v_lshrrev_b16_e32 v7, 3, v3
	v_subrev_u32_e32 v13, 28, v12
	v_and_b32_e32 v7, 15, v7
	v_lshlrev_b32_e32 v3, v13, v3
	v_sub_u32_e32 v12, 29, v12
	v_and_b32_e32 v3, 7, v3
	v_cmp_eq_u16_e32 vcc, 0, v7
	v_cndmask_b32_e32 v3, v6, v3, vcc
	v_cndmask_b32_e32 v6, v7, v12, vcc
	v_lshlrev_b32_e32 v7, 16, v4
	v_mov_b32_e32 v12, 0x3b800000
	v_lshlrev_b32_e32 v3, 20, v3
	v_and_b32_e32 v7, 0x80000000, v7
	v_lshl_add_u32 v6, v6, 23, v12
	v_or3_b32 v6, v7, v6, v3
.LBB14_976:
	s_or_b64 exec, exec, s[6:7]
	s_nop 0
	v_mfma_f32_16x16x4f32 a[0:3], v2, v6, a[0:3]
	s_movk_i32 s4, 0xff
	v_and_b32_sdwa v3, v8, s4 dst_sel:DWORD dst_unused:UNUSED_PAD src0_sel:WORD_1 src1_sel:DWORD
	s_movk_i32 s4, 0x7f
	v_cmp_lt_i16_e32 vcc, s4, v3
	s_mov_b64 s[4:5], 0
                                        ; implicit-def: $sgpr10
	s_and_saveexec_b64 s[6:7], vcc
	s_xor_b64 s[6:7], exec, s[6:7]
	s_cbranch_execnz .LBB14_3025
; %bb.977:
	s_or_saveexec_b64 s[6:7], s[6:7]
	v_mov_b32_e32 v2, s10
	s_xor_b64 exec, exec, s[6:7]
	s_cbranch_execnz .LBB14_3028
.LBB14_978:
	s_or_b64 exec, exec, s[6:7]
	s_and_saveexec_b64 s[6:7], s[4:5]
	s_cbranch_execz .LBB14_980
.LBB14_979:
	v_bfe_u32 v2, v8, 16, 3
	v_ffbh_u32_e32 v7, v2
	v_min_u32_e32 v7, 32, v7
	v_lshrrev_b32_e32 v3, 19, v8
	v_subrev_u32_e32 v12, 28, v7
	v_and_b32_e32 v3, 15, v3
	v_lshlrev_b32_sdwa v12, v12, v8 dst_sel:DWORD dst_unused:UNUSED_PAD src0_sel:DWORD src1_sel:WORD_1
	v_bfe_u32 v6, v8, 19, 4
	v_sub_u32_e32 v7, 29, v7
	v_and_b32_e32 v12, 7, v12
	v_cmp_eq_u16_e32 vcc, 0, v3
	v_cndmask_b32_e32 v2, v2, v12, vcc
	v_cndmask_b32_e32 v3, v6, v7, vcc
	v_lshlrev_b32_e32 v6, 8, v8
	v_mov_b32_e32 v7, 0x3b800000
	v_lshlrev_b32_e32 v2, 20, v2
	v_and_b32_e32 v6, 0x80000000, v6
	v_lshl_add_u32 v3, v3, 23, v7
	v_or3_b32 v2, v6, v3, v2
.LBB14_980:
	s_or_b64 exec, exec, s[6:7]
	s_movk_i32 s4, 0xff
	v_and_b32_sdwa v3, v4, s4 dst_sel:DWORD dst_unused:UNUSED_PAD src0_sel:WORD_1 src1_sel:DWORD
	s_movk_i32 s4, 0x7f
	v_cmp_lt_i16_e32 vcc, s4, v3
	s_mov_b64 s[4:5], 0
                                        ; implicit-def: $sgpr10
	s_and_saveexec_b64 s[6:7], vcc
	s_xor_b64 s[6:7], exec, s[6:7]
	s_cbranch_execnz .LBB14_3029
; %bb.981:
	s_or_saveexec_b64 s[6:7], s[6:7]
	v_mov_b32_e32 v6, s10
	s_xor_b64 exec, exec, s[6:7]
	s_cbranch_execnz .LBB14_3032
.LBB14_982:
	s_or_b64 exec, exec, s[6:7]
	s_and_saveexec_b64 s[6:7], s[4:5]
	s_cbranch_execz .LBB14_984
.LBB14_983:
	v_bfe_u32 v3, v4, 16, 3
	v_ffbh_u32_e32 v12, v3
	v_min_u32_e32 v12, 32, v12
	v_lshrrev_b32_e32 v6, 19, v4
	v_subrev_u32_e32 v13, 28, v12
	v_and_b32_e32 v6, 15, v6
	v_lshlrev_b32_sdwa v13, v13, v4 dst_sel:DWORD dst_unused:UNUSED_PAD src0_sel:DWORD src1_sel:WORD_1
	v_bfe_u32 v7, v4, 19, 4
	v_sub_u32_e32 v12, 29, v12
	v_and_b32_e32 v13, 7, v13
	v_cmp_eq_u16_e32 vcc, 0, v6
	v_cndmask_b32_e32 v3, v3, v13, vcc
	v_cndmask_b32_e32 v6, v7, v12, vcc
	v_lshlrev_b32_e32 v7, 8, v4
	v_mov_b32_e32 v12, 0x3b800000
	v_lshlrev_b32_e32 v3, 20, v3
	v_and_b32_e32 v7, 0x80000000, v7
	v_lshl_add_u32 v6, v6, 23, v12
	v_or3_b32 v6, v7, v6, v3
.LBB14_984:
	s_or_b64 exec, exec, s[6:7]
	s_nop 0
	v_mfma_f32_16x16x4f32 a[0:3], v2, v6, a[0:3]
	s_movk_i32 s4, 0x7f
	v_cmp_gt_i16_sdwa s[6:7], v8, s4 src0_sel:BYTE_3 src1_sel:DWORD
	s_mov_b64 s[4:5], 0
                                        ; implicit-def: $sgpr10
	s_and_saveexec_b64 s[8:9], s[6:7]
	s_xor_b64 s[6:7], exec, s[8:9]
	s_cbranch_execnz .LBB14_3033
; %bb.985:
	s_or_saveexec_b64 s[6:7], s[6:7]
	v_mov_b32_e32 v2, s10
	s_xor_b64 exec, exec, s[6:7]
	s_cbranch_execnz .LBB14_3036
.LBB14_986:
	s_or_b64 exec, exec, s[6:7]
	s_and_saveexec_b64 s[6:7], s[4:5]
	s_cbranch_execz .LBB14_988
.LBB14_987:
	v_bfe_u32 v2, v8, 24, 3
	v_ffbh_u32_e32 v12, v2
	v_min_u32_e32 v12, 32, v12
	v_lshrrev_b32_e32 v6, 27, v8
	v_subrev_u32_e32 v13, 28, v12
	v_and_b32_e32 v3, 0x80000000, v8
	v_and_b32_e32 v6, 15, v6
	v_bfe_u32 v7, v8, 27, 4
	v_lshlrev_b32_sdwa v8, v13, v8 dst_sel:DWORD dst_unused:UNUSED_PAD src0_sel:DWORD src1_sel:BYTE_3
	v_sub_u32_e32 v12, 29, v12
	v_and_b32_e32 v8, 7, v8
	v_cmp_eq_u16_e32 vcc, 0, v6
	v_cndmask_b32_e32 v2, v2, v8, vcc
	v_cndmask_b32_e32 v6, v7, v12, vcc
	v_mov_b32_e32 v7, 0x3b800000
	v_lshlrev_b32_e32 v2, 20, v2
	v_lshl_add_u32 v6, v6, 23, v7
	v_or3_b32 v2, v3, v6, v2
.LBB14_988:
	s_or_b64 exec, exec, s[6:7]
	s_movk_i32 s4, 0x7f
	v_cmp_gt_i16_sdwa s[6:7], v4, s4 src0_sel:BYTE_3 src1_sel:DWORD
	s_mov_b64 s[4:5], 0
                                        ; implicit-def: $sgpr10
	s_and_saveexec_b64 s[8:9], s[6:7]
	s_xor_b64 s[6:7], exec, s[8:9]
	s_cbranch_execnz .LBB14_3037
; %bb.989:
	s_or_saveexec_b64 s[6:7], s[6:7]
	v_mov_b32_e32 v3, s10
	s_xor_b64 exec, exec, s[6:7]
	s_cbranch_execnz .LBB14_3040
.LBB14_990:
	s_or_b64 exec, exec, s[6:7]
	s_and_saveexec_b64 s[6:7], s[4:5]
	s_cbranch_execz .LBB14_992
.LBB14_991:
	v_bfe_u32 v3, v4, 24, 3
	v_ffbh_u32_e32 v12, v3
	v_min_u32_e32 v12, 32, v12
	v_lshrrev_b32_e32 v7, 27, v4
	v_subrev_u32_e32 v13, 28, v12
	v_and_b32_e32 v6, 0x80000000, v4
	v_and_b32_e32 v7, 15, v7
	v_bfe_u32 v8, v4, 27, 4
	v_lshlrev_b32_sdwa v4, v13, v4 dst_sel:DWORD dst_unused:UNUSED_PAD src0_sel:DWORD src1_sel:BYTE_3
	v_sub_u32_e32 v12, 29, v12
	v_and_b32_e32 v4, 7, v4
	v_cmp_eq_u16_e32 vcc, 0, v7
	v_cndmask_b32_e32 v3, v3, v4, vcc
	v_cndmask_b32_e32 v4, v8, v12, vcc
	v_mov_b32_e32 v7, 0x3b800000
	v_lshlrev_b32_e32 v3, 20, v3
	v_lshl_add_u32 v4, v4, 23, v7
	v_or3_b32 v3, v6, v4, v3
.LBB14_992:
	s_or_b64 exec, exec, s[6:7]
	s_nop 0
	v_mfma_f32_16x16x4f32 a[0:3], v2, v3, a[0:3]
	s_movk_i32 s4, 0x7f
	v_cmp_gt_i16_sdwa s[6:7], v9, s4 src0_sel:BYTE_0 src1_sel:DWORD
	s_mov_b64 s[4:5], 0
                                        ; implicit-def: $sgpr10
	s_and_saveexec_b64 s[8:9], s[6:7]
	s_xor_b64 s[6:7], exec, s[8:9]
	s_cbranch_execnz .LBB14_3041
; %bb.993:
	s_or_saveexec_b64 s[6:7], s[6:7]
	v_mov_b32_e32 v2, s10
	s_xor_b64 exec, exec, s[6:7]
	s_cbranch_execnz .LBB14_3044
.LBB14_994:
	s_or_b64 exec, exec, s[6:7]
	s_and_saveexec_b64 s[6:7], s[4:5]
	s_cbranch_execz .LBB14_996
.LBB14_995:
	v_mov_b32_e32 v2, 8
	v_and_b32_e32 v3, 7, v9
	v_lshrrev_b32_sdwa v2, v2, v9 dst_sel:BYTE_1 dst_unused:UNUSED_PAD src0_sel:DWORD src1_sel:DWORD
	v_ffbh_u32_e32 v4, v3
	v_or_b32_sdwa v2, v9, v2 dst_sel:DWORD dst_unused:UNUSED_PAD src0_sel:BYTE_0 src1_sel:DWORD
	v_min_u32_e32 v4, 32, v4
	v_lshrrev_b16_e32 v2, 3, v2
	v_subrev_u32_e32 v6, 28, v4
	v_and_b32_e32 v2, 15, v2
	v_lshlrev_b32_e32 v6, v6, v9
	v_sub_u32_e32 v4, 29, v4
	v_and_b32_e32 v6, 7, v6
	v_cmp_eq_u16_e32 vcc, 0, v2
	v_cndmask_b32_e32 v3, v3, v6, vcc
	v_cndmask_b32_e32 v2, v2, v4, vcc
	v_lshlrev_b32_e32 v4, 24, v9
	v_mov_b32_e32 v6, 0x3b800000
	v_lshlrev_b32_e32 v3, 20, v3
	v_and_b32_e32 v4, 0x80000000, v4
	v_lshl_add_u32 v2, v2, 23, v6
	v_or3_b32 v2, v4, v2, v3
.LBB14_996:
	s_or_b64 exec, exec, s[6:7]
	s_movk_i32 s4, 0x7f
	v_cmp_gt_i16_sdwa s[6:7], v5, s4 src0_sel:BYTE_0 src1_sel:DWORD
	s_mov_b64 s[4:5], 0
                                        ; implicit-def: $sgpr10
	s_and_saveexec_b64 s[8:9], s[6:7]
	s_xor_b64 s[6:7], exec, s[8:9]
	s_cbranch_execnz .LBB14_3045
; %bb.997:
	s_or_saveexec_b64 s[6:7], s[6:7]
	v_mov_b32_e32 v3, s10
	s_xor_b64 exec, exec, s[6:7]
	s_cbranch_execnz .LBB14_3048
.LBB14_998:
	s_or_b64 exec, exec, s[6:7]
	s_and_saveexec_b64 s[6:7], s[4:5]
	s_cbranch_execz .LBB14_1000
.LBB14_999:
	v_mov_b32_e32 v3, 8
	v_and_b32_e32 v4, 7, v5
	v_lshrrev_b32_sdwa v3, v3, v5 dst_sel:BYTE_1 dst_unused:UNUSED_PAD src0_sel:DWORD src1_sel:DWORD
	v_ffbh_u32_e32 v6, v4
	v_or_b32_sdwa v3, v5, v3 dst_sel:DWORD dst_unused:UNUSED_PAD src0_sel:BYTE_0 src1_sel:DWORD
	v_min_u32_e32 v6, 32, v6
	v_lshrrev_b16_e32 v3, 3, v3
	v_subrev_u32_e32 v7, 28, v6
	v_and_b32_e32 v3, 15, v3
	v_lshlrev_b32_e32 v7, v7, v5
	v_sub_u32_e32 v6, 29, v6
	v_and_b32_e32 v7, 7, v7
	v_cmp_eq_u16_e32 vcc, 0, v3
	v_cndmask_b32_e32 v4, v4, v7, vcc
	v_cndmask_b32_e32 v3, v3, v6, vcc
	v_lshlrev_b32_e32 v6, 24, v5
	v_mov_b32_e32 v7, 0x3b800000
	v_lshlrev_b32_e32 v4, 20, v4
	v_and_b32_e32 v6, 0x80000000, v6
	v_lshl_add_u32 v3, v3, 23, v7
	v_or3_b32 v3, v6, v3, v4
.LBB14_1000:
	s_or_b64 exec, exec, s[6:7]
	s_nop 0
	v_mfma_f32_16x16x4f32 a[0:3], v2, v3, a[0:3]
	v_lshrrev_b32_e32 v3, 8, v9
	s_movk_i32 s4, 0x7f
	v_cmp_gt_i16_sdwa s[6:7], v3, s4 src0_sel:BYTE_0 src1_sel:DWORD
	s_mov_b64 s[4:5], 0
                                        ; implicit-def: $sgpr10
	s_and_saveexec_b64 s[8:9], s[6:7]
	s_xor_b64 s[6:7], exec, s[8:9]
	s_cbranch_execnz .LBB14_3049
; %bb.1001:
	s_or_saveexec_b64 s[6:7], s[6:7]
	v_mov_b32_e32 v2, s10
	s_xor_b64 exec, exec, s[6:7]
	s_cbranch_execnz .LBB14_3052
.LBB14_1002:
	s_or_b64 exec, exec, s[6:7]
	s_and_saveexec_b64 s[6:7], s[4:5]
	s_cbranch_execz .LBB14_1004
.LBB14_1003:
	v_bfe_u32 v2, v9, 8, 3
	v_ffbh_u32_e32 v6, v2
	v_min_u32_e32 v6, 32, v6
	v_lshrrev_b16_e32 v4, 3, v3
	v_subrev_u32_e32 v7, 28, v6
	v_and_b32_e32 v4, 15, v4
	v_lshlrev_b32_e32 v3, v7, v3
	v_sub_u32_e32 v6, 29, v6
	v_and_b32_e32 v3, 7, v3
	v_cmp_eq_u16_e32 vcc, 0, v4
	v_cndmask_b32_e32 v2, v2, v3, vcc
	v_cndmask_b32_e32 v3, v4, v6, vcc
	v_lshlrev_b32_e32 v4, 16, v9
	v_mov_b32_e32 v6, 0x3b800000
	v_lshlrev_b32_e32 v2, 20, v2
	v_and_b32_e32 v4, 0x80000000, v4
	v_lshl_add_u32 v3, v3, 23, v6
	v_or3_b32 v2, v4, v3, v2
.LBB14_1004:
	s_or_b64 exec, exec, s[6:7]
	v_lshrrev_b32_e32 v3, 8, v5
	s_movk_i32 s4, 0x7f
	v_cmp_gt_i16_sdwa s[6:7], v3, s4 src0_sel:BYTE_0 src1_sel:DWORD
	s_mov_b64 s[4:5], 0
                                        ; implicit-def: $sgpr10
	s_and_saveexec_b64 s[8:9], s[6:7]
	s_xor_b64 s[6:7], exec, s[8:9]
	s_cbranch_execnz .LBB14_3053
; %bb.1005:
	s_or_saveexec_b64 s[6:7], s[6:7]
	v_mov_b32_e32 v4, s10
	s_xor_b64 exec, exec, s[6:7]
	s_cbranch_execnz .LBB14_3056
.LBB14_1006:
	s_or_b64 exec, exec, s[6:7]
	s_and_saveexec_b64 s[6:7], s[4:5]
	s_cbranch_execz .LBB14_1008
.LBB14_1007:
	v_bfe_u32 v4, v5, 8, 3
	v_ffbh_u32_e32 v7, v4
	v_min_u32_e32 v7, 32, v7
	v_lshrrev_b16_e32 v6, 3, v3
	v_subrev_u32_e32 v8, 28, v7
	v_and_b32_e32 v6, 15, v6
	v_lshlrev_b32_e32 v3, v8, v3
	v_sub_u32_e32 v7, 29, v7
	v_and_b32_e32 v3, 7, v3
	v_cmp_eq_u16_e32 vcc, 0, v6
	v_cndmask_b32_e32 v3, v4, v3, vcc
	v_cndmask_b32_e32 v4, v6, v7, vcc
	v_lshlrev_b32_e32 v6, 16, v5
	v_mov_b32_e32 v7, 0x3b800000
	v_lshlrev_b32_e32 v3, 20, v3
	v_and_b32_e32 v6, 0x80000000, v6
	v_lshl_add_u32 v4, v4, 23, v7
	v_or3_b32 v4, v6, v4, v3
.LBB14_1008:
	s_or_b64 exec, exec, s[6:7]
	s_nop 0
	v_mfma_f32_16x16x4f32 a[0:3], v2, v4, a[0:3]
	s_movk_i32 s4, 0xff
	v_and_b32_sdwa v3, v9, s4 dst_sel:DWORD dst_unused:UNUSED_PAD src0_sel:WORD_1 src1_sel:DWORD
	s_movk_i32 s4, 0x7f
	v_cmp_lt_i16_e32 vcc, s4, v3
	s_mov_b64 s[4:5], 0
                                        ; implicit-def: $sgpr10
	s_and_saveexec_b64 s[6:7], vcc
	s_xor_b64 s[6:7], exec, s[6:7]
	s_cbranch_execnz .LBB14_3057
; %bb.1009:
	s_or_saveexec_b64 s[6:7], s[6:7]
	v_mov_b32_e32 v2, s10
	s_xor_b64 exec, exec, s[6:7]
	s_cbranch_execnz .LBB14_3060
.LBB14_1010:
	s_or_b64 exec, exec, s[6:7]
	s_and_saveexec_b64 s[6:7], s[4:5]
	s_cbranch_execz .LBB14_1012
.LBB14_1011:
	v_bfe_u32 v2, v9, 16, 3
	v_ffbh_u32_e32 v6, v2
	v_min_u32_e32 v6, 32, v6
	v_lshrrev_b32_e32 v3, 19, v9
	v_subrev_u32_e32 v7, 28, v6
	v_and_b32_e32 v3, 15, v3
	v_lshlrev_b32_sdwa v7, v7, v9 dst_sel:DWORD dst_unused:UNUSED_PAD src0_sel:DWORD src1_sel:WORD_1
	v_bfe_u32 v4, v9, 19, 4
	v_sub_u32_e32 v6, 29, v6
	v_and_b32_e32 v7, 7, v7
	v_cmp_eq_u16_e32 vcc, 0, v3
	v_cndmask_b32_e32 v2, v2, v7, vcc
	v_cndmask_b32_e32 v3, v4, v6, vcc
	v_lshlrev_b32_e32 v4, 8, v9
	v_mov_b32_e32 v6, 0x3b800000
	v_lshlrev_b32_e32 v2, 20, v2
	v_and_b32_e32 v4, 0x80000000, v4
	v_lshl_add_u32 v3, v3, 23, v6
	v_or3_b32 v2, v4, v3, v2
.LBB14_1012:
	s_or_b64 exec, exec, s[6:7]
	s_movk_i32 s4, 0xff
	v_and_b32_sdwa v3, v5, s4 dst_sel:DWORD dst_unused:UNUSED_PAD src0_sel:WORD_1 src1_sel:DWORD
	s_movk_i32 s4, 0x7f
	v_cmp_lt_i16_e32 vcc, s4, v3
	s_mov_b64 s[4:5], 0
                                        ; implicit-def: $sgpr10
	s_and_saveexec_b64 s[6:7], vcc
	s_xor_b64 s[6:7], exec, s[6:7]
	s_cbranch_execnz .LBB14_3061
; %bb.1013:
	s_or_saveexec_b64 s[6:7], s[6:7]
	v_mov_b32_e32 v4, s10
	s_xor_b64 exec, exec, s[6:7]
	s_cbranch_execnz .LBB14_3064
.LBB14_1014:
	s_or_b64 exec, exec, s[6:7]
	s_and_saveexec_b64 s[6:7], s[4:5]
	s_cbranch_execz .LBB14_1016
.LBB14_1015:
	v_bfe_u32 v3, v5, 16, 3
	v_ffbh_u32_e32 v7, v3
	v_min_u32_e32 v7, 32, v7
	v_lshrrev_b32_e32 v4, 19, v5
	v_subrev_u32_e32 v8, 28, v7
	v_and_b32_e32 v4, 15, v4
	v_lshlrev_b32_sdwa v8, v8, v5 dst_sel:DWORD dst_unused:UNUSED_PAD src0_sel:DWORD src1_sel:WORD_1
	v_bfe_u32 v6, v5, 19, 4
	v_sub_u32_e32 v7, 29, v7
	v_and_b32_e32 v8, 7, v8
	v_cmp_eq_u16_e32 vcc, 0, v4
	v_cndmask_b32_e32 v3, v3, v8, vcc
	v_cndmask_b32_e32 v4, v6, v7, vcc
	v_lshlrev_b32_e32 v6, 8, v5
	v_mov_b32_e32 v7, 0x3b800000
	v_lshlrev_b32_e32 v3, 20, v3
	v_and_b32_e32 v6, 0x80000000, v6
	v_lshl_add_u32 v4, v4, 23, v7
	v_or3_b32 v4, v6, v4, v3
.LBB14_1016:
	s_or_b64 exec, exec, s[6:7]
	s_nop 0
	v_mfma_f32_16x16x4f32 a[0:3], v2, v4, a[0:3]
	s_movk_i32 s4, 0x7f
	v_cmp_gt_i16_sdwa s[6:7], v9, s4 src0_sel:BYTE_3 src1_sel:DWORD
	s_mov_b64 s[4:5], 0
                                        ; implicit-def: $sgpr10
	s_and_saveexec_b64 s[8:9], s[6:7]
	s_xor_b64 s[6:7], exec, s[8:9]
	s_cbranch_execnz .LBB14_3065
; %bb.1017:
	s_or_saveexec_b64 s[6:7], s[6:7]
	v_mov_b32_e32 v2, s10
	s_xor_b64 exec, exec, s[6:7]
	s_cbranch_execnz .LBB14_3068
.LBB14_1018:
	s_or_b64 exec, exec, s[6:7]
	s_and_saveexec_b64 s[6:7], s[4:5]
	s_cbranch_execz .LBB14_1020
.LBB14_1019:
	v_bfe_u32 v2, v9, 24, 3
	v_ffbh_u32_e32 v7, v2
	v_min_u32_e32 v7, 32, v7
	v_lshrrev_b32_e32 v4, 27, v9
	v_subrev_u32_e32 v8, 28, v7
	v_and_b32_e32 v4, 15, v4
	v_lshlrev_b32_sdwa v8, v8, v9 dst_sel:DWORD dst_unused:UNUSED_PAD src0_sel:DWORD src1_sel:BYTE_3
	v_bfe_u32 v6, v9, 27, 4
	v_sub_u32_e32 v7, 29, v7
	v_and_b32_e32 v8, 7, v8
	v_cmp_eq_u16_e32 vcc, 0, v4
	v_cndmask_b32_e32 v2, v2, v8, vcc
	v_cndmask_b32_e32 v4, v6, v7, vcc
	v_mov_b32_e32 v6, 0x3b800000
	v_and_b32_e32 v3, 0x80000000, v9
	v_lshlrev_b32_e32 v2, 20, v2
	v_lshl_add_u32 v4, v4, 23, v6
	v_or3_b32 v2, v3, v4, v2
.LBB14_1020:
	s_or_b64 exec, exec, s[6:7]
	s_movk_i32 s4, 0x7f
	v_cmp_gt_i16_sdwa s[6:7], v5, s4 src0_sel:BYTE_3 src1_sel:DWORD
	s_mov_b64 s[4:5], 0
                                        ; implicit-def: $sgpr10
	s_and_saveexec_b64 s[8:9], s[6:7]
	s_xor_b64 s[6:7], exec, s[8:9]
	s_cbranch_execnz .LBB14_3069
; %bb.1021:
	s_or_saveexec_b64 s[6:7], s[6:7]
	v_mov_b32_e32 v3, s10
	s_xor_b64 exec, exec, s[6:7]
	s_cbranch_execnz .LBB14_3072
.LBB14_1022:
	s_or_b64 exec, exec, s[6:7]
	s_and_saveexec_b64 s[6:7], s[4:5]
	s_cbranch_execz .LBB14_1024
.LBB14_1023:
	v_bfe_u32 v3, v5, 24, 3
	v_ffbh_u32_e32 v8, v3
	v_min_u32_e32 v8, 32, v8
	v_lshrrev_b32_e32 v6, 27, v5
	v_subrev_u32_e32 v9, 28, v8
	v_and_b32_e32 v4, 0x80000000, v5
	v_and_b32_e32 v6, 15, v6
	v_bfe_u32 v7, v5, 27, 4
	v_lshlrev_b32_sdwa v5, v9, v5 dst_sel:DWORD dst_unused:UNUSED_PAD src0_sel:DWORD src1_sel:BYTE_3
	v_sub_u32_e32 v8, 29, v8
	v_and_b32_e32 v5, 7, v5
	v_cmp_eq_u16_e32 vcc, 0, v6
	v_cndmask_b32_e32 v3, v3, v5, vcc
	v_cndmask_b32_e32 v5, v7, v8, vcc
	v_mov_b32_e32 v6, 0x3b800000
	v_lshlrev_b32_e32 v3, 20, v3
	v_lshl_add_u32 v5, v5, 23, v6
	v_or3_b32 v3, v4, v5, v3
.LBB14_1024:
	s_or_b64 exec, exec, s[6:7]
	s_nop 0
	v_mfma_f32_16x16x4f32 a[0:3], v2, v3, a[0:3]
	s_movk_i32 s4, 0x7f
                                        ; implicit-def: $sgpr10
	s_nop 7
	s_nop 1
	flat_store_dwordx4 v[10:11], a[0:3] offset:112
	flat_load_dwordx4 v[12:15], v[0:1] offset:8
	s_nop 0
	flat_load_dwordx2 v[10:11], v[0:1] offset:32
	s_waitcnt vmcnt(0) lgkmcnt(0)
	flat_load_dwordx4 v[6:9], v[12:13] offset:64
	flat_load_dwordx4 v[2:5], v[14:15]
	s_waitcnt vmcnt(0) lgkmcnt(0)
	v_cmp_gt_i16_sdwa s[6:7], v6, s4 src0_sel:BYTE_0 src1_sel:DWORD
	s_mov_b64 s[4:5], 0
	s_and_saveexec_b64 s[8:9], s[6:7]
	s_xor_b64 s[6:7], exec, s[8:9]
	s_cbranch_execnz .LBB14_3073
; %bb.1025:
	s_or_saveexec_b64 s[6:7], s[6:7]
	v_mov_b32_e32 v12, s10
	s_xor_b64 exec, exec, s[6:7]
	s_cbranch_execnz .LBB14_3076
.LBB14_1026:
	s_or_b64 exec, exec, s[6:7]
	s_and_saveexec_b64 s[6:7], s[4:5]
	s_cbranch_execz .LBB14_1028
.LBB14_1027:
	v_and_b32_e32 v12, 7, v6
	v_ffbh_u32_e32 v14, v12
	v_min_u32_e32 v14, 32, v14
	v_lshrrev_b16_e32 v13, 3, v6
	v_subrev_u32_e32 v15, 28, v14
	v_and_b32_e32 v13, 15, v13
	v_lshlrev_b32_e32 v15, v15, v6
	v_sub_u32_e32 v14, 29, v14
	v_and_b32_e32 v15, 7, v15
	v_cmp_eq_u16_e32 vcc, 0, v13
	v_cndmask_b32_e32 v12, v12, v15, vcc
	v_cndmask_b32_e32 v13, v13, v14, vcc
	v_lshlrev_b32_e32 v14, 24, v6
	v_mov_b32_e32 v15, 0x3b800000
	v_lshlrev_b32_e32 v12, 20, v12
	v_and_b32_e32 v14, 0x80000000, v14
	v_lshl_add_u32 v13, v13, 23, v15
	v_or3_b32 v12, v14, v13, v12
.LBB14_1028:
	s_or_b64 exec, exec, s[6:7]
	s_movk_i32 s4, 0x7f
	v_cmp_gt_i16_sdwa s[6:7], v2, s4 src0_sel:BYTE_0 src1_sel:DWORD
	s_mov_b64 s[4:5], 0
                                        ; implicit-def: $sgpr10
	s_and_saveexec_b64 s[8:9], s[6:7]
	s_xor_b64 s[6:7], exec, s[8:9]
	s_cbranch_execnz .LBB14_3077
; %bb.1029:
	s_or_saveexec_b64 s[6:7], s[6:7]
	v_mov_b32_e32 v13, s10
	s_xor_b64 exec, exec, s[6:7]
	s_cbranch_execnz .LBB14_3080
.LBB14_1030:
	s_or_b64 exec, exec, s[6:7]
	s_and_saveexec_b64 s[6:7], s[4:5]
	s_cbranch_execz .LBB14_1032
.LBB14_1031:
	v_and_b32_e32 v13, 7, v2
	v_ffbh_u32_e32 v15, v13
	v_min_u32_e32 v15, 32, v15
	v_lshrrev_b16_e32 v14, 3, v2
	v_subrev_u32_e32 v16, 28, v15
	v_and_b32_e32 v14, 15, v14
	v_lshlrev_b32_e32 v16, v16, v2
	v_sub_u32_e32 v15, 29, v15
	v_and_b32_e32 v16, 7, v16
	v_cmp_eq_u16_e32 vcc, 0, v14
	v_cndmask_b32_e32 v13, v13, v16, vcc
	v_cndmask_b32_e32 v14, v14, v15, vcc
	v_lshlrev_b32_e32 v15, 24, v2
	v_mov_b32_e32 v16, 0x3b800000
	v_lshlrev_b32_e32 v13, 20, v13
	v_and_b32_e32 v15, 0x80000000, v15
	v_lshl_add_u32 v14, v14, 23, v16
	v_or3_b32 v13, v15, v14, v13
.LBB14_1032:
	s_or_b64 exec, exec, s[6:7]
	flat_load_dwordx4 a[0:3], v[10:11] offset:128
	s_movk_i32 s4, 0x7f
                                        ; implicit-def: $sgpr10
	s_waitcnt vmcnt(0) lgkmcnt(0)
	v_mfma_f32_16x16x4f32 a[0:3], v12, v13, a[0:3]
	v_lshrrev_b32_e32 v13, 8, v6
	v_cmp_gt_i16_sdwa s[6:7], v13, s4 src0_sel:BYTE_0 src1_sel:DWORD
	s_mov_b64 s[4:5], 0
	s_and_saveexec_b64 s[8:9], s[6:7]
	s_xor_b64 s[6:7], exec, s[8:9]
	s_cbranch_execnz .LBB14_3081
; %bb.1033:
	s_or_saveexec_b64 s[6:7], s[6:7]
	v_mov_b32_e32 v12, s10
	s_xor_b64 exec, exec, s[6:7]
	s_cbranch_execnz .LBB14_3084
.LBB14_1034:
	s_or_b64 exec, exec, s[6:7]
	s_and_saveexec_b64 s[6:7], s[4:5]
	s_cbranch_execz .LBB14_1036
.LBB14_1035:
	v_bfe_u32 v12, v6, 8, 3
	v_ffbh_u32_e32 v15, v12
	v_min_u32_e32 v15, 32, v15
	v_lshrrev_b16_e32 v14, 3, v13
	v_subrev_u32_e32 v16, 28, v15
	v_and_b32_e32 v14, 15, v14
	v_lshlrev_b32_e32 v13, v16, v13
	v_sub_u32_e32 v15, 29, v15
	v_and_b32_e32 v13, 7, v13
	v_cmp_eq_u16_e32 vcc, 0, v14
	v_cndmask_b32_e32 v12, v12, v13, vcc
	v_cndmask_b32_e32 v13, v14, v15, vcc
	v_lshlrev_b32_e32 v14, 16, v6
	v_mov_b32_e32 v15, 0x3b800000
	v_lshlrev_b32_e32 v12, 20, v12
	v_and_b32_e32 v14, 0x80000000, v14
	v_lshl_add_u32 v13, v13, 23, v15
	v_or3_b32 v12, v14, v13, v12
.LBB14_1036:
	s_or_b64 exec, exec, s[6:7]
	v_lshrrev_b32_e32 v13, 8, v2
	s_movk_i32 s4, 0x7f
	v_cmp_gt_i16_sdwa s[6:7], v13, s4 src0_sel:BYTE_0 src1_sel:DWORD
	s_mov_b64 s[4:5], 0
                                        ; implicit-def: $sgpr10
	s_and_saveexec_b64 s[8:9], s[6:7]
	s_xor_b64 s[6:7], exec, s[8:9]
	s_cbranch_execnz .LBB14_3085
; %bb.1037:
	s_or_saveexec_b64 s[6:7], s[6:7]
	v_mov_b32_e32 v14, s10
	s_xor_b64 exec, exec, s[6:7]
	s_cbranch_execnz .LBB14_3088
.LBB14_1038:
	s_or_b64 exec, exec, s[6:7]
	s_and_saveexec_b64 s[6:7], s[4:5]
	s_cbranch_execz .LBB14_1040
.LBB14_1039:
	v_bfe_u32 v14, v2, 8, 3
	v_ffbh_u32_e32 v16, v14
	v_min_u32_e32 v16, 32, v16
	v_lshrrev_b16_e32 v15, 3, v13
	v_subrev_u32_e32 v17, 28, v16
	v_and_b32_e32 v15, 15, v15
	v_lshlrev_b32_e32 v13, v17, v13
	v_sub_u32_e32 v16, 29, v16
	v_and_b32_e32 v13, 7, v13
	v_cmp_eq_u16_e32 vcc, 0, v15
	v_cndmask_b32_e32 v13, v14, v13, vcc
	v_cndmask_b32_e32 v14, v15, v16, vcc
	v_lshlrev_b32_e32 v15, 16, v2
	v_mov_b32_e32 v16, 0x3b800000
	v_lshlrev_b32_e32 v13, 20, v13
	v_and_b32_e32 v15, 0x80000000, v15
	v_lshl_add_u32 v14, v14, 23, v16
	v_or3_b32 v14, v15, v14, v13
.LBB14_1040:
	s_or_b64 exec, exec, s[6:7]
	s_nop 0
	v_mfma_f32_16x16x4f32 a[0:3], v12, v14, a[0:3]
	s_movk_i32 s4, 0xff
	v_and_b32_sdwa v13, v6, s4 dst_sel:DWORD dst_unused:UNUSED_PAD src0_sel:WORD_1 src1_sel:DWORD
	s_movk_i32 s4, 0x7f
	v_cmp_lt_i16_e32 vcc, s4, v13
	s_mov_b64 s[4:5], 0
                                        ; implicit-def: $sgpr10
	s_and_saveexec_b64 s[6:7], vcc
	s_xor_b64 s[6:7], exec, s[6:7]
	s_cbranch_execnz .LBB14_3089
; %bb.1041:
	s_or_saveexec_b64 s[6:7], s[6:7]
	v_mov_b32_e32 v12, s10
	s_xor_b64 exec, exec, s[6:7]
	s_cbranch_execnz .LBB14_3092
.LBB14_1042:
	s_or_b64 exec, exec, s[6:7]
	s_and_saveexec_b64 s[6:7], s[4:5]
	s_cbranch_execz .LBB14_1044
.LBB14_1043:
	v_bfe_u32 v12, v6, 16, 3
	v_ffbh_u32_e32 v15, v12
	v_min_u32_e32 v15, 32, v15
	v_lshrrev_b32_e32 v13, 19, v6
	v_subrev_u32_e32 v16, 28, v15
	v_and_b32_e32 v13, 15, v13
	v_lshlrev_b32_sdwa v16, v16, v6 dst_sel:DWORD dst_unused:UNUSED_PAD src0_sel:DWORD src1_sel:WORD_1
	v_bfe_u32 v14, v6, 19, 4
	v_sub_u32_e32 v15, 29, v15
	v_and_b32_e32 v16, 7, v16
	v_cmp_eq_u16_e32 vcc, 0, v13
	v_cndmask_b32_e32 v12, v12, v16, vcc
	v_cndmask_b32_e32 v13, v14, v15, vcc
	v_lshlrev_b32_e32 v14, 8, v6
	v_mov_b32_e32 v15, 0x3b800000
	v_lshlrev_b32_e32 v12, 20, v12
	v_and_b32_e32 v14, 0x80000000, v14
	v_lshl_add_u32 v13, v13, 23, v15
	v_or3_b32 v12, v14, v13, v12
.LBB14_1044:
	s_or_b64 exec, exec, s[6:7]
	s_movk_i32 s4, 0xff
	v_and_b32_sdwa v13, v2, s4 dst_sel:DWORD dst_unused:UNUSED_PAD src0_sel:WORD_1 src1_sel:DWORD
	s_movk_i32 s4, 0x7f
	v_cmp_lt_i16_e32 vcc, s4, v13
	s_mov_b64 s[4:5], 0
                                        ; implicit-def: $sgpr10
	s_and_saveexec_b64 s[6:7], vcc
	s_xor_b64 s[6:7], exec, s[6:7]
	s_cbranch_execnz .LBB14_3093
; %bb.1045:
	s_or_saveexec_b64 s[6:7], s[6:7]
	v_mov_b32_e32 v14, s10
	s_xor_b64 exec, exec, s[6:7]
	s_cbranch_execnz .LBB14_3096
.LBB14_1046:
	s_or_b64 exec, exec, s[6:7]
	s_and_saveexec_b64 s[6:7], s[4:5]
	s_cbranch_execz .LBB14_1048
.LBB14_1047:
	v_bfe_u32 v13, v2, 16, 3
	v_ffbh_u32_e32 v16, v13
	v_min_u32_e32 v16, 32, v16
	v_lshrrev_b32_e32 v14, 19, v2
	v_subrev_u32_e32 v17, 28, v16
	v_and_b32_e32 v14, 15, v14
	v_lshlrev_b32_sdwa v17, v17, v2 dst_sel:DWORD dst_unused:UNUSED_PAD src0_sel:DWORD src1_sel:WORD_1
	v_bfe_u32 v15, v2, 19, 4
	v_sub_u32_e32 v16, 29, v16
	v_and_b32_e32 v17, 7, v17
	v_cmp_eq_u16_e32 vcc, 0, v14
	v_cndmask_b32_e32 v13, v13, v17, vcc
	v_cndmask_b32_e32 v14, v15, v16, vcc
	v_lshlrev_b32_e32 v15, 8, v2
	v_mov_b32_e32 v16, 0x3b800000
	v_lshlrev_b32_e32 v13, 20, v13
	v_and_b32_e32 v15, 0x80000000, v15
	v_lshl_add_u32 v14, v14, 23, v16
	v_or3_b32 v14, v15, v14, v13
.LBB14_1048:
	s_or_b64 exec, exec, s[6:7]
	s_nop 0
	v_mfma_f32_16x16x4f32 a[0:3], v12, v14, a[0:3]
	s_movk_i32 s4, 0x7f
	v_cmp_gt_i16_sdwa s[6:7], v6, s4 src0_sel:BYTE_3 src1_sel:DWORD
	s_mov_b64 s[4:5], 0
                                        ; implicit-def: $sgpr10
	s_and_saveexec_b64 s[8:9], s[6:7]
	s_xor_b64 s[6:7], exec, s[8:9]
	s_cbranch_execnz .LBB14_3097
; %bb.1049:
	s_or_saveexec_b64 s[6:7], s[6:7]
	v_mov_b32_e32 v12, s10
	s_xor_b64 exec, exec, s[6:7]
	s_cbranch_execnz .LBB14_3100
.LBB14_1050:
	s_or_b64 exec, exec, s[6:7]
	s_and_saveexec_b64 s[6:7], s[4:5]
	s_cbranch_execz .LBB14_1052
.LBB14_1051:
	v_bfe_u32 v12, v6, 24, 3
	v_ffbh_u32_e32 v16, v12
	v_min_u32_e32 v16, 32, v16
	v_lshrrev_b32_e32 v14, 27, v6
	v_subrev_u32_e32 v17, 28, v16
	v_and_b32_e32 v13, 0x80000000, v6
	v_and_b32_e32 v14, 15, v14
	v_bfe_u32 v15, v6, 27, 4
	v_lshlrev_b32_sdwa v6, v17, v6 dst_sel:DWORD dst_unused:UNUSED_PAD src0_sel:DWORD src1_sel:BYTE_3
	v_sub_u32_e32 v16, 29, v16
	v_and_b32_e32 v6, 7, v6
	v_cmp_eq_u16_e32 vcc, 0, v14
	v_cndmask_b32_e32 v6, v12, v6, vcc
	v_cndmask_b32_e32 v12, v15, v16, vcc
	v_mov_b32_e32 v14, 0x3b800000
	v_lshlrev_b32_e32 v6, 20, v6
	v_lshl_add_u32 v12, v12, 23, v14
	v_or3_b32 v12, v13, v12, v6
.LBB14_1052:
	s_or_b64 exec, exec, s[6:7]
	s_movk_i32 s4, 0x7f
	v_cmp_gt_i16_sdwa s[6:7], v2, s4 src0_sel:BYTE_3 src1_sel:DWORD
	s_mov_b64 s[4:5], 0
                                        ; implicit-def: $sgpr10
	s_and_saveexec_b64 s[8:9], s[6:7]
	s_xor_b64 s[6:7], exec, s[8:9]
	s_cbranch_execnz .LBB14_3101
; %bb.1053:
	s_or_saveexec_b64 s[6:7], s[6:7]
	v_mov_b32_e32 v6, s10
	s_xor_b64 exec, exec, s[6:7]
	s_cbranch_execnz .LBB14_3104
.LBB14_1054:
	s_or_b64 exec, exec, s[6:7]
	s_and_saveexec_b64 s[6:7], s[4:5]
	s_cbranch_execz .LBB14_1056
.LBB14_1055:
	v_bfe_u32 v6, v2, 24, 3
	v_ffbh_u32_e32 v16, v6
	v_min_u32_e32 v16, 32, v16
	v_lshrrev_b32_e32 v14, 27, v2
	v_subrev_u32_e32 v17, 28, v16
	v_and_b32_e32 v13, 0x80000000, v2
	v_and_b32_e32 v14, 15, v14
	v_bfe_u32 v15, v2, 27, 4
	v_lshlrev_b32_sdwa v2, v17, v2 dst_sel:DWORD dst_unused:UNUSED_PAD src0_sel:DWORD src1_sel:BYTE_3
	v_sub_u32_e32 v16, 29, v16
	v_and_b32_e32 v2, 7, v2
	v_cmp_eq_u16_e32 vcc, 0, v14
	v_cndmask_b32_e32 v2, v6, v2, vcc
	v_cndmask_b32_e32 v6, v15, v16, vcc
	v_mov_b32_e32 v14, 0x3b800000
	v_lshlrev_b32_e32 v2, 20, v2
	v_lshl_add_u32 v6, v6, 23, v14
	v_or3_b32 v6, v13, v6, v2
.LBB14_1056:
	s_or_b64 exec, exec, s[6:7]
	s_nop 0
	v_mfma_f32_16x16x4f32 a[0:3], v12, v6, a[0:3]
	s_movk_i32 s4, 0x7f
	v_cmp_gt_i16_sdwa s[6:7], v7, s4 src0_sel:BYTE_0 src1_sel:DWORD
	s_mov_b64 s[4:5], 0
                                        ; implicit-def: $sgpr10
	s_and_saveexec_b64 s[8:9], s[6:7]
	s_xor_b64 s[6:7], exec, s[8:9]
	s_cbranch_execnz .LBB14_3105
; %bb.1057:
	s_or_saveexec_b64 s[6:7], s[6:7]
	v_mov_b32_e32 v2, s10
	s_xor_b64 exec, exec, s[6:7]
	s_cbranch_execnz .LBB14_3108
.LBB14_1058:
	s_or_b64 exec, exec, s[6:7]
	s_and_saveexec_b64 s[6:7], s[4:5]
	s_cbranch_execz .LBB14_1060
.LBB14_1059:
	v_and_b32_e32 v2, 7, v7
	v_ffbh_u32_e32 v12, v2
	v_min_u32_e32 v12, 32, v12
	v_lshrrev_b16_e32 v6, 3, v7
	v_subrev_u32_e32 v13, 28, v12
	v_and_b32_e32 v6, 15, v6
	v_lshlrev_b32_e32 v13, v13, v7
	v_sub_u32_e32 v12, 29, v12
	v_and_b32_e32 v13, 7, v13
	v_cmp_eq_u16_e32 vcc, 0, v6
	v_cndmask_b32_e32 v2, v2, v13, vcc
	v_cndmask_b32_e32 v6, v6, v12, vcc
	v_lshlrev_b32_e32 v12, 24, v7
	v_mov_b32_e32 v13, 0x3b800000
	v_lshlrev_b32_e32 v2, 20, v2
	v_and_b32_e32 v12, 0x80000000, v12
	v_lshl_add_u32 v6, v6, 23, v13
	v_or3_b32 v2, v12, v6, v2
.LBB14_1060:
	s_or_b64 exec, exec, s[6:7]
	s_movk_i32 s4, 0x7f
	v_cmp_gt_i16_sdwa s[6:7], v3, s4 src0_sel:BYTE_0 src1_sel:DWORD
	s_mov_b64 s[4:5], 0
                                        ; implicit-def: $sgpr10
	s_and_saveexec_b64 s[8:9], s[6:7]
	s_xor_b64 s[6:7], exec, s[8:9]
	s_cbranch_execnz .LBB14_3109
; %bb.1061:
	s_or_saveexec_b64 s[6:7], s[6:7]
	v_mov_b32_e32 v6, s10
	s_xor_b64 exec, exec, s[6:7]
	s_cbranch_execnz .LBB14_3112
.LBB14_1062:
	s_or_b64 exec, exec, s[6:7]
	s_and_saveexec_b64 s[6:7], s[4:5]
	s_cbranch_execz .LBB14_1064
.LBB14_1063:
	v_and_b32_e32 v6, 7, v3
	v_ffbh_u32_e32 v13, v6
	v_min_u32_e32 v13, 32, v13
	v_lshrrev_b16_e32 v12, 3, v3
	v_subrev_u32_e32 v14, 28, v13
	v_and_b32_e32 v12, 15, v12
	v_lshlrev_b32_e32 v14, v14, v3
	v_sub_u32_e32 v13, 29, v13
	v_and_b32_e32 v14, 7, v14
	v_cmp_eq_u16_e32 vcc, 0, v12
	v_cndmask_b32_e32 v6, v6, v14, vcc
	v_cndmask_b32_e32 v12, v12, v13, vcc
	v_lshlrev_b32_e32 v13, 24, v3
	v_mov_b32_e32 v14, 0x3b800000
	v_lshlrev_b32_e32 v6, 20, v6
	v_and_b32_e32 v13, 0x80000000, v13
	v_lshl_add_u32 v12, v12, 23, v14
	v_or3_b32 v6, v13, v12, v6
.LBB14_1064:
	s_or_b64 exec, exec, s[6:7]
	s_nop 0
	v_mfma_f32_16x16x4f32 a[0:3], v2, v6, a[0:3]
	v_lshrrev_b32_e32 v6, 8, v7
	s_movk_i32 s4, 0x7f
	v_cmp_gt_i16_sdwa s[6:7], v6, s4 src0_sel:BYTE_0 src1_sel:DWORD
	s_mov_b64 s[4:5], 0
                                        ; implicit-def: $sgpr10
	s_and_saveexec_b64 s[8:9], s[6:7]
	s_xor_b64 s[6:7], exec, s[8:9]
	s_cbranch_execnz .LBB14_3113
; %bb.1065:
	s_or_saveexec_b64 s[6:7], s[6:7]
	v_mov_b32_e32 v2, s10
	s_xor_b64 exec, exec, s[6:7]
	s_cbranch_execnz .LBB14_3116
.LBB14_1066:
	s_or_b64 exec, exec, s[6:7]
	s_and_saveexec_b64 s[6:7], s[4:5]
	s_cbranch_execz .LBB14_1068
.LBB14_1067:
	v_bfe_u32 v2, v7, 8, 3
	v_ffbh_u32_e32 v13, v2
	v_min_u32_e32 v13, 32, v13
	v_lshrrev_b16_e32 v12, 3, v6
	v_subrev_u32_e32 v14, 28, v13
	v_and_b32_e32 v12, 15, v12
	v_lshlrev_b32_e32 v6, v14, v6
	v_sub_u32_e32 v13, 29, v13
	v_and_b32_e32 v6, 7, v6
	v_cmp_eq_u16_e32 vcc, 0, v12
	v_cndmask_b32_e32 v2, v2, v6, vcc
	v_cndmask_b32_e32 v6, v12, v13, vcc
	v_lshlrev_b32_e32 v12, 16, v7
	v_mov_b32_e32 v13, 0x3b800000
	v_lshlrev_b32_e32 v2, 20, v2
	v_and_b32_e32 v12, 0x80000000, v12
	v_lshl_add_u32 v6, v6, 23, v13
	v_or3_b32 v2, v12, v6, v2
.LBB14_1068:
	s_or_b64 exec, exec, s[6:7]
	v_lshrrev_b32_e32 v6, 8, v3
	s_movk_i32 s4, 0x7f
	v_cmp_gt_i16_sdwa s[6:7], v6, s4 src0_sel:BYTE_0 src1_sel:DWORD
	s_mov_b64 s[4:5], 0
                                        ; implicit-def: $sgpr10
	s_and_saveexec_b64 s[8:9], s[6:7]
	s_xor_b64 s[6:7], exec, s[8:9]
	s_cbranch_execnz .LBB14_3117
; %bb.1069:
	s_or_saveexec_b64 s[6:7], s[6:7]
	v_mov_b32_e32 v12, s10
	s_xor_b64 exec, exec, s[6:7]
	s_cbranch_execnz .LBB14_3120
.LBB14_1070:
	s_or_b64 exec, exec, s[6:7]
	s_and_saveexec_b64 s[6:7], s[4:5]
	s_cbranch_execz .LBB14_1072
.LBB14_1071:
	v_bfe_u32 v12, v3, 8, 3
	v_ffbh_u32_e32 v14, v12
	v_min_u32_e32 v14, 32, v14
	v_lshrrev_b16_e32 v13, 3, v6
	v_subrev_u32_e32 v15, 28, v14
	v_and_b32_e32 v13, 15, v13
	v_lshlrev_b32_e32 v6, v15, v6
	v_sub_u32_e32 v14, 29, v14
	v_and_b32_e32 v6, 7, v6
	v_cmp_eq_u16_e32 vcc, 0, v13
	v_cndmask_b32_e32 v6, v12, v6, vcc
	v_cndmask_b32_e32 v12, v13, v14, vcc
	v_lshlrev_b32_e32 v13, 16, v3
	v_mov_b32_e32 v14, 0x3b800000
	v_lshlrev_b32_e32 v6, 20, v6
	v_and_b32_e32 v13, 0x80000000, v13
	v_lshl_add_u32 v12, v12, 23, v14
	v_or3_b32 v12, v13, v12, v6
.LBB14_1072:
	s_or_b64 exec, exec, s[6:7]
	s_nop 0
	v_mfma_f32_16x16x4f32 a[0:3], v2, v12, a[0:3]
	s_movk_i32 s4, 0xff
	v_and_b32_sdwa v6, v7, s4 dst_sel:DWORD dst_unused:UNUSED_PAD src0_sel:WORD_1 src1_sel:DWORD
	s_movk_i32 s4, 0x7f
	v_cmp_lt_i16_e32 vcc, s4, v6
	s_mov_b64 s[4:5], 0
                                        ; implicit-def: $sgpr10
	s_and_saveexec_b64 s[6:7], vcc
	s_xor_b64 s[6:7], exec, s[6:7]
	s_cbranch_execnz .LBB14_3121
; %bb.1073:
	s_or_saveexec_b64 s[6:7], s[6:7]
	v_mov_b32_e32 v2, s10
	s_xor_b64 exec, exec, s[6:7]
	s_cbranch_execnz .LBB14_3124
.LBB14_1074:
	s_or_b64 exec, exec, s[6:7]
	s_and_saveexec_b64 s[6:7], s[4:5]
	s_cbranch_execz .LBB14_1076
.LBB14_1075:
	v_bfe_u32 v2, v7, 16, 3
	v_ffbh_u32_e32 v13, v2
	v_min_u32_e32 v13, 32, v13
	v_lshrrev_b32_e32 v6, 19, v7
	v_subrev_u32_e32 v14, 28, v13
	v_and_b32_e32 v6, 15, v6
	v_lshlrev_b32_sdwa v14, v14, v7 dst_sel:DWORD dst_unused:UNUSED_PAD src0_sel:DWORD src1_sel:WORD_1
	v_bfe_u32 v12, v7, 19, 4
	v_sub_u32_e32 v13, 29, v13
	v_and_b32_e32 v14, 7, v14
	v_cmp_eq_u16_e32 vcc, 0, v6
	v_cndmask_b32_e32 v2, v2, v14, vcc
	v_cndmask_b32_e32 v6, v12, v13, vcc
	v_lshlrev_b32_e32 v12, 8, v7
	v_mov_b32_e32 v13, 0x3b800000
	v_lshlrev_b32_e32 v2, 20, v2
	v_and_b32_e32 v12, 0x80000000, v12
	v_lshl_add_u32 v6, v6, 23, v13
	v_or3_b32 v2, v12, v6, v2
.LBB14_1076:
	s_or_b64 exec, exec, s[6:7]
	s_movk_i32 s4, 0xff
	v_and_b32_sdwa v6, v3, s4 dst_sel:DWORD dst_unused:UNUSED_PAD src0_sel:WORD_1 src1_sel:DWORD
	s_movk_i32 s4, 0x7f
	v_cmp_lt_i16_e32 vcc, s4, v6
	s_mov_b64 s[4:5], 0
                                        ; implicit-def: $sgpr10
	s_and_saveexec_b64 s[6:7], vcc
	s_xor_b64 s[6:7], exec, s[6:7]
	s_cbranch_execnz .LBB14_3125
; %bb.1077:
	s_or_saveexec_b64 s[6:7], s[6:7]
	v_mov_b32_e32 v12, s10
	s_xor_b64 exec, exec, s[6:7]
	s_cbranch_execnz .LBB14_3128
.LBB14_1078:
	s_or_b64 exec, exec, s[6:7]
	s_and_saveexec_b64 s[6:7], s[4:5]
	s_cbranch_execz .LBB14_1080
.LBB14_1079:
	v_bfe_u32 v6, v3, 16, 3
	v_ffbh_u32_e32 v14, v6
	v_min_u32_e32 v14, 32, v14
	v_lshrrev_b32_e32 v12, 19, v3
	v_subrev_u32_e32 v15, 28, v14
	v_and_b32_e32 v12, 15, v12
	v_lshlrev_b32_sdwa v15, v15, v3 dst_sel:DWORD dst_unused:UNUSED_PAD src0_sel:DWORD src1_sel:WORD_1
	v_bfe_u32 v13, v3, 19, 4
	v_sub_u32_e32 v14, 29, v14
	v_and_b32_e32 v15, 7, v15
	v_cmp_eq_u16_e32 vcc, 0, v12
	v_cndmask_b32_e32 v6, v6, v15, vcc
	v_cndmask_b32_e32 v12, v13, v14, vcc
	v_lshlrev_b32_e32 v13, 8, v3
	v_mov_b32_e32 v14, 0x3b800000
	v_lshlrev_b32_e32 v6, 20, v6
	v_and_b32_e32 v13, 0x80000000, v13
	v_lshl_add_u32 v12, v12, 23, v14
	v_or3_b32 v12, v13, v12, v6
.LBB14_1080:
	s_or_b64 exec, exec, s[6:7]
	s_nop 0
	v_mfma_f32_16x16x4f32 a[0:3], v2, v12, a[0:3]
	s_movk_i32 s4, 0x7f
	v_cmp_gt_i16_sdwa s[6:7], v7, s4 src0_sel:BYTE_3 src1_sel:DWORD
	s_mov_b64 s[4:5], 0
                                        ; implicit-def: $sgpr10
	s_and_saveexec_b64 s[8:9], s[6:7]
	s_xor_b64 s[6:7], exec, s[8:9]
	s_cbranch_execnz .LBB14_3129
; %bb.1081:
	s_or_saveexec_b64 s[6:7], s[6:7]
	v_mov_b32_e32 v2, s10
	s_xor_b64 exec, exec, s[6:7]
	s_cbranch_execnz .LBB14_3132
.LBB14_1082:
	s_or_b64 exec, exec, s[6:7]
	s_and_saveexec_b64 s[6:7], s[4:5]
	s_cbranch_execz .LBB14_1084
.LBB14_1083:
	v_bfe_u32 v2, v7, 24, 3
	v_ffbh_u32_e32 v14, v2
	v_min_u32_e32 v14, 32, v14
	v_lshrrev_b32_e32 v12, 27, v7
	v_subrev_u32_e32 v15, 28, v14
	v_and_b32_e32 v6, 0x80000000, v7
	v_and_b32_e32 v12, 15, v12
	v_bfe_u32 v13, v7, 27, 4
	v_lshlrev_b32_sdwa v7, v15, v7 dst_sel:DWORD dst_unused:UNUSED_PAD src0_sel:DWORD src1_sel:BYTE_3
	v_sub_u32_e32 v14, 29, v14
	v_and_b32_e32 v7, 7, v7
	v_cmp_eq_u16_e32 vcc, 0, v12
	v_cndmask_b32_e32 v2, v2, v7, vcc
	v_cndmask_b32_e32 v7, v13, v14, vcc
	v_mov_b32_e32 v12, 0x3b800000
	v_lshlrev_b32_e32 v2, 20, v2
	v_lshl_add_u32 v7, v7, 23, v12
	v_or3_b32 v2, v6, v7, v2
.LBB14_1084:
	s_or_b64 exec, exec, s[6:7]
	s_movk_i32 s4, 0x7f
	v_cmp_gt_i16_sdwa s[6:7], v3, s4 src0_sel:BYTE_3 src1_sel:DWORD
	s_mov_b64 s[4:5], 0
                                        ; implicit-def: $sgpr10
	s_and_saveexec_b64 s[8:9], s[6:7]
	s_xor_b64 s[6:7], exec, s[8:9]
	s_cbranch_execnz .LBB14_3133
; %bb.1085:
	s_or_saveexec_b64 s[6:7], s[6:7]
	v_mov_b32_e32 v6, s10
	s_xor_b64 exec, exec, s[6:7]
	s_cbranch_execnz .LBB14_3136
.LBB14_1086:
	s_or_b64 exec, exec, s[6:7]
	s_and_saveexec_b64 s[6:7], s[4:5]
	s_cbranch_execz .LBB14_1088
.LBB14_1087:
	v_bfe_u32 v6, v3, 24, 3
	v_ffbh_u32_e32 v14, v6
	v_min_u32_e32 v14, 32, v14
	v_lshrrev_b32_e32 v12, 27, v3
	v_subrev_u32_e32 v15, 28, v14
	v_and_b32_e32 v7, 0x80000000, v3
	v_and_b32_e32 v12, 15, v12
	v_bfe_u32 v13, v3, 27, 4
	v_lshlrev_b32_sdwa v3, v15, v3 dst_sel:DWORD dst_unused:UNUSED_PAD src0_sel:DWORD src1_sel:BYTE_3
	v_sub_u32_e32 v14, 29, v14
	v_and_b32_e32 v3, 7, v3
	v_cmp_eq_u16_e32 vcc, 0, v12
	v_cndmask_b32_e32 v3, v6, v3, vcc
	v_cndmask_b32_e32 v6, v13, v14, vcc
	v_mov_b32_e32 v12, 0x3b800000
	v_lshlrev_b32_e32 v3, 20, v3
	v_lshl_add_u32 v6, v6, 23, v12
	v_or3_b32 v6, v7, v6, v3
.LBB14_1088:
	s_or_b64 exec, exec, s[6:7]
	s_nop 0
	v_mfma_f32_16x16x4f32 a[0:3], v2, v6, a[0:3]
	s_movk_i32 s4, 0x7f
	v_cmp_gt_i16_sdwa s[6:7], v8, s4 src0_sel:BYTE_0 src1_sel:DWORD
	s_mov_b64 s[4:5], 0
                                        ; implicit-def: $sgpr10
	s_and_saveexec_b64 s[8:9], s[6:7]
	s_xor_b64 s[6:7], exec, s[8:9]
	s_cbranch_execnz .LBB14_3137
; %bb.1089:
	s_or_saveexec_b64 s[6:7], s[6:7]
	v_mov_b32_e32 v2, s10
	s_xor_b64 exec, exec, s[6:7]
	s_cbranch_execnz .LBB14_3140
.LBB14_1090:
	s_or_b64 exec, exec, s[6:7]
	s_and_saveexec_b64 s[6:7], s[4:5]
	s_cbranch_execz .LBB14_1092
.LBB14_1091:
	v_and_b32_e32 v2, 7, v8
	v_ffbh_u32_e32 v6, v2
	v_min_u32_e32 v6, 32, v6
	v_lshrrev_b16_e32 v3, 3, v8
	v_subrev_u32_e32 v7, 28, v6
	v_and_b32_e32 v3, 15, v3
	v_lshlrev_b32_e32 v7, v7, v8
	v_sub_u32_e32 v6, 29, v6
	v_and_b32_e32 v7, 7, v7
	v_cmp_eq_u16_e32 vcc, 0, v3
	v_cndmask_b32_e32 v2, v2, v7, vcc
	v_cndmask_b32_e32 v3, v3, v6, vcc
	v_lshlrev_b32_e32 v6, 24, v8
	v_mov_b32_e32 v7, 0x3b800000
	v_lshlrev_b32_e32 v2, 20, v2
	v_and_b32_e32 v6, 0x80000000, v6
	v_lshl_add_u32 v3, v3, 23, v7
	v_or3_b32 v2, v6, v3, v2
.LBB14_1092:
	s_or_b64 exec, exec, s[6:7]
	s_movk_i32 s4, 0x7f
	v_cmp_gt_i16_sdwa s[6:7], v4, s4 src0_sel:BYTE_0 src1_sel:DWORD
	s_mov_b64 s[4:5], 0
                                        ; implicit-def: $sgpr10
	s_and_saveexec_b64 s[8:9], s[6:7]
	s_xor_b64 s[6:7], exec, s[8:9]
	s_cbranch_execnz .LBB14_3141
; %bb.1093:
	s_or_saveexec_b64 s[6:7], s[6:7]
	v_mov_b32_e32 v3, s10
	s_xor_b64 exec, exec, s[6:7]
	s_cbranch_execnz .LBB14_3144
.LBB14_1094:
	s_or_b64 exec, exec, s[6:7]
	s_and_saveexec_b64 s[6:7], s[4:5]
	s_cbranch_execz .LBB14_1096
.LBB14_1095:
	v_and_b32_e32 v3, 7, v4
	v_ffbh_u32_e32 v7, v3
	v_min_u32_e32 v7, 32, v7
	v_lshrrev_b16_e32 v6, 3, v4
	v_subrev_u32_e32 v12, 28, v7
	v_and_b32_e32 v6, 15, v6
	v_lshlrev_b32_e32 v12, v12, v4
	v_sub_u32_e32 v7, 29, v7
	v_and_b32_e32 v12, 7, v12
	v_cmp_eq_u16_e32 vcc, 0, v6
	v_cndmask_b32_e32 v3, v3, v12, vcc
	v_cndmask_b32_e32 v6, v6, v7, vcc
	v_lshlrev_b32_e32 v7, 24, v4
	v_mov_b32_e32 v12, 0x3b800000
	v_lshlrev_b32_e32 v3, 20, v3
	v_and_b32_e32 v7, 0x80000000, v7
	v_lshl_add_u32 v6, v6, 23, v12
	v_or3_b32 v3, v7, v6, v3
.LBB14_1096:
	s_or_b64 exec, exec, s[6:7]
	s_nop 0
	v_mfma_f32_16x16x4f32 a[0:3], v2, v3, a[0:3]
	v_lshrrev_b32_e32 v3, 8, v8
	s_movk_i32 s4, 0x7f
	v_cmp_gt_i16_sdwa s[6:7], v3, s4 src0_sel:BYTE_0 src1_sel:DWORD
	s_mov_b64 s[4:5], 0
                                        ; implicit-def: $sgpr10
	s_and_saveexec_b64 s[8:9], s[6:7]
	s_xor_b64 s[6:7], exec, s[8:9]
	s_cbranch_execnz .LBB14_3145
; %bb.1097:
	s_or_saveexec_b64 s[6:7], s[6:7]
	v_mov_b32_e32 v2, s10
	s_xor_b64 exec, exec, s[6:7]
	s_cbranch_execnz .LBB14_3148
.LBB14_1098:
	s_or_b64 exec, exec, s[6:7]
	s_and_saveexec_b64 s[6:7], s[4:5]
	s_cbranch_execz .LBB14_1100
.LBB14_1099:
	v_bfe_u32 v2, v8, 8, 3
	v_ffbh_u32_e32 v7, v2
	v_min_u32_e32 v7, 32, v7
	v_lshrrev_b16_e32 v6, 3, v3
	v_subrev_u32_e32 v12, 28, v7
	v_and_b32_e32 v6, 15, v6
	v_lshlrev_b32_e32 v3, v12, v3
	v_sub_u32_e32 v7, 29, v7
	v_and_b32_e32 v3, 7, v3
	v_cmp_eq_u16_e32 vcc, 0, v6
	v_cndmask_b32_e32 v2, v2, v3, vcc
	v_cndmask_b32_e32 v3, v6, v7, vcc
	v_lshlrev_b32_e32 v6, 16, v8
	v_mov_b32_e32 v7, 0x3b800000
	v_lshlrev_b32_e32 v2, 20, v2
	v_and_b32_e32 v6, 0x80000000, v6
	v_lshl_add_u32 v3, v3, 23, v7
	v_or3_b32 v2, v6, v3, v2
.LBB14_1100:
	s_or_b64 exec, exec, s[6:7]
	v_lshrrev_b32_e32 v3, 8, v4
	s_movk_i32 s4, 0x7f
	v_cmp_gt_i16_sdwa s[6:7], v3, s4 src0_sel:BYTE_0 src1_sel:DWORD
	s_mov_b64 s[4:5], 0
                                        ; implicit-def: $sgpr10
	s_and_saveexec_b64 s[8:9], s[6:7]
	s_xor_b64 s[6:7], exec, s[8:9]
	s_cbranch_execnz .LBB14_3149
; %bb.1101:
	s_or_saveexec_b64 s[6:7], s[6:7]
	v_mov_b32_e32 v6, s10
	s_xor_b64 exec, exec, s[6:7]
	s_cbranch_execnz .LBB14_3152
.LBB14_1102:
	s_or_b64 exec, exec, s[6:7]
	s_and_saveexec_b64 s[6:7], s[4:5]
	s_cbranch_execz .LBB14_1104
.LBB14_1103:
	v_bfe_u32 v6, v4, 8, 3
	v_ffbh_u32_e32 v12, v6
	v_min_u32_e32 v12, 32, v12
	v_lshrrev_b16_e32 v7, 3, v3
	v_subrev_u32_e32 v13, 28, v12
	v_and_b32_e32 v7, 15, v7
	v_lshlrev_b32_e32 v3, v13, v3
	v_sub_u32_e32 v12, 29, v12
	v_and_b32_e32 v3, 7, v3
	v_cmp_eq_u16_e32 vcc, 0, v7
	v_cndmask_b32_e32 v3, v6, v3, vcc
	v_cndmask_b32_e32 v6, v7, v12, vcc
	v_lshlrev_b32_e32 v7, 16, v4
	v_mov_b32_e32 v12, 0x3b800000
	v_lshlrev_b32_e32 v3, 20, v3
	v_and_b32_e32 v7, 0x80000000, v7
	v_lshl_add_u32 v6, v6, 23, v12
	v_or3_b32 v6, v7, v6, v3
.LBB14_1104:
	s_or_b64 exec, exec, s[6:7]
	s_nop 0
	v_mfma_f32_16x16x4f32 a[0:3], v2, v6, a[0:3]
	s_movk_i32 s4, 0xff
	v_and_b32_sdwa v3, v8, s4 dst_sel:DWORD dst_unused:UNUSED_PAD src0_sel:WORD_1 src1_sel:DWORD
	s_movk_i32 s4, 0x7f
	v_cmp_lt_i16_e32 vcc, s4, v3
	s_mov_b64 s[4:5], 0
                                        ; implicit-def: $sgpr10
	s_and_saveexec_b64 s[6:7], vcc
	s_xor_b64 s[6:7], exec, s[6:7]
	s_cbranch_execnz .LBB14_3153
; %bb.1105:
	s_or_saveexec_b64 s[6:7], s[6:7]
	v_mov_b32_e32 v2, s10
	s_xor_b64 exec, exec, s[6:7]
	s_cbranch_execnz .LBB14_3156
.LBB14_1106:
	s_or_b64 exec, exec, s[6:7]
	s_and_saveexec_b64 s[6:7], s[4:5]
	s_cbranch_execz .LBB14_1108
.LBB14_1107:
	v_bfe_u32 v2, v8, 16, 3
	v_ffbh_u32_e32 v7, v2
	v_min_u32_e32 v7, 32, v7
	v_lshrrev_b32_e32 v3, 19, v8
	v_subrev_u32_e32 v12, 28, v7
	v_and_b32_e32 v3, 15, v3
	v_lshlrev_b32_sdwa v12, v12, v8 dst_sel:DWORD dst_unused:UNUSED_PAD src0_sel:DWORD src1_sel:WORD_1
	v_bfe_u32 v6, v8, 19, 4
	v_sub_u32_e32 v7, 29, v7
	v_and_b32_e32 v12, 7, v12
	v_cmp_eq_u16_e32 vcc, 0, v3
	v_cndmask_b32_e32 v2, v2, v12, vcc
	v_cndmask_b32_e32 v3, v6, v7, vcc
	v_lshlrev_b32_e32 v6, 8, v8
	v_mov_b32_e32 v7, 0x3b800000
	v_lshlrev_b32_e32 v2, 20, v2
	v_and_b32_e32 v6, 0x80000000, v6
	v_lshl_add_u32 v3, v3, 23, v7
	v_or3_b32 v2, v6, v3, v2
.LBB14_1108:
	s_or_b64 exec, exec, s[6:7]
	s_movk_i32 s4, 0xff
	v_and_b32_sdwa v3, v4, s4 dst_sel:DWORD dst_unused:UNUSED_PAD src0_sel:WORD_1 src1_sel:DWORD
	s_movk_i32 s4, 0x7f
	v_cmp_lt_i16_e32 vcc, s4, v3
	s_mov_b64 s[4:5], 0
                                        ; implicit-def: $sgpr10
	s_and_saveexec_b64 s[6:7], vcc
	s_xor_b64 s[6:7], exec, s[6:7]
	s_cbranch_execnz .LBB14_3157
; %bb.1109:
	s_or_saveexec_b64 s[6:7], s[6:7]
	v_mov_b32_e32 v6, s10
	s_xor_b64 exec, exec, s[6:7]
	s_cbranch_execnz .LBB14_3160
.LBB14_1110:
	s_or_b64 exec, exec, s[6:7]
	s_and_saveexec_b64 s[6:7], s[4:5]
	s_cbranch_execz .LBB14_1112
.LBB14_1111:
	v_bfe_u32 v3, v4, 16, 3
	v_ffbh_u32_e32 v12, v3
	v_min_u32_e32 v12, 32, v12
	v_lshrrev_b32_e32 v6, 19, v4
	v_subrev_u32_e32 v13, 28, v12
	v_and_b32_e32 v6, 15, v6
	v_lshlrev_b32_sdwa v13, v13, v4 dst_sel:DWORD dst_unused:UNUSED_PAD src0_sel:DWORD src1_sel:WORD_1
	v_bfe_u32 v7, v4, 19, 4
	v_sub_u32_e32 v12, 29, v12
	v_and_b32_e32 v13, 7, v13
	v_cmp_eq_u16_e32 vcc, 0, v6
	v_cndmask_b32_e32 v3, v3, v13, vcc
	v_cndmask_b32_e32 v6, v7, v12, vcc
	v_lshlrev_b32_e32 v7, 8, v4
	v_mov_b32_e32 v12, 0x3b800000
	v_lshlrev_b32_e32 v3, 20, v3
	v_and_b32_e32 v7, 0x80000000, v7
	v_lshl_add_u32 v6, v6, 23, v12
	v_or3_b32 v6, v7, v6, v3
.LBB14_1112:
	s_or_b64 exec, exec, s[6:7]
	s_nop 0
	v_mfma_f32_16x16x4f32 a[0:3], v2, v6, a[0:3]
	s_movk_i32 s4, 0x7f
	v_cmp_gt_i16_sdwa s[6:7], v8, s4 src0_sel:BYTE_3 src1_sel:DWORD
	s_mov_b64 s[4:5], 0
                                        ; implicit-def: $sgpr10
	s_and_saveexec_b64 s[8:9], s[6:7]
	s_xor_b64 s[6:7], exec, s[8:9]
	s_cbranch_execnz .LBB14_3161
; %bb.1113:
	s_or_saveexec_b64 s[6:7], s[6:7]
	v_mov_b32_e32 v2, s10
	s_xor_b64 exec, exec, s[6:7]
	s_cbranch_execnz .LBB14_3164
.LBB14_1114:
	s_or_b64 exec, exec, s[6:7]
	s_and_saveexec_b64 s[6:7], s[4:5]
	s_cbranch_execz .LBB14_1116
.LBB14_1115:
	v_bfe_u32 v2, v8, 24, 3
	v_ffbh_u32_e32 v12, v2
	v_min_u32_e32 v12, 32, v12
	v_lshrrev_b32_e32 v6, 27, v8
	v_subrev_u32_e32 v13, 28, v12
	v_and_b32_e32 v3, 0x80000000, v8
	v_and_b32_e32 v6, 15, v6
	v_bfe_u32 v7, v8, 27, 4
	v_lshlrev_b32_sdwa v8, v13, v8 dst_sel:DWORD dst_unused:UNUSED_PAD src0_sel:DWORD src1_sel:BYTE_3
	v_sub_u32_e32 v12, 29, v12
	v_and_b32_e32 v8, 7, v8
	v_cmp_eq_u16_e32 vcc, 0, v6
	v_cndmask_b32_e32 v2, v2, v8, vcc
	v_cndmask_b32_e32 v6, v7, v12, vcc
	v_mov_b32_e32 v7, 0x3b800000
	v_lshlrev_b32_e32 v2, 20, v2
	v_lshl_add_u32 v6, v6, 23, v7
	v_or3_b32 v2, v3, v6, v2
.LBB14_1116:
	s_or_b64 exec, exec, s[6:7]
	s_movk_i32 s4, 0x7f
	v_cmp_gt_i16_sdwa s[6:7], v4, s4 src0_sel:BYTE_3 src1_sel:DWORD
	s_mov_b64 s[4:5], 0
                                        ; implicit-def: $sgpr10
	s_and_saveexec_b64 s[8:9], s[6:7]
	s_xor_b64 s[6:7], exec, s[8:9]
	s_cbranch_execnz .LBB14_3165
; %bb.1117:
	s_or_saveexec_b64 s[6:7], s[6:7]
	v_mov_b32_e32 v3, s10
	s_xor_b64 exec, exec, s[6:7]
	s_cbranch_execnz .LBB14_3168
.LBB14_1118:
	s_or_b64 exec, exec, s[6:7]
	s_and_saveexec_b64 s[6:7], s[4:5]
	s_cbranch_execz .LBB14_1120
.LBB14_1119:
	v_bfe_u32 v3, v4, 24, 3
	v_ffbh_u32_e32 v12, v3
	v_min_u32_e32 v12, 32, v12
	v_lshrrev_b32_e32 v7, 27, v4
	v_subrev_u32_e32 v13, 28, v12
	v_and_b32_e32 v6, 0x80000000, v4
	v_and_b32_e32 v7, 15, v7
	v_bfe_u32 v8, v4, 27, 4
	v_lshlrev_b32_sdwa v4, v13, v4 dst_sel:DWORD dst_unused:UNUSED_PAD src0_sel:DWORD src1_sel:BYTE_3
	v_sub_u32_e32 v12, 29, v12
	v_and_b32_e32 v4, 7, v4
	v_cmp_eq_u16_e32 vcc, 0, v7
	v_cndmask_b32_e32 v3, v3, v4, vcc
	v_cndmask_b32_e32 v4, v8, v12, vcc
	v_mov_b32_e32 v7, 0x3b800000
	v_lshlrev_b32_e32 v3, 20, v3
	v_lshl_add_u32 v4, v4, 23, v7
	v_or3_b32 v3, v6, v4, v3
.LBB14_1120:
	s_or_b64 exec, exec, s[6:7]
	s_nop 0
	v_mfma_f32_16x16x4f32 a[0:3], v2, v3, a[0:3]
	s_movk_i32 s4, 0x7f
	v_cmp_gt_i16_sdwa s[6:7], v9, s4 src0_sel:BYTE_0 src1_sel:DWORD
	s_mov_b64 s[4:5], 0
                                        ; implicit-def: $sgpr10
	s_and_saveexec_b64 s[8:9], s[6:7]
	s_xor_b64 s[6:7], exec, s[8:9]
	s_cbranch_execnz .LBB14_3169
; %bb.1121:
	s_or_saveexec_b64 s[6:7], s[6:7]
	v_mov_b32_e32 v2, s10
	s_xor_b64 exec, exec, s[6:7]
	s_cbranch_execnz .LBB14_3172
.LBB14_1122:
	s_or_b64 exec, exec, s[6:7]
	s_and_saveexec_b64 s[6:7], s[4:5]
	s_cbranch_execz .LBB14_1124
.LBB14_1123:
	v_mov_b32_e32 v2, 8
	v_and_b32_e32 v3, 7, v9
	v_lshrrev_b32_sdwa v2, v2, v9 dst_sel:BYTE_1 dst_unused:UNUSED_PAD src0_sel:DWORD src1_sel:DWORD
	v_ffbh_u32_e32 v4, v3
	v_or_b32_sdwa v2, v9, v2 dst_sel:DWORD dst_unused:UNUSED_PAD src0_sel:BYTE_0 src1_sel:DWORD
	v_min_u32_e32 v4, 32, v4
	v_lshrrev_b16_e32 v2, 3, v2
	v_subrev_u32_e32 v6, 28, v4
	v_and_b32_e32 v2, 15, v2
	v_lshlrev_b32_e32 v6, v6, v9
	v_sub_u32_e32 v4, 29, v4
	v_and_b32_e32 v6, 7, v6
	v_cmp_eq_u16_e32 vcc, 0, v2
	v_cndmask_b32_e32 v3, v3, v6, vcc
	v_cndmask_b32_e32 v2, v2, v4, vcc
	v_lshlrev_b32_e32 v4, 24, v9
	v_mov_b32_e32 v6, 0x3b800000
	v_lshlrev_b32_e32 v3, 20, v3
	v_and_b32_e32 v4, 0x80000000, v4
	v_lshl_add_u32 v2, v2, 23, v6
	v_or3_b32 v2, v4, v2, v3
.LBB14_1124:
	s_or_b64 exec, exec, s[6:7]
	s_movk_i32 s4, 0x7f
	v_cmp_gt_i16_sdwa s[6:7], v5, s4 src0_sel:BYTE_0 src1_sel:DWORD
	s_mov_b64 s[4:5], 0
                                        ; implicit-def: $sgpr10
	s_and_saveexec_b64 s[8:9], s[6:7]
	s_xor_b64 s[6:7], exec, s[8:9]
	s_cbranch_execnz .LBB14_3173
; %bb.1125:
	s_or_saveexec_b64 s[6:7], s[6:7]
	v_mov_b32_e32 v3, s10
	s_xor_b64 exec, exec, s[6:7]
	s_cbranch_execnz .LBB14_3176
.LBB14_1126:
	s_or_b64 exec, exec, s[6:7]
	s_and_saveexec_b64 s[6:7], s[4:5]
	s_cbranch_execz .LBB14_1128
.LBB14_1127:
	v_mov_b32_e32 v3, 8
	v_and_b32_e32 v4, 7, v5
	v_lshrrev_b32_sdwa v3, v3, v5 dst_sel:BYTE_1 dst_unused:UNUSED_PAD src0_sel:DWORD src1_sel:DWORD
	v_ffbh_u32_e32 v6, v4
	v_or_b32_sdwa v3, v5, v3 dst_sel:DWORD dst_unused:UNUSED_PAD src0_sel:BYTE_0 src1_sel:DWORD
	v_min_u32_e32 v6, 32, v6
	v_lshrrev_b16_e32 v3, 3, v3
	v_subrev_u32_e32 v7, 28, v6
	v_and_b32_e32 v3, 15, v3
	v_lshlrev_b32_e32 v7, v7, v5
	v_sub_u32_e32 v6, 29, v6
	v_and_b32_e32 v7, 7, v7
	v_cmp_eq_u16_e32 vcc, 0, v3
	v_cndmask_b32_e32 v4, v4, v7, vcc
	v_cndmask_b32_e32 v3, v3, v6, vcc
	v_lshlrev_b32_e32 v6, 24, v5
	v_mov_b32_e32 v7, 0x3b800000
	v_lshlrev_b32_e32 v4, 20, v4
	v_and_b32_e32 v6, 0x80000000, v6
	v_lshl_add_u32 v3, v3, 23, v7
	v_or3_b32 v3, v6, v3, v4
.LBB14_1128:
	s_or_b64 exec, exec, s[6:7]
	s_nop 0
	v_mfma_f32_16x16x4f32 a[0:3], v2, v3, a[0:3]
	v_lshrrev_b32_e32 v3, 8, v9
	s_movk_i32 s4, 0x7f
	v_cmp_gt_i16_sdwa s[6:7], v3, s4 src0_sel:BYTE_0 src1_sel:DWORD
	s_mov_b64 s[4:5], 0
                                        ; implicit-def: $sgpr10
	s_and_saveexec_b64 s[8:9], s[6:7]
	s_xor_b64 s[6:7], exec, s[8:9]
	s_cbranch_execnz .LBB14_3177
; %bb.1129:
	s_or_saveexec_b64 s[6:7], s[6:7]
	v_mov_b32_e32 v2, s10
	s_xor_b64 exec, exec, s[6:7]
	s_cbranch_execnz .LBB14_3180
.LBB14_1130:
	s_or_b64 exec, exec, s[6:7]
	s_and_saveexec_b64 s[6:7], s[4:5]
	s_cbranch_execz .LBB14_1132
.LBB14_1131:
	v_bfe_u32 v2, v9, 8, 3
	v_ffbh_u32_e32 v6, v2
	v_min_u32_e32 v6, 32, v6
	v_lshrrev_b16_e32 v4, 3, v3
	v_subrev_u32_e32 v7, 28, v6
	v_and_b32_e32 v4, 15, v4
	v_lshlrev_b32_e32 v3, v7, v3
	v_sub_u32_e32 v6, 29, v6
	v_and_b32_e32 v3, 7, v3
	v_cmp_eq_u16_e32 vcc, 0, v4
	v_cndmask_b32_e32 v2, v2, v3, vcc
	v_cndmask_b32_e32 v3, v4, v6, vcc
	v_lshlrev_b32_e32 v4, 16, v9
	v_mov_b32_e32 v6, 0x3b800000
	v_lshlrev_b32_e32 v2, 20, v2
	v_and_b32_e32 v4, 0x80000000, v4
	v_lshl_add_u32 v3, v3, 23, v6
	v_or3_b32 v2, v4, v3, v2
.LBB14_1132:
	s_or_b64 exec, exec, s[6:7]
	v_lshrrev_b32_e32 v3, 8, v5
	s_movk_i32 s4, 0x7f
	v_cmp_gt_i16_sdwa s[6:7], v3, s4 src0_sel:BYTE_0 src1_sel:DWORD
	s_mov_b64 s[4:5], 0
                                        ; implicit-def: $sgpr10
	s_and_saveexec_b64 s[8:9], s[6:7]
	s_xor_b64 s[6:7], exec, s[8:9]
	s_cbranch_execnz .LBB14_3181
; %bb.1133:
	s_or_saveexec_b64 s[6:7], s[6:7]
	v_mov_b32_e32 v4, s10
	s_xor_b64 exec, exec, s[6:7]
	s_cbranch_execnz .LBB14_3184
.LBB14_1134:
	s_or_b64 exec, exec, s[6:7]
	s_and_saveexec_b64 s[6:7], s[4:5]
	s_cbranch_execz .LBB14_1136
.LBB14_1135:
	v_bfe_u32 v4, v5, 8, 3
	v_ffbh_u32_e32 v7, v4
	v_min_u32_e32 v7, 32, v7
	v_lshrrev_b16_e32 v6, 3, v3
	v_subrev_u32_e32 v8, 28, v7
	v_and_b32_e32 v6, 15, v6
	v_lshlrev_b32_e32 v3, v8, v3
	v_sub_u32_e32 v7, 29, v7
	v_and_b32_e32 v3, 7, v3
	v_cmp_eq_u16_e32 vcc, 0, v6
	v_cndmask_b32_e32 v3, v4, v3, vcc
	v_cndmask_b32_e32 v4, v6, v7, vcc
	v_lshlrev_b32_e32 v6, 16, v5
	v_mov_b32_e32 v7, 0x3b800000
	v_lshlrev_b32_e32 v3, 20, v3
	v_and_b32_e32 v6, 0x80000000, v6
	v_lshl_add_u32 v4, v4, 23, v7
	v_or3_b32 v4, v6, v4, v3
.LBB14_1136:
	s_or_b64 exec, exec, s[6:7]
	s_nop 0
	v_mfma_f32_16x16x4f32 a[0:3], v2, v4, a[0:3]
	s_movk_i32 s4, 0xff
	v_and_b32_sdwa v3, v9, s4 dst_sel:DWORD dst_unused:UNUSED_PAD src0_sel:WORD_1 src1_sel:DWORD
	s_movk_i32 s4, 0x7f
	v_cmp_lt_i16_e32 vcc, s4, v3
	s_mov_b64 s[4:5], 0
                                        ; implicit-def: $sgpr10
	s_and_saveexec_b64 s[6:7], vcc
	s_xor_b64 s[6:7], exec, s[6:7]
	s_cbranch_execnz .LBB14_3185
; %bb.1137:
	s_or_saveexec_b64 s[6:7], s[6:7]
	v_mov_b32_e32 v2, s10
	s_xor_b64 exec, exec, s[6:7]
	s_cbranch_execnz .LBB14_3188
.LBB14_1138:
	s_or_b64 exec, exec, s[6:7]
	s_and_saveexec_b64 s[6:7], s[4:5]
	s_cbranch_execz .LBB14_1140
.LBB14_1139:
	v_bfe_u32 v2, v9, 16, 3
	v_ffbh_u32_e32 v6, v2
	v_min_u32_e32 v6, 32, v6
	v_lshrrev_b32_e32 v3, 19, v9
	v_subrev_u32_e32 v7, 28, v6
	v_and_b32_e32 v3, 15, v3
	v_lshlrev_b32_sdwa v7, v7, v9 dst_sel:DWORD dst_unused:UNUSED_PAD src0_sel:DWORD src1_sel:WORD_1
	v_bfe_u32 v4, v9, 19, 4
	v_sub_u32_e32 v6, 29, v6
	v_and_b32_e32 v7, 7, v7
	v_cmp_eq_u16_e32 vcc, 0, v3
	v_cndmask_b32_e32 v2, v2, v7, vcc
	v_cndmask_b32_e32 v3, v4, v6, vcc
	v_lshlrev_b32_e32 v4, 8, v9
	v_mov_b32_e32 v6, 0x3b800000
	v_lshlrev_b32_e32 v2, 20, v2
	v_and_b32_e32 v4, 0x80000000, v4
	v_lshl_add_u32 v3, v3, 23, v6
	v_or3_b32 v2, v4, v3, v2
.LBB14_1140:
	s_or_b64 exec, exec, s[6:7]
	s_movk_i32 s4, 0xff
	v_and_b32_sdwa v3, v5, s4 dst_sel:DWORD dst_unused:UNUSED_PAD src0_sel:WORD_1 src1_sel:DWORD
	s_movk_i32 s4, 0x7f
	v_cmp_lt_i16_e32 vcc, s4, v3
	s_mov_b64 s[4:5], 0
                                        ; implicit-def: $sgpr10
	s_and_saveexec_b64 s[6:7], vcc
	s_xor_b64 s[6:7], exec, s[6:7]
	s_cbranch_execnz .LBB14_3189
; %bb.1141:
	s_or_saveexec_b64 s[6:7], s[6:7]
	v_mov_b32_e32 v4, s10
	s_xor_b64 exec, exec, s[6:7]
	s_cbranch_execnz .LBB14_3192
.LBB14_1142:
	s_or_b64 exec, exec, s[6:7]
	s_and_saveexec_b64 s[6:7], s[4:5]
	s_cbranch_execz .LBB14_1144
.LBB14_1143:
	v_bfe_u32 v3, v5, 16, 3
	v_ffbh_u32_e32 v7, v3
	v_min_u32_e32 v7, 32, v7
	v_lshrrev_b32_e32 v4, 19, v5
	v_subrev_u32_e32 v8, 28, v7
	v_and_b32_e32 v4, 15, v4
	v_lshlrev_b32_sdwa v8, v8, v5 dst_sel:DWORD dst_unused:UNUSED_PAD src0_sel:DWORD src1_sel:WORD_1
	v_bfe_u32 v6, v5, 19, 4
	v_sub_u32_e32 v7, 29, v7
	v_and_b32_e32 v8, 7, v8
	v_cmp_eq_u16_e32 vcc, 0, v4
	v_cndmask_b32_e32 v3, v3, v8, vcc
	v_cndmask_b32_e32 v4, v6, v7, vcc
	v_lshlrev_b32_e32 v6, 8, v5
	v_mov_b32_e32 v7, 0x3b800000
	v_lshlrev_b32_e32 v3, 20, v3
	v_and_b32_e32 v6, 0x80000000, v6
	v_lshl_add_u32 v4, v4, 23, v7
	v_or3_b32 v4, v6, v4, v3
.LBB14_1144:
	s_or_b64 exec, exec, s[6:7]
	s_nop 0
	v_mfma_f32_16x16x4f32 a[0:3], v2, v4, a[0:3]
	s_movk_i32 s4, 0x7f
	v_cmp_gt_i16_sdwa s[6:7], v9, s4 src0_sel:BYTE_3 src1_sel:DWORD
	s_mov_b64 s[4:5], 0
                                        ; implicit-def: $sgpr10
	s_and_saveexec_b64 s[8:9], s[6:7]
	s_xor_b64 s[6:7], exec, s[8:9]
	s_cbranch_execnz .LBB14_3193
; %bb.1145:
	s_or_saveexec_b64 s[6:7], s[6:7]
	v_mov_b32_e32 v2, s10
	s_xor_b64 exec, exec, s[6:7]
	s_cbranch_execnz .LBB14_3196
.LBB14_1146:
	s_or_b64 exec, exec, s[6:7]
	s_and_saveexec_b64 s[6:7], s[4:5]
	s_cbranch_execz .LBB14_1148
.LBB14_1147:
	v_bfe_u32 v2, v9, 24, 3
	v_ffbh_u32_e32 v7, v2
	v_min_u32_e32 v7, 32, v7
	v_lshrrev_b32_e32 v4, 27, v9
	v_subrev_u32_e32 v8, 28, v7
	v_and_b32_e32 v4, 15, v4
	v_lshlrev_b32_sdwa v8, v8, v9 dst_sel:DWORD dst_unused:UNUSED_PAD src0_sel:DWORD src1_sel:BYTE_3
	v_bfe_u32 v6, v9, 27, 4
	v_sub_u32_e32 v7, 29, v7
	v_and_b32_e32 v8, 7, v8
	v_cmp_eq_u16_e32 vcc, 0, v4
	v_cndmask_b32_e32 v2, v2, v8, vcc
	v_cndmask_b32_e32 v4, v6, v7, vcc
	v_mov_b32_e32 v6, 0x3b800000
	v_and_b32_e32 v3, 0x80000000, v9
	v_lshlrev_b32_e32 v2, 20, v2
	v_lshl_add_u32 v4, v4, 23, v6
	v_or3_b32 v2, v3, v4, v2
.LBB14_1148:
	s_or_b64 exec, exec, s[6:7]
	s_movk_i32 s4, 0x7f
	v_cmp_gt_i16_sdwa s[6:7], v5, s4 src0_sel:BYTE_3 src1_sel:DWORD
	s_mov_b64 s[4:5], 0
                                        ; implicit-def: $sgpr10
	s_and_saveexec_b64 s[8:9], s[6:7]
	s_xor_b64 s[6:7], exec, s[8:9]
	s_cbranch_execnz .LBB14_3197
; %bb.1149:
	s_or_saveexec_b64 s[6:7], s[6:7]
	v_mov_b32_e32 v3, s10
	s_xor_b64 exec, exec, s[6:7]
	s_cbranch_execnz .LBB14_3200
.LBB14_1150:
	s_or_b64 exec, exec, s[6:7]
	s_and_saveexec_b64 s[6:7], s[4:5]
	s_cbranch_execz .LBB14_1152
.LBB14_1151:
	v_bfe_u32 v3, v5, 24, 3
	v_ffbh_u32_e32 v8, v3
	v_min_u32_e32 v8, 32, v8
	v_lshrrev_b32_e32 v6, 27, v5
	v_subrev_u32_e32 v9, 28, v8
	v_and_b32_e32 v4, 0x80000000, v5
	v_and_b32_e32 v6, 15, v6
	v_bfe_u32 v7, v5, 27, 4
	v_lshlrev_b32_sdwa v5, v9, v5 dst_sel:DWORD dst_unused:UNUSED_PAD src0_sel:DWORD src1_sel:BYTE_3
	v_sub_u32_e32 v8, 29, v8
	v_and_b32_e32 v5, 7, v5
	v_cmp_eq_u16_e32 vcc, 0, v6
	v_cndmask_b32_e32 v3, v3, v5, vcc
	v_cndmask_b32_e32 v5, v7, v8, vcc
	v_mov_b32_e32 v6, 0x3b800000
	v_lshlrev_b32_e32 v3, 20, v3
	v_lshl_add_u32 v5, v5, 23, v6
	v_or3_b32 v3, v4, v5, v3
.LBB14_1152:
	s_or_b64 exec, exec, s[6:7]
	s_nop 0
	v_mfma_f32_16x16x4f32 a[0:3], v2, v3, a[0:3]
	s_movk_i32 s4, 0x7f
                                        ; implicit-def: $sgpr10
	s_nop 7
	s_nop 1
	flat_store_dwordx4 v[10:11], a[0:3] offset:128
	flat_load_dwordx4 v[12:15], v[0:1] offset:8
	s_nop 0
	flat_load_dwordx2 v[10:11], v[0:1] offset:32
	s_waitcnt vmcnt(0) lgkmcnt(0)
	flat_load_dwordx4 v[6:9], v[12:13] offset:64
	flat_load_dwordx4 v[2:5], v[14:15] offset:32
	s_waitcnt vmcnt(0) lgkmcnt(0)
	v_cmp_gt_i16_sdwa s[6:7], v6, s4 src0_sel:BYTE_0 src1_sel:DWORD
	s_mov_b64 s[4:5], 0
	s_and_saveexec_b64 s[8:9], s[6:7]
	s_xor_b64 s[6:7], exec, s[8:9]
	s_cbranch_execnz .LBB14_3201
; %bb.1153:
	s_or_saveexec_b64 s[6:7], s[6:7]
	v_mov_b32_e32 v12, s10
	s_xor_b64 exec, exec, s[6:7]
	s_cbranch_execnz .LBB14_3204
.LBB14_1154:
	s_or_b64 exec, exec, s[6:7]
	s_and_saveexec_b64 s[6:7], s[4:5]
	s_cbranch_execz .LBB14_1156
.LBB14_1155:
	v_and_b32_e32 v12, 7, v6
	v_ffbh_u32_e32 v14, v12
	v_min_u32_e32 v14, 32, v14
	v_lshrrev_b16_e32 v13, 3, v6
	v_subrev_u32_e32 v15, 28, v14
	v_and_b32_e32 v13, 15, v13
	v_lshlrev_b32_e32 v15, v15, v6
	v_sub_u32_e32 v14, 29, v14
	v_and_b32_e32 v15, 7, v15
	v_cmp_eq_u16_e32 vcc, 0, v13
	v_cndmask_b32_e32 v12, v12, v15, vcc
	v_cndmask_b32_e32 v13, v13, v14, vcc
	v_lshlrev_b32_e32 v14, 24, v6
	v_mov_b32_e32 v15, 0x3b800000
	v_lshlrev_b32_e32 v12, 20, v12
	v_and_b32_e32 v14, 0x80000000, v14
	v_lshl_add_u32 v13, v13, 23, v15
	v_or3_b32 v12, v14, v13, v12
.LBB14_1156:
	s_or_b64 exec, exec, s[6:7]
	s_movk_i32 s4, 0x7f
	v_cmp_gt_i16_sdwa s[6:7], v2, s4 src0_sel:BYTE_0 src1_sel:DWORD
	s_mov_b64 s[4:5], 0
                                        ; implicit-def: $sgpr10
	s_and_saveexec_b64 s[8:9], s[6:7]
	s_xor_b64 s[6:7], exec, s[8:9]
	s_cbranch_execnz .LBB14_3205
; %bb.1157:
	s_or_saveexec_b64 s[6:7], s[6:7]
	v_mov_b32_e32 v13, s10
	s_xor_b64 exec, exec, s[6:7]
	s_cbranch_execnz .LBB14_3208
.LBB14_1158:
	s_or_b64 exec, exec, s[6:7]
	s_and_saveexec_b64 s[6:7], s[4:5]
	s_cbranch_execz .LBB14_1160
.LBB14_1159:
	v_and_b32_e32 v13, 7, v2
	v_ffbh_u32_e32 v15, v13
	v_min_u32_e32 v15, 32, v15
	v_lshrrev_b16_e32 v14, 3, v2
	v_subrev_u32_e32 v16, 28, v15
	v_and_b32_e32 v14, 15, v14
	v_lshlrev_b32_e32 v16, v16, v2
	v_sub_u32_e32 v15, 29, v15
	v_and_b32_e32 v16, 7, v16
	v_cmp_eq_u16_e32 vcc, 0, v14
	v_cndmask_b32_e32 v13, v13, v16, vcc
	v_cndmask_b32_e32 v14, v14, v15, vcc
	v_lshlrev_b32_e32 v15, 24, v2
	v_mov_b32_e32 v16, 0x3b800000
	v_lshlrev_b32_e32 v13, 20, v13
	v_and_b32_e32 v15, 0x80000000, v15
	v_lshl_add_u32 v14, v14, 23, v16
	v_or3_b32 v13, v15, v14, v13
.LBB14_1160:
	s_or_b64 exec, exec, s[6:7]
	flat_load_dwordx4 a[0:3], v[10:11] offset:144
	s_movk_i32 s4, 0x7f
                                        ; implicit-def: $sgpr10
	s_waitcnt vmcnt(0) lgkmcnt(0)
	v_mfma_f32_16x16x4f32 a[0:3], v12, v13, a[0:3]
	v_lshrrev_b32_e32 v13, 8, v6
	v_cmp_gt_i16_sdwa s[6:7], v13, s4 src0_sel:BYTE_0 src1_sel:DWORD
	s_mov_b64 s[4:5], 0
	s_and_saveexec_b64 s[8:9], s[6:7]
	s_xor_b64 s[6:7], exec, s[8:9]
	s_cbranch_execnz .LBB14_3209
; %bb.1161:
	s_or_saveexec_b64 s[6:7], s[6:7]
	v_mov_b32_e32 v12, s10
	s_xor_b64 exec, exec, s[6:7]
	s_cbranch_execnz .LBB14_3212
.LBB14_1162:
	s_or_b64 exec, exec, s[6:7]
	s_and_saveexec_b64 s[6:7], s[4:5]
	s_cbranch_execz .LBB14_1164
.LBB14_1163:
	v_bfe_u32 v12, v6, 8, 3
	v_ffbh_u32_e32 v15, v12
	v_min_u32_e32 v15, 32, v15
	v_lshrrev_b16_e32 v14, 3, v13
	v_subrev_u32_e32 v16, 28, v15
	v_and_b32_e32 v14, 15, v14
	v_lshlrev_b32_e32 v13, v16, v13
	v_sub_u32_e32 v15, 29, v15
	v_and_b32_e32 v13, 7, v13
	v_cmp_eq_u16_e32 vcc, 0, v14
	v_cndmask_b32_e32 v12, v12, v13, vcc
	v_cndmask_b32_e32 v13, v14, v15, vcc
	v_lshlrev_b32_e32 v14, 16, v6
	v_mov_b32_e32 v15, 0x3b800000
	v_lshlrev_b32_e32 v12, 20, v12
	v_and_b32_e32 v14, 0x80000000, v14
	v_lshl_add_u32 v13, v13, 23, v15
	v_or3_b32 v12, v14, v13, v12
.LBB14_1164:
	s_or_b64 exec, exec, s[6:7]
	v_lshrrev_b32_e32 v13, 8, v2
	s_movk_i32 s4, 0x7f
	v_cmp_gt_i16_sdwa s[6:7], v13, s4 src0_sel:BYTE_0 src1_sel:DWORD
	s_mov_b64 s[4:5], 0
                                        ; implicit-def: $sgpr10
	s_and_saveexec_b64 s[8:9], s[6:7]
	s_xor_b64 s[6:7], exec, s[8:9]
	s_cbranch_execnz .LBB14_3213
; %bb.1165:
	s_or_saveexec_b64 s[6:7], s[6:7]
	v_mov_b32_e32 v14, s10
	s_xor_b64 exec, exec, s[6:7]
	s_cbranch_execnz .LBB14_3216
.LBB14_1166:
	s_or_b64 exec, exec, s[6:7]
	s_and_saveexec_b64 s[6:7], s[4:5]
	s_cbranch_execz .LBB14_1168
.LBB14_1167:
	v_bfe_u32 v14, v2, 8, 3
	v_ffbh_u32_e32 v16, v14
	v_min_u32_e32 v16, 32, v16
	v_lshrrev_b16_e32 v15, 3, v13
	v_subrev_u32_e32 v17, 28, v16
	v_and_b32_e32 v15, 15, v15
	v_lshlrev_b32_e32 v13, v17, v13
	v_sub_u32_e32 v16, 29, v16
	v_and_b32_e32 v13, 7, v13
	v_cmp_eq_u16_e32 vcc, 0, v15
	v_cndmask_b32_e32 v13, v14, v13, vcc
	v_cndmask_b32_e32 v14, v15, v16, vcc
	v_lshlrev_b32_e32 v15, 16, v2
	v_mov_b32_e32 v16, 0x3b800000
	v_lshlrev_b32_e32 v13, 20, v13
	v_and_b32_e32 v15, 0x80000000, v15
	v_lshl_add_u32 v14, v14, 23, v16
	v_or3_b32 v14, v15, v14, v13
.LBB14_1168:
	s_or_b64 exec, exec, s[6:7]
	s_nop 0
	v_mfma_f32_16x16x4f32 a[0:3], v12, v14, a[0:3]
	s_movk_i32 s4, 0xff
	v_and_b32_sdwa v13, v6, s4 dst_sel:DWORD dst_unused:UNUSED_PAD src0_sel:WORD_1 src1_sel:DWORD
	s_movk_i32 s4, 0x7f
	v_cmp_lt_i16_e32 vcc, s4, v13
	s_mov_b64 s[4:5], 0
                                        ; implicit-def: $sgpr10
	s_and_saveexec_b64 s[6:7], vcc
	s_xor_b64 s[6:7], exec, s[6:7]
	s_cbranch_execnz .LBB14_3217
; %bb.1169:
	s_or_saveexec_b64 s[6:7], s[6:7]
	v_mov_b32_e32 v12, s10
	s_xor_b64 exec, exec, s[6:7]
	s_cbranch_execnz .LBB14_3220
.LBB14_1170:
	s_or_b64 exec, exec, s[6:7]
	s_and_saveexec_b64 s[6:7], s[4:5]
	s_cbranch_execz .LBB14_1172
.LBB14_1171:
	v_bfe_u32 v12, v6, 16, 3
	v_ffbh_u32_e32 v15, v12
	v_min_u32_e32 v15, 32, v15
	v_lshrrev_b32_e32 v13, 19, v6
	v_subrev_u32_e32 v16, 28, v15
	v_and_b32_e32 v13, 15, v13
	v_lshlrev_b32_sdwa v16, v16, v6 dst_sel:DWORD dst_unused:UNUSED_PAD src0_sel:DWORD src1_sel:WORD_1
	v_bfe_u32 v14, v6, 19, 4
	v_sub_u32_e32 v15, 29, v15
	v_and_b32_e32 v16, 7, v16
	v_cmp_eq_u16_e32 vcc, 0, v13
	v_cndmask_b32_e32 v12, v12, v16, vcc
	v_cndmask_b32_e32 v13, v14, v15, vcc
	v_lshlrev_b32_e32 v14, 8, v6
	v_mov_b32_e32 v15, 0x3b800000
	v_lshlrev_b32_e32 v12, 20, v12
	v_and_b32_e32 v14, 0x80000000, v14
	v_lshl_add_u32 v13, v13, 23, v15
	v_or3_b32 v12, v14, v13, v12
.LBB14_1172:
	s_or_b64 exec, exec, s[6:7]
	s_movk_i32 s4, 0xff
	v_and_b32_sdwa v13, v2, s4 dst_sel:DWORD dst_unused:UNUSED_PAD src0_sel:WORD_1 src1_sel:DWORD
	s_movk_i32 s4, 0x7f
	v_cmp_lt_i16_e32 vcc, s4, v13
	s_mov_b64 s[4:5], 0
                                        ; implicit-def: $sgpr10
	s_and_saveexec_b64 s[6:7], vcc
	s_xor_b64 s[6:7], exec, s[6:7]
	s_cbranch_execnz .LBB14_3221
; %bb.1173:
	s_or_saveexec_b64 s[6:7], s[6:7]
	v_mov_b32_e32 v14, s10
	s_xor_b64 exec, exec, s[6:7]
	s_cbranch_execnz .LBB14_3224
.LBB14_1174:
	s_or_b64 exec, exec, s[6:7]
	s_and_saveexec_b64 s[6:7], s[4:5]
	s_cbranch_execz .LBB14_1176
.LBB14_1175:
	v_bfe_u32 v13, v2, 16, 3
	v_ffbh_u32_e32 v16, v13
	v_min_u32_e32 v16, 32, v16
	v_lshrrev_b32_e32 v14, 19, v2
	v_subrev_u32_e32 v17, 28, v16
	v_and_b32_e32 v14, 15, v14
	v_lshlrev_b32_sdwa v17, v17, v2 dst_sel:DWORD dst_unused:UNUSED_PAD src0_sel:DWORD src1_sel:WORD_1
	v_bfe_u32 v15, v2, 19, 4
	v_sub_u32_e32 v16, 29, v16
	v_and_b32_e32 v17, 7, v17
	v_cmp_eq_u16_e32 vcc, 0, v14
	v_cndmask_b32_e32 v13, v13, v17, vcc
	v_cndmask_b32_e32 v14, v15, v16, vcc
	v_lshlrev_b32_e32 v15, 8, v2
	v_mov_b32_e32 v16, 0x3b800000
	v_lshlrev_b32_e32 v13, 20, v13
	v_and_b32_e32 v15, 0x80000000, v15
	v_lshl_add_u32 v14, v14, 23, v16
	v_or3_b32 v14, v15, v14, v13
.LBB14_1176:
	s_or_b64 exec, exec, s[6:7]
	s_nop 0
	v_mfma_f32_16x16x4f32 a[0:3], v12, v14, a[0:3]
	s_movk_i32 s4, 0x7f
	v_cmp_gt_i16_sdwa s[6:7], v6, s4 src0_sel:BYTE_3 src1_sel:DWORD
	s_mov_b64 s[4:5], 0
                                        ; implicit-def: $sgpr10
	s_and_saveexec_b64 s[8:9], s[6:7]
	s_xor_b64 s[6:7], exec, s[8:9]
	s_cbranch_execnz .LBB14_3225
; %bb.1177:
	s_or_saveexec_b64 s[6:7], s[6:7]
	v_mov_b32_e32 v12, s10
	s_xor_b64 exec, exec, s[6:7]
	s_cbranch_execnz .LBB14_3228
.LBB14_1178:
	s_or_b64 exec, exec, s[6:7]
	s_and_saveexec_b64 s[6:7], s[4:5]
	s_cbranch_execz .LBB14_1180
.LBB14_1179:
	v_bfe_u32 v12, v6, 24, 3
	v_ffbh_u32_e32 v16, v12
	v_min_u32_e32 v16, 32, v16
	v_lshrrev_b32_e32 v14, 27, v6
	v_subrev_u32_e32 v17, 28, v16
	v_and_b32_e32 v13, 0x80000000, v6
	v_and_b32_e32 v14, 15, v14
	v_bfe_u32 v15, v6, 27, 4
	v_lshlrev_b32_sdwa v6, v17, v6 dst_sel:DWORD dst_unused:UNUSED_PAD src0_sel:DWORD src1_sel:BYTE_3
	v_sub_u32_e32 v16, 29, v16
	v_and_b32_e32 v6, 7, v6
	v_cmp_eq_u16_e32 vcc, 0, v14
	v_cndmask_b32_e32 v6, v12, v6, vcc
	v_cndmask_b32_e32 v12, v15, v16, vcc
	v_mov_b32_e32 v14, 0x3b800000
	v_lshlrev_b32_e32 v6, 20, v6
	v_lshl_add_u32 v12, v12, 23, v14
	v_or3_b32 v12, v13, v12, v6
.LBB14_1180:
	s_or_b64 exec, exec, s[6:7]
	s_movk_i32 s4, 0x7f
	v_cmp_gt_i16_sdwa s[6:7], v2, s4 src0_sel:BYTE_3 src1_sel:DWORD
	s_mov_b64 s[4:5], 0
                                        ; implicit-def: $sgpr10
	s_and_saveexec_b64 s[8:9], s[6:7]
	s_xor_b64 s[6:7], exec, s[8:9]
	s_cbranch_execnz .LBB14_3229
; %bb.1181:
	s_or_saveexec_b64 s[6:7], s[6:7]
	v_mov_b32_e32 v6, s10
	s_xor_b64 exec, exec, s[6:7]
	s_cbranch_execnz .LBB14_3232
.LBB14_1182:
	s_or_b64 exec, exec, s[6:7]
	s_and_saveexec_b64 s[6:7], s[4:5]
	s_cbranch_execz .LBB14_1184
.LBB14_1183:
	v_bfe_u32 v6, v2, 24, 3
	v_ffbh_u32_e32 v16, v6
	v_min_u32_e32 v16, 32, v16
	v_lshrrev_b32_e32 v14, 27, v2
	v_subrev_u32_e32 v17, 28, v16
	v_and_b32_e32 v13, 0x80000000, v2
	v_and_b32_e32 v14, 15, v14
	v_bfe_u32 v15, v2, 27, 4
	v_lshlrev_b32_sdwa v2, v17, v2 dst_sel:DWORD dst_unused:UNUSED_PAD src0_sel:DWORD src1_sel:BYTE_3
	v_sub_u32_e32 v16, 29, v16
	v_and_b32_e32 v2, 7, v2
	v_cmp_eq_u16_e32 vcc, 0, v14
	v_cndmask_b32_e32 v2, v6, v2, vcc
	v_cndmask_b32_e32 v6, v15, v16, vcc
	v_mov_b32_e32 v14, 0x3b800000
	v_lshlrev_b32_e32 v2, 20, v2
	v_lshl_add_u32 v6, v6, 23, v14
	v_or3_b32 v6, v13, v6, v2
.LBB14_1184:
	s_or_b64 exec, exec, s[6:7]
	s_nop 0
	v_mfma_f32_16x16x4f32 a[0:3], v12, v6, a[0:3]
	s_movk_i32 s4, 0x7f
	v_cmp_gt_i16_sdwa s[6:7], v7, s4 src0_sel:BYTE_0 src1_sel:DWORD
	s_mov_b64 s[4:5], 0
                                        ; implicit-def: $sgpr10
	s_and_saveexec_b64 s[8:9], s[6:7]
	s_xor_b64 s[6:7], exec, s[8:9]
	s_cbranch_execnz .LBB14_3233
; %bb.1185:
	s_or_saveexec_b64 s[6:7], s[6:7]
	v_mov_b32_e32 v2, s10
	s_xor_b64 exec, exec, s[6:7]
	s_cbranch_execnz .LBB14_3236
.LBB14_1186:
	s_or_b64 exec, exec, s[6:7]
	s_and_saveexec_b64 s[6:7], s[4:5]
	s_cbranch_execz .LBB14_1188
.LBB14_1187:
	v_and_b32_e32 v2, 7, v7
	v_ffbh_u32_e32 v12, v2
	v_min_u32_e32 v12, 32, v12
	v_lshrrev_b16_e32 v6, 3, v7
	v_subrev_u32_e32 v13, 28, v12
	v_and_b32_e32 v6, 15, v6
	v_lshlrev_b32_e32 v13, v13, v7
	v_sub_u32_e32 v12, 29, v12
	v_and_b32_e32 v13, 7, v13
	v_cmp_eq_u16_e32 vcc, 0, v6
	v_cndmask_b32_e32 v2, v2, v13, vcc
	v_cndmask_b32_e32 v6, v6, v12, vcc
	v_lshlrev_b32_e32 v12, 24, v7
	v_mov_b32_e32 v13, 0x3b800000
	v_lshlrev_b32_e32 v2, 20, v2
	v_and_b32_e32 v12, 0x80000000, v12
	v_lshl_add_u32 v6, v6, 23, v13
	v_or3_b32 v2, v12, v6, v2
.LBB14_1188:
	s_or_b64 exec, exec, s[6:7]
	s_movk_i32 s4, 0x7f
	v_cmp_gt_i16_sdwa s[6:7], v3, s4 src0_sel:BYTE_0 src1_sel:DWORD
	s_mov_b64 s[4:5], 0
                                        ; implicit-def: $sgpr10
	s_and_saveexec_b64 s[8:9], s[6:7]
	s_xor_b64 s[6:7], exec, s[8:9]
	s_cbranch_execnz .LBB14_3237
; %bb.1189:
	s_or_saveexec_b64 s[6:7], s[6:7]
	v_mov_b32_e32 v6, s10
	s_xor_b64 exec, exec, s[6:7]
	s_cbranch_execnz .LBB14_3240
.LBB14_1190:
	s_or_b64 exec, exec, s[6:7]
	s_and_saveexec_b64 s[6:7], s[4:5]
	s_cbranch_execz .LBB14_1192
.LBB14_1191:
	v_and_b32_e32 v6, 7, v3
	v_ffbh_u32_e32 v13, v6
	v_min_u32_e32 v13, 32, v13
	v_lshrrev_b16_e32 v12, 3, v3
	v_subrev_u32_e32 v14, 28, v13
	v_and_b32_e32 v12, 15, v12
	v_lshlrev_b32_e32 v14, v14, v3
	v_sub_u32_e32 v13, 29, v13
	v_and_b32_e32 v14, 7, v14
	v_cmp_eq_u16_e32 vcc, 0, v12
	v_cndmask_b32_e32 v6, v6, v14, vcc
	v_cndmask_b32_e32 v12, v12, v13, vcc
	v_lshlrev_b32_e32 v13, 24, v3
	v_mov_b32_e32 v14, 0x3b800000
	v_lshlrev_b32_e32 v6, 20, v6
	v_and_b32_e32 v13, 0x80000000, v13
	v_lshl_add_u32 v12, v12, 23, v14
	v_or3_b32 v6, v13, v12, v6
.LBB14_1192:
	s_or_b64 exec, exec, s[6:7]
	s_nop 0
	v_mfma_f32_16x16x4f32 a[0:3], v2, v6, a[0:3]
	v_lshrrev_b32_e32 v6, 8, v7
	s_movk_i32 s4, 0x7f
	v_cmp_gt_i16_sdwa s[6:7], v6, s4 src0_sel:BYTE_0 src1_sel:DWORD
	s_mov_b64 s[4:5], 0
                                        ; implicit-def: $sgpr10
	s_and_saveexec_b64 s[8:9], s[6:7]
	s_xor_b64 s[6:7], exec, s[8:9]
	s_cbranch_execnz .LBB14_3241
; %bb.1193:
	s_or_saveexec_b64 s[6:7], s[6:7]
	v_mov_b32_e32 v2, s10
	s_xor_b64 exec, exec, s[6:7]
	s_cbranch_execnz .LBB14_3244
.LBB14_1194:
	s_or_b64 exec, exec, s[6:7]
	s_and_saveexec_b64 s[6:7], s[4:5]
	s_cbranch_execz .LBB14_1196
.LBB14_1195:
	v_bfe_u32 v2, v7, 8, 3
	v_ffbh_u32_e32 v13, v2
	v_min_u32_e32 v13, 32, v13
	v_lshrrev_b16_e32 v12, 3, v6
	v_subrev_u32_e32 v14, 28, v13
	v_and_b32_e32 v12, 15, v12
	v_lshlrev_b32_e32 v6, v14, v6
	v_sub_u32_e32 v13, 29, v13
	v_and_b32_e32 v6, 7, v6
	v_cmp_eq_u16_e32 vcc, 0, v12
	v_cndmask_b32_e32 v2, v2, v6, vcc
	v_cndmask_b32_e32 v6, v12, v13, vcc
	v_lshlrev_b32_e32 v12, 16, v7
	v_mov_b32_e32 v13, 0x3b800000
	v_lshlrev_b32_e32 v2, 20, v2
	v_and_b32_e32 v12, 0x80000000, v12
	v_lshl_add_u32 v6, v6, 23, v13
	v_or3_b32 v2, v12, v6, v2
.LBB14_1196:
	s_or_b64 exec, exec, s[6:7]
	v_lshrrev_b32_e32 v6, 8, v3
	s_movk_i32 s4, 0x7f
	v_cmp_gt_i16_sdwa s[6:7], v6, s4 src0_sel:BYTE_0 src1_sel:DWORD
	s_mov_b64 s[4:5], 0
                                        ; implicit-def: $sgpr10
	s_and_saveexec_b64 s[8:9], s[6:7]
	s_xor_b64 s[6:7], exec, s[8:9]
	s_cbranch_execnz .LBB14_3245
; %bb.1197:
	s_or_saveexec_b64 s[6:7], s[6:7]
	v_mov_b32_e32 v12, s10
	s_xor_b64 exec, exec, s[6:7]
	s_cbranch_execnz .LBB14_3248
.LBB14_1198:
	s_or_b64 exec, exec, s[6:7]
	s_and_saveexec_b64 s[6:7], s[4:5]
	s_cbranch_execz .LBB14_1200
.LBB14_1199:
	v_bfe_u32 v12, v3, 8, 3
	v_ffbh_u32_e32 v14, v12
	v_min_u32_e32 v14, 32, v14
	v_lshrrev_b16_e32 v13, 3, v6
	v_subrev_u32_e32 v15, 28, v14
	v_and_b32_e32 v13, 15, v13
	v_lshlrev_b32_e32 v6, v15, v6
	v_sub_u32_e32 v14, 29, v14
	v_and_b32_e32 v6, 7, v6
	v_cmp_eq_u16_e32 vcc, 0, v13
	v_cndmask_b32_e32 v6, v12, v6, vcc
	v_cndmask_b32_e32 v12, v13, v14, vcc
	v_lshlrev_b32_e32 v13, 16, v3
	v_mov_b32_e32 v14, 0x3b800000
	v_lshlrev_b32_e32 v6, 20, v6
	v_and_b32_e32 v13, 0x80000000, v13
	v_lshl_add_u32 v12, v12, 23, v14
	v_or3_b32 v12, v13, v12, v6
.LBB14_1200:
	s_or_b64 exec, exec, s[6:7]
	s_nop 0
	v_mfma_f32_16x16x4f32 a[0:3], v2, v12, a[0:3]
	s_movk_i32 s4, 0xff
	v_and_b32_sdwa v6, v7, s4 dst_sel:DWORD dst_unused:UNUSED_PAD src0_sel:WORD_1 src1_sel:DWORD
	s_movk_i32 s4, 0x7f
	v_cmp_lt_i16_e32 vcc, s4, v6
	s_mov_b64 s[4:5], 0
                                        ; implicit-def: $sgpr10
	s_and_saveexec_b64 s[6:7], vcc
	s_xor_b64 s[6:7], exec, s[6:7]
	s_cbranch_execnz .LBB14_3249
; %bb.1201:
	s_or_saveexec_b64 s[6:7], s[6:7]
	v_mov_b32_e32 v2, s10
	s_xor_b64 exec, exec, s[6:7]
	s_cbranch_execnz .LBB14_3252
.LBB14_1202:
	s_or_b64 exec, exec, s[6:7]
	s_and_saveexec_b64 s[6:7], s[4:5]
	s_cbranch_execz .LBB14_1204
.LBB14_1203:
	v_bfe_u32 v2, v7, 16, 3
	v_ffbh_u32_e32 v13, v2
	v_min_u32_e32 v13, 32, v13
	v_lshrrev_b32_e32 v6, 19, v7
	v_subrev_u32_e32 v14, 28, v13
	v_and_b32_e32 v6, 15, v6
	v_lshlrev_b32_sdwa v14, v14, v7 dst_sel:DWORD dst_unused:UNUSED_PAD src0_sel:DWORD src1_sel:WORD_1
	v_bfe_u32 v12, v7, 19, 4
	v_sub_u32_e32 v13, 29, v13
	v_and_b32_e32 v14, 7, v14
	v_cmp_eq_u16_e32 vcc, 0, v6
	v_cndmask_b32_e32 v2, v2, v14, vcc
	v_cndmask_b32_e32 v6, v12, v13, vcc
	v_lshlrev_b32_e32 v12, 8, v7
	v_mov_b32_e32 v13, 0x3b800000
	v_lshlrev_b32_e32 v2, 20, v2
	v_and_b32_e32 v12, 0x80000000, v12
	v_lshl_add_u32 v6, v6, 23, v13
	v_or3_b32 v2, v12, v6, v2
.LBB14_1204:
	s_or_b64 exec, exec, s[6:7]
	s_movk_i32 s4, 0xff
	v_and_b32_sdwa v6, v3, s4 dst_sel:DWORD dst_unused:UNUSED_PAD src0_sel:WORD_1 src1_sel:DWORD
	s_movk_i32 s4, 0x7f
	v_cmp_lt_i16_e32 vcc, s4, v6
	s_mov_b64 s[4:5], 0
                                        ; implicit-def: $sgpr10
	s_and_saveexec_b64 s[6:7], vcc
	s_xor_b64 s[6:7], exec, s[6:7]
	s_cbranch_execnz .LBB14_3253
; %bb.1205:
	s_or_saveexec_b64 s[6:7], s[6:7]
	v_mov_b32_e32 v12, s10
	s_xor_b64 exec, exec, s[6:7]
	s_cbranch_execnz .LBB14_3256
.LBB14_1206:
	s_or_b64 exec, exec, s[6:7]
	s_and_saveexec_b64 s[6:7], s[4:5]
	s_cbranch_execz .LBB14_1208
.LBB14_1207:
	v_bfe_u32 v6, v3, 16, 3
	v_ffbh_u32_e32 v14, v6
	v_min_u32_e32 v14, 32, v14
	v_lshrrev_b32_e32 v12, 19, v3
	v_subrev_u32_e32 v15, 28, v14
	v_and_b32_e32 v12, 15, v12
	v_lshlrev_b32_sdwa v15, v15, v3 dst_sel:DWORD dst_unused:UNUSED_PAD src0_sel:DWORD src1_sel:WORD_1
	v_bfe_u32 v13, v3, 19, 4
	v_sub_u32_e32 v14, 29, v14
	v_and_b32_e32 v15, 7, v15
	v_cmp_eq_u16_e32 vcc, 0, v12
	v_cndmask_b32_e32 v6, v6, v15, vcc
	v_cndmask_b32_e32 v12, v13, v14, vcc
	v_lshlrev_b32_e32 v13, 8, v3
	v_mov_b32_e32 v14, 0x3b800000
	v_lshlrev_b32_e32 v6, 20, v6
	v_and_b32_e32 v13, 0x80000000, v13
	v_lshl_add_u32 v12, v12, 23, v14
	v_or3_b32 v12, v13, v12, v6
.LBB14_1208:
	s_or_b64 exec, exec, s[6:7]
	s_nop 0
	v_mfma_f32_16x16x4f32 a[0:3], v2, v12, a[0:3]
	s_movk_i32 s4, 0x7f
	v_cmp_gt_i16_sdwa s[6:7], v7, s4 src0_sel:BYTE_3 src1_sel:DWORD
	s_mov_b64 s[4:5], 0
                                        ; implicit-def: $sgpr10
	s_and_saveexec_b64 s[8:9], s[6:7]
	s_xor_b64 s[6:7], exec, s[8:9]
	s_cbranch_execnz .LBB14_3257
; %bb.1209:
	s_or_saveexec_b64 s[6:7], s[6:7]
	v_mov_b32_e32 v2, s10
	s_xor_b64 exec, exec, s[6:7]
	s_cbranch_execnz .LBB14_3260
.LBB14_1210:
	s_or_b64 exec, exec, s[6:7]
	s_and_saveexec_b64 s[6:7], s[4:5]
	s_cbranch_execz .LBB14_1212
.LBB14_1211:
	v_bfe_u32 v2, v7, 24, 3
	v_ffbh_u32_e32 v14, v2
	v_min_u32_e32 v14, 32, v14
	v_lshrrev_b32_e32 v12, 27, v7
	v_subrev_u32_e32 v15, 28, v14
	v_and_b32_e32 v6, 0x80000000, v7
	v_and_b32_e32 v12, 15, v12
	v_bfe_u32 v13, v7, 27, 4
	v_lshlrev_b32_sdwa v7, v15, v7 dst_sel:DWORD dst_unused:UNUSED_PAD src0_sel:DWORD src1_sel:BYTE_3
	v_sub_u32_e32 v14, 29, v14
	v_and_b32_e32 v7, 7, v7
	v_cmp_eq_u16_e32 vcc, 0, v12
	v_cndmask_b32_e32 v2, v2, v7, vcc
	v_cndmask_b32_e32 v7, v13, v14, vcc
	v_mov_b32_e32 v12, 0x3b800000
	v_lshlrev_b32_e32 v2, 20, v2
	v_lshl_add_u32 v7, v7, 23, v12
	v_or3_b32 v2, v6, v7, v2
.LBB14_1212:
	s_or_b64 exec, exec, s[6:7]
	s_movk_i32 s4, 0x7f
	v_cmp_gt_i16_sdwa s[6:7], v3, s4 src0_sel:BYTE_3 src1_sel:DWORD
	s_mov_b64 s[4:5], 0
                                        ; implicit-def: $sgpr10
	s_and_saveexec_b64 s[8:9], s[6:7]
	s_xor_b64 s[6:7], exec, s[8:9]
	s_cbranch_execnz .LBB14_3261
; %bb.1213:
	s_or_saveexec_b64 s[6:7], s[6:7]
	v_mov_b32_e32 v6, s10
	s_xor_b64 exec, exec, s[6:7]
	s_cbranch_execnz .LBB14_3264
.LBB14_1214:
	s_or_b64 exec, exec, s[6:7]
	s_and_saveexec_b64 s[6:7], s[4:5]
	s_cbranch_execz .LBB14_1216
.LBB14_1215:
	v_bfe_u32 v6, v3, 24, 3
	v_ffbh_u32_e32 v14, v6
	v_min_u32_e32 v14, 32, v14
	v_lshrrev_b32_e32 v12, 27, v3
	v_subrev_u32_e32 v15, 28, v14
	v_and_b32_e32 v7, 0x80000000, v3
	v_and_b32_e32 v12, 15, v12
	v_bfe_u32 v13, v3, 27, 4
	v_lshlrev_b32_sdwa v3, v15, v3 dst_sel:DWORD dst_unused:UNUSED_PAD src0_sel:DWORD src1_sel:BYTE_3
	v_sub_u32_e32 v14, 29, v14
	v_and_b32_e32 v3, 7, v3
	v_cmp_eq_u16_e32 vcc, 0, v12
	v_cndmask_b32_e32 v3, v6, v3, vcc
	v_cndmask_b32_e32 v6, v13, v14, vcc
	v_mov_b32_e32 v12, 0x3b800000
	v_lshlrev_b32_e32 v3, 20, v3
	v_lshl_add_u32 v6, v6, 23, v12
	v_or3_b32 v6, v7, v6, v3
.LBB14_1216:
	s_or_b64 exec, exec, s[6:7]
	s_nop 0
	v_mfma_f32_16x16x4f32 a[0:3], v2, v6, a[0:3]
	s_movk_i32 s4, 0x7f
	v_cmp_gt_i16_sdwa s[6:7], v8, s4 src0_sel:BYTE_0 src1_sel:DWORD
	s_mov_b64 s[4:5], 0
                                        ; implicit-def: $sgpr10
	s_and_saveexec_b64 s[8:9], s[6:7]
	s_xor_b64 s[6:7], exec, s[8:9]
	s_cbranch_execnz .LBB14_3265
; %bb.1217:
	s_or_saveexec_b64 s[6:7], s[6:7]
	v_mov_b32_e32 v2, s10
	s_xor_b64 exec, exec, s[6:7]
	s_cbranch_execnz .LBB14_3268
.LBB14_1218:
	s_or_b64 exec, exec, s[6:7]
	s_and_saveexec_b64 s[6:7], s[4:5]
	s_cbranch_execz .LBB14_1220
.LBB14_1219:
	v_and_b32_e32 v2, 7, v8
	v_ffbh_u32_e32 v6, v2
	v_min_u32_e32 v6, 32, v6
	v_lshrrev_b16_e32 v3, 3, v8
	v_subrev_u32_e32 v7, 28, v6
	v_and_b32_e32 v3, 15, v3
	v_lshlrev_b32_e32 v7, v7, v8
	v_sub_u32_e32 v6, 29, v6
	v_and_b32_e32 v7, 7, v7
	v_cmp_eq_u16_e32 vcc, 0, v3
	v_cndmask_b32_e32 v2, v2, v7, vcc
	v_cndmask_b32_e32 v3, v3, v6, vcc
	v_lshlrev_b32_e32 v6, 24, v8
	v_mov_b32_e32 v7, 0x3b800000
	v_lshlrev_b32_e32 v2, 20, v2
	v_and_b32_e32 v6, 0x80000000, v6
	v_lshl_add_u32 v3, v3, 23, v7
	v_or3_b32 v2, v6, v3, v2
.LBB14_1220:
	s_or_b64 exec, exec, s[6:7]
	s_movk_i32 s4, 0x7f
	v_cmp_gt_i16_sdwa s[6:7], v4, s4 src0_sel:BYTE_0 src1_sel:DWORD
	s_mov_b64 s[4:5], 0
                                        ; implicit-def: $sgpr10
	s_and_saveexec_b64 s[8:9], s[6:7]
	s_xor_b64 s[6:7], exec, s[8:9]
	s_cbranch_execnz .LBB14_3269
; %bb.1221:
	s_or_saveexec_b64 s[6:7], s[6:7]
	v_mov_b32_e32 v3, s10
	s_xor_b64 exec, exec, s[6:7]
	s_cbranch_execnz .LBB14_3272
.LBB14_1222:
	s_or_b64 exec, exec, s[6:7]
	s_and_saveexec_b64 s[6:7], s[4:5]
	s_cbranch_execz .LBB14_1224
.LBB14_1223:
	v_and_b32_e32 v3, 7, v4
	v_ffbh_u32_e32 v7, v3
	v_min_u32_e32 v7, 32, v7
	v_lshrrev_b16_e32 v6, 3, v4
	v_subrev_u32_e32 v12, 28, v7
	v_and_b32_e32 v6, 15, v6
	v_lshlrev_b32_e32 v12, v12, v4
	v_sub_u32_e32 v7, 29, v7
	v_and_b32_e32 v12, 7, v12
	v_cmp_eq_u16_e32 vcc, 0, v6
	v_cndmask_b32_e32 v3, v3, v12, vcc
	v_cndmask_b32_e32 v6, v6, v7, vcc
	v_lshlrev_b32_e32 v7, 24, v4
	v_mov_b32_e32 v12, 0x3b800000
	v_lshlrev_b32_e32 v3, 20, v3
	v_and_b32_e32 v7, 0x80000000, v7
	v_lshl_add_u32 v6, v6, 23, v12
	v_or3_b32 v3, v7, v6, v3
.LBB14_1224:
	s_or_b64 exec, exec, s[6:7]
	s_nop 0
	v_mfma_f32_16x16x4f32 a[0:3], v2, v3, a[0:3]
	v_lshrrev_b32_e32 v3, 8, v8
	s_movk_i32 s4, 0x7f
	v_cmp_gt_i16_sdwa s[6:7], v3, s4 src0_sel:BYTE_0 src1_sel:DWORD
	s_mov_b64 s[4:5], 0
                                        ; implicit-def: $sgpr10
	s_and_saveexec_b64 s[8:9], s[6:7]
	s_xor_b64 s[6:7], exec, s[8:9]
	s_cbranch_execnz .LBB14_3273
; %bb.1225:
	s_or_saveexec_b64 s[6:7], s[6:7]
	v_mov_b32_e32 v2, s10
	s_xor_b64 exec, exec, s[6:7]
	s_cbranch_execnz .LBB14_3276
.LBB14_1226:
	s_or_b64 exec, exec, s[6:7]
	s_and_saveexec_b64 s[6:7], s[4:5]
	s_cbranch_execz .LBB14_1228
.LBB14_1227:
	v_bfe_u32 v2, v8, 8, 3
	v_ffbh_u32_e32 v7, v2
	v_min_u32_e32 v7, 32, v7
	v_lshrrev_b16_e32 v6, 3, v3
	v_subrev_u32_e32 v12, 28, v7
	v_and_b32_e32 v6, 15, v6
	v_lshlrev_b32_e32 v3, v12, v3
	v_sub_u32_e32 v7, 29, v7
	v_and_b32_e32 v3, 7, v3
	v_cmp_eq_u16_e32 vcc, 0, v6
	v_cndmask_b32_e32 v2, v2, v3, vcc
	v_cndmask_b32_e32 v3, v6, v7, vcc
	v_lshlrev_b32_e32 v6, 16, v8
	v_mov_b32_e32 v7, 0x3b800000
	v_lshlrev_b32_e32 v2, 20, v2
	v_and_b32_e32 v6, 0x80000000, v6
	v_lshl_add_u32 v3, v3, 23, v7
	v_or3_b32 v2, v6, v3, v2
.LBB14_1228:
	s_or_b64 exec, exec, s[6:7]
	v_lshrrev_b32_e32 v3, 8, v4
	s_movk_i32 s4, 0x7f
	v_cmp_gt_i16_sdwa s[6:7], v3, s4 src0_sel:BYTE_0 src1_sel:DWORD
	s_mov_b64 s[4:5], 0
                                        ; implicit-def: $sgpr10
	s_and_saveexec_b64 s[8:9], s[6:7]
	s_xor_b64 s[6:7], exec, s[8:9]
	s_cbranch_execnz .LBB14_3277
; %bb.1229:
	s_or_saveexec_b64 s[6:7], s[6:7]
	v_mov_b32_e32 v6, s10
	s_xor_b64 exec, exec, s[6:7]
	s_cbranch_execnz .LBB14_3280
.LBB14_1230:
	s_or_b64 exec, exec, s[6:7]
	s_and_saveexec_b64 s[6:7], s[4:5]
	s_cbranch_execz .LBB14_1232
.LBB14_1231:
	v_bfe_u32 v6, v4, 8, 3
	v_ffbh_u32_e32 v12, v6
	v_min_u32_e32 v12, 32, v12
	v_lshrrev_b16_e32 v7, 3, v3
	v_subrev_u32_e32 v13, 28, v12
	v_and_b32_e32 v7, 15, v7
	v_lshlrev_b32_e32 v3, v13, v3
	v_sub_u32_e32 v12, 29, v12
	v_and_b32_e32 v3, 7, v3
	v_cmp_eq_u16_e32 vcc, 0, v7
	v_cndmask_b32_e32 v3, v6, v3, vcc
	v_cndmask_b32_e32 v6, v7, v12, vcc
	v_lshlrev_b32_e32 v7, 16, v4
	v_mov_b32_e32 v12, 0x3b800000
	v_lshlrev_b32_e32 v3, 20, v3
	v_and_b32_e32 v7, 0x80000000, v7
	v_lshl_add_u32 v6, v6, 23, v12
	v_or3_b32 v6, v7, v6, v3
.LBB14_1232:
	s_or_b64 exec, exec, s[6:7]
	s_nop 0
	v_mfma_f32_16x16x4f32 a[0:3], v2, v6, a[0:3]
	s_movk_i32 s4, 0xff
	v_and_b32_sdwa v3, v8, s4 dst_sel:DWORD dst_unused:UNUSED_PAD src0_sel:WORD_1 src1_sel:DWORD
	s_movk_i32 s4, 0x7f
	v_cmp_lt_i16_e32 vcc, s4, v3
	s_mov_b64 s[4:5], 0
                                        ; implicit-def: $sgpr10
	s_and_saveexec_b64 s[6:7], vcc
	s_xor_b64 s[6:7], exec, s[6:7]
	s_cbranch_execnz .LBB14_3281
; %bb.1233:
	s_or_saveexec_b64 s[6:7], s[6:7]
	v_mov_b32_e32 v2, s10
	s_xor_b64 exec, exec, s[6:7]
	s_cbranch_execnz .LBB14_3284
.LBB14_1234:
	s_or_b64 exec, exec, s[6:7]
	s_and_saveexec_b64 s[6:7], s[4:5]
	s_cbranch_execz .LBB14_1236
.LBB14_1235:
	v_bfe_u32 v2, v8, 16, 3
	v_ffbh_u32_e32 v7, v2
	v_min_u32_e32 v7, 32, v7
	v_lshrrev_b32_e32 v3, 19, v8
	v_subrev_u32_e32 v12, 28, v7
	v_and_b32_e32 v3, 15, v3
	v_lshlrev_b32_sdwa v12, v12, v8 dst_sel:DWORD dst_unused:UNUSED_PAD src0_sel:DWORD src1_sel:WORD_1
	v_bfe_u32 v6, v8, 19, 4
	v_sub_u32_e32 v7, 29, v7
	v_and_b32_e32 v12, 7, v12
	v_cmp_eq_u16_e32 vcc, 0, v3
	v_cndmask_b32_e32 v2, v2, v12, vcc
	v_cndmask_b32_e32 v3, v6, v7, vcc
	v_lshlrev_b32_e32 v6, 8, v8
	v_mov_b32_e32 v7, 0x3b800000
	v_lshlrev_b32_e32 v2, 20, v2
	v_and_b32_e32 v6, 0x80000000, v6
	v_lshl_add_u32 v3, v3, 23, v7
	v_or3_b32 v2, v6, v3, v2
.LBB14_1236:
	s_or_b64 exec, exec, s[6:7]
	s_movk_i32 s4, 0xff
	v_and_b32_sdwa v3, v4, s4 dst_sel:DWORD dst_unused:UNUSED_PAD src0_sel:WORD_1 src1_sel:DWORD
	s_movk_i32 s4, 0x7f
	v_cmp_lt_i16_e32 vcc, s4, v3
	s_mov_b64 s[4:5], 0
                                        ; implicit-def: $sgpr10
	s_and_saveexec_b64 s[6:7], vcc
	s_xor_b64 s[6:7], exec, s[6:7]
	s_cbranch_execnz .LBB14_3285
; %bb.1237:
	s_or_saveexec_b64 s[6:7], s[6:7]
	v_mov_b32_e32 v6, s10
	s_xor_b64 exec, exec, s[6:7]
	s_cbranch_execnz .LBB14_3288
.LBB14_1238:
	s_or_b64 exec, exec, s[6:7]
	s_and_saveexec_b64 s[6:7], s[4:5]
	s_cbranch_execz .LBB14_1240
.LBB14_1239:
	v_bfe_u32 v3, v4, 16, 3
	v_ffbh_u32_e32 v12, v3
	v_min_u32_e32 v12, 32, v12
	v_lshrrev_b32_e32 v6, 19, v4
	v_subrev_u32_e32 v13, 28, v12
	v_and_b32_e32 v6, 15, v6
	v_lshlrev_b32_sdwa v13, v13, v4 dst_sel:DWORD dst_unused:UNUSED_PAD src0_sel:DWORD src1_sel:WORD_1
	v_bfe_u32 v7, v4, 19, 4
	v_sub_u32_e32 v12, 29, v12
	v_and_b32_e32 v13, 7, v13
	v_cmp_eq_u16_e32 vcc, 0, v6
	v_cndmask_b32_e32 v3, v3, v13, vcc
	v_cndmask_b32_e32 v6, v7, v12, vcc
	v_lshlrev_b32_e32 v7, 8, v4
	v_mov_b32_e32 v12, 0x3b800000
	v_lshlrev_b32_e32 v3, 20, v3
	v_and_b32_e32 v7, 0x80000000, v7
	v_lshl_add_u32 v6, v6, 23, v12
	v_or3_b32 v6, v7, v6, v3
.LBB14_1240:
	s_or_b64 exec, exec, s[6:7]
	s_nop 0
	v_mfma_f32_16x16x4f32 a[0:3], v2, v6, a[0:3]
	s_movk_i32 s4, 0x7f
	v_cmp_gt_i16_sdwa s[6:7], v8, s4 src0_sel:BYTE_3 src1_sel:DWORD
	s_mov_b64 s[4:5], 0
                                        ; implicit-def: $sgpr10
	s_and_saveexec_b64 s[8:9], s[6:7]
	s_xor_b64 s[6:7], exec, s[8:9]
	s_cbranch_execnz .LBB14_3289
; %bb.1241:
	s_or_saveexec_b64 s[6:7], s[6:7]
	v_mov_b32_e32 v2, s10
	s_xor_b64 exec, exec, s[6:7]
	s_cbranch_execnz .LBB14_3292
.LBB14_1242:
	s_or_b64 exec, exec, s[6:7]
	s_and_saveexec_b64 s[6:7], s[4:5]
	s_cbranch_execz .LBB14_1244
.LBB14_1243:
	v_bfe_u32 v2, v8, 24, 3
	v_ffbh_u32_e32 v12, v2
	v_min_u32_e32 v12, 32, v12
	v_lshrrev_b32_e32 v6, 27, v8
	v_subrev_u32_e32 v13, 28, v12
	v_and_b32_e32 v3, 0x80000000, v8
	v_and_b32_e32 v6, 15, v6
	v_bfe_u32 v7, v8, 27, 4
	v_lshlrev_b32_sdwa v8, v13, v8 dst_sel:DWORD dst_unused:UNUSED_PAD src0_sel:DWORD src1_sel:BYTE_3
	v_sub_u32_e32 v12, 29, v12
	v_and_b32_e32 v8, 7, v8
	v_cmp_eq_u16_e32 vcc, 0, v6
	v_cndmask_b32_e32 v2, v2, v8, vcc
	v_cndmask_b32_e32 v6, v7, v12, vcc
	v_mov_b32_e32 v7, 0x3b800000
	v_lshlrev_b32_e32 v2, 20, v2
	v_lshl_add_u32 v6, v6, 23, v7
	v_or3_b32 v2, v3, v6, v2
.LBB14_1244:
	s_or_b64 exec, exec, s[6:7]
	s_movk_i32 s4, 0x7f
	v_cmp_gt_i16_sdwa s[6:7], v4, s4 src0_sel:BYTE_3 src1_sel:DWORD
	s_mov_b64 s[4:5], 0
                                        ; implicit-def: $sgpr10
	s_and_saveexec_b64 s[8:9], s[6:7]
	s_xor_b64 s[6:7], exec, s[8:9]
	s_cbranch_execnz .LBB14_3293
; %bb.1245:
	s_or_saveexec_b64 s[6:7], s[6:7]
	v_mov_b32_e32 v3, s10
	s_xor_b64 exec, exec, s[6:7]
	s_cbranch_execnz .LBB14_3296
.LBB14_1246:
	s_or_b64 exec, exec, s[6:7]
	s_and_saveexec_b64 s[6:7], s[4:5]
	s_cbranch_execz .LBB14_1248
.LBB14_1247:
	v_bfe_u32 v3, v4, 24, 3
	v_ffbh_u32_e32 v12, v3
	v_min_u32_e32 v12, 32, v12
	v_lshrrev_b32_e32 v7, 27, v4
	v_subrev_u32_e32 v13, 28, v12
	v_and_b32_e32 v6, 0x80000000, v4
	v_and_b32_e32 v7, 15, v7
	v_bfe_u32 v8, v4, 27, 4
	v_lshlrev_b32_sdwa v4, v13, v4 dst_sel:DWORD dst_unused:UNUSED_PAD src0_sel:DWORD src1_sel:BYTE_3
	v_sub_u32_e32 v12, 29, v12
	v_and_b32_e32 v4, 7, v4
	v_cmp_eq_u16_e32 vcc, 0, v7
	v_cndmask_b32_e32 v3, v3, v4, vcc
	v_cndmask_b32_e32 v4, v8, v12, vcc
	v_mov_b32_e32 v7, 0x3b800000
	v_lshlrev_b32_e32 v3, 20, v3
	v_lshl_add_u32 v4, v4, 23, v7
	v_or3_b32 v3, v6, v4, v3
.LBB14_1248:
	s_or_b64 exec, exec, s[6:7]
	s_nop 0
	v_mfma_f32_16x16x4f32 a[0:3], v2, v3, a[0:3]
	s_movk_i32 s4, 0x7f
	v_cmp_gt_i16_sdwa s[6:7], v9, s4 src0_sel:BYTE_0 src1_sel:DWORD
	s_mov_b64 s[4:5], 0
                                        ; implicit-def: $sgpr10
	s_and_saveexec_b64 s[8:9], s[6:7]
	s_xor_b64 s[6:7], exec, s[8:9]
	s_cbranch_execnz .LBB14_3297
; %bb.1249:
	s_or_saveexec_b64 s[6:7], s[6:7]
	v_mov_b32_e32 v2, s10
	s_xor_b64 exec, exec, s[6:7]
	s_cbranch_execnz .LBB14_3300
.LBB14_1250:
	s_or_b64 exec, exec, s[6:7]
	s_and_saveexec_b64 s[6:7], s[4:5]
	s_cbranch_execz .LBB14_1252
.LBB14_1251:
	v_mov_b32_e32 v2, 8
	v_and_b32_e32 v3, 7, v9
	v_lshrrev_b32_sdwa v2, v2, v9 dst_sel:BYTE_1 dst_unused:UNUSED_PAD src0_sel:DWORD src1_sel:DWORD
	v_ffbh_u32_e32 v4, v3
	v_or_b32_sdwa v2, v9, v2 dst_sel:DWORD dst_unused:UNUSED_PAD src0_sel:BYTE_0 src1_sel:DWORD
	v_min_u32_e32 v4, 32, v4
	v_lshrrev_b16_e32 v2, 3, v2
	v_subrev_u32_e32 v6, 28, v4
	v_and_b32_e32 v2, 15, v2
	v_lshlrev_b32_e32 v6, v6, v9
	v_sub_u32_e32 v4, 29, v4
	v_and_b32_e32 v6, 7, v6
	v_cmp_eq_u16_e32 vcc, 0, v2
	v_cndmask_b32_e32 v3, v3, v6, vcc
	v_cndmask_b32_e32 v2, v2, v4, vcc
	v_lshlrev_b32_e32 v4, 24, v9
	v_mov_b32_e32 v6, 0x3b800000
	v_lshlrev_b32_e32 v3, 20, v3
	v_and_b32_e32 v4, 0x80000000, v4
	v_lshl_add_u32 v2, v2, 23, v6
	v_or3_b32 v2, v4, v2, v3
.LBB14_1252:
	s_or_b64 exec, exec, s[6:7]
	s_movk_i32 s4, 0x7f
	v_cmp_gt_i16_sdwa s[6:7], v5, s4 src0_sel:BYTE_0 src1_sel:DWORD
	s_mov_b64 s[4:5], 0
                                        ; implicit-def: $sgpr10
	s_and_saveexec_b64 s[8:9], s[6:7]
	s_xor_b64 s[6:7], exec, s[8:9]
	s_cbranch_execnz .LBB14_3301
; %bb.1253:
	s_or_saveexec_b64 s[6:7], s[6:7]
	v_mov_b32_e32 v3, s10
	s_xor_b64 exec, exec, s[6:7]
	s_cbranch_execnz .LBB14_3304
.LBB14_1254:
	s_or_b64 exec, exec, s[6:7]
	s_and_saveexec_b64 s[6:7], s[4:5]
	s_cbranch_execz .LBB14_1256
.LBB14_1255:
	v_mov_b32_e32 v3, 8
	v_and_b32_e32 v4, 7, v5
	v_lshrrev_b32_sdwa v3, v3, v5 dst_sel:BYTE_1 dst_unused:UNUSED_PAD src0_sel:DWORD src1_sel:DWORD
	v_ffbh_u32_e32 v6, v4
	v_or_b32_sdwa v3, v5, v3 dst_sel:DWORD dst_unused:UNUSED_PAD src0_sel:BYTE_0 src1_sel:DWORD
	v_min_u32_e32 v6, 32, v6
	v_lshrrev_b16_e32 v3, 3, v3
	v_subrev_u32_e32 v7, 28, v6
	v_and_b32_e32 v3, 15, v3
	v_lshlrev_b32_e32 v7, v7, v5
	v_sub_u32_e32 v6, 29, v6
	v_and_b32_e32 v7, 7, v7
	v_cmp_eq_u16_e32 vcc, 0, v3
	v_cndmask_b32_e32 v4, v4, v7, vcc
	v_cndmask_b32_e32 v3, v3, v6, vcc
	v_lshlrev_b32_e32 v6, 24, v5
	v_mov_b32_e32 v7, 0x3b800000
	v_lshlrev_b32_e32 v4, 20, v4
	v_and_b32_e32 v6, 0x80000000, v6
	v_lshl_add_u32 v3, v3, 23, v7
	v_or3_b32 v3, v6, v3, v4
.LBB14_1256:
	s_or_b64 exec, exec, s[6:7]
	s_nop 0
	v_mfma_f32_16x16x4f32 a[0:3], v2, v3, a[0:3]
	v_lshrrev_b32_e32 v3, 8, v9
	s_movk_i32 s4, 0x7f
	v_cmp_gt_i16_sdwa s[6:7], v3, s4 src0_sel:BYTE_0 src1_sel:DWORD
	s_mov_b64 s[4:5], 0
                                        ; implicit-def: $sgpr10
	s_and_saveexec_b64 s[8:9], s[6:7]
	s_xor_b64 s[6:7], exec, s[8:9]
	s_cbranch_execnz .LBB14_3305
; %bb.1257:
	s_or_saveexec_b64 s[6:7], s[6:7]
	v_mov_b32_e32 v2, s10
	s_xor_b64 exec, exec, s[6:7]
	s_cbranch_execnz .LBB14_3308
.LBB14_1258:
	s_or_b64 exec, exec, s[6:7]
	s_and_saveexec_b64 s[6:7], s[4:5]
	s_cbranch_execz .LBB14_1260
.LBB14_1259:
	v_bfe_u32 v2, v9, 8, 3
	v_ffbh_u32_e32 v6, v2
	v_min_u32_e32 v6, 32, v6
	v_lshrrev_b16_e32 v4, 3, v3
	v_subrev_u32_e32 v7, 28, v6
	v_and_b32_e32 v4, 15, v4
	v_lshlrev_b32_e32 v3, v7, v3
	v_sub_u32_e32 v6, 29, v6
	v_and_b32_e32 v3, 7, v3
	v_cmp_eq_u16_e32 vcc, 0, v4
	v_cndmask_b32_e32 v2, v2, v3, vcc
	v_cndmask_b32_e32 v3, v4, v6, vcc
	v_lshlrev_b32_e32 v4, 16, v9
	v_mov_b32_e32 v6, 0x3b800000
	v_lshlrev_b32_e32 v2, 20, v2
	v_and_b32_e32 v4, 0x80000000, v4
	v_lshl_add_u32 v3, v3, 23, v6
	v_or3_b32 v2, v4, v3, v2
.LBB14_1260:
	s_or_b64 exec, exec, s[6:7]
	v_lshrrev_b32_e32 v3, 8, v5
	s_movk_i32 s4, 0x7f
	v_cmp_gt_i16_sdwa s[6:7], v3, s4 src0_sel:BYTE_0 src1_sel:DWORD
	s_mov_b64 s[4:5], 0
                                        ; implicit-def: $sgpr10
	s_and_saveexec_b64 s[8:9], s[6:7]
	s_xor_b64 s[6:7], exec, s[8:9]
	s_cbranch_execnz .LBB14_3309
; %bb.1261:
	s_or_saveexec_b64 s[6:7], s[6:7]
	v_mov_b32_e32 v4, s10
	s_xor_b64 exec, exec, s[6:7]
	s_cbranch_execnz .LBB14_3312
.LBB14_1262:
	s_or_b64 exec, exec, s[6:7]
	s_and_saveexec_b64 s[6:7], s[4:5]
	s_cbranch_execz .LBB14_1264
.LBB14_1263:
	v_bfe_u32 v4, v5, 8, 3
	v_ffbh_u32_e32 v7, v4
	v_min_u32_e32 v7, 32, v7
	v_lshrrev_b16_e32 v6, 3, v3
	v_subrev_u32_e32 v8, 28, v7
	v_and_b32_e32 v6, 15, v6
	v_lshlrev_b32_e32 v3, v8, v3
	v_sub_u32_e32 v7, 29, v7
	v_and_b32_e32 v3, 7, v3
	v_cmp_eq_u16_e32 vcc, 0, v6
	v_cndmask_b32_e32 v3, v4, v3, vcc
	v_cndmask_b32_e32 v4, v6, v7, vcc
	v_lshlrev_b32_e32 v6, 16, v5
	v_mov_b32_e32 v7, 0x3b800000
	v_lshlrev_b32_e32 v3, 20, v3
	v_and_b32_e32 v6, 0x80000000, v6
	v_lshl_add_u32 v4, v4, 23, v7
	v_or3_b32 v4, v6, v4, v3
.LBB14_1264:
	s_or_b64 exec, exec, s[6:7]
	s_nop 0
	v_mfma_f32_16x16x4f32 a[0:3], v2, v4, a[0:3]
	s_movk_i32 s4, 0xff
	v_and_b32_sdwa v3, v9, s4 dst_sel:DWORD dst_unused:UNUSED_PAD src0_sel:WORD_1 src1_sel:DWORD
	s_movk_i32 s4, 0x7f
	v_cmp_lt_i16_e32 vcc, s4, v3
	s_mov_b64 s[4:5], 0
                                        ; implicit-def: $sgpr10
	s_and_saveexec_b64 s[6:7], vcc
	s_xor_b64 s[6:7], exec, s[6:7]
	s_cbranch_execnz .LBB14_3313
; %bb.1265:
	s_or_saveexec_b64 s[6:7], s[6:7]
	v_mov_b32_e32 v2, s10
	s_xor_b64 exec, exec, s[6:7]
	s_cbranch_execnz .LBB14_3316
.LBB14_1266:
	s_or_b64 exec, exec, s[6:7]
	s_and_saveexec_b64 s[6:7], s[4:5]
	s_cbranch_execz .LBB14_1268
.LBB14_1267:
	v_bfe_u32 v2, v9, 16, 3
	v_ffbh_u32_e32 v6, v2
	v_min_u32_e32 v6, 32, v6
	v_lshrrev_b32_e32 v3, 19, v9
	v_subrev_u32_e32 v7, 28, v6
	v_and_b32_e32 v3, 15, v3
	v_lshlrev_b32_sdwa v7, v7, v9 dst_sel:DWORD dst_unused:UNUSED_PAD src0_sel:DWORD src1_sel:WORD_1
	v_bfe_u32 v4, v9, 19, 4
	v_sub_u32_e32 v6, 29, v6
	v_and_b32_e32 v7, 7, v7
	v_cmp_eq_u16_e32 vcc, 0, v3
	v_cndmask_b32_e32 v2, v2, v7, vcc
	v_cndmask_b32_e32 v3, v4, v6, vcc
	v_lshlrev_b32_e32 v4, 8, v9
	v_mov_b32_e32 v6, 0x3b800000
	v_lshlrev_b32_e32 v2, 20, v2
	v_and_b32_e32 v4, 0x80000000, v4
	v_lshl_add_u32 v3, v3, 23, v6
	v_or3_b32 v2, v4, v3, v2
.LBB14_1268:
	s_or_b64 exec, exec, s[6:7]
	s_movk_i32 s4, 0xff
	v_and_b32_sdwa v3, v5, s4 dst_sel:DWORD dst_unused:UNUSED_PAD src0_sel:WORD_1 src1_sel:DWORD
	s_movk_i32 s4, 0x7f
	v_cmp_lt_i16_e32 vcc, s4, v3
	s_mov_b64 s[4:5], 0
                                        ; implicit-def: $sgpr10
	s_and_saveexec_b64 s[6:7], vcc
	s_xor_b64 s[6:7], exec, s[6:7]
	s_cbranch_execnz .LBB14_3317
; %bb.1269:
	s_or_saveexec_b64 s[6:7], s[6:7]
	v_mov_b32_e32 v4, s10
	s_xor_b64 exec, exec, s[6:7]
	s_cbranch_execnz .LBB14_3320
.LBB14_1270:
	s_or_b64 exec, exec, s[6:7]
	s_and_saveexec_b64 s[6:7], s[4:5]
	s_cbranch_execz .LBB14_1272
.LBB14_1271:
	v_bfe_u32 v3, v5, 16, 3
	v_ffbh_u32_e32 v7, v3
	v_min_u32_e32 v7, 32, v7
	v_lshrrev_b32_e32 v4, 19, v5
	v_subrev_u32_e32 v8, 28, v7
	v_and_b32_e32 v4, 15, v4
	v_lshlrev_b32_sdwa v8, v8, v5 dst_sel:DWORD dst_unused:UNUSED_PAD src0_sel:DWORD src1_sel:WORD_1
	v_bfe_u32 v6, v5, 19, 4
	v_sub_u32_e32 v7, 29, v7
	v_and_b32_e32 v8, 7, v8
	v_cmp_eq_u16_e32 vcc, 0, v4
	v_cndmask_b32_e32 v3, v3, v8, vcc
	v_cndmask_b32_e32 v4, v6, v7, vcc
	v_lshlrev_b32_e32 v6, 8, v5
	v_mov_b32_e32 v7, 0x3b800000
	v_lshlrev_b32_e32 v3, 20, v3
	v_and_b32_e32 v6, 0x80000000, v6
	v_lshl_add_u32 v4, v4, 23, v7
	v_or3_b32 v4, v6, v4, v3
.LBB14_1272:
	s_or_b64 exec, exec, s[6:7]
	s_nop 0
	v_mfma_f32_16x16x4f32 a[0:3], v2, v4, a[0:3]
	s_movk_i32 s4, 0x7f
	v_cmp_gt_i16_sdwa s[6:7], v9, s4 src0_sel:BYTE_3 src1_sel:DWORD
	s_mov_b64 s[4:5], 0
                                        ; implicit-def: $sgpr10
	s_and_saveexec_b64 s[8:9], s[6:7]
	s_xor_b64 s[6:7], exec, s[8:9]
	s_cbranch_execnz .LBB14_3321
; %bb.1273:
	s_or_saveexec_b64 s[6:7], s[6:7]
	v_mov_b32_e32 v2, s10
	s_xor_b64 exec, exec, s[6:7]
	s_cbranch_execnz .LBB14_3324
.LBB14_1274:
	s_or_b64 exec, exec, s[6:7]
	s_and_saveexec_b64 s[6:7], s[4:5]
	s_cbranch_execz .LBB14_1276
.LBB14_1275:
	v_bfe_u32 v2, v9, 24, 3
	v_ffbh_u32_e32 v7, v2
	v_min_u32_e32 v7, 32, v7
	v_lshrrev_b32_e32 v4, 27, v9
	v_subrev_u32_e32 v8, 28, v7
	v_and_b32_e32 v4, 15, v4
	v_lshlrev_b32_sdwa v8, v8, v9 dst_sel:DWORD dst_unused:UNUSED_PAD src0_sel:DWORD src1_sel:BYTE_3
	v_bfe_u32 v6, v9, 27, 4
	v_sub_u32_e32 v7, 29, v7
	v_and_b32_e32 v8, 7, v8
	v_cmp_eq_u16_e32 vcc, 0, v4
	v_cndmask_b32_e32 v2, v2, v8, vcc
	v_cndmask_b32_e32 v4, v6, v7, vcc
	v_mov_b32_e32 v6, 0x3b800000
	v_and_b32_e32 v3, 0x80000000, v9
	v_lshlrev_b32_e32 v2, 20, v2
	v_lshl_add_u32 v4, v4, 23, v6
	v_or3_b32 v2, v3, v4, v2
.LBB14_1276:
	s_or_b64 exec, exec, s[6:7]
	s_movk_i32 s4, 0x7f
	v_cmp_gt_i16_sdwa s[6:7], v5, s4 src0_sel:BYTE_3 src1_sel:DWORD
	s_mov_b64 s[4:5], 0
                                        ; implicit-def: $sgpr10
	s_and_saveexec_b64 s[8:9], s[6:7]
	s_xor_b64 s[6:7], exec, s[8:9]
	s_cbranch_execnz .LBB14_3325
; %bb.1277:
	s_or_saveexec_b64 s[6:7], s[6:7]
	v_mov_b32_e32 v3, s10
	s_xor_b64 exec, exec, s[6:7]
	s_cbranch_execnz .LBB14_3328
.LBB14_1278:
	s_or_b64 exec, exec, s[6:7]
	s_and_saveexec_b64 s[6:7], s[4:5]
	s_cbranch_execz .LBB14_1280
.LBB14_1279:
	v_bfe_u32 v3, v5, 24, 3
	v_ffbh_u32_e32 v8, v3
	v_min_u32_e32 v8, 32, v8
	v_lshrrev_b32_e32 v6, 27, v5
	v_subrev_u32_e32 v9, 28, v8
	v_and_b32_e32 v4, 0x80000000, v5
	v_and_b32_e32 v6, 15, v6
	v_bfe_u32 v7, v5, 27, 4
	v_lshlrev_b32_sdwa v5, v9, v5 dst_sel:DWORD dst_unused:UNUSED_PAD src0_sel:DWORD src1_sel:BYTE_3
	v_sub_u32_e32 v8, 29, v8
	v_and_b32_e32 v5, 7, v5
	v_cmp_eq_u16_e32 vcc, 0, v6
	v_cndmask_b32_e32 v3, v3, v5, vcc
	v_cndmask_b32_e32 v5, v7, v8, vcc
	v_mov_b32_e32 v6, 0x3b800000
	v_lshlrev_b32_e32 v3, 20, v3
	v_lshl_add_u32 v5, v5, 23, v6
	v_or3_b32 v3, v4, v5, v3
.LBB14_1280:
	s_or_b64 exec, exec, s[6:7]
	s_nop 0
	v_mfma_f32_16x16x4f32 a[0:3], v2, v3, a[0:3]
	s_movk_i32 s4, 0x7f
                                        ; implicit-def: $sgpr10
	s_nop 7
	s_nop 1
	flat_store_dwordx4 v[10:11], a[0:3] offset:144
	flat_load_dwordx4 v[12:15], v[0:1] offset:8
	s_nop 0
	flat_load_dwordx2 v[10:11], v[0:1] offset:32
	s_waitcnt vmcnt(0) lgkmcnt(0)
	flat_load_dwordx4 v[6:9], v[12:13] offset:64
	flat_load_dwordx4 v[2:5], v[14:15] offset:64
	s_waitcnt vmcnt(0) lgkmcnt(0)
	v_cmp_gt_i16_sdwa s[6:7], v6, s4 src0_sel:BYTE_0 src1_sel:DWORD
	s_mov_b64 s[4:5], 0
	s_and_saveexec_b64 s[8:9], s[6:7]
	s_xor_b64 s[6:7], exec, s[8:9]
	s_cbranch_execnz .LBB14_3329
; %bb.1281:
	s_or_saveexec_b64 s[6:7], s[6:7]
	v_mov_b32_e32 v12, s10
	s_xor_b64 exec, exec, s[6:7]
	s_cbranch_execnz .LBB14_3332
.LBB14_1282:
	s_or_b64 exec, exec, s[6:7]
	s_and_saveexec_b64 s[6:7], s[4:5]
	s_cbranch_execz .LBB14_1284
.LBB14_1283:
	v_and_b32_e32 v12, 7, v6
	v_ffbh_u32_e32 v14, v12
	v_min_u32_e32 v14, 32, v14
	v_lshrrev_b16_e32 v13, 3, v6
	v_subrev_u32_e32 v15, 28, v14
	v_and_b32_e32 v13, 15, v13
	v_lshlrev_b32_e32 v15, v15, v6
	v_sub_u32_e32 v14, 29, v14
	v_and_b32_e32 v15, 7, v15
	v_cmp_eq_u16_e32 vcc, 0, v13
	v_cndmask_b32_e32 v12, v12, v15, vcc
	v_cndmask_b32_e32 v13, v13, v14, vcc
	v_lshlrev_b32_e32 v14, 24, v6
	v_mov_b32_e32 v15, 0x3b800000
	v_lshlrev_b32_e32 v12, 20, v12
	v_and_b32_e32 v14, 0x80000000, v14
	v_lshl_add_u32 v13, v13, 23, v15
	v_or3_b32 v12, v14, v13, v12
.LBB14_1284:
	s_or_b64 exec, exec, s[6:7]
	s_movk_i32 s4, 0x7f
	v_cmp_gt_i16_sdwa s[6:7], v2, s4 src0_sel:BYTE_0 src1_sel:DWORD
	s_mov_b64 s[4:5], 0
                                        ; implicit-def: $sgpr10
	s_and_saveexec_b64 s[8:9], s[6:7]
	s_xor_b64 s[6:7], exec, s[8:9]
	s_cbranch_execnz .LBB14_3333
; %bb.1285:
	s_or_saveexec_b64 s[6:7], s[6:7]
	v_mov_b32_e32 v13, s10
	s_xor_b64 exec, exec, s[6:7]
	s_cbranch_execnz .LBB14_3336
.LBB14_1286:
	s_or_b64 exec, exec, s[6:7]
	s_and_saveexec_b64 s[6:7], s[4:5]
	s_cbranch_execz .LBB14_1288
.LBB14_1287:
	v_and_b32_e32 v13, 7, v2
	v_ffbh_u32_e32 v15, v13
	v_min_u32_e32 v15, 32, v15
	v_lshrrev_b16_e32 v14, 3, v2
	v_subrev_u32_e32 v16, 28, v15
	v_and_b32_e32 v14, 15, v14
	v_lshlrev_b32_e32 v16, v16, v2
	v_sub_u32_e32 v15, 29, v15
	v_and_b32_e32 v16, 7, v16
	v_cmp_eq_u16_e32 vcc, 0, v14
	v_cndmask_b32_e32 v13, v13, v16, vcc
	v_cndmask_b32_e32 v14, v14, v15, vcc
	v_lshlrev_b32_e32 v15, 24, v2
	v_mov_b32_e32 v16, 0x3b800000
	v_lshlrev_b32_e32 v13, 20, v13
	v_and_b32_e32 v15, 0x80000000, v15
	v_lshl_add_u32 v14, v14, 23, v16
	v_or3_b32 v13, v15, v14, v13
.LBB14_1288:
	s_or_b64 exec, exec, s[6:7]
	flat_load_dwordx4 a[0:3], v[10:11] offset:160
	s_movk_i32 s4, 0x7f
                                        ; implicit-def: $sgpr10
	s_waitcnt vmcnt(0) lgkmcnt(0)
	v_mfma_f32_16x16x4f32 a[0:3], v12, v13, a[0:3]
	v_lshrrev_b32_e32 v13, 8, v6
	v_cmp_gt_i16_sdwa s[6:7], v13, s4 src0_sel:BYTE_0 src1_sel:DWORD
	s_mov_b64 s[4:5], 0
	s_and_saveexec_b64 s[8:9], s[6:7]
	s_xor_b64 s[6:7], exec, s[8:9]
	s_cbranch_execnz .LBB14_3337
; %bb.1289:
	s_or_saveexec_b64 s[6:7], s[6:7]
	v_mov_b32_e32 v12, s10
	s_xor_b64 exec, exec, s[6:7]
	s_cbranch_execnz .LBB14_3340
.LBB14_1290:
	s_or_b64 exec, exec, s[6:7]
	s_and_saveexec_b64 s[6:7], s[4:5]
	s_cbranch_execz .LBB14_1292
.LBB14_1291:
	v_bfe_u32 v12, v6, 8, 3
	v_ffbh_u32_e32 v15, v12
	v_min_u32_e32 v15, 32, v15
	v_lshrrev_b16_e32 v14, 3, v13
	v_subrev_u32_e32 v16, 28, v15
	v_and_b32_e32 v14, 15, v14
	v_lshlrev_b32_e32 v13, v16, v13
	v_sub_u32_e32 v15, 29, v15
	v_and_b32_e32 v13, 7, v13
	v_cmp_eq_u16_e32 vcc, 0, v14
	v_cndmask_b32_e32 v12, v12, v13, vcc
	v_cndmask_b32_e32 v13, v14, v15, vcc
	v_lshlrev_b32_e32 v14, 16, v6
	v_mov_b32_e32 v15, 0x3b800000
	v_lshlrev_b32_e32 v12, 20, v12
	v_and_b32_e32 v14, 0x80000000, v14
	v_lshl_add_u32 v13, v13, 23, v15
	v_or3_b32 v12, v14, v13, v12
.LBB14_1292:
	s_or_b64 exec, exec, s[6:7]
	v_lshrrev_b32_e32 v13, 8, v2
	s_movk_i32 s4, 0x7f
	v_cmp_gt_i16_sdwa s[6:7], v13, s4 src0_sel:BYTE_0 src1_sel:DWORD
	s_mov_b64 s[4:5], 0
                                        ; implicit-def: $sgpr10
	s_and_saveexec_b64 s[8:9], s[6:7]
	s_xor_b64 s[6:7], exec, s[8:9]
	s_cbranch_execnz .LBB14_3341
; %bb.1293:
	s_or_saveexec_b64 s[6:7], s[6:7]
	v_mov_b32_e32 v14, s10
	s_xor_b64 exec, exec, s[6:7]
	s_cbranch_execnz .LBB14_3344
.LBB14_1294:
	s_or_b64 exec, exec, s[6:7]
	s_and_saveexec_b64 s[6:7], s[4:5]
	s_cbranch_execz .LBB14_1296
.LBB14_1295:
	v_bfe_u32 v14, v2, 8, 3
	v_ffbh_u32_e32 v16, v14
	v_min_u32_e32 v16, 32, v16
	v_lshrrev_b16_e32 v15, 3, v13
	v_subrev_u32_e32 v17, 28, v16
	v_and_b32_e32 v15, 15, v15
	v_lshlrev_b32_e32 v13, v17, v13
	v_sub_u32_e32 v16, 29, v16
	v_and_b32_e32 v13, 7, v13
	v_cmp_eq_u16_e32 vcc, 0, v15
	v_cndmask_b32_e32 v13, v14, v13, vcc
	v_cndmask_b32_e32 v14, v15, v16, vcc
	v_lshlrev_b32_e32 v15, 16, v2
	v_mov_b32_e32 v16, 0x3b800000
	v_lshlrev_b32_e32 v13, 20, v13
	v_and_b32_e32 v15, 0x80000000, v15
	v_lshl_add_u32 v14, v14, 23, v16
	v_or3_b32 v14, v15, v14, v13
.LBB14_1296:
	s_or_b64 exec, exec, s[6:7]
	s_nop 0
	v_mfma_f32_16x16x4f32 a[0:3], v12, v14, a[0:3]
	s_movk_i32 s4, 0xff
	v_and_b32_sdwa v13, v6, s4 dst_sel:DWORD dst_unused:UNUSED_PAD src0_sel:WORD_1 src1_sel:DWORD
	s_movk_i32 s4, 0x7f
	v_cmp_lt_i16_e32 vcc, s4, v13
	s_mov_b64 s[4:5], 0
                                        ; implicit-def: $sgpr10
	s_and_saveexec_b64 s[6:7], vcc
	s_xor_b64 s[6:7], exec, s[6:7]
	s_cbranch_execnz .LBB14_3345
; %bb.1297:
	s_or_saveexec_b64 s[6:7], s[6:7]
	v_mov_b32_e32 v12, s10
	s_xor_b64 exec, exec, s[6:7]
	s_cbranch_execnz .LBB14_3348
.LBB14_1298:
	s_or_b64 exec, exec, s[6:7]
	s_and_saveexec_b64 s[6:7], s[4:5]
	s_cbranch_execz .LBB14_1300
.LBB14_1299:
	v_bfe_u32 v12, v6, 16, 3
	v_ffbh_u32_e32 v15, v12
	v_min_u32_e32 v15, 32, v15
	v_lshrrev_b32_e32 v13, 19, v6
	v_subrev_u32_e32 v16, 28, v15
	v_and_b32_e32 v13, 15, v13
	v_lshlrev_b32_sdwa v16, v16, v6 dst_sel:DWORD dst_unused:UNUSED_PAD src0_sel:DWORD src1_sel:WORD_1
	v_bfe_u32 v14, v6, 19, 4
	v_sub_u32_e32 v15, 29, v15
	v_and_b32_e32 v16, 7, v16
	v_cmp_eq_u16_e32 vcc, 0, v13
	v_cndmask_b32_e32 v12, v12, v16, vcc
	v_cndmask_b32_e32 v13, v14, v15, vcc
	v_lshlrev_b32_e32 v14, 8, v6
	v_mov_b32_e32 v15, 0x3b800000
	v_lshlrev_b32_e32 v12, 20, v12
	v_and_b32_e32 v14, 0x80000000, v14
	v_lshl_add_u32 v13, v13, 23, v15
	v_or3_b32 v12, v14, v13, v12
.LBB14_1300:
	s_or_b64 exec, exec, s[6:7]
	s_movk_i32 s4, 0xff
	v_and_b32_sdwa v13, v2, s4 dst_sel:DWORD dst_unused:UNUSED_PAD src0_sel:WORD_1 src1_sel:DWORD
	s_movk_i32 s4, 0x7f
	v_cmp_lt_i16_e32 vcc, s4, v13
	s_mov_b64 s[4:5], 0
                                        ; implicit-def: $sgpr10
	s_and_saveexec_b64 s[6:7], vcc
	s_xor_b64 s[6:7], exec, s[6:7]
	s_cbranch_execnz .LBB14_3349
; %bb.1301:
	s_or_saveexec_b64 s[6:7], s[6:7]
	v_mov_b32_e32 v14, s10
	s_xor_b64 exec, exec, s[6:7]
	s_cbranch_execnz .LBB14_3352
.LBB14_1302:
	s_or_b64 exec, exec, s[6:7]
	s_and_saveexec_b64 s[6:7], s[4:5]
	s_cbranch_execz .LBB14_1304
.LBB14_1303:
	v_bfe_u32 v13, v2, 16, 3
	v_ffbh_u32_e32 v16, v13
	v_min_u32_e32 v16, 32, v16
	v_lshrrev_b32_e32 v14, 19, v2
	v_subrev_u32_e32 v17, 28, v16
	v_and_b32_e32 v14, 15, v14
	v_lshlrev_b32_sdwa v17, v17, v2 dst_sel:DWORD dst_unused:UNUSED_PAD src0_sel:DWORD src1_sel:WORD_1
	v_bfe_u32 v15, v2, 19, 4
	v_sub_u32_e32 v16, 29, v16
	v_and_b32_e32 v17, 7, v17
	v_cmp_eq_u16_e32 vcc, 0, v14
	v_cndmask_b32_e32 v13, v13, v17, vcc
	v_cndmask_b32_e32 v14, v15, v16, vcc
	v_lshlrev_b32_e32 v15, 8, v2
	v_mov_b32_e32 v16, 0x3b800000
	v_lshlrev_b32_e32 v13, 20, v13
	v_and_b32_e32 v15, 0x80000000, v15
	v_lshl_add_u32 v14, v14, 23, v16
	v_or3_b32 v14, v15, v14, v13
.LBB14_1304:
	s_or_b64 exec, exec, s[6:7]
	s_nop 0
	v_mfma_f32_16x16x4f32 a[0:3], v12, v14, a[0:3]
	s_movk_i32 s4, 0x7f
	v_cmp_gt_i16_sdwa s[6:7], v6, s4 src0_sel:BYTE_3 src1_sel:DWORD
	s_mov_b64 s[4:5], 0
                                        ; implicit-def: $sgpr10
	s_and_saveexec_b64 s[8:9], s[6:7]
	s_xor_b64 s[6:7], exec, s[8:9]
	s_cbranch_execnz .LBB14_3353
; %bb.1305:
	s_or_saveexec_b64 s[6:7], s[6:7]
	v_mov_b32_e32 v12, s10
	s_xor_b64 exec, exec, s[6:7]
	s_cbranch_execnz .LBB14_3356
.LBB14_1306:
	s_or_b64 exec, exec, s[6:7]
	s_and_saveexec_b64 s[6:7], s[4:5]
	s_cbranch_execz .LBB14_1308
.LBB14_1307:
	v_bfe_u32 v12, v6, 24, 3
	v_ffbh_u32_e32 v16, v12
	v_min_u32_e32 v16, 32, v16
	v_lshrrev_b32_e32 v14, 27, v6
	v_subrev_u32_e32 v17, 28, v16
	v_and_b32_e32 v13, 0x80000000, v6
	v_and_b32_e32 v14, 15, v14
	v_bfe_u32 v15, v6, 27, 4
	v_lshlrev_b32_sdwa v6, v17, v6 dst_sel:DWORD dst_unused:UNUSED_PAD src0_sel:DWORD src1_sel:BYTE_3
	v_sub_u32_e32 v16, 29, v16
	v_and_b32_e32 v6, 7, v6
	v_cmp_eq_u16_e32 vcc, 0, v14
	v_cndmask_b32_e32 v6, v12, v6, vcc
	v_cndmask_b32_e32 v12, v15, v16, vcc
	v_mov_b32_e32 v14, 0x3b800000
	v_lshlrev_b32_e32 v6, 20, v6
	v_lshl_add_u32 v12, v12, 23, v14
	v_or3_b32 v12, v13, v12, v6
.LBB14_1308:
	s_or_b64 exec, exec, s[6:7]
	s_movk_i32 s4, 0x7f
	v_cmp_gt_i16_sdwa s[6:7], v2, s4 src0_sel:BYTE_3 src1_sel:DWORD
	s_mov_b64 s[4:5], 0
                                        ; implicit-def: $sgpr10
	s_and_saveexec_b64 s[8:9], s[6:7]
	s_xor_b64 s[6:7], exec, s[8:9]
	s_cbranch_execnz .LBB14_3357
; %bb.1309:
	s_or_saveexec_b64 s[6:7], s[6:7]
	v_mov_b32_e32 v6, s10
	s_xor_b64 exec, exec, s[6:7]
	s_cbranch_execnz .LBB14_3360
.LBB14_1310:
	s_or_b64 exec, exec, s[6:7]
	s_and_saveexec_b64 s[6:7], s[4:5]
	s_cbranch_execz .LBB14_1312
.LBB14_1311:
	v_bfe_u32 v6, v2, 24, 3
	v_ffbh_u32_e32 v16, v6
	v_min_u32_e32 v16, 32, v16
	v_lshrrev_b32_e32 v14, 27, v2
	v_subrev_u32_e32 v17, 28, v16
	v_and_b32_e32 v13, 0x80000000, v2
	v_and_b32_e32 v14, 15, v14
	v_bfe_u32 v15, v2, 27, 4
	v_lshlrev_b32_sdwa v2, v17, v2 dst_sel:DWORD dst_unused:UNUSED_PAD src0_sel:DWORD src1_sel:BYTE_3
	v_sub_u32_e32 v16, 29, v16
	v_and_b32_e32 v2, 7, v2
	v_cmp_eq_u16_e32 vcc, 0, v14
	v_cndmask_b32_e32 v2, v6, v2, vcc
	v_cndmask_b32_e32 v6, v15, v16, vcc
	v_mov_b32_e32 v14, 0x3b800000
	v_lshlrev_b32_e32 v2, 20, v2
	v_lshl_add_u32 v6, v6, 23, v14
	v_or3_b32 v6, v13, v6, v2
.LBB14_1312:
	s_or_b64 exec, exec, s[6:7]
	s_nop 0
	v_mfma_f32_16x16x4f32 a[0:3], v12, v6, a[0:3]
	s_movk_i32 s4, 0x7f
	v_cmp_gt_i16_sdwa s[6:7], v7, s4 src0_sel:BYTE_0 src1_sel:DWORD
	s_mov_b64 s[4:5], 0
                                        ; implicit-def: $sgpr10
	s_and_saveexec_b64 s[8:9], s[6:7]
	s_xor_b64 s[6:7], exec, s[8:9]
	s_cbranch_execnz .LBB14_3361
; %bb.1313:
	s_or_saveexec_b64 s[6:7], s[6:7]
	v_mov_b32_e32 v2, s10
	s_xor_b64 exec, exec, s[6:7]
	s_cbranch_execnz .LBB14_3364
.LBB14_1314:
	s_or_b64 exec, exec, s[6:7]
	s_and_saveexec_b64 s[6:7], s[4:5]
	s_cbranch_execz .LBB14_1316
.LBB14_1315:
	v_and_b32_e32 v2, 7, v7
	v_ffbh_u32_e32 v12, v2
	v_min_u32_e32 v12, 32, v12
	v_lshrrev_b16_e32 v6, 3, v7
	v_subrev_u32_e32 v13, 28, v12
	v_and_b32_e32 v6, 15, v6
	v_lshlrev_b32_e32 v13, v13, v7
	v_sub_u32_e32 v12, 29, v12
	v_and_b32_e32 v13, 7, v13
	v_cmp_eq_u16_e32 vcc, 0, v6
	v_cndmask_b32_e32 v2, v2, v13, vcc
	v_cndmask_b32_e32 v6, v6, v12, vcc
	v_lshlrev_b32_e32 v12, 24, v7
	v_mov_b32_e32 v13, 0x3b800000
	v_lshlrev_b32_e32 v2, 20, v2
	v_and_b32_e32 v12, 0x80000000, v12
	v_lshl_add_u32 v6, v6, 23, v13
	v_or3_b32 v2, v12, v6, v2
.LBB14_1316:
	s_or_b64 exec, exec, s[6:7]
	s_movk_i32 s4, 0x7f
	v_cmp_gt_i16_sdwa s[6:7], v3, s4 src0_sel:BYTE_0 src1_sel:DWORD
	s_mov_b64 s[4:5], 0
                                        ; implicit-def: $sgpr10
	s_and_saveexec_b64 s[8:9], s[6:7]
	s_xor_b64 s[6:7], exec, s[8:9]
	s_cbranch_execnz .LBB14_3365
; %bb.1317:
	s_or_saveexec_b64 s[6:7], s[6:7]
	v_mov_b32_e32 v6, s10
	s_xor_b64 exec, exec, s[6:7]
	s_cbranch_execnz .LBB14_3368
.LBB14_1318:
	s_or_b64 exec, exec, s[6:7]
	s_and_saveexec_b64 s[6:7], s[4:5]
	s_cbranch_execz .LBB14_1320
.LBB14_1319:
	v_and_b32_e32 v6, 7, v3
	v_ffbh_u32_e32 v13, v6
	v_min_u32_e32 v13, 32, v13
	v_lshrrev_b16_e32 v12, 3, v3
	v_subrev_u32_e32 v14, 28, v13
	v_and_b32_e32 v12, 15, v12
	v_lshlrev_b32_e32 v14, v14, v3
	v_sub_u32_e32 v13, 29, v13
	v_and_b32_e32 v14, 7, v14
	v_cmp_eq_u16_e32 vcc, 0, v12
	v_cndmask_b32_e32 v6, v6, v14, vcc
	v_cndmask_b32_e32 v12, v12, v13, vcc
	v_lshlrev_b32_e32 v13, 24, v3
	v_mov_b32_e32 v14, 0x3b800000
	v_lshlrev_b32_e32 v6, 20, v6
	v_and_b32_e32 v13, 0x80000000, v13
	v_lshl_add_u32 v12, v12, 23, v14
	v_or3_b32 v6, v13, v12, v6
.LBB14_1320:
	s_or_b64 exec, exec, s[6:7]
	s_nop 0
	v_mfma_f32_16x16x4f32 a[0:3], v2, v6, a[0:3]
	v_lshrrev_b32_e32 v6, 8, v7
	s_movk_i32 s4, 0x7f
	v_cmp_gt_i16_sdwa s[6:7], v6, s4 src0_sel:BYTE_0 src1_sel:DWORD
	s_mov_b64 s[4:5], 0
                                        ; implicit-def: $sgpr10
	s_and_saveexec_b64 s[8:9], s[6:7]
	s_xor_b64 s[6:7], exec, s[8:9]
	s_cbranch_execnz .LBB14_3369
; %bb.1321:
	s_or_saveexec_b64 s[6:7], s[6:7]
	v_mov_b32_e32 v2, s10
	s_xor_b64 exec, exec, s[6:7]
	s_cbranch_execnz .LBB14_3372
.LBB14_1322:
	s_or_b64 exec, exec, s[6:7]
	s_and_saveexec_b64 s[6:7], s[4:5]
	s_cbranch_execz .LBB14_1324
.LBB14_1323:
	v_bfe_u32 v2, v7, 8, 3
	v_ffbh_u32_e32 v13, v2
	v_min_u32_e32 v13, 32, v13
	v_lshrrev_b16_e32 v12, 3, v6
	v_subrev_u32_e32 v14, 28, v13
	v_and_b32_e32 v12, 15, v12
	v_lshlrev_b32_e32 v6, v14, v6
	v_sub_u32_e32 v13, 29, v13
	v_and_b32_e32 v6, 7, v6
	v_cmp_eq_u16_e32 vcc, 0, v12
	v_cndmask_b32_e32 v2, v2, v6, vcc
	v_cndmask_b32_e32 v6, v12, v13, vcc
	v_lshlrev_b32_e32 v12, 16, v7
	v_mov_b32_e32 v13, 0x3b800000
	v_lshlrev_b32_e32 v2, 20, v2
	v_and_b32_e32 v12, 0x80000000, v12
	v_lshl_add_u32 v6, v6, 23, v13
	v_or3_b32 v2, v12, v6, v2
.LBB14_1324:
	s_or_b64 exec, exec, s[6:7]
	v_lshrrev_b32_e32 v6, 8, v3
	s_movk_i32 s4, 0x7f
	v_cmp_gt_i16_sdwa s[6:7], v6, s4 src0_sel:BYTE_0 src1_sel:DWORD
	s_mov_b64 s[4:5], 0
                                        ; implicit-def: $sgpr10
	s_and_saveexec_b64 s[8:9], s[6:7]
	s_xor_b64 s[6:7], exec, s[8:9]
	s_cbranch_execnz .LBB14_3373
; %bb.1325:
	s_or_saveexec_b64 s[6:7], s[6:7]
	v_mov_b32_e32 v12, s10
	s_xor_b64 exec, exec, s[6:7]
	s_cbranch_execnz .LBB14_3376
.LBB14_1326:
	s_or_b64 exec, exec, s[6:7]
	s_and_saveexec_b64 s[6:7], s[4:5]
	s_cbranch_execz .LBB14_1328
.LBB14_1327:
	v_bfe_u32 v12, v3, 8, 3
	v_ffbh_u32_e32 v14, v12
	v_min_u32_e32 v14, 32, v14
	v_lshrrev_b16_e32 v13, 3, v6
	v_subrev_u32_e32 v15, 28, v14
	v_and_b32_e32 v13, 15, v13
	v_lshlrev_b32_e32 v6, v15, v6
	v_sub_u32_e32 v14, 29, v14
	v_and_b32_e32 v6, 7, v6
	v_cmp_eq_u16_e32 vcc, 0, v13
	v_cndmask_b32_e32 v6, v12, v6, vcc
	v_cndmask_b32_e32 v12, v13, v14, vcc
	v_lshlrev_b32_e32 v13, 16, v3
	v_mov_b32_e32 v14, 0x3b800000
	v_lshlrev_b32_e32 v6, 20, v6
	v_and_b32_e32 v13, 0x80000000, v13
	v_lshl_add_u32 v12, v12, 23, v14
	v_or3_b32 v12, v13, v12, v6
.LBB14_1328:
	s_or_b64 exec, exec, s[6:7]
	s_nop 0
	v_mfma_f32_16x16x4f32 a[0:3], v2, v12, a[0:3]
	s_movk_i32 s4, 0xff
	v_and_b32_sdwa v6, v7, s4 dst_sel:DWORD dst_unused:UNUSED_PAD src0_sel:WORD_1 src1_sel:DWORD
	s_movk_i32 s4, 0x7f
	v_cmp_lt_i16_e32 vcc, s4, v6
	s_mov_b64 s[4:5], 0
                                        ; implicit-def: $sgpr10
	s_and_saveexec_b64 s[6:7], vcc
	s_xor_b64 s[6:7], exec, s[6:7]
	s_cbranch_execnz .LBB14_3377
; %bb.1329:
	s_or_saveexec_b64 s[6:7], s[6:7]
	v_mov_b32_e32 v2, s10
	s_xor_b64 exec, exec, s[6:7]
	s_cbranch_execnz .LBB14_3380
.LBB14_1330:
	s_or_b64 exec, exec, s[6:7]
	s_and_saveexec_b64 s[6:7], s[4:5]
	s_cbranch_execz .LBB14_1332
.LBB14_1331:
	v_bfe_u32 v2, v7, 16, 3
	v_ffbh_u32_e32 v13, v2
	v_min_u32_e32 v13, 32, v13
	v_lshrrev_b32_e32 v6, 19, v7
	v_subrev_u32_e32 v14, 28, v13
	v_and_b32_e32 v6, 15, v6
	v_lshlrev_b32_sdwa v14, v14, v7 dst_sel:DWORD dst_unused:UNUSED_PAD src0_sel:DWORD src1_sel:WORD_1
	v_bfe_u32 v12, v7, 19, 4
	v_sub_u32_e32 v13, 29, v13
	v_and_b32_e32 v14, 7, v14
	v_cmp_eq_u16_e32 vcc, 0, v6
	v_cndmask_b32_e32 v2, v2, v14, vcc
	v_cndmask_b32_e32 v6, v12, v13, vcc
	v_lshlrev_b32_e32 v12, 8, v7
	v_mov_b32_e32 v13, 0x3b800000
	v_lshlrev_b32_e32 v2, 20, v2
	v_and_b32_e32 v12, 0x80000000, v12
	v_lshl_add_u32 v6, v6, 23, v13
	v_or3_b32 v2, v12, v6, v2
.LBB14_1332:
	s_or_b64 exec, exec, s[6:7]
	s_movk_i32 s4, 0xff
	v_and_b32_sdwa v6, v3, s4 dst_sel:DWORD dst_unused:UNUSED_PAD src0_sel:WORD_1 src1_sel:DWORD
	s_movk_i32 s4, 0x7f
	v_cmp_lt_i16_e32 vcc, s4, v6
	s_mov_b64 s[4:5], 0
                                        ; implicit-def: $sgpr10
	s_and_saveexec_b64 s[6:7], vcc
	s_xor_b64 s[6:7], exec, s[6:7]
	s_cbranch_execnz .LBB14_3381
; %bb.1333:
	s_or_saveexec_b64 s[6:7], s[6:7]
	v_mov_b32_e32 v12, s10
	s_xor_b64 exec, exec, s[6:7]
	s_cbranch_execnz .LBB14_3384
.LBB14_1334:
	s_or_b64 exec, exec, s[6:7]
	s_and_saveexec_b64 s[6:7], s[4:5]
	s_cbranch_execz .LBB14_1336
.LBB14_1335:
	v_bfe_u32 v6, v3, 16, 3
	v_ffbh_u32_e32 v14, v6
	v_min_u32_e32 v14, 32, v14
	v_lshrrev_b32_e32 v12, 19, v3
	v_subrev_u32_e32 v15, 28, v14
	v_and_b32_e32 v12, 15, v12
	v_lshlrev_b32_sdwa v15, v15, v3 dst_sel:DWORD dst_unused:UNUSED_PAD src0_sel:DWORD src1_sel:WORD_1
	v_bfe_u32 v13, v3, 19, 4
	v_sub_u32_e32 v14, 29, v14
	v_and_b32_e32 v15, 7, v15
	v_cmp_eq_u16_e32 vcc, 0, v12
	v_cndmask_b32_e32 v6, v6, v15, vcc
	v_cndmask_b32_e32 v12, v13, v14, vcc
	v_lshlrev_b32_e32 v13, 8, v3
	v_mov_b32_e32 v14, 0x3b800000
	v_lshlrev_b32_e32 v6, 20, v6
	v_and_b32_e32 v13, 0x80000000, v13
	v_lshl_add_u32 v12, v12, 23, v14
	v_or3_b32 v12, v13, v12, v6
.LBB14_1336:
	s_or_b64 exec, exec, s[6:7]
	s_nop 0
	v_mfma_f32_16x16x4f32 a[0:3], v2, v12, a[0:3]
	s_movk_i32 s4, 0x7f
	v_cmp_gt_i16_sdwa s[6:7], v7, s4 src0_sel:BYTE_3 src1_sel:DWORD
	s_mov_b64 s[4:5], 0
                                        ; implicit-def: $sgpr10
	s_and_saveexec_b64 s[8:9], s[6:7]
	s_xor_b64 s[6:7], exec, s[8:9]
	s_cbranch_execnz .LBB14_3385
; %bb.1337:
	s_or_saveexec_b64 s[6:7], s[6:7]
	v_mov_b32_e32 v2, s10
	s_xor_b64 exec, exec, s[6:7]
	s_cbranch_execnz .LBB14_3388
.LBB14_1338:
	s_or_b64 exec, exec, s[6:7]
	s_and_saveexec_b64 s[6:7], s[4:5]
	s_cbranch_execz .LBB14_1340
.LBB14_1339:
	v_bfe_u32 v2, v7, 24, 3
	v_ffbh_u32_e32 v14, v2
	v_min_u32_e32 v14, 32, v14
	v_lshrrev_b32_e32 v12, 27, v7
	v_subrev_u32_e32 v15, 28, v14
	v_and_b32_e32 v6, 0x80000000, v7
	v_and_b32_e32 v12, 15, v12
	v_bfe_u32 v13, v7, 27, 4
	v_lshlrev_b32_sdwa v7, v15, v7 dst_sel:DWORD dst_unused:UNUSED_PAD src0_sel:DWORD src1_sel:BYTE_3
	v_sub_u32_e32 v14, 29, v14
	v_and_b32_e32 v7, 7, v7
	v_cmp_eq_u16_e32 vcc, 0, v12
	v_cndmask_b32_e32 v2, v2, v7, vcc
	v_cndmask_b32_e32 v7, v13, v14, vcc
	v_mov_b32_e32 v12, 0x3b800000
	v_lshlrev_b32_e32 v2, 20, v2
	v_lshl_add_u32 v7, v7, 23, v12
	v_or3_b32 v2, v6, v7, v2
.LBB14_1340:
	s_or_b64 exec, exec, s[6:7]
	s_movk_i32 s4, 0x7f
	v_cmp_gt_i16_sdwa s[6:7], v3, s4 src0_sel:BYTE_3 src1_sel:DWORD
	s_mov_b64 s[4:5], 0
                                        ; implicit-def: $sgpr10
	s_and_saveexec_b64 s[8:9], s[6:7]
	s_xor_b64 s[6:7], exec, s[8:9]
	s_cbranch_execnz .LBB14_3389
; %bb.1341:
	s_or_saveexec_b64 s[6:7], s[6:7]
	v_mov_b32_e32 v6, s10
	s_xor_b64 exec, exec, s[6:7]
	s_cbranch_execnz .LBB14_3392
.LBB14_1342:
	s_or_b64 exec, exec, s[6:7]
	s_and_saveexec_b64 s[6:7], s[4:5]
	s_cbranch_execz .LBB14_1344
.LBB14_1343:
	v_bfe_u32 v6, v3, 24, 3
	v_ffbh_u32_e32 v14, v6
	v_min_u32_e32 v14, 32, v14
	v_lshrrev_b32_e32 v12, 27, v3
	v_subrev_u32_e32 v15, 28, v14
	v_and_b32_e32 v7, 0x80000000, v3
	v_and_b32_e32 v12, 15, v12
	v_bfe_u32 v13, v3, 27, 4
	v_lshlrev_b32_sdwa v3, v15, v3 dst_sel:DWORD dst_unused:UNUSED_PAD src0_sel:DWORD src1_sel:BYTE_3
	v_sub_u32_e32 v14, 29, v14
	v_and_b32_e32 v3, 7, v3
	v_cmp_eq_u16_e32 vcc, 0, v12
	v_cndmask_b32_e32 v3, v6, v3, vcc
	v_cndmask_b32_e32 v6, v13, v14, vcc
	v_mov_b32_e32 v12, 0x3b800000
	v_lshlrev_b32_e32 v3, 20, v3
	v_lshl_add_u32 v6, v6, 23, v12
	v_or3_b32 v6, v7, v6, v3
.LBB14_1344:
	s_or_b64 exec, exec, s[6:7]
	s_nop 0
	v_mfma_f32_16x16x4f32 a[0:3], v2, v6, a[0:3]
	s_movk_i32 s4, 0x7f
	v_cmp_gt_i16_sdwa s[6:7], v8, s4 src0_sel:BYTE_0 src1_sel:DWORD
	s_mov_b64 s[4:5], 0
                                        ; implicit-def: $sgpr10
	s_and_saveexec_b64 s[8:9], s[6:7]
	s_xor_b64 s[6:7], exec, s[8:9]
	s_cbranch_execnz .LBB14_3393
; %bb.1345:
	s_or_saveexec_b64 s[6:7], s[6:7]
	v_mov_b32_e32 v2, s10
	s_xor_b64 exec, exec, s[6:7]
	s_cbranch_execnz .LBB14_3396
.LBB14_1346:
	s_or_b64 exec, exec, s[6:7]
	s_and_saveexec_b64 s[6:7], s[4:5]
	s_cbranch_execz .LBB14_1348
.LBB14_1347:
	v_and_b32_e32 v2, 7, v8
	v_ffbh_u32_e32 v6, v2
	v_min_u32_e32 v6, 32, v6
	v_lshrrev_b16_e32 v3, 3, v8
	v_subrev_u32_e32 v7, 28, v6
	v_and_b32_e32 v3, 15, v3
	v_lshlrev_b32_e32 v7, v7, v8
	v_sub_u32_e32 v6, 29, v6
	v_and_b32_e32 v7, 7, v7
	v_cmp_eq_u16_e32 vcc, 0, v3
	v_cndmask_b32_e32 v2, v2, v7, vcc
	v_cndmask_b32_e32 v3, v3, v6, vcc
	v_lshlrev_b32_e32 v6, 24, v8
	v_mov_b32_e32 v7, 0x3b800000
	v_lshlrev_b32_e32 v2, 20, v2
	v_and_b32_e32 v6, 0x80000000, v6
	v_lshl_add_u32 v3, v3, 23, v7
	v_or3_b32 v2, v6, v3, v2
.LBB14_1348:
	s_or_b64 exec, exec, s[6:7]
	s_movk_i32 s4, 0x7f
	v_cmp_gt_i16_sdwa s[6:7], v4, s4 src0_sel:BYTE_0 src1_sel:DWORD
	s_mov_b64 s[4:5], 0
                                        ; implicit-def: $sgpr10
	s_and_saveexec_b64 s[8:9], s[6:7]
	s_xor_b64 s[6:7], exec, s[8:9]
	s_cbranch_execnz .LBB14_3397
; %bb.1349:
	s_or_saveexec_b64 s[6:7], s[6:7]
	v_mov_b32_e32 v3, s10
	s_xor_b64 exec, exec, s[6:7]
	s_cbranch_execnz .LBB14_3400
.LBB14_1350:
	s_or_b64 exec, exec, s[6:7]
	s_and_saveexec_b64 s[6:7], s[4:5]
	s_cbranch_execz .LBB14_1352
.LBB14_1351:
	v_and_b32_e32 v3, 7, v4
	v_ffbh_u32_e32 v7, v3
	v_min_u32_e32 v7, 32, v7
	v_lshrrev_b16_e32 v6, 3, v4
	v_subrev_u32_e32 v12, 28, v7
	v_and_b32_e32 v6, 15, v6
	v_lshlrev_b32_e32 v12, v12, v4
	v_sub_u32_e32 v7, 29, v7
	v_and_b32_e32 v12, 7, v12
	v_cmp_eq_u16_e32 vcc, 0, v6
	v_cndmask_b32_e32 v3, v3, v12, vcc
	v_cndmask_b32_e32 v6, v6, v7, vcc
	v_lshlrev_b32_e32 v7, 24, v4
	v_mov_b32_e32 v12, 0x3b800000
	v_lshlrev_b32_e32 v3, 20, v3
	v_and_b32_e32 v7, 0x80000000, v7
	v_lshl_add_u32 v6, v6, 23, v12
	v_or3_b32 v3, v7, v6, v3
.LBB14_1352:
	s_or_b64 exec, exec, s[6:7]
	s_nop 0
	v_mfma_f32_16x16x4f32 a[0:3], v2, v3, a[0:3]
	v_lshrrev_b32_e32 v3, 8, v8
	s_movk_i32 s4, 0x7f
	v_cmp_gt_i16_sdwa s[6:7], v3, s4 src0_sel:BYTE_0 src1_sel:DWORD
	s_mov_b64 s[4:5], 0
                                        ; implicit-def: $sgpr10
	s_and_saveexec_b64 s[8:9], s[6:7]
	s_xor_b64 s[6:7], exec, s[8:9]
	s_cbranch_execnz .LBB14_3401
; %bb.1353:
	s_or_saveexec_b64 s[6:7], s[6:7]
	v_mov_b32_e32 v2, s10
	s_xor_b64 exec, exec, s[6:7]
	s_cbranch_execnz .LBB14_3404
.LBB14_1354:
	s_or_b64 exec, exec, s[6:7]
	s_and_saveexec_b64 s[6:7], s[4:5]
	s_cbranch_execz .LBB14_1356
.LBB14_1355:
	v_bfe_u32 v2, v8, 8, 3
	v_ffbh_u32_e32 v7, v2
	v_min_u32_e32 v7, 32, v7
	v_lshrrev_b16_e32 v6, 3, v3
	v_subrev_u32_e32 v12, 28, v7
	v_and_b32_e32 v6, 15, v6
	v_lshlrev_b32_e32 v3, v12, v3
	v_sub_u32_e32 v7, 29, v7
	v_and_b32_e32 v3, 7, v3
	v_cmp_eq_u16_e32 vcc, 0, v6
	v_cndmask_b32_e32 v2, v2, v3, vcc
	v_cndmask_b32_e32 v3, v6, v7, vcc
	v_lshlrev_b32_e32 v6, 16, v8
	v_mov_b32_e32 v7, 0x3b800000
	v_lshlrev_b32_e32 v2, 20, v2
	v_and_b32_e32 v6, 0x80000000, v6
	v_lshl_add_u32 v3, v3, 23, v7
	v_or3_b32 v2, v6, v3, v2
.LBB14_1356:
	s_or_b64 exec, exec, s[6:7]
	v_lshrrev_b32_e32 v3, 8, v4
	s_movk_i32 s4, 0x7f
	v_cmp_gt_i16_sdwa s[6:7], v3, s4 src0_sel:BYTE_0 src1_sel:DWORD
	s_mov_b64 s[4:5], 0
                                        ; implicit-def: $sgpr10
	s_and_saveexec_b64 s[8:9], s[6:7]
	s_xor_b64 s[6:7], exec, s[8:9]
	s_cbranch_execnz .LBB14_3405
; %bb.1357:
	s_or_saveexec_b64 s[6:7], s[6:7]
	v_mov_b32_e32 v6, s10
	s_xor_b64 exec, exec, s[6:7]
	s_cbranch_execnz .LBB14_3408
.LBB14_1358:
	s_or_b64 exec, exec, s[6:7]
	s_and_saveexec_b64 s[6:7], s[4:5]
	s_cbranch_execz .LBB14_1360
.LBB14_1359:
	v_bfe_u32 v6, v4, 8, 3
	v_ffbh_u32_e32 v12, v6
	v_min_u32_e32 v12, 32, v12
	v_lshrrev_b16_e32 v7, 3, v3
	v_subrev_u32_e32 v13, 28, v12
	v_and_b32_e32 v7, 15, v7
	v_lshlrev_b32_e32 v3, v13, v3
	v_sub_u32_e32 v12, 29, v12
	v_and_b32_e32 v3, 7, v3
	v_cmp_eq_u16_e32 vcc, 0, v7
	v_cndmask_b32_e32 v3, v6, v3, vcc
	v_cndmask_b32_e32 v6, v7, v12, vcc
	v_lshlrev_b32_e32 v7, 16, v4
	v_mov_b32_e32 v12, 0x3b800000
	v_lshlrev_b32_e32 v3, 20, v3
	v_and_b32_e32 v7, 0x80000000, v7
	v_lshl_add_u32 v6, v6, 23, v12
	v_or3_b32 v6, v7, v6, v3
.LBB14_1360:
	s_or_b64 exec, exec, s[6:7]
	s_nop 0
	v_mfma_f32_16x16x4f32 a[0:3], v2, v6, a[0:3]
	s_movk_i32 s4, 0xff
	v_and_b32_sdwa v3, v8, s4 dst_sel:DWORD dst_unused:UNUSED_PAD src0_sel:WORD_1 src1_sel:DWORD
	s_movk_i32 s4, 0x7f
	v_cmp_lt_i16_e32 vcc, s4, v3
	s_mov_b64 s[4:5], 0
                                        ; implicit-def: $sgpr10
	s_and_saveexec_b64 s[6:7], vcc
	s_xor_b64 s[6:7], exec, s[6:7]
	s_cbranch_execnz .LBB14_3409
; %bb.1361:
	s_or_saveexec_b64 s[6:7], s[6:7]
	v_mov_b32_e32 v2, s10
	s_xor_b64 exec, exec, s[6:7]
	s_cbranch_execnz .LBB14_3412
.LBB14_1362:
	s_or_b64 exec, exec, s[6:7]
	s_and_saveexec_b64 s[6:7], s[4:5]
	s_cbranch_execz .LBB14_1364
.LBB14_1363:
	v_bfe_u32 v2, v8, 16, 3
	v_ffbh_u32_e32 v7, v2
	v_min_u32_e32 v7, 32, v7
	v_lshrrev_b32_e32 v3, 19, v8
	v_subrev_u32_e32 v12, 28, v7
	v_and_b32_e32 v3, 15, v3
	v_lshlrev_b32_sdwa v12, v12, v8 dst_sel:DWORD dst_unused:UNUSED_PAD src0_sel:DWORD src1_sel:WORD_1
	v_bfe_u32 v6, v8, 19, 4
	v_sub_u32_e32 v7, 29, v7
	v_and_b32_e32 v12, 7, v12
	v_cmp_eq_u16_e32 vcc, 0, v3
	v_cndmask_b32_e32 v2, v2, v12, vcc
	v_cndmask_b32_e32 v3, v6, v7, vcc
	v_lshlrev_b32_e32 v6, 8, v8
	v_mov_b32_e32 v7, 0x3b800000
	v_lshlrev_b32_e32 v2, 20, v2
	v_and_b32_e32 v6, 0x80000000, v6
	v_lshl_add_u32 v3, v3, 23, v7
	v_or3_b32 v2, v6, v3, v2
.LBB14_1364:
	s_or_b64 exec, exec, s[6:7]
	s_movk_i32 s4, 0xff
	v_and_b32_sdwa v3, v4, s4 dst_sel:DWORD dst_unused:UNUSED_PAD src0_sel:WORD_1 src1_sel:DWORD
	s_movk_i32 s4, 0x7f
	v_cmp_lt_i16_e32 vcc, s4, v3
	s_mov_b64 s[4:5], 0
                                        ; implicit-def: $sgpr10
	s_and_saveexec_b64 s[6:7], vcc
	s_xor_b64 s[6:7], exec, s[6:7]
	s_cbranch_execnz .LBB14_3413
; %bb.1365:
	s_or_saveexec_b64 s[6:7], s[6:7]
	v_mov_b32_e32 v6, s10
	s_xor_b64 exec, exec, s[6:7]
	s_cbranch_execnz .LBB14_3416
.LBB14_1366:
	s_or_b64 exec, exec, s[6:7]
	s_and_saveexec_b64 s[6:7], s[4:5]
	s_cbranch_execz .LBB14_1368
.LBB14_1367:
	v_bfe_u32 v3, v4, 16, 3
	v_ffbh_u32_e32 v12, v3
	v_min_u32_e32 v12, 32, v12
	v_lshrrev_b32_e32 v6, 19, v4
	v_subrev_u32_e32 v13, 28, v12
	v_and_b32_e32 v6, 15, v6
	v_lshlrev_b32_sdwa v13, v13, v4 dst_sel:DWORD dst_unused:UNUSED_PAD src0_sel:DWORD src1_sel:WORD_1
	v_bfe_u32 v7, v4, 19, 4
	v_sub_u32_e32 v12, 29, v12
	v_and_b32_e32 v13, 7, v13
	v_cmp_eq_u16_e32 vcc, 0, v6
	v_cndmask_b32_e32 v3, v3, v13, vcc
	v_cndmask_b32_e32 v6, v7, v12, vcc
	v_lshlrev_b32_e32 v7, 8, v4
	v_mov_b32_e32 v12, 0x3b800000
	v_lshlrev_b32_e32 v3, 20, v3
	v_and_b32_e32 v7, 0x80000000, v7
	v_lshl_add_u32 v6, v6, 23, v12
	v_or3_b32 v6, v7, v6, v3
.LBB14_1368:
	s_or_b64 exec, exec, s[6:7]
	s_nop 0
	v_mfma_f32_16x16x4f32 a[0:3], v2, v6, a[0:3]
	s_movk_i32 s4, 0x7f
	v_cmp_gt_i16_sdwa s[6:7], v8, s4 src0_sel:BYTE_3 src1_sel:DWORD
	s_mov_b64 s[4:5], 0
                                        ; implicit-def: $sgpr10
	s_and_saveexec_b64 s[8:9], s[6:7]
	s_xor_b64 s[6:7], exec, s[8:9]
	s_cbranch_execnz .LBB14_3417
; %bb.1369:
	s_or_saveexec_b64 s[6:7], s[6:7]
	v_mov_b32_e32 v2, s10
	s_xor_b64 exec, exec, s[6:7]
	s_cbranch_execnz .LBB14_3420
.LBB14_1370:
	s_or_b64 exec, exec, s[6:7]
	s_and_saveexec_b64 s[6:7], s[4:5]
	s_cbranch_execz .LBB14_1372
.LBB14_1371:
	v_bfe_u32 v2, v8, 24, 3
	v_ffbh_u32_e32 v12, v2
	v_min_u32_e32 v12, 32, v12
	v_lshrrev_b32_e32 v6, 27, v8
	v_subrev_u32_e32 v13, 28, v12
	v_and_b32_e32 v3, 0x80000000, v8
	v_and_b32_e32 v6, 15, v6
	v_bfe_u32 v7, v8, 27, 4
	v_lshlrev_b32_sdwa v8, v13, v8 dst_sel:DWORD dst_unused:UNUSED_PAD src0_sel:DWORD src1_sel:BYTE_3
	v_sub_u32_e32 v12, 29, v12
	v_and_b32_e32 v8, 7, v8
	v_cmp_eq_u16_e32 vcc, 0, v6
	v_cndmask_b32_e32 v2, v2, v8, vcc
	v_cndmask_b32_e32 v6, v7, v12, vcc
	v_mov_b32_e32 v7, 0x3b800000
	v_lshlrev_b32_e32 v2, 20, v2
	v_lshl_add_u32 v6, v6, 23, v7
	v_or3_b32 v2, v3, v6, v2
.LBB14_1372:
	s_or_b64 exec, exec, s[6:7]
	s_movk_i32 s4, 0x7f
	v_cmp_gt_i16_sdwa s[6:7], v4, s4 src0_sel:BYTE_3 src1_sel:DWORD
	s_mov_b64 s[4:5], 0
                                        ; implicit-def: $sgpr10
	s_and_saveexec_b64 s[8:9], s[6:7]
	s_xor_b64 s[6:7], exec, s[8:9]
	s_cbranch_execnz .LBB14_3421
; %bb.1373:
	s_or_saveexec_b64 s[6:7], s[6:7]
	v_mov_b32_e32 v3, s10
	s_xor_b64 exec, exec, s[6:7]
	s_cbranch_execnz .LBB14_3424
.LBB14_1374:
	s_or_b64 exec, exec, s[6:7]
	s_and_saveexec_b64 s[6:7], s[4:5]
	s_cbranch_execz .LBB14_1376
.LBB14_1375:
	v_bfe_u32 v3, v4, 24, 3
	v_ffbh_u32_e32 v12, v3
	v_min_u32_e32 v12, 32, v12
	v_lshrrev_b32_e32 v7, 27, v4
	v_subrev_u32_e32 v13, 28, v12
	v_and_b32_e32 v6, 0x80000000, v4
	v_and_b32_e32 v7, 15, v7
	v_bfe_u32 v8, v4, 27, 4
	v_lshlrev_b32_sdwa v4, v13, v4 dst_sel:DWORD dst_unused:UNUSED_PAD src0_sel:DWORD src1_sel:BYTE_3
	v_sub_u32_e32 v12, 29, v12
	v_and_b32_e32 v4, 7, v4
	v_cmp_eq_u16_e32 vcc, 0, v7
	v_cndmask_b32_e32 v3, v3, v4, vcc
	v_cndmask_b32_e32 v4, v8, v12, vcc
	v_mov_b32_e32 v7, 0x3b800000
	v_lshlrev_b32_e32 v3, 20, v3
	v_lshl_add_u32 v4, v4, 23, v7
	v_or3_b32 v3, v6, v4, v3
.LBB14_1376:
	s_or_b64 exec, exec, s[6:7]
	s_nop 0
	v_mfma_f32_16x16x4f32 a[0:3], v2, v3, a[0:3]
	s_movk_i32 s4, 0x7f
	v_cmp_gt_i16_sdwa s[6:7], v9, s4 src0_sel:BYTE_0 src1_sel:DWORD
	s_mov_b64 s[4:5], 0
                                        ; implicit-def: $sgpr10
	s_and_saveexec_b64 s[8:9], s[6:7]
	s_xor_b64 s[6:7], exec, s[8:9]
	s_cbranch_execnz .LBB14_3425
; %bb.1377:
	s_or_saveexec_b64 s[6:7], s[6:7]
	v_mov_b32_e32 v2, s10
	s_xor_b64 exec, exec, s[6:7]
	s_cbranch_execnz .LBB14_3428
.LBB14_1378:
	s_or_b64 exec, exec, s[6:7]
	s_and_saveexec_b64 s[6:7], s[4:5]
	s_cbranch_execz .LBB14_1380
.LBB14_1379:
	v_mov_b32_e32 v2, 8
	v_and_b32_e32 v3, 7, v9
	v_lshrrev_b32_sdwa v2, v2, v9 dst_sel:BYTE_1 dst_unused:UNUSED_PAD src0_sel:DWORD src1_sel:DWORD
	v_ffbh_u32_e32 v4, v3
	v_or_b32_sdwa v2, v9, v2 dst_sel:DWORD dst_unused:UNUSED_PAD src0_sel:BYTE_0 src1_sel:DWORD
	v_min_u32_e32 v4, 32, v4
	v_lshrrev_b16_e32 v2, 3, v2
	v_subrev_u32_e32 v6, 28, v4
	v_and_b32_e32 v2, 15, v2
	v_lshlrev_b32_e32 v6, v6, v9
	v_sub_u32_e32 v4, 29, v4
	v_and_b32_e32 v6, 7, v6
	v_cmp_eq_u16_e32 vcc, 0, v2
	v_cndmask_b32_e32 v3, v3, v6, vcc
	v_cndmask_b32_e32 v2, v2, v4, vcc
	v_lshlrev_b32_e32 v4, 24, v9
	v_mov_b32_e32 v6, 0x3b800000
	v_lshlrev_b32_e32 v3, 20, v3
	v_and_b32_e32 v4, 0x80000000, v4
	v_lshl_add_u32 v2, v2, 23, v6
	v_or3_b32 v2, v4, v2, v3
.LBB14_1380:
	s_or_b64 exec, exec, s[6:7]
	s_movk_i32 s4, 0x7f
	v_cmp_gt_i16_sdwa s[6:7], v5, s4 src0_sel:BYTE_0 src1_sel:DWORD
	s_mov_b64 s[4:5], 0
                                        ; implicit-def: $sgpr10
	s_and_saveexec_b64 s[8:9], s[6:7]
	s_xor_b64 s[6:7], exec, s[8:9]
	s_cbranch_execnz .LBB14_3429
; %bb.1381:
	s_or_saveexec_b64 s[6:7], s[6:7]
	v_mov_b32_e32 v3, s10
	s_xor_b64 exec, exec, s[6:7]
	s_cbranch_execnz .LBB14_3432
.LBB14_1382:
	s_or_b64 exec, exec, s[6:7]
	s_and_saveexec_b64 s[6:7], s[4:5]
	s_cbranch_execz .LBB14_1384
.LBB14_1383:
	v_mov_b32_e32 v3, 8
	v_and_b32_e32 v4, 7, v5
	v_lshrrev_b32_sdwa v3, v3, v5 dst_sel:BYTE_1 dst_unused:UNUSED_PAD src0_sel:DWORD src1_sel:DWORD
	v_ffbh_u32_e32 v6, v4
	v_or_b32_sdwa v3, v5, v3 dst_sel:DWORD dst_unused:UNUSED_PAD src0_sel:BYTE_0 src1_sel:DWORD
	v_min_u32_e32 v6, 32, v6
	v_lshrrev_b16_e32 v3, 3, v3
	v_subrev_u32_e32 v7, 28, v6
	v_and_b32_e32 v3, 15, v3
	v_lshlrev_b32_e32 v7, v7, v5
	v_sub_u32_e32 v6, 29, v6
	v_and_b32_e32 v7, 7, v7
	v_cmp_eq_u16_e32 vcc, 0, v3
	v_cndmask_b32_e32 v4, v4, v7, vcc
	v_cndmask_b32_e32 v3, v3, v6, vcc
	v_lshlrev_b32_e32 v6, 24, v5
	v_mov_b32_e32 v7, 0x3b800000
	v_lshlrev_b32_e32 v4, 20, v4
	v_and_b32_e32 v6, 0x80000000, v6
	v_lshl_add_u32 v3, v3, 23, v7
	v_or3_b32 v3, v6, v3, v4
.LBB14_1384:
	s_or_b64 exec, exec, s[6:7]
	s_nop 0
	v_mfma_f32_16x16x4f32 a[0:3], v2, v3, a[0:3]
	v_lshrrev_b32_e32 v3, 8, v9
	s_movk_i32 s4, 0x7f
	v_cmp_gt_i16_sdwa s[6:7], v3, s4 src0_sel:BYTE_0 src1_sel:DWORD
	s_mov_b64 s[4:5], 0
                                        ; implicit-def: $sgpr10
	s_and_saveexec_b64 s[8:9], s[6:7]
	s_xor_b64 s[6:7], exec, s[8:9]
	s_cbranch_execnz .LBB14_3433
; %bb.1385:
	s_or_saveexec_b64 s[6:7], s[6:7]
	v_mov_b32_e32 v2, s10
	s_xor_b64 exec, exec, s[6:7]
	s_cbranch_execnz .LBB14_3436
.LBB14_1386:
	s_or_b64 exec, exec, s[6:7]
	s_and_saveexec_b64 s[6:7], s[4:5]
	s_cbranch_execz .LBB14_1388
.LBB14_1387:
	v_bfe_u32 v2, v9, 8, 3
	v_ffbh_u32_e32 v6, v2
	v_min_u32_e32 v6, 32, v6
	v_lshrrev_b16_e32 v4, 3, v3
	v_subrev_u32_e32 v7, 28, v6
	v_and_b32_e32 v4, 15, v4
	v_lshlrev_b32_e32 v3, v7, v3
	v_sub_u32_e32 v6, 29, v6
	v_and_b32_e32 v3, 7, v3
	v_cmp_eq_u16_e32 vcc, 0, v4
	v_cndmask_b32_e32 v2, v2, v3, vcc
	v_cndmask_b32_e32 v3, v4, v6, vcc
	v_lshlrev_b32_e32 v4, 16, v9
	v_mov_b32_e32 v6, 0x3b800000
	v_lshlrev_b32_e32 v2, 20, v2
	v_and_b32_e32 v4, 0x80000000, v4
	v_lshl_add_u32 v3, v3, 23, v6
	v_or3_b32 v2, v4, v3, v2
.LBB14_1388:
	s_or_b64 exec, exec, s[6:7]
	v_lshrrev_b32_e32 v3, 8, v5
	s_movk_i32 s4, 0x7f
	v_cmp_gt_i16_sdwa s[6:7], v3, s4 src0_sel:BYTE_0 src1_sel:DWORD
	s_mov_b64 s[4:5], 0
                                        ; implicit-def: $sgpr10
	s_and_saveexec_b64 s[8:9], s[6:7]
	s_xor_b64 s[6:7], exec, s[8:9]
	s_cbranch_execnz .LBB14_3437
; %bb.1389:
	s_or_saveexec_b64 s[6:7], s[6:7]
	v_mov_b32_e32 v4, s10
	s_xor_b64 exec, exec, s[6:7]
	s_cbranch_execnz .LBB14_3440
.LBB14_1390:
	s_or_b64 exec, exec, s[6:7]
	s_and_saveexec_b64 s[6:7], s[4:5]
	s_cbranch_execz .LBB14_1392
.LBB14_1391:
	v_bfe_u32 v4, v5, 8, 3
	v_ffbh_u32_e32 v7, v4
	v_min_u32_e32 v7, 32, v7
	v_lshrrev_b16_e32 v6, 3, v3
	v_subrev_u32_e32 v8, 28, v7
	v_and_b32_e32 v6, 15, v6
	v_lshlrev_b32_e32 v3, v8, v3
	v_sub_u32_e32 v7, 29, v7
	v_and_b32_e32 v3, 7, v3
	v_cmp_eq_u16_e32 vcc, 0, v6
	v_cndmask_b32_e32 v3, v4, v3, vcc
	v_cndmask_b32_e32 v4, v6, v7, vcc
	v_lshlrev_b32_e32 v6, 16, v5
	v_mov_b32_e32 v7, 0x3b800000
	v_lshlrev_b32_e32 v3, 20, v3
	v_and_b32_e32 v6, 0x80000000, v6
	v_lshl_add_u32 v4, v4, 23, v7
	v_or3_b32 v4, v6, v4, v3
.LBB14_1392:
	s_or_b64 exec, exec, s[6:7]
	s_nop 0
	v_mfma_f32_16x16x4f32 a[0:3], v2, v4, a[0:3]
	s_movk_i32 s4, 0xff
	v_and_b32_sdwa v3, v9, s4 dst_sel:DWORD dst_unused:UNUSED_PAD src0_sel:WORD_1 src1_sel:DWORD
	s_movk_i32 s4, 0x7f
	v_cmp_lt_i16_e32 vcc, s4, v3
	s_mov_b64 s[4:5], 0
                                        ; implicit-def: $sgpr10
	s_and_saveexec_b64 s[6:7], vcc
	s_xor_b64 s[6:7], exec, s[6:7]
	s_cbranch_execnz .LBB14_3441
; %bb.1393:
	s_or_saveexec_b64 s[6:7], s[6:7]
	v_mov_b32_e32 v2, s10
	s_xor_b64 exec, exec, s[6:7]
	s_cbranch_execnz .LBB14_3444
.LBB14_1394:
	s_or_b64 exec, exec, s[6:7]
	s_and_saveexec_b64 s[6:7], s[4:5]
	s_cbranch_execz .LBB14_1396
.LBB14_1395:
	v_bfe_u32 v2, v9, 16, 3
	v_ffbh_u32_e32 v6, v2
	v_min_u32_e32 v6, 32, v6
	v_lshrrev_b32_e32 v3, 19, v9
	v_subrev_u32_e32 v7, 28, v6
	v_and_b32_e32 v3, 15, v3
	v_lshlrev_b32_sdwa v7, v7, v9 dst_sel:DWORD dst_unused:UNUSED_PAD src0_sel:DWORD src1_sel:WORD_1
	v_bfe_u32 v4, v9, 19, 4
	v_sub_u32_e32 v6, 29, v6
	v_and_b32_e32 v7, 7, v7
	v_cmp_eq_u16_e32 vcc, 0, v3
	v_cndmask_b32_e32 v2, v2, v7, vcc
	v_cndmask_b32_e32 v3, v4, v6, vcc
	v_lshlrev_b32_e32 v4, 8, v9
	v_mov_b32_e32 v6, 0x3b800000
	v_lshlrev_b32_e32 v2, 20, v2
	v_and_b32_e32 v4, 0x80000000, v4
	v_lshl_add_u32 v3, v3, 23, v6
	v_or3_b32 v2, v4, v3, v2
.LBB14_1396:
	s_or_b64 exec, exec, s[6:7]
	s_movk_i32 s4, 0xff
	v_and_b32_sdwa v3, v5, s4 dst_sel:DWORD dst_unused:UNUSED_PAD src0_sel:WORD_1 src1_sel:DWORD
	s_movk_i32 s4, 0x7f
	v_cmp_lt_i16_e32 vcc, s4, v3
	s_mov_b64 s[4:5], 0
                                        ; implicit-def: $sgpr10
	s_and_saveexec_b64 s[6:7], vcc
	s_xor_b64 s[6:7], exec, s[6:7]
	s_cbranch_execnz .LBB14_3445
; %bb.1397:
	s_or_saveexec_b64 s[6:7], s[6:7]
	v_mov_b32_e32 v4, s10
	s_xor_b64 exec, exec, s[6:7]
	s_cbranch_execnz .LBB14_3448
.LBB14_1398:
	s_or_b64 exec, exec, s[6:7]
	s_and_saveexec_b64 s[6:7], s[4:5]
	s_cbranch_execz .LBB14_1400
.LBB14_1399:
	v_bfe_u32 v3, v5, 16, 3
	v_ffbh_u32_e32 v7, v3
	v_min_u32_e32 v7, 32, v7
	v_lshrrev_b32_e32 v4, 19, v5
	v_subrev_u32_e32 v8, 28, v7
	v_and_b32_e32 v4, 15, v4
	v_lshlrev_b32_sdwa v8, v8, v5 dst_sel:DWORD dst_unused:UNUSED_PAD src0_sel:DWORD src1_sel:WORD_1
	v_bfe_u32 v6, v5, 19, 4
	v_sub_u32_e32 v7, 29, v7
	v_and_b32_e32 v8, 7, v8
	v_cmp_eq_u16_e32 vcc, 0, v4
	v_cndmask_b32_e32 v3, v3, v8, vcc
	v_cndmask_b32_e32 v4, v6, v7, vcc
	v_lshlrev_b32_e32 v6, 8, v5
	v_mov_b32_e32 v7, 0x3b800000
	v_lshlrev_b32_e32 v3, 20, v3
	v_and_b32_e32 v6, 0x80000000, v6
	v_lshl_add_u32 v4, v4, 23, v7
	v_or3_b32 v4, v6, v4, v3
.LBB14_1400:
	s_or_b64 exec, exec, s[6:7]
	s_nop 0
	v_mfma_f32_16x16x4f32 a[0:3], v2, v4, a[0:3]
	s_movk_i32 s4, 0x7f
	v_cmp_gt_i16_sdwa s[6:7], v9, s4 src0_sel:BYTE_3 src1_sel:DWORD
	s_mov_b64 s[4:5], 0
                                        ; implicit-def: $sgpr10
	s_and_saveexec_b64 s[8:9], s[6:7]
	s_xor_b64 s[6:7], exec, s[8:9]
	s_cbranch_execnz .LBB14_3449
; %bb.1401:
	s_or_saveexec_b64 s[6:7], s[6:7]
	v_mov_b32_e32 v2, s10
	s_xor_b64 exec, exec, s[6:7]
	s_cbranch_execnz .LBB14_3452
.LBB14_1402:
	s_or_b64 exec, exec, s[6:7]
	s_and_saveexec_b64 s[6:7], s[4:5]
	s_cbranch_execz .LBB14_1404
.LBB14_1403:
	v_bfe_u32 v2, v9, 24, 3
	v_ffbh_u32_e32 v7, v2
	v_min_u32_e32 v7, 32, v7
	v_lshrrev_b32_e32 v4, 27, v9
	v_subrev_u32_e32 v8, 28, v7
	v_and_b32_e32 v4, 15, v4
	v_lshlrev_b32_sdwa v8, v8, v9 dst_sel:DWORD dst_unused:UNUSED_PAD src0_sel:DWORD src1_sel:BYTE_3
	v_bfe_u32 v6, v9, 27, 4
	v_sub_u32_e32 v7, 29, v7
	v_and_b32_e32 v8, 7, v8
	v_cmp_eq_u16_e32 vcc, 0, v4
	v_cndmask_b32_e32 v2, v2, v8, vcc
	v_cndmask_b32_e32 v4, v6, v7, vcc
	v_mov_b32_e32 v6, 0x3b800000
	v_and_b32_e32 v3, 0x80000000, v9
	v_lshlrev_b32_e32 v2, 20, v2
	v_lshl_add_u32 v4, v4, 23, v6
	v_or3_b32 v2, v3, v4, v2
.LBB14_1404:
	s_or_b64 exec, exec, s[6:7]
	s_movk_i32 s4, 0x7f
	v_cmp_gt_i16_sdwa s[6:7], v5, s4 src0_sel:BYTE_3 src1_sel:DWORD
	s_mov_b64 s[4:5], 0
                                        ; implicit-def: $sgpr10
	s_and_saveexec_b64 s[8:9], s[6:7]
	s_xor_b64 s[6:7], exec, s[8:9]
	s_cbranch_execnz .LBB14_3453
; %bb.1405:
	s_or_saveexec_b64 s[6:7], s[6:7]
	v_mov_b32_e32 v3, s10
	s_xor_b64 exec, exec, s[6:7]
	s_cbranch_execnz .LBB14_3456
.LBB14_1406:
	s_or_b64 exec, exec, s[6:7]
	s_and_saveexec_b64 s[6:7], s[4:5]
	s_cbranch_execz .LBB14_1408
.LBB14_1407:
	v_bfe_u32 v3, v5, 24, 3
	v_ffbh_u32_e32 v8, v3
	v_min_u32_e32 v8, 32, v8
	v_lshrrev_b32_e32 v6, 27, v5
	v_subrev_u32_e32 v9, 28, v8
	v_and_b32_e32 v4, 0x80000000, v5
	v_and_b32_e32 v6, 15, v6
	v_bfe_u32 v7, v5, 27, 4
	v_lshlrev_b32_sdwa v5, v9, v5 dst_sel:DWORD dst_unused:UNUSED_PAD src0_sel:DWORD src1_sel:BYTE_3
	v_sub_u32_e32 v8, 29, v8
	v_and_b32_e32 v5, 7, v5
	v_cmp_eq_u16_e32 vcc, 0, v6
	v_cndmask_b32_e32 v3, v3, v5, vcc
	v_cndmask_b32_e32 v5, v7, v8, vcc
	v_mov_b32_e32 v6, 0x3b800000
	v_lshlrev_b32_e32 v3, 20, v3
	v_lshl_add_u32 v5, v5, 23, v6
	v_or3_b32 v3, v4, v5, v3
.LBB14_1408:
	s_or_b64 exec, exec, s[6:7]
	s_nop 0
	v_mfma_f32_16x16x4f32 a[0:3], v2, v3, a[0:3]
	s_movk_i32 s4, 0x7f
                                        ; implicit-def: $sgpr10
	s_nop 7
	s_nop 1
	flat_store_dwordx4 v[10:11], a[0:3] offset:160
	flat_load_dwordx4 v[12:15], v[0:1] offset:8
	s_nop 0
	flat_load_dwordx2 v[10:11], v[0:1] offset:32
	s_waitcnt vmcnt(0) lgkmcnt(0)
	flat_load_dwordx4 v[6:9], v[12:13] offset:64
	flat_load_dwordx4 v[2:5], v[14:15] offset:96
	s_waitcnt vmcnt(0) lgkmcnt(0)
	v_cmp_gt_i16_sdwa s[6:7], v6, s4 src0_sel:BYTE_0 src1_sel:DWORD
	s_mov_b64 s[4:5], 0
	s_and_saveexec_b64 s[8:9], s[6:7]
	s_xor_b64 s[6:7], exec, s[8:9]
	s_cbranch_execnz .LBB14_3457
; %bb.1409:
	s_or_saveexec_b64 s[6:7], s[6:7]
	v_mov_b32_e32 v12, s10
	s_xor_b64 exec, exec, s[6:7]
	s_cbranch_execnz .LBB14_3460
.LBB14_1410:
	s_or_b64 exec, exec, s[6:7]
	s_and_saveexec_b64 s[6:7], s[4:5]
	s_cbranch_execz .LBB14_1412
.LBB14_1411:
	v_and_b32_e32 v12, 7, v6
	v_ffbh_u32_e32 v14, v12
	v_min_u32_e32 v14, 32, v14
	v_lshrrev_b16_e32 v13, 3, v6
	v_subrev_u32_e32 v15, 28, v14
	v_and_b32_e32 v13, 15, v13
	v_lshlrev_b32_e32 v15, v15, v6
	v_sub_u32_e32 v14, 29, v14
	v_and_b32_e32 v15, 7, v15
	v_cmp_eq_u16_e32 vcc, 0, v13
	v_cndmask_b32_e32 v12, v12, v15, vcc
	v_cndmask_b32_e32 v13, v13, v14, vcc
	v_lshlrev_b32_e32 v14, 24, v6
	v_mov_b32_e32 v15, 0x3b800000
	v_lshlrev_b32_e32 v12, 20, v12
	v_and_b32_e32 v14, 0x80000000, v14
	v_lshl_add_u32 v13, v13, 23, v15
	v_or3_b32 v12, v14, v13, v12
.LBB14_1412:
	s_or_b64 exec, exec, s[6:7]
	s_movk_i32 s4, 0x7f
	v_cmp_gt_i16_sdwa s[6:7], v2, s4 src0_sel:BYTE_0 src1_sel:DWORD
	s_mov_b64 s[4:5], 0
                                        ; implicit-def: $sgpr10
	s_and_saveexec_b64 s[8:9], s[6:7]
	s_xor_b64 s[6:7], exec, s[8:9]
	s_cbranch_execnz .LBB14_3461
; %bb.1413:
	s_or_saveexec_b64 s[6:7], s[6:7]
	v_mov_b32_e32 v13, s10
	s_xor_b64 exec, exec, s[6:7]
	s_cbranch_execnz .LBB14_3464
.LBB14_1414:
	s_or_b64 exec, exec, s[6:7]
	s_and_saveexec_b64 s[6:7], s[4:5]
	s_cbranch_execz .LBB14_1416
.LBB14_1415:
	v_and_b32_e32 v13, 7, v2
	v_ffbh_u32_e32 v15, v13
	v_min_u32_e32 v15, 32, v15
	v_lshrrev_b16_e32 v14, 3, v2
	v_subrev_u32_e32 v16, 28, v15
	v_and_b32_e32 v14, 15, v14
	v_lshlrev_b32_e32 v16, v16, v2
	v_sub_u32_e32 v15, 29, v15
	v_and_b32_e32 v16, 7, v16
	v_cmp_eq_u16_e32 vcc, 0, v14
	v_cndmask_b32_e32 v13, v13, v16, vcc
	v_cndmask_b32_e32 v14, v14, v15, vcc
	v_lshlrev_b32_e32 v15, 24, v2
	v_mov_b32_e32 v16, 0x3b800000
	v_lshlrev_b32_e32 v13, 20, v13
	v_and_b32_e32 v15, 0x80000000, v15
	v_lshl_add_u32 v14, v14, 23, v16
	v_or3_b32 v13, v15, v14, v13
.LBB14_1416:
	s_or_b64 exec, exec, s[6:7]
	flat_load_dwordx4 a[0:3], v[10:11] offset:176
	s_movk_i32 s4, 0x7f
                                        ; implicit-def: $sgpr10
	s_waitcnt vmcnt(0) lgkmcnt(0)
	v_mfma_f32_16x16x4f32 a[0:3], v12, v13, a[0:3]
	v_lshrrev_b32_e32 v13, 8, v6
	v_cmp_gt_i16_sdwa s[6:7], v13, s4 src0_sel:BYTE_0 src1_sel:DWORD
	s_mov_b64 s[4:5], 0
	s_and_saveexec_b64 s[8:9], s[6:7]
	s_xor_b64 s[6:7], exec, s[8:9]
	s_cbranch_execnz .LBB14_3465
; %bb.1417:
	s_or_saveexec_b64 s[6:7], s[6:7]
	v_mov_b32_e32 v12, s10
	s_xor_b64 exec, exec, s[6:7]
	s_cbranch_execnz .LBB14_3468
.LBB14_1418:
	s_or_b64 exec, exec, s[6:7]
	s_and_saveexec_b64 s[6:7], s[4:5]
	s_cbranch_execz .LBB14_1420
.LBB14_1419:
	v_bfe_u32 v12, v6, 8, 3
	v_ffbh_u32_e32 v15, v12
	v_min_u32_e32 v15, 32, v15
	v_lshrrev_b16_e32 v14, 3, v13
	v_subrev_u32_e32 v16, 28, v15
	v_and_b32_e32 v14, 15, v14
	v_lshlrev_b32_e32 v13, v16, v13
	v_sub_u32_e32 v15, 29, v15
	v_and_b32_e32 v13, 7, v13
	v_cmp_eq_u16_e32 vcc, 0, v14
	v_cndmask_b32_e32 v12, v12, v13, vcc
	v_cndmask_b32_e32 v13, v14, v15, vcc
	v_lshlrev_b32_e32 v14, 16, v6
	v_mov_b32_e32 v15, 0x3b800000
	v_lshlrev_b32_e32 v12, 20, v12
	v_and_b32_e32 v14, 0x80000000, v14
	v_lshl_add_u32 v13, v13, 23, v15
	v_or3_b32 v12, v14, v13, v12
.LBB14_1420:
	s_or_b64 exec, exec, s[6:7]
	v_lshrrev_b32_e32 v13, 8, v2
	s_movk_i32 s4, 0x7f
	v_cmp_gt_i16_sdwa s[6:7], v13, s4 src0_sel:BYTE_0 src1_sel:DWORD
	s_mov_b64 s[4:5], 0
                                        ; implicit-def: $sgpr10
	s_and_saveexec_b64 s[8:9], s[6:7]
	s_xor_b64 s[6:7], exec, s[8:9]
	s_cbranch_execnz .LBB14_3469
; %bb.1421:
	s_or_saveexec_b64 s[6:7], s[6:7]
	v_mov_b32_e32 v14, s10
	s_xor_b64 exec, exec, s[6:7]
	s_cbranch_execnz .LBB14_3472
.LBB14_1422:
	s_or_b64 exec, exec, s[6:7]
	s_and_saveexec_b64 s[6:7], s[4:5]
	s_cbranch_execz .LBB14_1424
.LBB14_1423:
	v_bfe_u32 v14, v2, 8, 3
	v_ffbh_u32_e32 v16, v14
	v_min_u32_e32 v16, 32, v16
	v_lshrrev_b16_e32 v15, 3, v13
	v_subrev_u32_e32 v17, 28, v16
	v_and_b32_e32 v15, 15, v15
	v_lshlrev_b32_e32 v13, v17, v13
	v_sub_u32_e32 v16, 29, v16
	v_and_b32_e32 v13, 7, v13
	v_cmp_eq_u16_e32 vcc, 0, v15
	v_cndmask_b32_e32 v13, v14, v13, vcc
	v_cndmask_b32_e32 v14, v15, v16, vcc
	v_lshlrev_b32_e32 v15, 16, v2
	v_mov_b32_e32 v16, 0x3b800000
	v_lshlrev_b32_e32 v13, 20, v13
	v_and_b32_e32 v15, 0x80000000, v15
	v_lshl_add_u32 v14, v14, 23, v16
	v_or3_b32 v14, v15, v14, v13
.LBB14_1424:
	s_or_b64 exec, exec, s[6:7]
	s_nop 0
	v_mfma_f32_16x16x4f32 a[0:3], v12, v14, a[0:3]
	s_movk_i32 s4, 0xff
	v_and_b32_sdwa v13, v6, s4 dst_sel:DWORD dst_unused:UNUSED_PAD src0_sel:WORD_1 src1_sel:DWORD
	s_movk_i32 s4, 0x7f
	v_cmp_lt_i16_e32 vcc, s4, v13
	s_mov_b64 s[4:5], 0
                                        ; implicit-def: $sgpr10
	s_and_saveexec_b64 s[6:7], vcc
	s_xor_b64 s[6:7], exec, s[6:7]
	s_cbranch_execnz .LBB14_3473
; %bb.1425:
	s_or_saveexec_b64 s[6:7], s[6:7]
	v_mov_b32_e32 v12, s10
	s_xor_b64 exec, exec, s[6:7]
	s_cbranch_execnz .LBB14_3476
.LBB14_1426:
	s_or_b64 exec, exec, s[6:7]
	s_and_saveexec_b64 s[6:7], s[4:5]
	s_cbranch_execz .LBB14_1428
.LBB14_1427:
	v_bfe_u32 v12, v6, 16, 3
	v_ffbh_u32_e32 v15, v12
	v_min_u32_e32 v15, 32, v15
	v_lshrrev_b32_e32 v13, 19, v6
	v_subrev_u32_e32 v16, 28, v15
	v_and_b32_e32 v13, 15, v13
	v_lshlrev_b32_sdwa v16, v16, v6 dst_sel:DWORD dst_unused:UNUSED_PAD src0_sel:DWORD src1_sel:WORD_1
	v_bfe_u32 v14, v6, 19, 4
	v_sub_u32_e32 v15, 29, v15
	v_and_b32_e32 v16, 7, v16
	v_cmp_eq_u16_e32 vcc, 0, v13
	v_cndmask_b32_e32 v12, v12, v16, vcc
	v_cndmask_b32_e32 v13, v14, v15, vcc
	v_lshlrev_b32_e32 v14, 8, v6
	v_mov_b32_e32 v15, 0x3b800000
	v_lshlrev_b32_e32 v12, 20, v12
	v_and_b32_e32 v14, 0x80000000, v14
	v_lshl_add_u32 v13, v13, 23, v15
	v_or3_b32 v12, v14, v13, v12
.LBB14_1428:
	s_or_b64 exec, exec, s[6:7]
	s_movk_i32 s4, 0xff
	v_and_b32_sdwa v13, v2, s4 dst_sel:DWORD dst_unused:UNUSED_PAD src0_sel:WORD_1 src1_sel:DWORD
	s_movk_i32 s4, 0x7f
	v_cmp_lt_i16_e32 vcc, s4, v13
	s_mov_b64 s[4:5], 0
                                        ; implicit-def: $sgpr10
	s_and_saveexec_b64 s[6:7], vcc
	s_xor_b64 s[6:7], exec, s[6:7]
	s_cbranch_execnz .LBB14_3477
; %bb.1429:
	s_or_saveexec_b64 s[6:7], s[6:7]
	v_mov_b32_e32 v14, s10
	s_xor_b64 exec, exec, s[6:7]
	s_cbranch_execnz .LBB14_3480
.LBB14_1430:
	s_or_b64 exec, exec, s[6:7]
	s_and_saveexec_b64 s[6:7], s[4:5]
	s_cbranch_execz .LBB14_1432
.LBB14_1431:
	v_bfe_u32 v13, v2, 16, 3
	v_ffbh_u32_e32 v16, v13
	v_min_u32_e32 v16, 32, v16
	v_lshrrev_b32_e32 v14, 19, v2
	v_subrev_u32_e32 v17, 28, v16
	v_and_b32_e32 v14, 15, v14
	v_lshlrev_b32_sdwa v17, v17, v2 dst_sel:DWORD dst_unused:UNUSED_PAD src0_sel:DWORD src1_sel:WORD_1
	v_bfe_u32 v15, v2, 19, 4
	v_sub_u32_e32 v16, 29, v16
	v_and_b32_e32 v17, 7, v17
	v_cmp_eq_u16_e32 vcc, 0, v14
	v_cndmask_b32_e32 v13, v13, v17, vcc
	v_cndmask_b32_e32 v14, v15, v16, vcc
	v_lshlrev_b32_e32 v15, 8, v2
	v_mov_b32_e32 v16, 0x3b800000
	v_lshlrev_b32_e32 v13, 20, v13
	v_and_b32_e32 v15, 0x80000000, v15
	v_lshl_add_u32 v14, v14, 23, v16
	v_or3_b32 v14, v15, v14, v13
.LBB14_1432:
	s_or_b64 exec, exec, s[6:7]
	s_nop 0
	v_mfma_f32_16x16x4f32 a[0:3], v12, v14, a[0:3]
	s_movk_i32 s4, 0x7f
	v_cmp_gt_i16_sdwa s[6:7], v6, s4 src0_sel:BYTE_3 src1_sel:DWORD
	s_mov_b64 s[4:5], 0
                                        ; implicit-def: $sgpr10
	s_and_saveexec_b64 s[8:9], s[6:7]
	s_xor_b64 s[6:7], exec, s[8:9]
	s_cbranch_execnz .LBB14_3481
; %bb.1433:
	s_or_saveexec_b64 s[6:7], s[6:7]
	v_mov_b32_e32 v12, s10
	s_xor_b64 exec, exec, s[6:7]
	s_cbranch_execnz .LBB14_3484
.LBB14_1434:
	s_or_b64 exec, exec, s[6:7]
	s_and_saveexec_b64 s[6:7], s[4:5]
	s_cbranch_execz .LBB14_1436
.LBB14_1435:
	v_bfe_u32 v12, v6, 24, 3
	v_ffbh_u32_e32 v16, v12
	v_min_u32_e32 v16, 32, v16
	v_lshrrev_b32_e32 v14, 27, v6
	v_subrev_u32_e32 v17, 28, v16
	v_and_b32_e32 v13, 0x80000000, v6
	v_and_b32_e32 v14, 15, v14
	v_bfe_u32 v15, v6, 27, 4
	v_lshlrev_b32_sdwa v6, v17, v6 dst_sel:DWORD dst_unused:UNUSED_PAD src0_sel:DWORD src1_sel:BYTE_3
	v_sub_u32_e32 v16, 29, v16
	v_and_b32_e32 v6, 7, v6
	v_cmp_eq_u16_e32 vcc, 0, v14
	v_cndmask_b32_e32 v6, v12, v6, vcc
	v_cndmask_b32_e32 v12, v15, v16, vcc
	v_mov_b32_e32 v14, 0x3b800000
	v_lshlrev_b32_e32 v6, 20, v6
	v_lshl_add_u32 v12, v12, 23, v14
	v_or3_b32 v12, v13, v12, v6
.LBB14_1436:
	s_or_b64 exec, exec, s[6:7]
	s_movk_i32 s4, 0x7f
	v_cmp_gt_i16_sdwa s[6:7], v2, s4 src0_sel:BYTE_3 src1_sel:DWORD
	s_mov_b64 s[4:5], 0
                                        ; implicit-def: $sgpr10
	s_and_saveexec_b64 s[8:9], s[6:7]
	s_xor_b64 s[6:7], exec, s[8:9]
	s_cbranch_execnz .LBB14_3485
; %bb.1437:
	s_or_saveexec_b64 s[6:7], s[6:7]
	v_mov_b32_e32 v6, s10
	s_xor_b64 exec, exec, s[6:7]
	s_cbranch_execnz .LBB14_3488
.LBB14_1438:
	s_or_b64 exec, exec, s[6:7]
	s_and_saveexec_b64 s[6:7], s[4:5]
	s_cbranch_execz .LBB14_1440
.LBB14_1439:
	v_bfe_u32 v6, v2, 24, 3
	v_ffbh_u32_e32 v16, v6
	v_min_u32_e32 v16, 32, v16
	v_lshrrev_b32_e32 v14, 27, v2
	v_subrev_u32_e32 v17, 28, v16
	v_and_b32_e32 v13, 0x80000000, v2
	v_and_b32_e32 v14, 15, v14
	v_bfe_u32 v15, v2, 27, 4
	v_lshlrev_b32_sdwa v2, v17, v2 dst_sel:DWORD dst_unused:UNUSED_PAD src0_sel:DWORD src1_sel:BYTE_3
	v_sub_u32_e32 v16, 29, v16
	v_and_b32_e32 v2, 7, v2
	v_cmp_eq_u16_e32 vcc, 0, v14
	v_cndmask_b32_e32 v2, v6, v2, vcc
	v_cndmask_b32_e32 v6, v15, v16, vcc
	v_mov_b32_e32 v14, 0x3b800000
	v_lshlrev_b32_e32 v2, 20, v2
	v_lshl_add_u32 v6, v6, 23, v14
	v_or3_b32 v6, v13, v6, v2
.LBB14_1440:
	s_or_b64 exec, exec, s[6:7]
	s_nop 0
	v_mfma_f32_16x16x4f32 a[0:3], v12, v6, a[0:3]
	s_movk_i32 s4, 0x7f
	v_cmp_gt_i16_sdwa s[6:7], v7, s4 src0_sel:BYTE_0 src1_sel:DWORD
	s_mov_b64 s[4:5], 0
                                        ; implicit-def: $sgpr10
	s_and_saveexec_b64 s[8:9], s[6:7]
	s_xor_b64 s[6:7], exec, s[8:9]
	s_cbranch_execnz .LBB14_3489
; %bb.1441:
	s_or_saveexec_b64 s[6:7], s[6:7]
	v_mov_b32_e32 v2, s10
	s_xor_b64 exec, exec, s[6:7]
	s_cbranch_execnz .LBB14_3492
.LBB14_1442:
	s_or_b64 exec, exec, s[6:7]
	s_and_saveexec_b64 s[6:7], s[4:5]
	s_cbranch_execz .LBB14_1444
.LBB14_1443:
	v_and_b32_e32 v2, 7, v7
	v_ffbh_u32_e32 v12, v2
	v_min_u32_e32 v12, 32, v12
	v_lshrrev_b16_e32 v6, 3, v7
	v_subrev_u32_e32 v13, 28, v12
	v_and_b32_e32 v6, 15, v6
	v_lshlrev_b32_e32 v13, v13, v7
	v_sub_u32_e32 v12, 29, v12
	v_and_b32_e32 v13, 7, v13
	v_cmp_eq_u16_e32 vcc, 0, v6
	v_cndmask_b32_e32 v2, v2, v13, vcc
	v_cndmask_b32_e32 v6, v6, v12, vcc
	v_lshlrev_b32_e32 v12, 24, v7
	v_mov_b32_e32 v13, 0x3b800000
	v_lshlrev_b32_e32 v2, 20, v2
	v_and_b32_e32 v12, 0x80000000, v12
	v_lshl_add_u32 v6, v6, 23, v13
	v_or3_b32 v2, v12, v6, v2
.LBB14_1444:
	s_or_b64 exec, exec, s[6:7]
	s_movk_i32 s4, 0x7f
	v_cmp_gt_i16_sdwa s[6:7], v3, s4 src0_sel:BYTE_0 src1_sel:DWORD
	s_mov_b64 s[4:5], 0
                                        ; implicit-def: $sgpr10
	s_and_saveexec_b64 s[8:9], s[6:7]
	s_xor_b64 s[6:7], exec, s[8:9]
	s_cbranch_execnz .LBB14_3493
; %bb.1445:
	s_or_saveexec_b64 s[6:7], s[6:7]
	v_mov_b32_e32 v6, s10
	s_xor_b64 exec, exec, s[6:7]
	s_cbranch_execnz .LBB14_3496
.LBB14_1446:
	s_or_b64 exec, exec, s[6:7]
	s_and_saveexec_b64 s[6:7], s[4:5]
	s_cbranch_execz .LBB14_1448
.LBB14_1447:
	v_and_b32_e32 v6, 7, v3
	v_ffbh_u32_e32 v13, v6
	v_min_u32_e32 v13, 32, v13
	v_lshrrev_b16_e32 v12, 3, v3
	v_subrev_u32_e32 v14, 28, v13
	v_and_b32_e32 v12, 15, v12
	v_lshlrev_b32_e32 v14, v14, v3
	v_sub_u32_e32 v13, 29, v13
	v_and_b32_e32 v14, 7, v14
	v_cmp_eq_u16_e32 vcc, 0, v12
	v_cndmask_b32_e32 v6, v6, v14, vcc
	v_cndmask_b32_e32 v12, v12, v13, vcc
	v_lshlrev_b32_e32 v13, 24, v3
	v_mov_b32_e32 v14, 0x3b800000
	v_lshlrev_b32_e32 v6, 20, v6
	v_and_b32_e32 v13, 0x80000000, v13
	v_lshl_add_u32 v12, v12, 23, v14
	v_or3_b32 v6, v13, v12, v6
.LBB14_1448:
	s_or_b64 exec, exec, s[6:7]
	s_nop 0
	v_mfma_f32_16x16x4f32 a[0:3], v2, v6, a[0:3]
	v_lshrrev_b32_e32 v6, 8, v7
	s_movk_i32 s4, 0x7f
	v_cmp_gt_i16_sdwa s[6:7], v6, s4 src0_sel:BYTE_0 src1_sel:DWORD
	s_mov_b64 s[4:5], 0
                                        ; implicit-def: $sgpr10
	s_and_saveexec_b64 s[8:9], s[6:7]
	s_xor_b64 s[6:7], exec, s[8:9]
	s_cbranch_execnz .LBB14_3497
; %bb.1449:
	s_or_saveexec_b64 s[6:7], s[6:7]
	v_mov_b32_e32 v2, s10
	s_xor_b64 exec, exec, s[6:7]
	s_cbranch_execnz .LBB14_3500
.LBB14_1450:
	s_or_b64 exec, exec, s[6:7]
	s_and_saveexec_b64 s[6:7], s[4:5]
	s_cbranch_execz .LBB14_1452
.LBB14_1451:
	v_bfe_u32 v2, v7, 8, 3
	v_ffbh_u32_e32 v13, v2
	v_min_u32_e32 v13, 32, v13
	v_lshrrev_b16_e32 v12, 3, v6
	v_subrev_u32_e32 v14, 28, v13
	v_and_b32_e32 v12, 15, v12
	v_lshlrev_b32_e32 v6, v14, v6
	v_sub_u32_e32 v13, 29, v13
	v_and_b32_e32 v6, 7, v6
	v_cmp_eq_u16_e32 vcc, 0, v12
	v_cndmask_b32_e32 v2, v2, v6, vcc
	v_cndmask_b32_e32 v6, v12, v13, vcc
	v_lshlrev_b32_e32 v12, 16, v7
	v_mov_b32_e32 v13, 0x3b800000
	v_lshlrev_b32_e32 v2, 20, v2
	v_and_b32_e32 v12, 0x80000000, v12
	v_lshl_add_u32 v6, v6, 23, v13
	v_or3_b32 v2, v12, v6, v2
.LBB14_1452:
	s_or_b64 exec, exec, s[6:7]
	v_lshrrev_b32_e32 v6, 8, v3
	s_movk_i32 s4, 0x7f
	v_cmp_gt_i16_sdwa s[6:7], v6, s4 src0_sel:BYTE_0 src1_sel:DWORD
	s_mov_b64 s[4:5], 0
                                        ; implicit-def: $sgpr10
	s_and_saveexec_b64 s[8:9], s[6:7]
	s_xor_b64 s[6:7], exec, s[8:9]
	s_cbranch_execnz .LBB14_3501
; %bb.1453:
	s_or_saveexec_b64 s[6:7], s[6:7]
	v_mov_b32_e32 v12, s10
	s_xor_b64 exec, exec, s[6:7]
	s_cbranch_execnz .LBB14_3504
.LBB14_1454:
	s_or_b64 exec, exec, s[6:7]
	s_and_saveexec_b64 s[6:7], s[4:5]
	s_cbranch_execz .LBB14_1456
.LBB14_1455:
	v_bfe_u32 v12, v3, 8, 3
	v_ffbh_u32_e32 v14, v12
	v_min_u32_e32 v14, 32, v14
	v_lshrrev_b16_e32 v13, 3, v6
	v_subrev_u32_e32 v15, 28, v14
	v_and_b32_e32 v13, 15, v13
	v_lshlrev_b32_e32 v6, v15, v6
	v_sub_u32_e32 v14, 29, v14
	v_and_b32_e32 v6, 7, v6
	v_cmp_eq_u16_e32 vcc, 0, v13
	v_cndmask_b32_e32 v6, v12, v6, vcc
	v_cndmask_b32_e32 v12, v13, v14, vcc
	v_lshlrev_b32_e32 v13, 16, v3
	v_mov_b32_e32 v14, 0x3b800000
	v_lshlrev_b32_e32 v6, 20, v6
	v_and_b32_e32 v13, 0x80000000, v13
	v_lshl_add_u32 v12, v12, 23, v14
	v_or3_b32 v12, v13, v12, v6
.LBB14_1456:
	s_or_b64 exec, exec, s[6:7]
	s_nop 0
	v_mfma_f32_16x16x4f32 a[0:3], v2, v12, a[0:3]
	s_movk_i32 s4, 0xff
	v_and_b32_sdwa v6, v7, s4 dst_sel:DWORD dst_unused:UNUSED_PAD src0_sel:WORD_1 src1_sel:DWORD
	s_movk_i32 s4, 0x7f
	v_cmp_lt_i16_e32 vcc, s4, v6
	s_mov_b64 s[4:5], 0
                                        ; implicit-def: $sgpr10
	s_and_saveexec_b64 s[6:7], vcc
	s_xor_b64 s[6:7], exec, s[6:7]
	s_cbranch_execnz .LBB14_3505
; %bb.1457:
	s_or_saveexec_b64 s[6:7], s[6:7]
	v_mov_b32_e32 v2, s10
	s_xor_b64 exec, exec, s[6:7]
	s_cbranch_execnz .LBB14_3508
.LBB14_1458:
	s_or_b64 exec, exec, s[6:7]
	s_and_saveexec_b64 s[6:7], s[4:5]
	s_cbranch_execz .LBB14_1460
.LBB14_1459:
	v_bfe_u32 v2, v7, 16, 3
	v_ffbh_u32_e32 v13, v2
	v_min_u32_e32 v13, 32, v13
	v_lshrrev_b32_e32 v6, 19, v7
	v_subrev_u32_e32 v14, 28, v13
	v_and_b32_e32 v6, 15, v6
	v_lshlrev_b32_sdwa v14, v14, v7 dst_sel:DWORD dst_unused:UNUSED_PAD src0_sel:DWORD src1_sel:WORD_1
	v_bfe_u32 v12, v7, 19, 4
	v_sub_u32_e32 v13, 29, v13
	v_and_b32_e32 v14, 7, v14
	v_cmp_eq_u16_e32 vcc, 0, v6
	v_cndmask_b32_e32 v2, v2, v14, vcc
	v_cndmask_b32_e32 v6, v12, v13, vcc
	v_lshlrev_b32_e32 v12, 8, v7
	v_mov_b32_e32 v13, 0x3b800000
	v_lshlrev_b32_e32 v2, 20, v2
	v_and_b32_e32 v12, 0x80000000, v12
	v_lshl_add_u32 v6, v6, 23, v13
	v_or3_b32 v2, v12, v6, v2
.LBB14_1460:
	s_or_b64 exec, exec, s[6:7]
	s_movk_i32 s4, 0xff
	v_and_b32_sdwa v6, v3, s4 dst_sel:DWORD dst_unused:UNUSED_PAD src0_sel:WORD_1 src1_sel:DWORD
	s_movk_i32 s4, 0x7f
	v_cmp_lt_i16_e32 vcc, s4, v6
	s_mov_b64 s[4:5], 0
                                        ; implicit-def: $sgpr10
	s_and_saveexec_b64 s[6:7], vcc
	s_xor_b64 s[6:7], exec, s[6:7]
	s_cbranch_execnz .LBB14_3509
; %bb.1461:
	s_or_saveexec_b64 s[6:7], s[6:7]
	v_mov_b32_e32 v12, s10
	s_xor_b64 exec, exec, s[6:7]
	s_cbranch_execnz .LBB14_3512
.LBB14_1462:
	s_or_b64 exec, exec, s[6:7]
	s_and_saveexec_b64 s[6:7], s[4:5]
	s_cbranch_execz .LBB14_1464
.LBB14_1463:
	v_bfe_u32 v6, v3, 16, 3
	v_ffbh_u32_e32 v14, v6
	v_min_u32_e32 v14, 32, v14
	v_lshrrev_b32_e32 v12, 19, v3
	v_subrev_u32_e32 v15, 28, v14
	v_and_b32_e32 v12, 15, v12
	v_lshlrev_b32_sdwa v15, v15, v3 dst_sel:DWORD dst_unused:UNUSED_PAD src0_sel:DWORD src1_sel:WORD_1
	v_bfe_u32 v13, v3, 19, 4
	v_sub_u32_e32 v14, 29, v14
	v_and_b32_e32 v15, 7, v15
	v_cmp_eq_u16_e32 vcc, 0, v12
	v_cndmask_b32_e32 v6, v6, v15, vcc
	v_cndmask_b32_e32 v12, v13, v14, vcc
	v_lshlrev_b32_e32 v13, 8, v3
	v_mov_b32_e32 v14, 0x3b800000
	v_lshlrev_b32_e32 v6, 20, v6
	v_and_b32_e32 v13, 0x80000000, v13
	v_lshl_add_u32 v12, v12, 23, v14
	v_or3_b32 v12, v13, v12, v6
.LBB14_1464:
	s_or_b64 exec, exec, s[6:7]
	s_nop 0
	v_mfma_f32_16x16x4f32 a[0:3], v2, v12, a[0:3]
	s_movk_i32 s4, 0x7f
	v_cmp_gt_i16_sdwa s[6:7], v7, s4 src0_sel:BYTE_3 src1_sel:DWORD
	s_mov_b64 s[4:5], 0
                                        ; implicit-def: $sgpr10
	s_and_saveexec_b64 s[8:9], s[6:7]
	s_xor_b64 s[6:7], exec, s[8:9]
	s_cbranch_execnz .LBB14_3513
; %bb.1465:
	s_or_saveexec_b64 s[6:7], s[6:7]
	v_mov_b32_e32 v2, s10
	s_xor_b64 exec, exec, s[6:7]
	s_cbranch_execnz .LBB14_3516
.LBB14_1466:
	s_or_b64 exec, exec, s[6:7]
	s_and_saveexec_b64 s[6:7], s[4:5]
	s_cbranch_execz .LBB14_1468
.LBB14_1467:
	v_bfe_u32 v2, v7, 24, 3
	v_ffbh_u32_e32 v14, v2
	v_min_u32_e32 v14, 32, v14
	v_lshrrev_b32_e32 v12, 27, v7
	v_subrev_u32_e32 v15, 28, v14
	v_and_b32_e32 v6, 0x80000000, v7
	v_and_b32_e32 v12, 15, v12
	v_bfe_u32 v13, v7, 27, 4
	v_lshlrev_b32_sdwa v7, v15, v7 dst_sel:DWORD dst_unused:UNUSED_PAD src0_sel:DWORD src1_sel:BYTE_3
	v_sub_u32_e32 v14, 29, v14
	v_and_b32_e32 v7, 7, v7
	v_cmp_eq_u16_e32 vcc, 0, v12
	v_cndmask_b32_e32 v2, v2, v7, vcc
	v_cndmask_b32_e32 v7, v13, v14, vcc
	v_mov_b32_e32 v12, 0x3b800000
	v_lshlrev_b32_e32 v2, 20, v2
	v_lshl_add_u32 v7, v7, 23, v12
	v_or3_b32 v2, v6, v7, v2
.LBB14_1468:
	s_or_b64 exec, exec, s[6:7]
	s_movk_i32 s4, 0x7f
	v_cmp_gt_i16_sdwa s[6:7], v3, s4 src0_sel:BYTE_3 src1_sel:DWORD
	s_mov_b64 s[4:5], 0
                                        ; implicit-def: $sgpr10
	s_and_saveexec_b64 s[8:9], s[6:7]
	s_xor_b64 s[6:7], exec, s[8:9]
	s_cbranch_execnz .LBB14_3517
; %bb.1469:
	s_or_saveexec_b64 s[6:7], s[6:7]
	v_mov_b32_e32 v6, s10
	s_xor_b64 exec, exec, s[6:7]
	s_cbranch_execnz .LBB14_3520
.LBB14_1470:
	s_or_b64 exec, exec, s[6:7]
	s_and_saveexec_b64 s[6:7], s[4:5]
	s_cbranch_execz .LBB14_1472
.LBB14_1471:
	v_bfe_u32 v6, v3, 24, 3
	v_ffbh_u32_e32 v14, v6
	v_min_u32_e32 v14, 32, v14
	v_lshrrev_b32_e32 v12, 27, v3
	v_subrev_u32_e32 v15, 28, v14
	v_and_b32_e32 v7, 0x80000000, v3
	v_and_b32_e32 v12, 15, v12
	v_bfe_u32 v13, v3, 27, 4
	v_lshlrev_b32_sdwa v3, v15, v3 dst_sel:DWORD dst_unused:UNUSED_PAD src0_sel:DWORD src1_sel:BYTE_3
	v_sub_u32_e32 v14, 29, v14
	v_and_b32_e32 v3, 7, v3
	v_cmp_eq_u16_e32 vcc, 0, v12
	v_cndmask_b32_e32 v3, v6, v3, vcc
	v_cndmask_b32_e32 v6, v13, v14, vcc
	v_mov_b32_e32 v12, 0x3b800000
	v_lshlrev_b32_e32 v3, 20, v3
	v_lshl_add_u32 v6, v6, 23, v12
	v_or3_b32 v6, v7, v6, v3
.LBB14_1472:
	s_or_b64 exec, exec, s[6:7]
	s_nop 0
	v_mfma_f32_16x16x4f32 a[0:3], v2, v6, a[0:3]
	s_movk_i32 s4, 0x7f
	v_cmp_gt_i16_sdwa s[6:7], v8, s4 src0_sel:BYTE_0 src1_sel:DWORD
	s_mov_b64 s[4:5], 0
                                        ; implicit-def: $sgpr10
	s_and_saveexec_b64 s[8:9], s[6:7]
	s_xor_b64 s[6:7], exec, s[8:9]
	s_cbranch_execnz .LBB14_3521
; %bb.1473:
	s_or_saveexec_b64 s[6:7], s[6:7]
	v_mov_b32_e32 v2, s10
	s_xor_b64 exec, exec, s[6:7]
	s_cbranch_execnz .LBB14_3524
.LBB14_1474:
	s_or_b64 exec, exec, s[6:7]
	s_and_saveexec_b64 s[6:7], s[4:5]
	s_cbranch_execz .LBB14_1476
.LBB14_1475:
	v_and_b32_e32 v2, 7, v8
	v_ffbh_u32_e32 v6, v2
	v_min_u32_e32 v6, 32, v6
	v_lshrrev_b16_e32 v3, 3, v8
	v_subrev_u32_e32 v7, 28, v6
	v_and_b32_e32 v3, 15, v3
	v_lshlrev_b32_e32 v7, v7, v8
	v_sub_u32_e32 v6, 29, v6
	v_and_b32_e32 v7, 7, v7
	v_cmp_eq_u16_e32 vcc, 0, v3
	v_cndmask_b32_e32 v2, v2, v7, vcc
	v_cndmask_b32_e32 v3, v3, v6, vcc
	v_lshlrev_b32_e32 v6, 24, v8
	v_mov_b32_e32 v7, 0x3b800000
	v_lshlrev_b32_e32 v2, 20, v2
	v_and_b32_e32 v6, 0x80000000, v6
	v_lshl_add_u32 v3, v3, 23, v7
	v_or3_b32 v2, v6, v3, v2
.LBB14_1476:
	s_or_b64 exec, exec, s[6:7]
	s_movk_i32 s4, 0x7f
	v_cmp_gt_i16_sdwa s[6:7], v4, s4 src0_sel:BYTE_0 src1_sel:DWORD
	s_mov_b64 s[4:5], 0
                                        ; implicit-def: $sgpr10
	s_and_saveexec_b64 s[8:9], s[6:7]
	s_xor_b64 s[6:7], exec, s[8:9]
	s_cbranch_execnz .LBB14_3525
; %bb.1477:
	s_or_saveexec_b64 s[6:7], s[6:7]
	v_mov_b32_e32 v3, s10
	s_xor_b64 exec, exec, s[6:7]
	s_cbranch_execnz .LBB14_3528
.LBB14_1478:
	s_or_b64 exec, exec, s[6:7]
	s_and_saveexec_b64 s[6:7], s[4:5]
	s_cbranch_execz .LBB14_1480
.LBB14_1479:
	v_and_b32_e32 v3, 7, v4
	v_ffbh_u32_e32 v7, v3
	v_min_u32_e32 v7, 32, v7
	v_lshrrev_b16_e32 v6, 3, v4
	v_subrev_u32_e32 v12, 28, v7
	v_and_b32_e32 v6, 15, v6
	v_lshlrev_b32_e32 v12, v12, v4
	v_sub_u32_e32 v7, 29, v7
	v_and_b32_e32 v12, 7, v12
	v_cmp_eq_u16_e32 vcc, 0, v6
	v_cndmask_b32_e32 v3, v3, v12, vcc
	v_cndmask_b32_e32 v6, v6, v7, vcc
	v_lshlrev_b32_e32 v7, 24, v4
	v_mov_b32_e32 v12, 0x3b800000
	v_lshlrev_b32_e32 v3, 20, v3
	v_and_b32_e32 v7, 0x80000000, v7
	v_lshl_add_u32 v6, v6, 23, v12
	v_or3_b32 v3, v7, v6, v3
.LBB14_1480:
	s_or_b64 exec, exec, s[6:7]
	s_nop 0
	v_mfma_f32_16x16x4f32 a[0:3], v2, v3, a[0:3]
	v_lshrrev_b32_e32 v3, 8, v8
	s_movk_i32 s4, 0x7f
	v_cmp_gt_i16_sdwa s[6:7], v3, s4 src0_sel:BYTE_0 src1_sel:DWORD
	s_mov_b64 s[4:5], 0
                                        ; implicit-def: $sgpr10
	s_and_saveexec_b64 s[8:9], s[6:7]
	s_xor_b64 s[6:7], exec, s[8:9]
	s_cbranch_execnz .LBB14_3529
; %bb.1481:
	s_or_saveexec_b64 s[6:7], s[6:7]
	v_mov_b32_e32 v2, s10
	s_xor_b64 exec, exec, s[6:7]
	s_cbranch_execnz .LBB14_3532
.LBB14_1482:
	s_or_b64 exec, exec, s[6:7]
	s_and_saveexec_b64 s[6:7], s[4:5]
	s_cbranch_execz .LBB14_1484
.LBB14_1483:
	v_bfe_u32 v2, v8, 8, 3
	v_ffbh_u32_e32 v7, v2
	v_min_u32_e32 v7, 32, v7
	v_lshrrev_b16_e32 v6, 3, v3
	v_subrev_u32_e32 v12, 28, v7
	v_and_b32_e32 v6, 15, v6
	v_lshlrev_b32_e32 v3, v12, v3
	v_sub_u32_e32 v7, 29, v7
	v_and_b32_e32 v3, 7, v3
	v_cmp_eq_u16_e32 vcc, 0, v6
	v_cndmask_b32_e32 v2, v2, v3, vcc
	v_cndmask_b32_e32 v3, v6, v7, vcc
	v_lshlrev_b32_e32 v6, 16, v8
	v_mov_b32_e32 v7, 0x3b800000
	v_lshlrev_b32_e32 v2, 20, v2
	v_and_b32_e32 v6, 0x80000000, v6
	v_lshl_add_u32 v3, v3, 23, v7
	v_or3_b32 v2, v6, v3, v2
.LBB14_1484:
	s_or_b64 exec, exec, s[6:7]
	v_lshrrev_b32_e32 v3, 8, v4
	s_movk_i32 s4, 0x7f
	v_cmp_gt_i16_sdwa s[6:7], v3, s4 src0_sel:BYTE_0 src1_sel:DWORD
	s_mov_b64 s[4:5], 0
                                        ; implicit-def: $sgpr10
	s_and_saveexec_b64 s[8:9], s[6:7]
	s_xor_b64 s[6:7], exec, s[8:9]
	s_cbranch_execnz .LBB14_3533
; %bb.1485:
	s_or_saveexec_b64 s[6:7], s[6:7]
	v_mov_b32_e32 v6, s10
	s_xor_b64 exec, exec, s[6:7]
	s_cbranch_execnz .LBB14_3536
.LBB14_1486:
	s_or_b64 exec, exec, s[6:7]
	s_and_saveexec_b64 s[6:7], s[4:5]
	s_cbranch_execz .LBB14_1488
.LBB14_1487:
	v_bfe_u32 v6, v4, 8, 3
	v_ffbh_u32_e32 v12, v6
	v_min_u32_e32 v12, 32, v12
	v_lshrrev_b16_e32 v7, 3, v3
	v_subrev_u32_e32 v13, 28, v12
	v_and_b32_e32 v7, 15, v7
	v_lshlrev_b32_e32 v3, v13, v3
	v_sub_u32_e32 v12, 29, v12
	v_and_b32_e32 v3, 7, v3
	v_cmp_eq_u16_e32 vcc, 0, v7
	v_cndmask_b32_e32 v3, v6, v3, vcc
	v_cndmask_b32_e32 v6, v7, v12, vcc
	v_lshlrev_b32_e32 v7, 16, v4
	v_mov_b32_e32 v12, 0x3b800000
	v_lshlrev_b32_e32 v3, 20, v3
	v_and_b32_e32 v7, 0x80000000, v7
	v_lshl_add_u32 v6, v6, 23, v12
	v_or3_b32 v6, v7, v6, v3
.LBB14_1488:
	s_or_b64 exec, exec, s[6:7]
	s_nop 0
	v_mfma_f32_16x16x4f32 a[0:3], v2, v6, a[0:3]
	s_movk_i32 s4, 0xff
	v_and_b32_sdwa v3, v8, s4 dst_sel:DWORD dst_unused:UNUSED_PAD src0_sel:WORD_1 src1_sel:DWORD
	s_movk_i32 s4, 0x7f
	v_cmp_lt_i16_e32 vcc, s4, v3
	s_mov_b64 s[4:5], 0
                                        ; implicit-def: $sgpr10
	s_and_saveexec_b64 s[6:7], vcc
	s_xor_b64 s[6:7], exec, s[6:7]
	s_cbranch_execnz .LBB14_3537
; %bb.1489:
	s_or_saveexec_b64 s[6:7], s[6:7]
	v_mov_b32_e32 v2, s10
	s_xor_b64 exec, exec, s[6:7]
	s_cbranch_execnz .LBB14_3540
.LBB14_1490:
	s_or_b64 exec, exec, s[6:7]
	s_and_saveexec_b64 s[6:7], s[4:5]
	s_cbranch_execz .LBB14_1492
.LBB14_1491:
	v_bfe_u32 v2, v8, 16, 3
	v_ffbh_u32_e32 v7, v2
	v_min_u32_e32 v7, 32, v7
	v_lshrrev_b32_e32 v3, 19, v8
	v_subrev_u32_e32 v12, 28, v7
	v_and_b32_e32 v3, 15, v3
	v_lshlrev_b32_sdwa v12, v12, v8 dst_sel:DWORD dst_unused:UNUSED_PAD src0_sel:DWORD src1_sel:WORD_1
	v_bfe_u32 v6, v8, 19, 4
	v_sub_u32_e32 v7, 29, v7
	v_and_b32_e32 v12, 7, v12
	v_cmp_eq_u16_e32 vcc, 0, v3
	v_cndmask_b32_e32 v2, v2, v12, vcc
	v_cndmask_b32_e32 v3, v6, v7, vcc
	v_lshlrev_b32_e32 v6, 8, v8
	v_mov_b32_e32 v7, 0x3b800000
	v_lshlrev_b32_e32 v2, 20, v2
	v_and_b32_e32 v6, 0x80000000, v6
	v_lshl_add_u32 v3, v3, 23, v7
	v_or3_b32 v2, v6, v3, v2
.LBB14_1492:
	s_or_b64 exec, exec, s[6:7]
	s_movk_i32 s4, 0xff
	v_and_b32_sdwa v3, v4, s4 dst_sel:DWORD dst_unused:UNUSED_PAD src0_sel:WORD_1 src1_sel:DWORD
	s_movk_i32 s4, 0x7f
	v_cmp_lt_i16_e32 vcc, s4, v3
	s_mov_b64 s[4:5], 0
                                        ; implicit-def: $sgpr10
	s_and_saveexec_b64 s[6:7], vcc
	s_xor_b64 s[6:7], exec, s[6:7]
	s_cbranch_execnz .LBB14_3541
; %bb.1493:
	s_or_saveexec_b64 s[6:7], s[6:7]
	v_mov_b32_e32 v6, s10
	s_xor_b64 exec, exec, s[6:7]
	s_cbranch_execnz .LBB14_3544
.LBB14_1494:
	s_or_b64 exec, exec, s[6:7]
	s_and_saveexec_b64 s[6:7], s[4:5]
	s_cbranch_execz .LBB14_1496
.LBB14_1495:
	v_bfe_u32 v3, v4, 16, 3
	v_ffbh_u32_e32 v12, v3
	v_min_u32_e32 v12, 32, v12
	v_lshrrev_b32_e32 v6, 19, v4
	v_subrev_u32_e32 v13, 28, v12
	v_and_b32_e32 v6, 15, v6
	v_lshlrev_b32_sdwa v13, v13, v4 dst_sel:DWORD dst_unused:UNUSED_PAD src0_sel:DWORD src1_sel:WORD_1
	v_bfe_u32 v7, v4, 19, 4
	v_sub_u32_e32 v12, 29, v12
	v_and_b32_e32 v13, 7, v13
	v_cmp_eq_u16_e32 vcc, 0, v6
	v_cndmask_b32_e32 v3, v3, v13, vcc
	v_cndmask_b32_e32 v6, v7, v12, vcc
	v_lshlrev_b32_e32 v7, 8, v4
	v_mov_b32_e32 v12, 0x3b800000
	v_lshlrev_b32_e32 v3, 20, v3
	v_and_b32_e32 v7, 0x80000000, v7
	v_lshl_add_u32 v6, v6, 23, v12
	v_or3_b32 v6, v7, v6, v3
.LBB14_1496:
	s_or_b64 exec, exec, s[6:7]
	s_nop 0
	v_mfma_f32_16x16x4f32 a[0:3], v2, v6, a[0:3]
	s_movk_i32 s4, 0x7f
	v_cmp_gt_i16_sdwa s[6:7], v8, s4 src0_sel:BYTE_3 src1_sel:DWORD
	s_mov_b64 s[4:5], 0
                                        ; implicit-def: $sgpr10
	s_and_saveexec_b64 s[8:9], s[6:7]
	s_xor_b64 s[6:7], exec, s[8:9]
	s_cbranch_execnz .LBB14_3545
; %bb.1497:
	s_or_saveexec_b64 s[6:7], s[6:7]
	v_mov_b32_e32 v2, s10
	s_xor_b64 exec, exec, s[6:7]
	s_cbranch_execnz .LBB14_3548
.LBB14_1498:
	s_or_b64 exec, exec, s[6:7]
	s_and_saveexec_b64 s[6:7], s[4:5]
	s_cbranch_execz .LBB14_1500
.LBB14_1499:
	v_bfe_u32 v2, v8, 24, 3
	v_ffbh_u32_e32 v12, v2
	v_min_u32_e32 v12, 32, v12
	v_lshrrev_b32_e32 v6, 27, v8
	v_subrev_u32_e32 v13, 28, v12
	v_and_b32_e32 v3, 0x80000000, v8
	v_and_b32_e32 v6, 15, v6
	v_bfe_u32 v7, v8, 27, 4
	v_lshlrev_b32_sdwa v8, v13, v8 dst_sel:DWORD dst_unused:UNUSED_PAD src0_sel:DWORD src1_sel:BYTE_3
	v_sub_u32_e32 v12, 29, v12
	v_and_b32_e32 v8, 7, v8
	v_cmp_eq_u16_e32 vcc, 0, v6
	v_cndmask_b32_e32 v2, v2, v8, vcc
	v_cndmask_b32_e32 v6, v7, v12, vcc
	v_mov_b32_e32 v7, 0x3b800000
	v_lshlrev_b32_e32 v2, 20, v2
	v_lshl_add_u32 v6, v6, 23, v7
	v_or3_b32 v2, v3, v6, v2
.LBB14_1500:
	s_or_b64 exec, exec, s[6:7]
	s_movk_i32 s4, 0x7f
	v_cmp_gt_i16_sdwa s[6:7], v4, s4 src0_sel:BYTE_3 src1_sel:DWORD
	s_mov_b64 s[4:5], 0
                                        ; implicit-def: $sgpr10
	s_and_saveexec_b64 s[8:9], s[6:7]
	s_xor_b64 s[6:7], exec, s[8:9]
	s_cbranch_execnz .LBB14_3549
; %bb.1501:
	s_or_saveexec_b64 s[6:7], s[6:7]
	v_mov_b32_e32 v3, s10
	s_xor_b64 exec, exec, s[6:7]
	s_cbranch_execnz .LBB14_3552
.LBB14_1502:
	s_or_b64 exec, exec, s[6:7]
	s_and_saveexec_b64 s[6:7], s[4:5]
	s_cbranch_execz .LBB14_1504
.LBB14_1503:
	v_bfe_u32 v3, v4, 24, 3
	v_ffbh_u32_e32 v12, v3
	v_min_u32_e32 v12, 32, v12
	v_lshrrev_b32_e32 v7, 27, v4
	v_subrev_u32_e32 v13, 28, v12
	v_and_b32_e32 v6, 0x80000000, v4
	v_and_b32_e32 v7, 15, v7
	v_bfe_u32 v8, v4, 27, 4
	v_lshlrev_b32_sdwa v4, v13, v4 dst_sel:DWORD dst_unused:UNUSED_PAD src0_sel:DWORD src1_sel:BYTE_3
	v_sub_u32_e32 v12, 29, v12
	v_and_b32_e32 v4, 7, v4
	v_cmp_eq_u16_e32 vcc, 0, v7
	v_cndmask_b32_e32 v3, v3, v4, vcc
	v_cndmask_b32_e32 v4, v8, v12, vcc
	v_mov_b32_e32 v7, 0x3b800000
	v_lshlrev_b32_e32 v3, 20, v3
	v_lshl_add_u32 v4, v4, 23, v7
	v_or3_b32 v3, v6, v4, v3
.LBB14_1504:
	s_or_b64 exec, exec, s[6:7]
	s_nop 0
	v_mfma_f32_16x16x4f32 a[0:3], v2, v3, a[0:3]
	s_movk_i32 s4, 0x7f
	v_cmp_gt_i16_sdwa s[6:7], v9, s4 src0_sel:BYTE_0 src1_sel:DWORD
	s_mov_b64 s[4:5], 0
                                        ; implicit-def: $sgpr10
	s_and_saveexec_b64 s[8:9], s[6:7]
	s_xor_b64 s[6:7], exec, s[8:9]
	s_cbranch_execnz .LBB14_3553
; %bb.1505:
	s_or_saveexec_b64 s[6:7], s[6:7]
	v_mov_b32_e32 v2, s10
	s_xor_b64 exec, exec, s[6:7]
	s_cbranch_execnz .LBB14_3556
.LBB14_1506:
	s_or_b64 exec, exec, s[6:7]
	s_and_saveexec_b64 s[6:7], s[4:5]
	s_cbranch_execz .LBB14_1508
.LBB14_1507:
	v_mov_b32_e32 v2, 8
	v_and_b32_e32 v3, 7, v9
	v_lshrrev_b32_sdwa v2, v2, v9 dst_sel:BYTE_1 dst_unused:UNUSED_PAD src0_sel:DWORD src1_sel:DWORD
	v_ffbh_u32_e32 v4, v3
	v_or_b32_sdwa v2, v9, v2 dst_sel:DWORD dst_unused:UNUSED_PAD src0_sel:BYTE_0 src1_sel:DWORD
	v_min_u32_e32 v4, 32, v4
	v_lshrrev_b16_e32 v2, 3, v2
	v_subrev_u32_e32 v6, 28, v4
	v_and_b32_e32 v2, 15, v2
	v_lshlrev_b32_e32 v6, v6, v9
	v_sub_u32_e32 v4, 29, v4
	v_and_b32_e32 v6, 7, v6
	v_cmp_eq_u16_e32 vcc, 0, v2
	v_cndmask_b32_e32 v3, v3, v6, vcc
	v_cndmask_b32_e32 v2, v2, v4, vcc
	v_lshlrev_b32_e32 v4, 24, v9
	v_mov_b32_e32 v6, 0x3b800000
	v_lshlrev_b32_e32 v3, 20, v3
	v_and_b32_e32 v4, 0x80000000, v4
	v_lshl_add_u32 v2, v2, 23, v6
	v_or3_b32 v2, v4, v2, v3
.LBB14_1508:
	s_or_b64 exec, exec, s[6:7]
	s_movk_i32 s4, 0x7f
	v_cmp_gt_i16_sdwa s[6:7], v5, s4 src0_sel:BYTE_0 src1_sel:DWORD
	s_mov_b64 s[4:5], 0
                                        ; implicit-def: $sgpr10
	s_and_saveexec_b64 s[8:9], s[6:7]
	s_xor_b64 s[6:7], exec, s[8:9]
	s_cbranch_execnz .LBB14_3557
; %bb.1509:
	s_or_saveexec_b64 s[6:7], s[6:7]
	v_mov_b32_e32 v3, s10
	s_xor_b64 exec, exec, s[6:7]
	s_cbranch_execnz .LBB14_3560
.LBB14_1510:
	s_or_b64 exec, exec, s[6:7]
	s_and_saveexec_b64 s[6:7], s[4:5]
	s_cbranch_execz .LBB14_1512
.LBB14_1511:
	v_mov_b32_e32 v3, 8
	v_and_b32_e32 v4, 7, v5
	v_lshrrev_b32_sdwa v3, v3, v5 dst_sel:BYTE_1 dst_unused:UNUSED_PAD src0_sel:DWORD src1_sel:DWORD
	v_ffbh_u32_e32 v6, v4
	v_or_b32_sdwa v3, v5, v3 dst_sel:DWORD dst_unused:UNUSED_PAD src0_sel:BYTE_0 src1_sel:DWORD
	v_min_u32_e32 v6, 32, v6
	v_lshrrev_b16_e32 v3, 3, v3
	v_subrev_u32_e32 v7, 28, v6
	v_and_b32_e32 v3, 15, v3
	v_lshlrev_b32_e32 v7, v7, v5
	v_sub_u32_e32 v6, 29, v6
	v_and_b32_e32 v7, 7, v7
	v_cmp_eq_u16_e32 vcc, 0, v3
	v_cndmask_b32_e32 v4, v4, v7, vcc
	v_cndmask_b32_e32 v3, v3, v6, vcc
	v_lshlrev_b32_e32 v6, 24, v5
	v_mov_b32_e32 v7, 0x3b800000
	v_lshlrev_b32_e32 v4, 20, v4
	v_and_b32_e32 v6, 0x80000000, v6
	v_lshl_add_u32 v3, v3, 23, v7
	v_or3_b32 v3, v6, v3, v4
.LBB14_1512:
	s_or_b64 exec, exec, s[6:7]
	s_nop 0
	v_mfma_f32_16x16x4f32 a[0:3], v2, v3, a[0:3]
	v_lshrrev_b32_e32 v3, 8, v9
	s_movk_i32 s4, 0x7f
	v_cmp_gt_i16_sdwa s[6:7], v3, s4 src0_sel:BYTE_0 src1_sel:DWORD
	s_mov_b64 s[4:5], 0
                                        ; implicit-def: $sgpr10
	s_and_saveexec_b64 s[8:9], s[6:7]
	s_xor_b64 s[6:7], exec, s[8:9]
	s_cbranch_execnz .LBB14_3561
; %bb.1513:
	s_or_saveexec_b64 s[6:7], s[6:7]
	v_mov_b32_e32 v2, s10
	s_xor_b64 exec, exec, s[6:7]
	s_cbranch_execnz .LBB14_3564
.LBB14_1514:
	s_or_b64 exec, exec, s[6:7]
	s_and_saveexec_b64 s[6:7], s[4:5]
	s_cbranch_execz .LBB14_1516
.LBB14_1515:
	v_bfe_u32 v2, v9, 8, 3
	v_ffbh_u32_e32 v6, v2
	v_min_u32_e32 v6, 32, v6
	v_lshrrev_b16_e32 v4, 3, v3
	v_subrev_u32_e32 v7, 28, v6
	v_and_b32_e32 v4, 15, v4
	v_lshlrev_b32_e32 v3, v7, v3
	v_sub_u32_e32 v6, 29, v6
	v_and_b32_e32 v3, 7, v3
	v_cmp_eq_u16_e32 vcc, 0, v4
	v_cndmask_b32_e32 v2, v2, v3, vcc
	v_cndmask_b32_e32 v3, v4, v6, vcc
	v_lshlrev_b32_e32 v4, 16, v9
	v_mov_b32_e32 v6, 0x3b800000
	v_lshlrev_b32_e32 v2, 20, v2
	v_and_b32_e32 v4, 0x80000000, v4
	v_lshl_add_u32 v3, v3, 23, v6
	v_or3_b32 v2, v4, v3, v2
.LBB14_1516:
	s_or_b64 exec, exec, s[6:7]
	v_lshrrev_b32_e32 v3, 8, v5
	s_movk_i32 s4, 0x7f
	v_cmp_gt_i16_sdwa s[6:7], v3, s4 src0_sel:BYTE_0 src1_sel:DWORD
	s_mov_b64 s[4:5], 0
                                        ; implicit-def: $sgpr10
	s_and_saveexec_b64 s[8:9], s[6:7]
	s_xor_b64 s[6:7], exec, s[8:9]
	s_cbranch_execnz .LBB14_3565
; %bb.1517:
	s_or_saveexec_b64 s[6:7], s[6:7]
	v_mov_b32_e32 v4, s10
	s_xor_b64 exec, exec, s[6:7]
	s_cbranch_execnz .LBB14_3568
.LBB14_1518:
	s_or_b64 exec, exec, s[6:7]
	s_and_saveexec_b64 s[6:7], s[4:5]
	s_cbranch_execz .LBB14_1520
.LBB14_1519:
	v_bfe_u32 v4, v5, 8, 3
	v_ffbh_u32_e32 v7, v4
	v_min_u32_e32 v7, 32, v7
	v_lshrrev_b16_e32 v6, 3, v3
	v_subrev_u32_e32 v8, 28, v7
	v_and_b32_e32 v6, 15, v6
	v_lshlrev_b32_e32 v3, v8, v3
	v_sub_u32_e32 v7, 29, v7
	v_and_b32_e32 v3, 7, v3
	v_cmp_eq_u16_e32 vcc, 0, v6
	v_cndmask_b32_e32 v3, v4, v3, vcc
	v_cndmask_b32_e32 v4, v6, v7, vcc
	v_lshlrev_b32_e32 v6, 16, v5
	v_mov_b32_e32 v7, 0x3b800000
	v_lshlrev_b32_e32 v3, 20, v3
	v_and_b32_e32 v6, 0x80000000, v6
	v_lshl_add_u32 v4, v4, 23, v7
	v_or3_b32 v4, v6, v4, v3
.LBB14_1520:
	s_or_b64 exec, exec, s[6:7]
	s_nop 0
	v_mfma_f32_16x16x4f32 a[0:3], v2, v4, a[0:3]
	s_movk_i32 s4, 0xff
	v_and_b32_sdwa v3, v9, s4 dst_sel:DWORD dst_unused:UNUSED_PAD src0_sel:WORD_1 src1_sel:DWORD
	s_movk_i32 s4, 0x7f
	v_cmp_lt_i16_e32 vcc, s4, v3
	s_mov_b64 s[4:5], 0
                                        ; implicit-def: $sgpr10
	s_and_saveexec_b64 s[6:7], vcc
	s_xor_b64 s[6:7], exec, s[6:7]
	s_cbranch_execnz .LBB14_3569
; %bb.1521:
	s_or_saveexec_b64 s[6:7], s[6:7]
	v_mov_b32_e32 v2, s10
	s_xor_b64 exec, exec, s[6:7]
	s_cbranch_execnz .LBB14_3572
.LBB14_1522:
	s_or_b64 exec, exec, s[6:7]
	s_and_saveexec_b64 s[6:7], s[4:5]
	s_cbranch_execz .LBB14_1524
.LBB14_1523:
	v_bfe_u32 v2, v9, 16, 3
	v_ffbh_u32_e32 v6, v2
	v_min_u32_e32 v6, 32, v6
	v_lshrrev_b32_e32 v3, 19, v9
	v_subrev_u32_e32 v7, 28, v6
	v_and_b32_e32 v3, 15, v3
	v_lshlrev_b32_sdwa v7, v7, v9 dst_sel:DWORD dst_unused:UNUSED_PAD src0_sel:DWORD src1_sel:WORD_1
	v_bfe_u32 v4, v9, 19, 4
	v_sub_u32_e32 v6, 29, v6
	v_and_b32_e32 v7, 7, v7
	v_cmp_eq_u16_e32 vcc, 0, v3
	v_cndmask_b32_e32 v2, v2, v7, vcc
	v_cndmask_b32_e32 v3, v4, v6, vcc
	v_lshlrev_b32_e32 v4, 8, v9
	v_mov_b32_e32 v6, 0x3b800000
	v_lshlrev_b32_e32 v2, 20, v2
	v_and_b32_e32 v4, 0x80000000, v4
	v_lshl_add_u32 v3, v3, 23, v6
	v_or3_b32 v2, v4, v3, v2
.LBB14_1524:
	s_or_b64 exec, exec, s[6:7]
	s_movk_i32 s4, 0xff
	v_and_b32_sdwa v3, v5, s4 dst_sel:DWORD dst_unused:UNUSED_PAD src0_sel:WORD_1 src1_sel:DWORD
	s_movk_i32 s4, 0x7f
	v_cmp_lt_i16_e32 vcc, s4, v3
	s_mov_b64 s[4:5], 0
                                        ; implicit-def: $sgpr10
	s_and_saveexec_b64 s[6:7], vcc
	s_xor_b64 s[6:7], exec, s[6:7]
	s_cbranch_execnz .LBB14_3573
; %bb.1525:
	s_or_saveexec_b64 s[6:7], s[6:7]
	v_mov_b32_e32 v4, s10
	s_xor_b64 exec, exec, s[6:7]
	s_cbranch_execnz .LBB14_3576
.LBB14_1526:
	s_or_b64 exec, exec, s[6:7]
	s_and_saveexec_b64 s[6:7], s[4:5]
	s_cbranch_execz .LBB14_1528
.LBB14_1527:
	v_bfe_u32 v3, v5, 16, 3
	v_ffbh_u32_e32 v7, v3
	v_min_u32_e32 v7, 32, v7
	v_lshrrev_b32_e32 v4, 19, v5
	v_subrev_u32_e32 v8, 28, v7
	v_and_b32_e32 v4, 15, v4
	v_lshlrev_b32_sdwa v8, v8, v5 dst_sel:DWORD dst_unused:UNUSED_PAD src0_sel:DWORD src1_sel:WORD_1
	v_bfe_u32 v6, v5, 19, 4
	v_sub_u32_e32 v7, 29, v7
	v_and_b32_e32 v8, 7, v8
	v_cmp_eq_u16_e32 vcc, 0, v4
	v_cndmask_b32_e32 v3, v3, v8, vcc
	v_cndmask_b32_e32 v4, v6, v7, vcc
	v_lshlrev_b32_e32 v6, 8, v5
	v_mov_b32_e32 v7, 0x3b800000
	v_lshlrev_b32_e32 v3, 20, v3
	v_and_b32_e32 v6, 0x80000000, v6
	v_lshl_add_u32 v4, v4, 23, v7
	v_or3_b32 v4, v6, v4, v3
.LBB14_1528:
	s_or_b64 exec, exec, s[6:7]
	s_nop 0
	v_mfma_f32_16x16x4f32 a[0:3], v2, v4, a[0:3]
	s_movk_i32 s4, 0x7f
	v_cmp_gt_i16_sdwa s[6:7], v9, s4 src0_sel:BYTE_3 src1_sel:DWORD
	s_mov_b64 s[4:5], 0
                                        ; implicit-def: $sgpr10
	s_and_saveexec_b64 s[8:9], s[6:7]
	s_xor_b64 s[6:7], exec, s[8:9]
	s_cbranch_execnz .LBB14_3577
; %bb.1529:
	s_or_saveexec_b64 s[6:7], s[6:7]
	v_mov_b32_e32 v2, s10
	s_xor_b64 exec, exec, s[6:7]
	s_cbranch_execnz .LBB14_3580
.LBB14_1530:
	s_or_b64 exec, exec, s[6:7]
	s_and_saveexec_b64 s[6:7], s[4:5]
	s_cbranch_execz .LBB14_1532
.LBB14_1531:
	v_bfe_u32 v2, v9, 24, 3
	v_ffbh_u32_e32 v7, v2
	v_min_u32_e32 v7, 32, v7
	v_lshrrev_b32_e32 v4, 27, v9
	v_subrev_u32_e32 v8, 28, v7
	v_and_b32_e32 v4, 15, v4
	v_lshlrev_b32_sdwa v8, v8, v9 dst_sel:DWORD dst_unused:UNUSED_PAD src0_sel:DWORD src1_sel:BYTE_3
	v_bfe_u32 v6, v9, 27, 4
	v_sub_u32_e32 v7, 29, v7
	v_and_b32_e32 v8, 7, v8
	v_cmp_eq_u16_e32 vcc, 0, v4
	v_cndmask_b32_e32 v2, v2, v8, vcc
	v_cndmask_b32_e32 v4, v6, v7, vcc
	v_mov_b32_e32 v6, 0x3b800000
	v_and_b32_e32 v3, 0x80000000, v9
	v_lshlrev_b32_e32 v2, 20, v2
	v_lshl_add_u32 v4, v4, 23, v6
	v_or3_b32 v2, v3, v4, v2
.LBB14_1532:
	s_or_b64 exec, exec, s[6:7]
	s_movk_i32 s4, 0x7f
	v_cmp_gt_i16_sdwa s[6:7], v5, s4 src0_sel:BYTE_3 src1_sel:DWORD
	s_mov_b64 s[4:5], 0
                                        ; implicit-def: $sgpr10
	s_and_saveexec_b64 s[8:9], s[6:7]
	s_xor_b64 s[6:7], exec, s[8:9]
	s_cbranch_execnz .LBB14_3581
; %bb.1533:
	s_or_saveexec_b64 s[6:7], s[6:7]
	v_mov_b32_e32 v3, s10
	s_xor_b64 exec, exec, s[6:7]
	s_cbranch_execnz .LBB14_3584
.LBB14_1534:
	s_or_b64 exec, exec, s[6:7]
	s_and_saveexec_b64 s[6:7], s[4:5]
	s_cbranch_execz .LBB14_1536
.LBB14_1535:
	v_bfe_u32 v3, v5, 24, 3
	v_ffbh_u32_e32 v8, v3
	v_min_u32_e32 v8, 32, v8
	v_lshrrev_b32_e32 v6, 27, v5
	v_subrev_u32_e32 v9, 28, v8
	v_and_b32_e32 v4, 0x80000000, v5
	v_and_b32_e32 v6, 15, v6
	v_bfe_u32 v7, v5, 27, 4
	v_lshlrev_b32_sdwa v5, v9, v5 dst_sel:DWORD dst_unused:UNUSED_PAD src0_sel:DWORD src1_sel:BYTE_3
	v_sub_u32_e32 v8, 29, v8
	v_and_b32_e32 v5, 7, v5
	v_cmp_eq_u16_e32 vcc, 0, v6
	v_cndmask_b32_e32 v3, v3, v5, vcc
	v_cndmask_b32_e32 v5, v7, v8, vcc
	v_mov_b32_e32 v6, 0x3b800000
	v_lshlrev_b32_e32 v3, 20, v3
	v_lshl_add_u32 v5, v5, 23, v6
	v_or3_b32 v3, v4, v5, v3
.LBB14_1536:
	s_or_b64 exec, exec, s[6:7]
	s_nop 0
	v_mfma_f32_16x16x4f32 a[0:3], v2, v3, a[0:3]
	s_movk_i32 s4, 0x7f
                                        ; implicit-def: $sgpr10
	s_nop 7
	s_nop 1
	flat_store_dwordx4 v[10:11], a[0:3] offset:176
	flat_load_dwordx4 v[12:15], v[0:1] offset:8
	s_nop 0
	flat_load_dwordx2 v[10:11], v[0:1] offset:32
	s_waitcnt vmcnt(0) lgkmcnt(0)
	flat_load_dwordx4 v[6:9], v[12:13] offset:96
	flat_load_dwordx4 v[2:5], v[14:15]
	s_waitcnt vmcnt(0) lgkmcnt(0)
	v_cmp_gt_i16_sdwa s[6:7], v6, s4 src0_sel:BYTE_0 src1_sel:DWORD
	s_mov_b64 s[4:5], 0
	s_and_saveexec_b64 s[8:9], s[6:7]
	s_xor_b64 s[6:7], exec, s[8:9]
	s_cbranch_execnz .LBB14_3585
; %bb.1537:
	s_or_saveexec_b64 s[6:7], s[6:7]
	v_mov_b32_e32 v12, s10
	s_xor_b64 exec, exec, s[6:7]
	s_cbranch_execnz .LBB14_3588
.LBB14_1538:
	s_or_b64 exec, exec, s[6:7]
	s_and_saveexec_b64 s[6:7], s[4:5]
	s_cbranch_execz .LBB14_1540
.LBB14_1539:
	v_and_b32_e32 v12, 7, v6
	v_ffbh_u32_e32 v14, v12
	v_min_u32_e32 v14, 32, v14
	v_lshrrev_b16_e32 v13, 3, v6
	v_subrev_u32_e32 v15, 28, v14
	v_and_b32_e32 v13, 15, v13
	v_lshlrev_b32_e32 v15, v15, v6
	v_sub_u32_e32 v14, 29, v14
	v_and_b32_e32 v15, 7, v15
	v_cmp_eq_u16_e32 vcc, 0, v13
	v_cndmask_b32_e32 v12, v12, v15, vcc
	v_cndmask_b32_e32 v13, v13, v14, vcc
	v_lshlrev_b32_e32 v14, 24, v6
	v_mov_b32_e32 v15, 0x3b800000
	v_lshlrev_b32_e32 v12, 20, v12
	v_and_b32_e32 v14, 0x80000000, v14
	v_lshl_add_u32 v13, v13, 23, v15
	v_or3_b32 v12, v14, v13, v12
.LBB14_1540:
	s_or_b64 exec, exec, s[6:7]
	s_movk_i32 s4, 0x7f
	v_cmp_gt_i16_sdwa s[6:7], v2, s4 src0_sel:BYTE_0 src1_sel:DWORD
	s_mov_b64 s[4:5], 0
                                        ; implicit-def: $sgpr10
	s_and_saveexec_b64 s[8:9], s[6:7]
	s_xor_b64 s[6:7], exec, s[8:9]
	s_cbranch_execnz .LBB14_3589
; %bb.1541:
	s_or_saveexec_b64 s[6:7], s[6:7]
	v_mov_b32_e32 v13, s10
	s_xor_b64 exec, exec, s[6:7]
	s_cbranch_execnz .LBB14_3592
.LBB14_1542:
	s_or_b64 exec, exec, s[6:7]
	s_and_saveexec_b64 s[6:7], s[4:5]
	s_cbranch_execz .LBB14_1544
.LBB14_1543:
	v_and_b32_e32 v13, 7, v2
	v_ffbh_u32_e32 v15, v13
	v_min_u32_e32 v15, 32, v15
	v_lshrrev_b16_e32 v14, 3, v2
	v_subrev_u32_e32 v16, 28, v15
	v_and_b32_e32 v14, 15, v14
	v_lshlrev_b32_e32 v16, v16, v2
	v_sub_u32_e32 v15, 29, v15
	v_and_b32_e32 v16, 7, v16
	v_cmp_eq_u16_e32 vcc, 0, v14
	v_cndmask_b32_e32 v13, v13, v16, vcc
	v_cndmask_b32_e32 v14, v14, v15, vcc
	v_lshlrev_b32_e32 v15, 24, v2
	v_mov_b32_e32 v16, 0x3b800000
	v_lshlrev_b32_e32 v13, 20, v13
	v_and_b32_e32 v15, 0x80000000, v15
	v_lshl_add_u32 v14, v14, 23, v16
	v_or3_b32 v13, v15, v14, v13
.LBB14_1544:
	s_or_b64 exec, exec, s[6:7]
	flat_load_dwordx4 a[0:3], v[10:11] offset:192
	s_movk_i32 s4, 0x7f
                                        ; implicit-def: $sgpr10
	s_waitcnt vmcnt(0) lgkmcnt(0)
	v_mfma_f32_16x16x4f32 a[0:3], v12, v13, a[0:3]
	v_lshrrev_b32_e32 v13, 8, v6
	v_cmp_gt_i16_sdwa s[6:7], v13, s4 src0_sel:BYTE_0 src1_sel:DWORD
	s_mov_b64 s[4:5], 0
	s_and_saveexec_b64 s[8:9], s[6:7]
	s_xor_b64 s[6:7], exec, s[8:9]
	s_cbranch_execnz .LBB14_3593
; %bb.1545:
	s_or_saveexec_b64 s[6:7], s[6:7]
	v_mov_b32_e32 v12, s10
	s_xor_b64 exec, exec, s[6:7]
	s_cbranch_execnz .LBB14_3596
.LBB14_1546:
	s_or_b64 exec, exec, s[6:7]
	s_and_saveexec_b64 s[6:7], s[4:5]
	s_cbranch_execz .LBB14_1548
.LBB14_1547:
	v_bfe_u32 v12, v6, 8, 3
	v_ffbh_u32_e32 v15, v12
	v_min_u32_e32 v15, 32, v15
	v_lshrrev_b16_e32 v14, 3, v13
	v_subrev_u32_e32 v16, 28, v15
	v_and_b32_e32 v14, 15, v14
	v_lshlrev_b32_e32 v13, v16, v13
	v_sub_u32_e32 v15, 29, v15
	v_and_b32_e32 v13, 7, v13
	v_cmp_eq_u16_e32 vcc, 0, v14
	v_cndmask_b32_e32 v12, v12, v13, vcc
	v_cndmask_b32_e32 v13, v14, v15, vcc
	v_lshlrev_b32_e32 v14, 16, v6
	v_mov_b32_e32 v15, 0x3b800000
	v_lshlrev_b32_e32 v12, 20, v12
	v_and_b32_e32 v14, 0x80000000, v14
	v_lshl_add_u32 v13, v13, 23, v15
	v_or3_b32 v12, v14, v13, v12
.LBB14_1548:
	s_or_b64 exec, exec, s[6:7]
	v_lshrrev_b32_e32 v13, 8, v2
	s_movk_i32 s4, 0x7f
	v_cmp_gt_i16_sdwa s[6:7], v13, s4 src0_sel:BYTE_0 src1_sel:DWORD
	s_mov_b64 s[4:5], 0
                                        ; implicit-def: $sgpr10
	s_and_saveexec_b64 s[8:9], s[6:7]
	s_xor_b64 s[6:7], exec, s[8:9]
	s_cbranch_execnz .LBB14_3597
; %bb.1549:
	s_or_saveexec_b64 s[6:7], s[6:7]
	v_mov_b32_e32 v14, s10
	s_xor_b64 exec, exec, s[6:7]
	s_cbranch_execnz .LBB14_3600
.LBB14_1550:
	s_or_b64 exec, exec, s[6:7]
	s_and_saveexec_b64 s[6:7], s[4:5]
	s_cbranch_execz .LBB14_1552
.LBB14_1551:
	v_bfe_u32 v14, v2, 8, 3
	v_ffbh_u32_e32 v16, v14
	v_min_u32_e32 v16, 32, v16
	v_lshrrev_b16_e32 v15, 3, v13
	v_subrev_u32_e32 v17, 28, v16
	v_and_b32_e32 v15, 15, v15
	v_lshlrev_b32_e32 v13, v17, v13
	v_sub_u32_e32 v16, 29, v16
	v_and_b32_e32 v13, 7, v13
	v_cmp_eq_u16_e32 vcc, 0, v15
	v_cndmask_b32_e32 v13, v14, v13, vcc
	v_cndmask_b32_e32 v14, v15, v16, vcc
	v_lshlrev_b32_e32 v15, 16, v2
	v_mov_b32_e32 v16, 0x3b800000
	v_lshlrev_b32_e32 v13, 20, v13
	v_and_b32_e32 v15, 0x80000000, v15
	v_lshl_add_u32 v14, v14, 23, v16
	v_or3_b32 v14, v15, v14, v13
.LBB14_1552:
	s_or_b64 exec, exec, s[6:7]
	s_nop 0
	v_mfma_f32_16x16x4f32 a[0:3], v12, v14, a[0:3]
	s_movk_i32 s4, 0xff
	v_and_b32_sdwa v13, v6, s4 dst_sel:DWORD dst_unused:UNUSED_PAD src0_sel:WORD_1 src1_sel:DWORD
	s_movk_i32 s4, 0x7f
	v_cmp_lt_i16_e32 vcc, s4, v13
	s_mov_b64 s[4:5], 0
                                        ; implicit-def: $sgpr10
	s_and_saveexec_b64 s[6:7], vcc
	s_xor_b64 s[6:7], exec, s[6:7]
	s_cbranch_execnz .LBB14_3601
; %bb.1553:
	s_or_saveexec_b64 s[6:7], s[6:7]
	v_mov_b32_e32 v12, s10
	s_xor_b64 exec, exec, s[6:7]
	s_cbranch_execnz .LBB14_3604
.LBB14_1554:
	s_or_b64 exec, exec, s[6:7]
	s_and_saveexec_b64 s[6:7], s[4:5]
	s_cbranch_execz .LBB14_1556
.LBB14_1555:
	v_bfe_u32 v12, v6, 16, 3
	v_ffbh_u32_e32 v15, v12
	v_min_u32_e32 v15, 32, v15
	v_lshrrev_b32_e32 v13, 19, v6
	v_subrev_u32_e32 v16, 28, v15
	v_and_b32_e32 v13, 15, v13
	v_lshlrev_b32_sdwa v16, v16, v6 dst_sel:DWORD dst_unused:UNUSED_PAD src0_sel:DWORD src1_sel:WORD_1
	v_bfe_u32 v14, v6, 19, 4
	v_sub_u32_e32 v15, 29, v15
	v_and_b32_e32 v16, 7, v16
	v_cmp_eq_u16_e32 vcc, 0, v13
	v_cndmask_b32_e32 v12, v12, v16, vcc
	v_cndmask_b32_e32 v13, v14, v15, vcc
	v_lshlrev_b32_e32 v14, 8, v6
	v_mov_b32_e32 v15, 0x3b800000
	v_lshlrev_b32_e32 v12, 20, v12
	v_and_b32_e32 v14, 0x80000000, v14
	v_lshl_add_u32 v13, v13, 23, v15
	v_or3_b32 v12, v14, v13, v12
.LBB14_1556:
	s_or_b64 exec, exec, s[6:7]
	s_movk_i32 s4, 0xff
	v_and_b32_sdwa v13, v2, s4 dst_sel:DWORD dst_unused:UNUSED_PAD src0_sel:WORD_1 src1_sel:DWORD
	s_movk_i32 s4, 0x7f
	v_cmp_lt_i16_e32 vcc, s4, v13
	s_mov_b64 s[4:5], 0
                                        ; implicit-def: $sgpr10
	s_and_saveexec_b64 s[6:7], vcc
	s_xor_b64 s[6:7], exec, s[6:7]
	s_cbranch_execnz .LBB14_3605
; %bb.1557:
	s_or_saveexec_b64 s[6:7], s[6:7]
	v_mov_b32_e32 v14, s10
	s_xor_b64 exec, exec, s[6:7]
	s_cbranch_execnz .LBB14_3608
.LBB14_1558:
	s_or_b64 exec, exec, s[6:7]
	s_and_saveexec_b64 s[6:7], s[4:5]
	s_cbranch_execz .LBB14_1560
.LBB14_1559:
	v_bfe_u32 v13, v2, 16, 3
	v_ffbh_u32_e32 v16, v13
	v_min_u32_e32 v16, 32, v16
	v_lshrrev_b32_e32 v14, 19, v2
	v_subrev_u32_e32 v17, 28, v16
	v_and_b32_e32 v14, 15, v14
	v_lshlrev_b32_sdwa v17, v17, v2 dst_sel:DWORD dst_unused:UNUSED_PAD src0_sel:DWORD src1_sel:WORD_1
	v_bfe_u32 v15, v2, 19, 4
	v_sub_u32_e32 v16, 29, v16
	v_and_b32_e32 v17, 7, v17
	v_cmp_eq_u16_e32 vcc, 0, v14
	v_cndmask_b32_e32 v13, v13, v17, vcc
	v_cndmask_b32_e32 v14, v15, v16, vcc
	v_lshlrev_b32_e32 v15, 8, v2
	v_mov_b32_e32 v16, 0x3b800000
	v_lshlrev_b32_e32 v13, 20, v13
	v_and_b32_e32 v15, 0x80000000, v15
	v_lshl_add_u32 v14, v14, 23, v16
	v_or3_b32 v14, v15, v14, v13
.LBB14_1560:
	s_or_b64 exec, exec, s[6:7]
	s_nop 0
	v_mfma_f32_16x16x4f32 a[0:3], v12, v14, a[0:3]
	s_movk_i32 s4, 0x7f
	v_cmp_gt_i16_sdwa s[6:7], v6, s4 src0_sel:BYTE_3 src1_sel:DWORD
	s_mov_b64 s[4:5], 0
                                        ; implicit-def: $sgpr10
	s_and_saveexec_b64 s[8:9], s[6:7]
	s_xor_b64 s[6:7], exec, s[8:9]
	s_cbranch_execnz .LBB14_3609
; %bb.1561:
	s_or_saveexec_b64 s[6:7], s[6:7]
	v_mov_b32_e32 v12, s10
	s_xor_b64 exec, exec, s[6:7]
	s_cbranch_execnz .LBB14_3612
.LBB14_1562:
	s_or_b64 exec, exec, s[6:7]
	s_and_saveexec_b64 s[6:7], s[4:5]
	s_cbranch_execz .LBB14_1564
.LBB14_1563:
	v_bfe_u32 v12, v6, 24, 3
	v_ffbh_u32_e32 v16, v12
	v_min_u32_e32 v16, 32, v16
	v_lshrrev_b32_e32 v14, 27, v6
	v_subrev_u32_e32 v17, 28, v16
	v_and_b32_e32 v13, 0x80000000, v6
	v_and_b32_e32 v14, 15, v14
	v_bfe_u32 v15, v6, 27, 4
	v_lshlrev_b32_sdwa v6, v17, v6 dst_sel:DWORD dst_unused:UNUSED_PAD src0_sel:DWORD src1_sel:BYTE_3
	v_sub_u32_e32 v16, 29, v16
	v_and_b32_e32 v6, 7, v6
	v_cmp_eq_u16_e32 vcc, 0, v14
	v_cndmask_b32_e32 v6, v12, v6, vcc
	v_cndmask_b32_e32 v12, v15, v16, vcc
	v_mov_b32_e32 v14, 0x3b800000
	v_lshlrev_b32_e32 v6, 20, v6
	v_lshl_add_u32 v12, v12, 23, v14
	v_or3_b32 v12, v13, v12, v6
.LBB14_1564:
	s_or_b64 exec, exec, s[6:7]
	s_movk_i32 s4, 0x7f
	v_cmp_gt_i16_sdwa s[6:7], v2, s4 src0_sel:BYTE_3 src1_sel:DWORD
	s_mov_b64 s[4:5], 0
                                        ; implicit-def: $sgpr10
	s_and_saveexec_b64 s[8:9], s[6:7]
	s_xor_b64 s[6:7], exec, s[8:9]
	s_cbranch_execnz .LBB14_3613
; %bb.1565:
	s_or_saveexec_b64 s[6:7], s[6:7]
	v_mov_b32_e32 v6, s10
	s_xor_b64 exec, exec, s[6:7]
	s_cbranch_execnz .LBB14_3616
.LBB14_1566:
	s_or_b64 exec, exec, s[6:7]
	s_and_saveexec_b64 s[6:7], s[4:5]
	s_cbranch_execz .LBB14_1568
.LBB14_1567:
	v_bfe_u32 v6, v2, 24, 3
	v_ffbh_u32_e32 v16, v6
	v_min_u32_e32 v16, 32, v16
	v_lshrrev_b32_e32 v14, 27, v2
	v_subrev_u32_e32 v17, 28, v16
	v_and_b32_e32 v13, 0x80000000, v2
	v_and_b32_e32 v14, 15, v14
	v_bfe_u32 v15, v2, 27, 4
	v_lshlrev_b32_sdwa v2, v17, v2 dst_sel:DWORD dst_unused:UNUSED_PAD src0_sel:DWORD src1_sel:BYTE_3
	v_sub_u32_e32 v16, 29, v16
	v_and_b32_e32 v2, 7, v2
	v_cmp_eq_u16_e32 vcc, 0, v14
	v_cndmask_b32_e32 v2, v6, v2, vcc
	v_cndmask_b32_e32 v6, v15, v16, vcc
	v_mov_b32_e32 v14, 0x3b800000
	v_lshlrev_b32_e32 v2, 20, v2
	v_lshl_add_u32 v6, v6, 23, v14
	v_or3_b32 v6, v13, v6, v2
.LBB14_1568:
	s_or_b64 exec, exec, s[6:7]
	s_nop 0
	v_mfma_f32_16x16x4f32 a[0:3], v12, v6, a[0:3]
	s_movk_i32 s4, 0x7f
	v_cmp_gt_i16_sdwa s[6:7], v7, s4 src0_sel:BYTE_0 src1_sel:DWORD
	s_mov_b64 s[4:5], 0
                                        ; implicit-def: $sgpr10
	s_and_saveexec_b64 s[8:9], s[6:7]
	s_xor_b64 s[6:7], exec, s[8:9]
	s_cbranch_execnz .LBB14_3617
; %bb.1569:
	s_or_saveexec_b64 s[6:7], s[6:7]
	v_mov_b32_e32 v2, s10
	s_xor_b64 exec, exec, s[6:7]
	s_cbranch_execnz .LBB14_3620
.LBB14_1570:
	s_or_b64 exec, exec, s[6:7]
	s_and_saveexec_b64 s[6:7], s[4:5]
	s_cbranch_execz .LBB14_1572
.LBB14_1571:
	v_and_b32_e32 v2, 7, v7
	v_ffbh_u32_e32 v12, v2
	v_min_u32_e32 v12, 32, v12
	v_lshrrev_b16_e32 v6, 3, v7
	v_subrev_u32_e32 v13, 28, v12
	v_and_b32_e32 v6, 15, v6
	v_lshlrev_b32_e32 v13, v13, v7
	v_sub_u32_e32 v12, 29, v12
	v_and_b32_e32 v13, 7, v13
	v_cmp_eq_u16_e32 vcc, 0, v6
	v_cndmask_b32_e32 v2, v2, v13, vcc
	v_cndmask_b32_e32 v6, v6, v12, vcc
	v_lshlrev_b32_e32 v12, 24, v7
	v_mov_b32_e32 v13, 0x3b800000
	v_lshlrev_b32_e32 v2, 20, v2
	v_and_b32_e32 v12, 0x80000000, v12
	v_lshl_add_u32 v6, v6, 23, v13
	v_or3_b32 v2, v12, v6, v2
.LBB14_1572:
	s_or_b64 exec, exec, s[6:7]
	s_movk_i32 s4, 0x7f
	v_cmp_gt_i16_sdwa s[6:7], v3, s4 src0_sel:BYTE_0 src1_sel:DWORD
	s_mov_b64 s[4:5], 0
                                        ; implicit-def: $sgpr10
	s_and_saveexec_b64 s[8:9], s[6:7]
	s_xor_b64 s[6:7], exec, s[8:9]
	s_cbranch_execnz .LBB14_3621
; %bb.1573:
	s_or_saveexec_b64 s[6:7], s[6:7]
	v_mov_b32_e32 v6, s10
	s_xor_b64 exec, exec, s[6:7]
	s_cbranch_execnz .LBB14_3624
.LBB14_1574:
	s_or_b64 exec, exec, s[6:7]
	s_and_saveexec_b64 s[6:7], s[4:5]
	s_cbranch_execz .LBB14_1576
.LBB14_1575:
	v_and_b32_e32 v6, 7, v3
	v_ffbh_u32_e32 v13, v6
	v_min_u32_e32 v13, 32, v13
	v_lshrrev_b16_e32 v12, 3, v3
	v_subrev_u32_e32 v14, 28, v13
	v_and_b32_e32 v12, 15, v12
	v_lshlrev_b32_e32 v14, v14, v3
	v_sub_u32_e32 v13, 29, v13
	v_and_b32_e32 v14, 7, v14
	v_cmp_eq_u16_e32 vcc, 0, v12
	v_cndmask_b32_e32 v6, v6, v14, vcc
	v_cndmask_b32_e32 v12, v12, v13, vcc
	v_lshlrev_b32_e32 v13, 24, v3
	v_mov_b32_e32 v14, 0x3b800000
	v_lshlrev_b32_e32 v6, 20, v6
	v_and_b32_e32 v13, 0x80000000, v13
	v_lshl_add_u32 v12, v12, 23, v14
	v_or3_b32 v6, v13, v12, v6
.LBB14_1576:
	s_or_b64 exec, exec, s[6:7]
	s_nop 0
	v_mfma_f32_16x16x4f32 a[0:3], v2, v6, a[0:3]
	v_lshrrev_b32_e32 v6, 8, v7
	s_movk_i32 s4, 0x7f
	v_cmp_gt_i16_sdwa s[6:7], v6, s4 src0_sel:BYTE_0 src1_sel:DWORD
	s_mov_b64 s[4:5], 0
                                        ; implicit-def: $sgpr10
	s_and_saveexec_b64 s[8:9], s[6:7]
	s_xor_b64 s[6:7], exec, s[8:9]
	s_cbranch_execnz .LBB14_3625
; %bb.1577:
	s_or_saveexec_b64 s[6:7], s[6:7]
	v_mov_b32_e32 v2, s10
	s_xor_b64 exec, exec, s[6:7]
	s_cbranch_execnz .LBB14_3628
.LBB14_1578:
	s_or_b64 exec, exec, s[6:7]
	s_and_saveexec_b64 s[6:7], s[4:5]
	s_cbranch_execz .LBB14_1580
.LBB14_1579:
	v_bfe_u32 v2, v7, 8, 3
	v_ffbh_u32_e32 v13, v2
	v_min_u32_e32 v13, 32, v13
	v_lshrrev_b16_e32 v12, 3, v6
	v_subrev_u32_e32 v14, 28, v13
	v_and_b32_e32 v12, 15, v12
	v_lshlrev_b32_e32 v6, v14, v6
	v_sub_u32_e32 v13, 29, v13
	v_and_b32_e32 v6, 7, v6
	v_cmp_eq_u16_e32 vcc, 0, v12
	v_cndmask_b32_e32 v2, v2, v6, vcc
	v_cndmask_b32_e32 v6, v12, v13, vcc
	v_lshlrev_b32_e32 v12, 16, v7
	v_mov_b32_e32 v13, 0x3b800000
	v_lshlrev_b32_e32 v2, 20, v2
	v_and_b32_e32 v12, 0x80000000, v12
	v_lshl_add_u32 v6, v6, 23, v13
	v_or3_b32 v2, v12, v6, v2
.LBB14_1580:
	s_or_b64 exec, exec, s[6:7]
	v_lshrrev_b32_e32 v6, 8, v3
	s_movk_i32 s4, 0x7f
	v_cmp_gt_i16_sdwa s[6:7], v6, s4 src0_sel:BYTE_0 src1_sel:DWORD
	s_mov_b64 s[4:5], 0
                                        ; implicit-def: $sgpr10
	s_and_saveexec_b64 s[8:9], s[6:7]
	s_xor_b64 s[6:7], exec, s[8:9]
	s_cbranch_execnz .LBB14_3629
; %bb.1581:
	s_or_saveexec_b64 s[6:7], s[6:7]
	v_mov_b32_e32 v12, s10
	s_xor_b64 exec, exec, s[6:7]
	s_cbranch_execnz .LBB14_3632
.LBB14_1582:
	s_or_b64 exec, exec, s[6:7]
	s_and_saveexec_b64 s[6:7], s[4:5]
	s_cbranch_execz .LBB14_1584
.LBB14_1583:
	v_bfe_u32 v12, v3, 8, 3
	v_ffbh_u32_e32 v14, v12
	v_min_u32_e32 v14, 32, v14
	v_lshrrev_b16_e32 v13, 3, v6
	v_subrev_u32_e32 v15, 28, v14
	v_and_b32_e32 v13, 15, v13
	v_lshlrev_b32_e32 v6, v15, v6
	v_sub_u32_e32 v14, 29, v14
	v_and_b32_e32 v6, 7, v6
	v_cmp_eq_u16_e32 vcc, 0, v13
	v_cndmask_b32_e32 v6, v12, v6, vcc
	v_cndmask_b32_e32 v12, v13, v14, vcc
	v_lshlrev_b32_e32 v13, 16, v3
	v_mov_b32_e32 v14, 0x3b800000
	v_lshlrev_b32_e32 v6, 20, v6
	v_and_b32_e32 v13, 0x80000000, v13
	v_lshl_add_u32 v12, v12, 23, v14
	v_or3_b32 v12, v13, v12, v6
.LBB14_1584:
	s_or_b64 exec, exec, s[6:7]
	s_nop 0
	v_mfma_f32_16x16x4f32 a[0:3], v2, v12, a[0:3]
	s_movk_i32 s4, 0xff
	v_and_b32_sdwa v6, v7, s4 dst_sel:DWORD dst_unused:UNUSED_PAD src0_sel:WORD_1 src1_sel:DWORD
	s_movk_i32 s4, 0x7f
	v_cmp_lt_i16_e32 vcc, s4, v6
	s_mov_b64 s[4:5], 0
                                        ; implicit-def: $sgpr10
	s_and_saveexec_b64 s[6:7], vcc
	s_xor_b64 s[6:7], exec, s[6:7]
	s_cbranch_execnz .LBB14_3633
; %bb.1585:
	s_or_saveexec_b64 s[6:7], s[6:7]
	v_mov_b32_e32 v2, s10
	s_xor_b64 exec, exec, s[6:7]
	s_cbranch_execnz .LBB14_3636
.LBB14_1586:
	s_or_b64 exec, exec, s[6:7]
	s_and_saveexec_b64 s[6:7], s[4:5]
	s_cbranch_execz .LBB14_1588
.LBB14_1587:
	v_bfe_u32 v2, v7, 16, 3
	v_ffbh_u32_e32 v13, v2
	v_min_u32_e32 v13, 32, v13
	v_lshrrev_b32_e32 v6, 19, v7
	v_subrev_u32_e32 v14, 28, v13
	v_and_b32_e32 v6, 15, v6
	v_lshlrev_b32_sdwa v14, v14, v7 dst_sel:DWORD dst_unused:UNUSED_PAD src0_sel:DWORD src1_sel:WORD_1
	v_bfe_u32 v12, v7, 19, 4
	v_sub_u32_e32 v13, 29, v13
	v_and_b32_e32 v14, 7, v14
	v_cmp_eq_u16_e32 vcc, 0, v6
	v_cndmask_b32_e32 v2, v2, v14, vcc
	v_cndmask_b32_e32 v6, v12, v13, vcc
	v_lshlrev_b32_e32 v12, 8, v7
	v_mov_b32_e32 v13, 0x3b800000
	v_lshlrev_b32_e32 v2, 20, v2
	v_and_b32_e32 v12, 0x80000000, v12
	v_lshl_add_u32 v6, v6, 23, v13
	v_or3_b32 v2, v12, v6, v2
.LBB14_1588:
	s_or_b64 exec, exec, s[6:7]
	s_movk_i32 s4, 0xff
	v_and_b32_sdwa v6, v3, s4 dst_sel:DWORD dst_unused:UNUSED_PAD src0_sel:WORD_1 src1_sel:DWORD
	s_movk_i32 s4, 0x7f
	v_cmp_lt_i16_e32 vcc, s4, v6
	s_mov_b64 s[4:5], 0
                                        ; implicit-def: $sgpr10
	s_and_saveexec_b64 s[6:7], vcc
	s_xor_b64 s[6:7], exec, s[6:7]
	s_cbranch_execnz .LBB14_3637
; %bb.1589:
	s_or_saveexec_b64 s[6:7], s[6:7]
	v_mov_b32_e32 v12, s10
	s_xor_b64 exec, exec, s[6:7]
	s_cbranch_execnz .LBB14_3640
.LBB14_1590:
	s_or_b64 exec, exec, s[6:7]
	s_and_saveexec_b64 s[6:7], s[4:5]
	s_cbranch_execz .LBB14_1592
.LBB14_1591:
	v_bfe_u32 v6, v3, 16, 3
	v_ffbh_u32_e32 v14, v6
	v_min_u32_e32 v14, 32, v14
	v_lshrrev_b32_e32 v12, 19, v3
	v_subrev_u32_e32 v15, 28, v14
	v_and_b32_e32 v12, 15, v12
	v_lshlrev_b32_sdwa v15, v15, v3 dst_sel:DWORD dst_unused:UNUSED_PAD src0_sel:DWORD src1_sel:WORD_1
	v_bfe_u32 v13, v3, 19, 4
	v_sub_u32_e32 v14, 29, v14
	v_and_b32_e32 v15, 7, v15
	v_cmp_eq_u16_e32 vcc, 0, v12
	v_cndmask_b32_e32 v6, v6, v15, vcc
	v_cndmask_b32_e32 v12, v13, v14, vcc
	v_lshlrev_b32_e32 v13, 8, v3
	v_mov_b32_e32 v14, 0x3b800000
	v_lshlrev_b32_e32 v6, 20, v6
	v_and_b32_e32 v13, 0x80000000, v13
	v_lshl_add_u32 v12, v12, 23, v14
	v_or3_b32 v12, v13, v12, v6
.LBB14_1592:
	s_or_b64 exec, exec, s[6:7]
	s_nop 0
	v_mfma_f32_16x16x4f32 a[0:3], v2, v12, a[0:3]
	s_movk_i32 s4, 0x7f
	v_cmp_gt_i16_sdwa s[6:7], v7, s4 src0_sel:BYTE_3 src1_sel:DWORD
	s_mov_b64 s[4:5], 0
                                        ; implicit-def: $sgpr10
	s_and_saveexec_b64 s[8:9], s[6:7]
	s_xor_b64 s[6:7], exec, s[8:9]
	s_cbranch_execnz .LBB14_3641
; %bb.1593:
	s_or_saveexec_b64 s[6:7], s[6:7]
	v_mov_b32_e32 v2, s10
	s_xor_b64 exec, exec, s[6:7]
	s_cbranch_execnz .LBB14_3644
.LBB14_1594:
	s_or_b64 exec, exec, s[6:7]
	s_and_saveexec_b64 s[6:7], s[4:5]
	s_cbranch_execz .LBB14_1596
.LBB14_1595:
	v_bfe_u32 v2, v7, 24, 3
	v_ffbh_u32_e32 v14, v2
	v_min_u32_e32 v14, 32, v14
	v_lshrrev_b32_e32 v12, 27, v7
	v_subrev_u32_e32 v15, 28, v14
	v_and_b32_e32 v6, 0x80000000, v7
	v_and_b32_e32 v12, 15, v12
	v_bfe_u32 v13, v7, 27, 4
	v_lshlrev_b32_sdwa v7, v15, v7 dst_sel:DWORD dst_unused:UNUSED_PAD src0_sel:DWORD src1_sel:BYTE_3
	v_sub_u32_e32 v14, 29, v14
	v_and_b32_e32 v7, 7, v7
	v_cmp_eq_u16_e32 vcc, 0, v12
	v_cndmask_b32_e32 v2, v2, v7, vcc
	v_cndmask_b32_e32 v7, v13, v14, vcc
	v_mov_b32_e32 v12, 0x3b800000
	v_lshlrev_b32_e32 v2, 20, v2
	v_lshl_add_u32 v7, v7, 23, v12
	v_or3_b32 v2, v6, v7, v2
.LBB14_1596:
	s_or_b64 exec, exec, s[6:7]
	s_movk_i32 s4, 0x7f
	v_cmp_gt_i16_sdwa s[6:7], v3, s4 src0_sel:BYTE_3 src1_sel:DWORD
	s_mov_b64 s[4:5], 0
                                        ; implicit-def: $sgpr10
	s_and_saveexec_b64 s[8:9], s[6:7]
	s_xor_b64 s[6:7], exec, s[8:9]
	s_cbranch_execnz .LBB14_3645
; %bb.1597:
	s_or_saveexec_b64 s[6:7], s[6:7]
	v_mov_b32_e32 v6, s10
	s_xor_b64 exec, exec, s[6:7]
	s_cbranch_execnz .LBB14_3648
.LBB14_1598:
	s_or_b64 exec, exec, s[6:7]
	s_and_saveexec_b64 s[6:7], s[4:5]
	s_cbranch_execz .LBB14_1600
.LBB14_1599:
	v_bfe_u32 v6, v3, 24, 3
	v_ffbh_u32_e32 v14, v6
	v_min_u32_e32 v14, 32, v14
	v_lshrrev_b32_e32 v12, 27, v3
	v_subrev_u32_e32 v15, 28, v14
	v_and_b32_e32 v7, 0x80000000, v3
	v_and_b32_e32 v12, 15, v12
	v_bfe_u32 v13, v3, 27, 4
	v_lshlrev_b32_sdwa v3, v15, v3 dst_sel:DWORD dst_unused:UNUSED_PAD src0_sel:DWORD src1_sel:BYTE_3
	v_sub_u32_e32 v14, 29, v14
	v_and_b32_e32 v3, 7, v3
	v_cmp_eq_u16_e32 vcc, 0, v12
	v_cndmask_b32_e32 v3, v6, v3, vcc
	v_cndmask_b32_e32 v6, v13, v14, vcc
	v_mov_b32_e32 v12, 0x3b800000
	v_lshlrev_b32_e32 v3, 20, v3
	v_lshl_add_u32 v6, v6, 23, v12
	v_or3_b32 v6, v7, v6, v3
.LBB14_1600:
	s_or_b64 exec, exec, s[6:7]
	s_nop 0
	v_mfma_f32_16x16x4f32 a[0:3], v2, v6, a[0:3]
	s_movk_i32 s4, 0x7f
	v_cmp_gt_i16_sdwa s[6:7], v8, s4 src0_sel:BYTE_0 src1_sel:DWORD
	s_mov_b64 s[4:5], 0
                                        ; implicit-def: $sgpr10
	s_and_saveexec_b64 s[8:9], s[6:7]
	s_xor_b64 s[6:7], exec, s[8:9]
	s_cbranch_execnz .LBB14_3649
; %bb.1601:
	s_or_saveexec_b64 s[6:7], s[6:7]
	v_mov_b32_e32 v2, s10
	s_xor_b64 exec, exec, s[6:7]
	s_cbranch_execnz .LBB14_3652
.LBB14_1602:
	s_or_b64 exec, exec, s[6:7]
	s_and_saveexec_b64 s[6:7], s[4:5]
	s_cbranch_execz .LBB14_1604
.LBB14_1603:
	v_and_b32_e32 v2, 7, v8
	v_ffbh_u32_e32 v6, v2
	v_min_u32_e32 v6, 32, v6
	v_lshrrev_b16_e32 v3, 3, v8
	v_subrev_u32_e32 v7, 28, v6
	v_and_b32_e32 v3, 15, v3
	v_lshlrev_b32_e32 v7, v7, v8
	v_sub_u32_e32 v6, 29, v6
	v_and_b32_e32 v7, 7, v7
	v_cmp_eq_u16_e32 vcc, 0, v3
	v_cndmask_b32_e32 v2, v2, v7, vcc
	v_cndmask_b32_e32 v3, v3, v6, vcc
	v_lshlrev_b32_e32 v6, 24, v8
	v_mov_b32_e32 v7, 0x3b800000
	v_lshlrev_b32_e32 v2, 20, v2
	v_and_b32_e32 v6, 0x80000000, v6
	v_lshl_add_u32 v3, v3, 23, v7
	v_or3_b32 v2, v6, v3, v2
.LBB14_1604:
	s_or_b64 exec, exec, s[6:7]
	s_movk_i32 s4, 0x7f
	v_cmp_gt_i16_sdwa s[6:7], v4, s4 src0_sel:BYTE_0 src1_sel:DWORD
	s_mov_b64 s[4:5], 0
                                        ; implicit-def: $sgpr10
	s_and_saveexec_b64 s[8:9], s[6:7]
	s_xor_b64 s[6:7], exec, s[8:9]
	s_cbranch_execnz .LBB14_3653
; %bb.1605:
	s_or_saveexec_b64 s[6:7], s[6:7]
	v_mov_b32_e32 v3, s10
	s_xor_b64 exec, exec, s[6:7]
	s_cbranch_execnz .LBB14_3656
.LBB14_1606:
	s_or_b64 exec, exec, s[6:7]
	s_and_saveexec_b64 s[6:7], s[4:5]
	s_cbranch_execz .LBB14_1608
.LBB14_1607:
	v_and_b32_e32 v3, 7, v4
	v_ffbh_u32_e32 v7, v3
	v_min_u32_e32 v7, 32, v7
	v_lshrrev_b16_e32 v6, 3, v4
	v_subrev_u32_e32 v12, 28, v7
	v_and_b32_e32 v6, 15, v6
	v_lshlrev_b32_e32 v12, v12, v4
	v_sub_u32_e32 v7, 29, v7
	v_and_b32_e32 v12, 7, v12
	v_cmp_eq_u16_e32 vcc, 0, v6
	v_cndmask_b32_e32 v3, v3, v12, vcc
	v_cndmask_b32_e32 v6, v6, v7, vcc
	v_lshlrev_b32_e32 v7, 24, v4
	v_mov_b32_e32 v12, 0x3b800000
	v_lshlrev_b32_e32 v3, 20, v3
	v_and_b32_e32 v7, 0x80000000, v7
	v_lshl_add_u32 v6, v6, 23, v12
	v_or3_b32 v3, v7, v6, v3
.LBB14_1608:
	s_or_b64 exec, exec, s[6:7]
	s_nop 0
	v_mfma_f32_16x16x4f32 a[0:3], v2, v3, a[0:3]
	v_lshrrev_b32_e32 v3, 8, v8
	s_movk_i32 s4, 0x7f
	v_cmp_gt_i16_sdwa s[6:7], v3, s4 src0_sel:BYTE_0 src1_sel:DWORD
	s_mov_b64 s[4:5], 0
                                        ; implicit-def: $sgpr10
	s_and_saveexec_b64 s[8:9], s[6:7]
	s_xor_b64 s[6:7], exec, s[8:9]
	s_cbranch_execnz .LBB14_3657
; %bb.1609:
	s_or_saveexec_b64 s[6:7], s[6:7]
	v_mov_b32_e32 v2, s10
	s_xor_b64 exec, exec, s[6:7]
	s_cbranch_execnz .LBB14_3660
.LBB14_1610:
	s_or_b64 exec, exec, s[6:7]
	s_and_saveexec_b64 s[6:7], s[4:5]
	s_cbranch_execz .LBB14_1612
.LBB14_1611:
	v_bfe_u32 v2, v8, 8, 3
	v_ffbh_u32_e32 v7, v2
	v_min_u32_e32 v7, 32, v7
	v_lshrrev_b16_e32 v6, 3, v3
	v_subrev_u32_e32 v12, 28, v7
	v_and_b32_e32 v6, 15, v6
	v_lshlrev_b32_e32 v3, v12, v3
	v_sub_u32_e32 v7, 29, v7
	v_and_b32_e32 v3, 7, v3
	v_cmp_eq_u16_e32 vcc, 0, v6
	v_cndmask_b32_e32 v2, v2, v3, vcc
	v_cndmask_b32_e32 v3, v6, v7, vcc
	v_lshlrev_b32_e32 v6, 16, v8
	v_mov_b32_e32 v7, 0x3b800000
	v_lshlrev_b32_e32 v2, 20, v2
	v_and_b32_e32 v6, 0x80000000, v6
	v_lshl_add_u32 v3, v3, 23, v7
	v_or3_b32 v2, v6, v3, v2
.LBB14_1612:
	s_or_b64 exec, exec, s[6:7]
	v_lshrrev_b32_e32 v3, 8, v4
	s_movk_i32 s4, 0x7f
	v_cmp_gt_i16_sdwa s[6:7], v3, s4 src0_sel:BYTE_0 src1_sel:DWORD
	s_mov_b64 s[4:5], 0
                                        ; implicit-def: $sgpr10
	s_and_saveexec_b64 s[8:9], s[6:7]
	s_xor_b64 s[6:7], exec, s[8:9]
	s_cbranch_execnz .LBB14_3661
; %bb.1613:
	s_or_saveexec_b64 s[6:7], s[6:7]
	v_mov_b32_e32 v6, s10
	s_xor_b64 exec, exec, s[6:7]
	s_cbranch_execnz .LBB14_3664
.LBB14_1614:
	s_or_b64 exec, exec, s[6:7]
	s_and_saveexec_b64 s[6:7], s[4:5]
	s_cbranch_execz .LBB14_1616
.LBB14_1615:
	v_bfe_u32 v6, v4, 8, 3
	v_ffbh_u32_e32 v12, v6
	v_min_u32_e32 v12, 32, v12
	v_lshrrev_b16_e32 v7, 3, v3
	v_subrev_u32_e32 v13, 28, v12
	v_and_b32_e32 v7, 15, v7
	v_lshlrev_b32_e32 v3, v13, v3
	v_sub_u32_e32 v12, 29, v12
	v_and_b32_e32 v3, 7, v3
	v_cmp_eq_u16_e32 vcc, 0, v7
	v_cndmask_b32_e32 v3, v6, v3, vcc
	v_cndmask_b32_e32 v6, v7, v12, vcc
	v_lshlrev_b32_e32 v7, 16, v4
	v_mov_b32_e32 v12, 0x3b800000
	v_lshlrev_b32_e32 v3, 20, v3
	v_and_b32_e32 v7, 0x80000000, v7
	v_lshl_add_u32 v6, v6, 23, v12
	v_or3_b32 v6, v7, v6, v3
.LBB14_1616:
	s_or_b64 exec, exec, s[6:7]
	s_nop 0
	v_mfma_f32_16x16x4f32 a[0:3], v2, v6, a[0:3]
	s_movk_i32 s4, 0xff
	v_and_b32_sdwa v3, v8, s4 dst_sel:DWORD dst_unused:UNUSED_PAD src0_sel:WORD_1 src1_sel:DWORD
	s_movk_i32 s4, 0x7f
	v_cmp_lt_i16_e32 vcc, s4, v3
	s_mov_b64 s[4:5], 0
                                        ; implicit-def: $sgpr10
	s_and_saveexec_b64 s[6:7], vcc
	s_xor_b64 s[6:7], exec, s[6:7]
	s_cbranch_execnz .LBB14_3665
; %bb.1617:
	s_or_saveexec_b64 s[6:7], s[6:7]
	v_mov_b32_e32 v2, s10
	s_xor_b64 exec, exec, s[6:7]
	s_cbranch_execnz .LBB14_3668
.LBB14_1618:
	s_or_b64 exec, exec, s[6:7]
	s_and_saveexec_b64 s[6:7], s[4:5]
	s_cbranch_execz .LBB14_1620
.LBB14_1619:
	v_bfe_u32 v2, v8, 16, 3
	v_ffbh_u32_e32 v7, v2
	v_min_u32_e32 v7, 32, v7
	v_lshrrev_b32_e32 v3, 19, v8
	v_subrev_u32_e32 v12, 28, v7
	v_and_b32_e32 v3, 15, v3
	v_lshlrev_b32_sdwa v12, v12, v8 dst_sel:DWORD dst_unused:UNUSED_PAD src0_sel:DWORD src1_sel:WORD_1
	v_bfe_u32 v6, v8, 19, 4
	v_sub_u32_e32 v7, 29, v7
	v_and_b32_e32 v12, 7, v12
	v_cmp_eq_u16_e32 vcc, 0, v3
	v_cndmask_b32_e32 v2, v2, v12, vcc
	v_cndmask_b32_e32 v3, v6, v7, vcc
	v_lshlrev_b32_e32 v6, 8, v8
	v_mov_b32_e32 v7, 0x3b800000
	v_lshlrev_b32_e32 v2, 20, v2
	v_and_b32_e32 v6, 0x80000000, v6
	v_lshl_add_u32 v3, v3, 23, v7
	v_or3_b32 v2, v6, v3, v2
.LBB14_1620:
	s_or_b64 exec, exec, s[6:7]
	s_movk_i32 s4, 0xff
	v_and_b32_sdwa v3, v4, s4 dst_sel:DWORD dst_unused:UNUSED_PAD src0_sel:WORD_1 src1_sel:DWORD
	s_movk_i32 s4, 0x7f
	v_cmp_lt_i16_e32 vcc, s4, v3
	s_mov_b64 s[4:5], 0
                                        ; implicit-def: $sgpr10
	s_and_saveexec_b64 s[6:7], vcc
	s_xor_b64 s[6:7], exec, s[6:7]
	s_cbranch_execnz .LBB14_3669
; %bb.1621:
	s_or_saveexec_b64 s[6:7], s[6:7]
	v_mov_b32_e32 v6, s10
	s_xor_b64 exec, exec, s[6:7]
	s_cbranch_execnz .LBB14_3672
.LBB14_1622:
	s_or_b64 exec, exec, s[6:7]
	s_and_saveexec_b64 s[6:7], s[4:5]
	s_cbranch_execz .LBB14_1624
.LBB14_1623:
	v_bfe_u32 v3, v4, 16, 3
	v_ffbh_u32_e32 v12, v3
	v_min_u32_e32 v12, 32, v12
	v_lshrrev_b32_e32 v6, 19, v4
	v_subrev_u32_e32 v13, 28, v12
	v_and_b32_e32 v6, 15, v6
	v_lshlrev_b32_sdwa v13, v13, v4 dst_sel:DWORD dst_unused:UNUSED_PAD src0_sel:DWORD src1_sel:WORD_1
	v_bfe_u32 v7, v4, 19, 4
	v_sub_u32_e32 v12, 29, v12
	v_and_b32_e32 v13, 7, v13
	v_cmp_eq_u16_e32 vcc, 0, v6
	v_cndmask_b32_e32 v3, v3, v13, vcc
	v_cndmask_b32_e32 v6, v7, v12, vcc
	v_lshlrev_b32_e32 v7, 8, v4
	v_mov_b32_e32 v12, 0x3b800000
	v_lshlrev_b32_e32 v3, 20, v3
	v_and_b32_e32 v7, 0x80000000, v7
	v_lshl_add_u32 v6, v6, 23, v12
	v_or3_b32 v6, v7, v6, v3
.LBB14_1624:
	s_or_b64 exec, exec, s[6:7]
	s_nop 0
	v_mfma_f32_16x16x4f32 a[0:3], v2, v6, a[0:3]
	s_movk_i32 s4, 0x7f
	v_cmp_gt_i16_sdwa s[6:7], v8, s4 src0_sel:BYTE_3 src1_sel:DWORD
	s_mov_b64 s[4:5], 0
                                        ; implicit-def: $sgpr10
	s_and_saveexec_b64 s[8:9], s[6:7]
	s_xor_b64 s[6:7], exec, s[8:9]
	s_cbranch_execnz .LBB14_3673
; %bb.1625:
	s_or_saveexec_b64 s[6:7], s[6:7]
	v_mov_b32_e32 v2, s10
	s_xor_b64 exec, exec, s[6:7]
	s_cbranch_execnz .LBB14_3676
.LBB14_1626:
	s_or_b64 exec, exec, s[6:7]
	s_and_saveexec_b64 s[6:7], s[4:5]
	s_cbranch_execz .LBB14_1628
.LBB14_1627:
	v_bfe_u32 v2, v8, 24, 3
	v_ffbh_u32_e32 v12, v2
	v_min_u32_e32 v12, 32, v12
	v_lshrrev_b32_e32 v6, 27, v8
	v_subrev_u32_e32 v13, 28, v12
	v_and_b32_e32 v3, 0x80000000, v8
	v_and_b32_e32 v6, 15, v6
	v_bfe_u32 v7, v8, 27, 4
	v_lshlrev_b32_sdwa v8, v13, v8 dst_sel:DWORD dst_unused:UNUSED_PAD src0_sel:DWORD src1_sel:BYTE_3
	v_sub_u32_e32 v12, 29, v12
	v_and_b32_e32 v8, 7, v8
	v_cmp_eq_u16_e32 vcc, 0, v6
	v_cndmask_b32_e32 v2, v2, v8, vcc
	v_cndmask_b32_e32 v6, v7, v12, vcc
	v_mov_b32_e32 v7, 0x3b800000
	v_lshlrev_b32_e32 v2, 20, v2
	v_lshl_add_u32 v6, v6, 23, v7
	v_or3_b32 v2, v3, v6, v2
.LBB14_1628:
	s_or_b64 exec, exec, s[6:7]
	s_movk_i32 s4, 0x7f
	v_cmp_gt_i16_sdwa s[6:7], v4, s4 src0_sel:BYTE_3 src1_sel:DWORD
	s_mov_b64 s[4:5], 0
                                        ; implicit-def: $sgpr10
	s_and_saveexec_b64 s[8:9], s[6:7]
	s_xor_b64 s[6:7], exec, s[8:9]
	s_cbranch_execnz .LBB14_3677
; %bb.1629:
	s_or_saveexec_b64 s[6:7], s[6:7]
	v_mov_b32_e32 v3, s10
	s_xor_b64 exec, exec, s[6:7]
	s_cbranch_execnz .LBB14_3680
.LBB14_1630:
	s_or_b64 exec, exec, s[6:7]
	s_and_saveexec_b64 s[6:7], s[4:5]
	s_cbranch_execz .LBB14_1632
.LBB14_1631:
	v_bfe_u32 v3, v4, 24, 3
	v_ffbh_u32_e32 v12, v3
	v_min_u32_e32 v12, 32, v12
	v_lshrrev_b32_e32 v7, 27, v4
	v_subrev_u32_e32 v13, 28, v12
	v_and_b32_e32 v6, 0x80000000, v4
	v_and_b32_e32 v7, 15, v7
	v_bfe_u32 v8, v4, 27, 4
	v_lshlrev_b32_sdwa v4, v13, v4 dst_sel:DWORD dst_unused:UNUSED_PAD src0_sel:DWORD src1_sel:BYTE_3
	v_sub_u32_e32 v12, 29, v12
	v_and_b32_e32 v4, 7, v4
	v_cmp_eq_u16_e32 vcc, 0, v7
	v_cndmask_b32_e32 v3, v3, v4, vcc
	v_cndmask_b32_e32 v4, v8, v12, vcc
	v_mov_b32_e32 v7, 0x3b800000
	v_lshlrev_b32_e32 v3, 20, v3
	v_lshl_add_u32 v4, v4, 23, v7
	v_or3_b32 v3, v6, v4, v3
.LBB14_1632:
	s_or_b64 exec, exec, s[6:7]
	s_nop 0
	v_mfma_f32_16x16x4f32 a[0:3], v2, v3, a[0:3]
	s_movk_i32 s4, 0x7f
	v_cmp_gt_i16_sdwa s[6:7], v9, s4 src0_sel:BYTE_0 src1_sel:DWORD
	s_mov_b64 s[4:5], 0
                                        ; implicit-def: $sgpr10
	s_and_saveexec_b64 s[8:9], s[6:7]
	s_xor_b64 s[6:7], exec, s[8:9]
	s_cbranch_execnz .LBB14_3681
; %bb.1633:
	s_or_saveexec_b64 s[6:7], s[6:7]
	v_mov_b32_e32 v2, s10
	s_xor_b64 exec, exec, s[6:7]
	s_cbranch_execnz .LBB14_3684
.LBB14_1634:
	s_or_b64 exec, exec, s[6:7]
	s_and_saveexec_b64 s[6:7], s[4:5]
	s_cbranch_execz .LBB14_1636
.LBB14_1635:
	v_mov_b32_e32 v2, 8
	v_and_b32_e32 v3, 7, v9
	v_lshrrev_b32_sdwa v2, v2, v9 dst_sel:BYTE_1 dst_unused:UNUSED_PAD src0_sel:DWORD src1_sel:DWORD
	v_ffbh_u32_e32 v4, v3
	v_or_b32_sdwa v2, v9, v2 dst_sel:DWORD dst_unused:UNUSED_PAD src0_sel:BYTE_0 src1_sel:DWORD
	v_min_u32_e32 v4, 32, v4
	v_lshrrev_b16_e32 v2, 3, v2
	v_subrev_u32_e32 v6, 28, v4
	v_and_b32_e32 v2, 15, v2
	v_lshlrev_b32_e32 v6, v6, v9
	v_sub_u32_e32 v4, 29, v4
	v_and_b32_e32 v6, 7, v6
	v_cmp_eq_u16_e32 vcc, 0, v2
	v_cndmask_b32_e32 v3, v3, v6, vcc
	v_cndmask_b32_e32 v2, v2, v4, vcc
	v_lshlrev_b32_e32 v4, 24, v9
	v_mov_b32_e32 v6, 0x3b800000
	v_lshlrev_b32_e32 v3, 20, v3
	v_and_b32_e32 v4, 0x80000000, v4
	v_lshl_add_u32 v2, v2, 23, v6
	v_or3_b32 v2, v4, v2, v3
.LBB14_1636:
	s_or_b64 exec, exec, s[6:7]
	s_movk_i32 s4, 0x7f
	v_cmp_gt_i16_sdwa s[6:7], v5, s4 src0_sel:BYTE_0 src1_sel:DWORD
	s_mov_b64 s[4:5], 0
                                        ; implicit-def: $sgpr10
	s_and_saveexec_b64 s[8:9], s[6:7]
	s_xor_b64 s[6:7], exec, s[8:9]
	s_cbranch_execnz .LBB14_3685
; %bb.1637:
	s_or_saveexec_b64 s[6:7], s[6:7]
	v_mov_b32_e32 v3, s10
	s_xor_b64 exec, exec, s[6:7]
	s_cbranch_execnz .LBB14_3688
.LBB14_1638:
	s_or_b64 exec, exec, s[6:7]
	s_and_saveexec_b64 s[6:7], s[4:5]
	s_cbranch_execz .LBB14_1640
.LBB14_1639:
	v_mov_b32_e32 v3, 8
	v_and_b32_e32 v4, 7, v5
	v_lshrrev_b32_sdwa v3, v3, v5 dst_sel:BYTE_1 dst_unused:UNUSED_PAD src0_sel:DWORD src1_sel:DWORD
	v_ffbh_u32_e32 v6, v4
	v_or_b32_sdwa v3, v5, v3 dst_sel:DWORD dst_unused:UNUSED_PAD src0_sel:BYTE_0 src1_sel:DWORD
	v_min_u32_e32 v6, 32, v6
	v_lshrrev_b16_e32 v3, 3, v3
	v_subrev_u32_e32 v7, 28, v6
	v_and_b32_e32 v3, 15, v3
	v_lshlrev_b32_e32 v7, v7, v5
	v_sub_u32_e32 v6, 29, v6
	v_and_b32_e32 v7, 7, v7
	v_cmp_eq_u16_e32 vcc, 0, v3
	v_cndmask_b32_e32 v4, v4, v7, vcc
	v_cndmask_b32_e32 v3, v3, v6, vcc
	v_lshlrev_b32_e32 v6, 24, v5
	v_mov_b32_e32 v7, 0x3b800000
	v_lshlrev_b32_e32 v4, 20, v4
	v_and_b32_e32 v6, 0x80000000, v6
	v_lshl_add_u32 v3, v3, 23, v7
	v_or3_b32 v3, v6, v3, v4
.LBB14_1640:
	s_or_b64 exec, exec, s[6:7]
	s_nop 0
	v_mfma_f32_16x16x4f32 a[0:3], v2, v3, a[0:3]
	v_lshrrev_b32_e32 v3, 8, v9
	s_movk_i32 s4, 0x7f
	v_cmp_gt_i16_sdwa s[6:7], v3, s4 src0_sel:BYTE_0 src1_sel:DWORD
	s_mov_b64 s[4:5], 0
                                        ; implicit-def: $sgpr10
	s_and_saveexec_b64 s[8:9], s[6:7]
	s_xor_b64 s[6:7], exec, s[8:9]
	s_cbranch_execnz .LBB14_3689
; %bb.1641:
	s_or_saveexec_b64 s[6:7], s[6:7]
	v_mov_b32_e32 v2, s10
	s_xor_b64 exec, exec, s[6:7]
	s_cbranch_execnz .LBB14_3692
.LBB14_1642:
	s_or_b64 exec, exec, s[6:7]
	s_and_saveexec_b64 s[6:7], s[4:5]
	s_cbranch_execz .LBB14_1644
.LBB14_1643:
	v_bfe_u32 v2, v9, 8, 3
	v_ffbh_u32_e32 v6, v2
	v_min_u32_e32 v6, 32, v6
	v_lshrrev_b16_e32 v4, 3, v3
	v_subrev_u32_e32 v7, 28, v6
	v_and_b32_e32 v4, 15, v4
	v_lshlrev_b32_e32 v3, v7, v3
	v_sub_u32_e32 v6, 29, v6
	v_and_b32_e32 v3, 7, v3
	v_cmp_eq_u16_e32 vcc, 0, v4
	v_cndmask_b32_e32 v2, v2, v3, vcc
	v_cndmask_b32_e32 v3, v4, v6, vcc
	v_lshlrev_b32_e32 v4, 16, v9
	v_mov_b32_e32 v6, 0x3b800000
	v_lshlrev_b32_e32 v2, 20, v2
	v_and_b32_e32 v4, 0x80000000, v4
	v_lshl_add_u32 v3, v3, 23, v6
	v_or3_b32 v2, v4, v3, v2
.LBB14_1644:
	s_or_b64 exec, exec, s[6:7]
	v_lshrrev_b32_e32 v3, 8, v5
	s_movk_i32 s4, 0x7f
	v_cmp_gt_i16_sdwa s[6:7], v3, s4 src0_sel:BYTE_0 src1_sel:DWORD
	s_mov_b64 s[4:5], 0
                                        ; implicit-def: $sgpr10
	s_and_saveexec_b64 s[8:9], s[6:7]
	s_xor_b64 s[6:7], exec, s[8:9]
	s_cbranch_execnz .LBB14_3693
; %bb.1645:
	s_or_saveexec_b64 s[6:7], s[6:7]
	v_mov_b32_e32 v4, s10
	s_xor_b64 exec, exec, s[6:7]
	s_cbranch_execnz .LBB14_3696
.LBB14_1646:
	s_or_b64 exec, exec, s[6:7]
	s_and_saveexec_b64 s[6:7], s[4:5]
	s_cbranch_execz .LBB14_1648
.LBB14_1647:
	v_bfe_u32 v4, v5, 8, 3
	v_ffbh_u32_e32 v7, v4
	v_min_u32_e32 v7, 32, v7
	v_lshrrev_b16_e32 v6, 3, v3
	v_subrev_u32_e32 v8, 28, v7
	v_and_b32_e32 v6, 15, v6
	v_lshlrev_b32_e32 v3, v8, v3
	v_sub_u32_e32 v7, 29, v7
	v_and_b32_e32 v3, 7, v3
	v_cmp_eq_u16_e32 vcc, 0, v6
	v_cndmask_b32_e32 v3, v4, v3, vcc
	v_cndmask_b32_e32 v4, v6, v7, vcc
	v_lshlrev_b32_e32 v6, 16, v5
	v_mov_b32_e32 v7, 0x3b800000
	v_lshlrev_b32_e32 v3, 20, v3
	v_and_b32_e32 v6, 0x80000000, v6
	v_lshl_add_u32 v4, v4, 23, v7
	v_or3_b32 v4, v6, v4, v3
.LBB14_1648:
	s_or_b64 exec, exec, s[6:7]
	s_nop 0
	v_mfma_f32_16x16x4f32 a[0:3], v2, v4, a[0:3]
	s_movk_i32 s4, 0xff
	v_and_b32_sdwa v3, v9, s4 dst_sel:DWORD dst_unused:UNUSED_PAD src0_sel:WORD_1 src1_sel:DWORD
	s_movk_i32 s4, 0x7f
	v_cmp_lt_i16_e32 vcc, s4, v3
	s_mov_b64 s[4:5], 0
                                        ; implicit-def: $sgpr10
	s_and_saveexec_b64 s[6:7], vcc
	s_xor_b64 s[6:7], exec, s[6:7]
	s_cbranch_execnz .LBB14_3697
; %bb.1649:
	s_or_saveexec_b64 s[6:7], s[6:7]
	v_mov_b32_e32 v2, s10
	s_xor_b64 exec, exec, s[6:7]
	s_cbranch_execnz .LBB14_3700
.LBB14_1650:
	s_or_b64 exec, exec, s[6:7]
	s_and_saveexec_b64 s[6:7], s[4:5]
	s_cbranch_execz .LBB14_1652
.LBB14_1651:
	v_bfe_u32 v2, v9, 16, 3
	v_ffbh_u32_e32 v6, v2
	v_min_u32_e32 v6, 32, v6
	v_lshrrev_b32_e32 v3, 19, v9
	v_subrev_u32_e32 v7, 28, v6
	v_and_b32_e32 v3, 15, v3
	v_lshlrev_b32_sdwa v7, v7, v9 dst_sel:DWORD dst_unused:UNUSED_PAD src0_sel:DWORD src1_sel:WORD_1
	v_bfe_u32 v4, v9, 19, 4
	v_sub_u32_e32 v6, 29, v6
	v_and_b32_e32 v7, 7, v7
	v_cmp_eq_u16_e32 vcc, 0, v3
	v_cndmask_b32_e32 v2, v2, v7, vcc
	v_cndmask_b32_e32 v3, v4, v6, vcc
	v_lshlrev_b32_e32 v4, 8, v9
	v_mov_b32_e32 v6, 0x3b800000
	v_lshlrev_b32_e32 v2, 20, v2
	v_and_b32_e32 v4, 0x80000000, v4
	v_lshl_add_u32 v3, v3, 23, v6
	v_or3_b32 v2, v4, v3, v2
.LBB14_1652:
	s_or_b64 exec, exec, s[6:7]
	s_movk_i32 s4, 0xff
	v_and_b32_sdwa v3, v5, s4 dst_sel:DWORD dst_unused:UNUSED_PAD src0_sel:WORD_1 src1_sel:DWORD
	s_movk_i32 s4, 0x7f
	v_cmp_lt_i16_e32 vcc, s4, v3
	s_mov_b64 s[4:5], 0
                                        ; implicit-def: $sgpr10
	s_and_saveexec_b64 s[6:7], vcc
	s_xor_b64 s[6:7], exec, s[6:7]
	s_cbranch_execnz .LBB14_3701
; %bb.1653:
	s_or_saveexec_b64 s[6:7], s[6:7]
	v_mov_b32_e32 v4, s10
	s_xor_b64 exec, exec, s[6:7]
	s_cbranch_execnz .LBB14_3704
.LBB14_1654:
	s_or_b64 exec, exec, s[6:7]
	s_and_saveexec_b64 s[6:7], s[4:5]
	s_cbranch_execz .LBB14_1656
.LBB14_1655:
	v_bfe_u32 v3, v5, 16, 3
	v_ffbh_u32_e32 v7, v3
	v_min_u32_e32 v7, 32, v7
	v_lshrrev_b32_e32 v4, 19, v5
	v_subrev_u32_e32 v8, 28, v7
	v_and_b32_e32 v4, 15, v4
	v_lshlrev_b32_sdwa v8, v8, v5 dst_sel:DWORD dst_unused:UNUSED_PAD src0_sel:DWORD src1_sel:WORD_1
	v_bfe_u32 v6, v5, 19, 4
	v_sub_u32_e32 v7, 29, v7
	v_and_b32_e32 v8, 7, v8
	v_cmp_eq_u16_e32 vcc, 0, v4
	v_cndmask_b32_e32 v3, v3, v8, vcc
	v_cndmask_b32_e32 v4, v6, v7, vcc
	v_lshlrev_b32_e32 v6, 8, v5
	v_mov_b32_e32 v7, 0x3b800000
	v_lshlrev_b32_e32 v3, 20, v3
	v_and_b32_e32 v6, 0x80000000, v6
	v_lshl_add_u32 v4, v4, 23, v7
	v_or3_b32 v4, v6, v4, v3
.LBB14_1656:
	s_or_b64 exec, exec, s[6:7]
	s_nop 0
	v_mfma_f32_16x16x4f32 a[0:3], v2, v4, a[0:3]
	s_movk_i32 s4, 0x7f
	v_cmp_gt_i16_sdwa s[6:7], v9, s4 src0_sel:BYTE_3 src1_sel:DWORD
	s_mov_b64 s[4:5], 0
                                        ; implicit-def: $sgpr10
	s_and_saveexec_b64 s[8:9], s[6:7]
	s_xor_b64 s[6:7], exec, s[8:9]
	s_cbranch_execnz .LBB14_3705
; %bb.1657:
	s_or_saveexec_b64 s[6:7], s[6:7]
	v_mov_b32_e32 v2, s10
	s_xor_b64 exec, exec, s[6:7]
	s_cbranch_execnz .LBB14_3708
.LBB14_1658:
	s_or_b64 exec, exec, s[6:7]
	s_and_saveexec_b64 s[6:7], s[4:5]
	s_cbranch_execz .LBB14_1660
.LBB14_1659:
	v_bfe_u32 v2, v9, 24, 3
	v_ffbh_u32_e32 v7, v2
	v_min_u32_e32 v7, 32, v7
	v_lshrrev_b32_e32 v4, 27, v9
	v_subrev_u32_e32 v8, 28, v7
	v_and_b32_e32 v4, 15, v4
	v_lshlrev_b32_sdwa v8, v8, v9 dst_sel:DWORD dst_unused:UNUSED_PAD src0_sel:DWORD src1_sel:BYTE_3
	v_bfe_u32 v6, v9, 27, 4
	v_sub_u32_e32 v7, 29, v7
	v_and_b32_e32 v8, 7, v8
	v_cmp_eq_u16_e32 vcc, 0, v4
	v_cndmask_b32_e32 v2, v2, v8, vcc
	v_cndmask_b32_e32 v4, v6, v7, vcc
	v_mov_b32_e32 v6, 0x3b800000
	v_and_b32_e32 v3, 0x80000000, v9
	v_lshlrev_b32_e32 v2, 20, v2
	v_lshl_add_u32 v4, v4, 23, v6
	v_or3_b32 v2, v3, v4, v2
.LBB14_1660:
	s_or_b64 exec, exec, s[6:7]
	s_movk_i32 s4, 0x7f
	v_cmp_gt_i16_sdwa s[6:7], v5, s4 src0_sel:BYTE_3 src1_sel:DWORD
	s_mov_b64 s[4:5], 0
                                        ; implicit-def: $sgpr10
	s_and_saveexec_b64 s[8:9], s[6:7]
	s_xor_b64 s[6:7], exec, s[8:9]
	s_cbranch_execnz .LBB14_3709
; %bb.1661:
	s_or_saveexec_b64 s[6:7], s[6:7]
	v_mov_b32_e32 v3, s10
	s_xor_b64 exec, exec, s[6:7]
	s_cbranch_execnz .LBB14_3712
.LBB14_1662:
	s_or_b64 exec, exec, s[6:7]
	s_and_saveexec_b64 s[6:7], s[4:5]
	s_cbranch_execz .LBB14_1664
.LBB14_1663:
	v_bfe_u32 v3, v5, 24, 3
	v_ffbh_u32_e32 v8, v3
	v_min_u32_e32 v8, 32, v8
	v_lshrrev_b32_e32 v6, 27, v5
	v_subrev_u32_e32 v9, 28, v8
	v_and_b32_e32 v4, 0x80000000, v5
	v_and_b32_e32 v6, 15, v6
	v_bfe_u32 v7, v5, 27, 4
	v_lshlrev_b32_sdwa v5, v9, v5 dst_sel:DWORD dst_unused:UNUSED_PAD src0_sel:DWORD src1_sel:BYTE_3
	v_sub_u32_e32 v8, 29, v8
	v_and_b32_e32 v5, 7, v5
	v_cmp_eq_u16_e32 vcc, 0, v6
	v_cndmask_b32_e32 v3, v3, v5, vcc
	v_cndmask_b32_e32 v5, v7, v8, vcc
	v_mov_b32_e32 v6, 0x3b800000
	v_lshlrev_b32_e32 v3, 20, v3
	v_lshl_add_u32 v5, v5, 23, v6
	v_or3_b32 v3, v4, v5, v3
.LBB14_1664:
	s_or_b64 exec, exec, s[6:7]
	s_nop 0
	v_mfma_f32_16x16x4f32 a[0:3], v2, v3, a[0:3]
	s_movk_i32 s4, 0x7f
                                        ; implicit-def: $sgpr10
	s_nop 7
	s_nop 1
	flat_store_dwordx4 v[10:11], a[0:3] offset:192
	flat_load_dwordx4 v[12:15], v[0:1] offset:8
	s_nop 0
	flat_load_dwordx2 v[10:11], v[0:1] offset:32
	s_waitcnt vmcnt(0) lgkmcnt(0)
	flat_load_dwordx4 v[6:9], v[12:13] offset:96
	flat_load_dwordx4 v[2:5], v[14:15] offset:32
	s_waitcnt vmcnt(0) lgkmcnt(0)
	v_cmp_gt_i16_sdwa s[6:7], v6, s4 src0_sel:BYTE_0 src1_sel:DWORD
	s_mov_b64 s[4:5], 0
	s_and_saveexec_b64 s[8:9], s[6:7]
	s_xor_b64 s[6:7], exec, s[8:9]
	s_cbranch_execnz .LBB14_3713
; %bb.1665:
	s_or_saveexec_b64 s[6:7], s[6:7]
	v_mov_b32_e32 v12, s10
	s_xor_b64 exec, exec, s[6:7]
	s_cbranch_execnz .LBB14_3716
.LBB14_1666:
	s_or_b64 exec, exec, s[6:7]
	s_and_saveexec_b64 s[6:7], s[4:5]
	s_cbranch_execz .LBB14_1668
.LBB14_1667:
	v_and_b32_e32 v12, 7, v6
	v_ffbh_u32_e32 v14, v12
	v_min_u32_e32 v14, 32, v14
	v_lshrrev_b16_e32 v13, 3, v6
	v_subrev_u32_e32 v15, 28, v14
	v_and_b32_e32 v13, 15, v13
	v_lshlrev_b32_e32 v15, v15, v6
	v_sub_u32_e32 v14, 29, v14
	v_and_b32_e32 v15, 7, v15
	v_cmp_eq_u16_e32 vcc, 0, v13
	v_cndmask_b32_e32 v12, v12, v15, vcc
	v_cndmask_b32_e32 v13, v13, v14, vcc
	v_lshlrev_b32_e32 v14, 24, v6
	v_mov_b32_e32 v15, 0x3b800000
	v_lshlrev_b32_e32 v12, 20, v12
	v_and_b32_e32 v14, 0x80000000, v14
	v_lshl_add_u32 v13, v13, 23, v15
	v_or3_b32 v12, v14, v13, v12
.LBB14_1668:
	s_or_b64 exec, exec, s[6:7]
	s_movk_i32 s4, 0x7f
	v_cmp_gt_i16_sdwa s[6:7], v2, s4 src0_sel:BYTE_0 src1_sel:DWORD
	s_mov_b64 s[4:5], 0
                                        ; implicit-def: $sgpr10
	s_and_saveexec_b64 s[8:9], s[6:7]
	s_xor_b64 s[6:7], exec, s[8:9]
	s_cbranch_execnz .LBB14_3717
; %bb.1669:
	s_or_saveexec_b64 s[6:7], s[6:7]
	v_mov_b32_e32 v13, s10
	s_xor_b64 exec, exec, s[6:7]
	s_cbranch_execnz .LBB14_3720
.LBB14_1670:
	s_or_b64 exec, exec, s[6:7]
	s_and_saveexec_b64 s[6:7], s[4:5]
	s_cbranch_execz .LBB14_1672
.LBB14_1671:
	v_and_b32_e32 v13, 7, v2
	v_ffbh_u32_e32 v15, v13
	v_min_u32_e32 v15, 32, v15
	v_lshrrev_b16_e32 v14, 3, v2
	v_subrev_u32_e32 v16, 28, v15
	v_and_b32_e32 v14, 15, v14
	v_lshlrev_b32_e32 v16, v16, v2
	v_sub_u32_e32 v15, 29, v15
	v_and_b32_e32 v16, 7, v16
	v_cmp_eq_u16_e32 vcc, 0, v14
	v_cndmask_b32_e32 v13, v13, v16, vcc
	v_cndmask_b32_e32 v14, v14, v15, vcc
	v_lshlrev_b32_e32 v15, 24, v2
	v_mov_b32_e32 v16, 0x3b800000
	v_lshlrev_b32_e32 v13, 20, v13
	v_and_b32_e32 v15, 0x80000000, v15
	v_lshl_add_u32 v14, v14, 23, v16
	v_or3_b32 v13, v15, v14, v13
.LBB14_1672:
	s_or_b64 exec, exec, s[6:7]
	flat_load_dwordx4 a[0:3], v[10:11] offset:208
	s_movk_i32 s4, 0x7f
                                        ; implicit-def: $sgpr10
	s_waitcnt vmcnt(0) lgkmcnt(0)
	v_mfma_f32_16x16x4f32 a[0:3], v12, v13, a[0:3]
	v_lshrrev_b32_e32 v13, 8, v6
	v_cmp_gt_i16_sdwa s[6:7], v13, s4 src0_sel:BYTE_0 src1_sel:DWORD
	s_mov_b64 s[4:5], 0
	s_and_saveexec_b64 s[8:9], s[6:7]
	s_xor_b64 s[6:7], exec, s[8:9]
	s_cbranch_execnz .LBB14_3721
; %bb.1673:
	s_or_saveexec_b64 s[6:7], s[6:7]
	v_mov_b32_e32 v12, s10
	s_xor_b64 exec, exec, s[6:7]
	s_cbranch_execnz .LBB14_3724
.LBB14_1674:
	s_or_b64 exec, exec, s[6:7]
	s_and_saveexec_b64 s[6:7], s[4:5]
	s_cbranch_execz .LBB14_1676
.LBB14_1675:
	v_bfe_u32 v12, v6, 8, 3
	v_ffbh_u32_e32 v15, v12
	v_min_u32_e32 v15, 32, v15
	v_lshrrev_b16_e32 v14, 3, v13
	v_subrev_u32_e32 v16, 28, v15
	v_and_b32_e32 v14, 15, v14
	v_lshlrev_b32_e32 v13, v16, v13
	v_sub_u32_e32 v15, 29, v15
	v_and_b32_e32 v13, 7, v13
	v_cmp_eq_u16_e32 vcc, 0, v14
	v_cndmask_b32_e32 v12, v12, v13, vcc
	v_cndmask_b32_e32 v13, v14, v15, vcc
	v_lshlrev_b32_e32 v14, 16, v6
	v_mov_b32_e32 v15, 0x3b800000
	v_lshlrev_b32_e32 v12, 20, v12
	v_and_b32_e32 v14, 0x80000000, v14
	v_lshl_add_u32 v13, v13, 23, v15
	v_or3_b32 v12, v14, v13, v12
.LBB14_1676:
	s_or_b64 exec, exec, s[6:7]
	v_lshrrev_b32_e32 v13, 8, v2
	s_movk_i32 s4, 0x7f
	v_cmp_gt_i16_sdwa s[6:7], v13, s4 src0_sel:BYTE_0 src1_sel:DWORD
	s_mov_b64 s[4:5], 0
                                        ; implicit-def: $sgpr10
	s_and_saveexec_b64 s[8:9], s[6:7]
	s_xor_b64 s[6:7], exec, s[8:9]
	s_cbranch_execnz .LBB14_3725
; %bb.1677:
	s_or_saveexec_b64 s[6:7], s[6:7]
	v_mov_b32_e32 v14, s10
	s_xor_b64 exec, exec, s[6:7]
	s_cbranch_execnz .LBB14_3728
.LBB14_1678:
	s_or_b64 exec, exec, s[6:7]
	s_and_saveexec_b64 s[6:7], s[4:5]
	s_cbranch_execz .LBB14_1680
.LBB14_1679:
	v_bfe_u32 v14, v2, 8, 3
	v_ffbh_u32_e32 v16, v14
	v_min_u32_e32 v16, 32, v16
	v_lshrrev_b16_e32 v15, 3, v13
	v_subrev_u32_e32 v17, 28, v16
	v_and_b32_e32 v15, 15, v15
	v_lshlrev_b32_e32 v13, v17, v13
	v_sub_u32_e32 v16, 29, v16
	v_and_b32_e32 v13, 7, v13
	v_cmp_eq_u16_e32 vcc, 0, v15
	v_cndmask_b32_e32 v13, v14, v13, vcc
	v_cndmask_b32_e32 v14, v15, v16, vcc
	v_lshlrev_b32_e32 v15, 16, v2
	v_mov_b32_e32 v16, 0x3b800000
	v_lshlrev_b32_e32 v13, 20, v13
	v_and_b32_e32 v15, 0x80000000, v15
	v_lshl_add_u32 v14, v14, 23, v16
	v_or3_b32 v14, v15, v14, v13
.LBB14_1680:
	s_or_b64 exec, exec, s[6:7]
	s_nop 0
	v_mfma_f32_16x16x4f32 a[0:3], v12, v14, a[0:3]
	s_movk_i32 s4, 0xff
	v_and_b32_sdwa v13, v6, s4 dst_sel:DWORD dst_unused:UNUSED_PAD src0_sel:WORD_1 src1_sel:DWORD
	s_movk_i32 s4, 0x7f
	v_cmp_lt_i16_e32 vcc, s4, v13
	s_mov_b64 s[4:5], 0
                                        ; implicit-def: $sgpr10
	s_and_saveexec_b64 s[6:7], vcc
	s_xor_b64 s[6:7], exec, s[6:7]
	s_cbranch_execnz .LBB14_3729
; %bb.1681:
	s_or_saveexec_b64 s[6:7], s[6:7]
	v_mov_b32_e32 v12, s10
	s_xor_b64 exec, exec, s[6:7]
	s_cbranch_execnz .LBB14_3732
.LBB14_1682:
	s_or_b64 exec, exec, s[6:7]
	s_and_saveexec_b64 s[6:7], s[4:5]
	s_cbranch_execz .LBB14_1684
.LBB14_1683:
	v_bfe_u32 v12, v6, 16, 3
	v_ffbh_u32_e32 v15, v12
	v_min_u32_e32 v15, 32, v15
	v_lshrrev_b32_e32 v13, 19, v6
	v_subrev_u32_e32 v16, 28, v15
	v_and_b32_e32 v13, 15, v13
	v_lshlrev_b32_sdwa v16, v16, v6 dst_sel:DWORD dst_unused:UNUSED_PAD src0_sel:DWORD src1_sel:WORD_1
	v_bfe_u32 v14, v6, 19, 4
	v_sub_u32_e32 v15, 29, v15
	v_and_b32_e32 v16, 7, v16
	v_cmp_eq_u16_e32 vcc, 0, v13
	v_cndmask_b32_e32 v12, v12, v16, vcc
	v_cndmask_b32_e32 v13, v14, v15, vcc
	v_lshlrev_b32_e32 v14, 8, v6
	v_mov_b32_e32 v15, 0x3b800000
	v_lshlrev_b32_e32 v12, 20, v12
	v_and_b32_e32 v14, 0x80000000, v14
	v_lshl_add_u32 v13, v13, 23, v15
	v_or3_b32 v12, v14, v13, v12
.LBB14_1684:
	s_or_b64 exec, exec, s[6:7]
	s_movk_i32 s4, 0xff
	v_and_b32_sdwa v13, v2, s4 dst_sel:DWORD dst_unused:UNUSED_PAD src0_sel:WORD_1 src1_sel:DWORD
	s_movk_i32 s4, 0x7f
	v_cmp_lt_i16_e32 vcc, s4, v13
	s_mov_b64 s[4:5], 0
                                        ; implicit-def: $sgpr10
	s_and_saveexec_b64 s[6:7], vcc
	s_xor_b64 s[6:7], exec, s[6:7]
	s_cbranch_execnz .LBB14_3733
; %bb.1685:
	s_or_saveexec_b64 s[6:7], s[6:7]
	v_mov_b32_e32 v14, s10
	s_xor_b64 exec, exec, s[6:7]
	s_cbranch_execnz .LBB14_3736
.LBB14_1686:
	s_or_b64 exec, exec, s[6:7]
	s_and_saveexec_b64 s[6:7], s[4:5]
	s_cbranch_execz .LBB14_1688
.LBB14_1687:
	v_bfe_u32 v13, v2, 16, 3
	v_ffbh_u32_e32 v16, v13
	v_min_u32_e32 v16, 32, v16
	v_lshrrev_b32_e32 v14, 19, v2
	v_subrev_u32_e32 v17, 28, v16
	v_and_b32_e32 v14, 15, v14
	v_lshlrev_b32_sdwa v17, v17, v2 dst_sel:DWORD dst_unused:UNUSED_PAD src0_sel:DWORD src1_sel:WORD_1
	v_bfe_u32 v15, v2, 19, 4
	v_sub_u32_e32 v16, 29, v16
	v_and_b32_e32 v17, 7, v17
	v_cmp_eq_u16_e32 vcc, 0, v14
	v_cndmask_b32_e32 v13, v13, v17, vcc
	v_cndmask_b32_e32 v14, v15, v16, vcc
	v_lshlrev_b32_e32 v15, 8, v2
	v_mov_b32_e32 v16, 0x3b800000
	v_lshlrev_b32_e32 v13, 20, v13
	v_and_b32_e32 v15, 0x80000000, v15
	v_lshl_add_u32 v14, v14, 23, v16
	v_or3_b32 v14, v15, v14, v13
.LBB14_1688:
	s_or_b64 exec, exec, s[6:7]
	s_nop 0
	v_mfma_f32_16x16x4f32 a[0:3], v12, v14, a[0:3]
	s_movk_i32 s4, 0x7f
	v_cmp_gt_i16_sdwa s[6:7], v6, s4 src0_sel:BYTE_3 src1_sel:DWORD
	s_mov_b64 s[4:5], 0
                                        ; implicit-def: $sgpr10
	s_and_saveexec_b64 s[8:9], s[6:7]
	s_xor_b64 s[6:7], exec, s[8:9]
	s_cbranch_execnz .LBB14_3737
; %bb.1689:
	s_or_saveexec_b64 s[6:7], s[6:7]
	v_mov_b32_e32 v12, s10
	s_xor_b64 exec, exec, s[6:7]
	s_cbranch_execnz .LBB14_3740
.LBB14_1690:
	s_or_b64 exec, exec, s[6:7]
	s_and_saveexec_b64 s[6:7], s[4:5]
	s_cbranch_execz .LBB14_1692
.LBB14_1691:
	v_bfe_u32 v12, v6, 24, 3
	v_ffbh_u32_e32 v16, v12
	v_min_u32_e32 v16, 32, v16
	v_lshrrev_b32_e32 v14, 27, v6
	v_subrev_u32_e32 v17, 28, v16
	v_and_b32_e32 v13, 0x80000000, v6
	v_and_b32_e32 v14, 15, v14
	v_bfe_u32 v15, v6, 27, 4
	v_lshlrev_b32_sdwa v6, v17, v6 dst_sel:DWORD dst_unused:UNUSED_PAD src0_sel:DWORD src1_sel:BYTE_3
	v_sub_u32_e32 v16, 29, v16
	v_and_b32_e32 v6, 7, v6
	v_cmp_eq_u16_e32 vcc, 0, v14
	v_cndmask_b32_e32 v6, v12, v6, vcc
	v_cndmask_b32_e32 v12, v15, v16, vcc
	v_mov_b32_e32 v14, 0x3b800000
	v_lshlrev_b32_e32 v6, 20, v6
	v_lshl_add_u32 v12, v12, 23, v14
	v_or3_b32 v12, v13, v12, v6
.LBB14_1692:
	s_or_b64 exec, exec, s[6:7]
	s_movk_i32 s4, 0x7f
	v_cmp_gt_i16_sdwa s[6:7], v2, s4 src0_sel:BYTE_3 src1_sel:DWORD
	s_mov_b64 s[4:5], 0
                                        ; implicit-def: $sgpr10
	s_and_saveexec_b64 s[8:9], s[6:7]
	s_xor_b64 s[6:7], exec, s[8:9]
	s_cbranch_execnz .LBB14_3741
; %bb.1693:
	s_or_saveexec_b64 s[6:7], s[6:7]
	v_mov_b32_e32 v6, s10
	s_xor_b64 exec, exec, s[6:7]
	s_cbranch_execnz .LBB14_3744
.LBB14_1694:
	s_or_b64 exec, exec, s[6:7]
	s_and_saveexec_b64 s[6:7], s[4:5]
	s_cbranch_execz .LBB14_1696
.LBB14_1695:
	v_bfe_u32 v6, v2, 24, 3
	v_ffbh_u32_e32 v16, v6
	v_min_u32_e32 v16, 32, v16
	v_lshrrev_b32_e32 v14, 27, v2
	v_subrev_u32_e32 v17, 28, v16
	v_and_b32_e32 v13, 0x80000000, v2
	v_and_b32_e32 v14, 15, v14
	v_bfe_u32 v15, v2, 27, 4
	v_lshlrev_b32_sdwa v2, v17, v2 dst_sel:DWORD dst_unused:UNUSED_PAD src0_sel:DWORD src1_sel:BYTE_3
	v_sub_u32_e32 v16, 29, v16
	v_and_b32_e32 v2, 7, v2
	v_cmp_eq_u16_e32 vcc, 0, v14
	v_cndmask_b32_e32 v2, v6, v2, vcc
	v_cndmask_b32_e32 v6, v15, v16, vcc
	v_mov_b32_e32 v14, 0x3b800000
	v_lshlrev_b32_e32 v2, 20, v2
	v_lshl_add_u32 v6, v6, 23, v14
	v_or3_b32 v6, v13, v6, v2
.LBB14_1696:
	s_or_b64 exec, exec, s[6:7]
	s_nop 0
	v_mfma_f32_16x16x4f32 a[0:3], v12, v6, a[0:3]
	s_movk_i32 s4, 0x7f
	v_cmp_gt_i16_sdwa s[6:7], v7, s4 src0_sel:BYTE_0 src1_sel:DWORD
	s_mov_b64 s[4:5], 0
                                        ; implicit-def: $sgpr10
	s_and_saveexec_b64 s[8:9], s[6:7]
	s_xor_b64 s[6:7], exec, s[8:9]
	s_cbranch_execnz .LBB14_3745
; %bb.1697:
	s_or_saveexec_b64 s[6:7], s[6:7]
	v_mov_b32_e32 v2, s10
	s_xor_b64 exec, exec, s[6:7]
	s_cbranch_execnz .LBB14_3748
.LBB14_1698:
	s_or_b64 exec, exec, s[6:7]
	s_and_saveexec_b64 s[6:7], s[4:5]
	s_cbranch_execz .LBB14_1700
.LBB14_1699:
	v_and_b32_e32 v2, 7, v7
	v_ffbh_u32_e32 v12, v2
	v_min_u32_e32 v12, 32, v12
	v_lshrrev_b16_e32 v6, 3, v7
	v_subrev_u32_e32 v13, 28, v12
	v_and_b32_e32 v6, 15, v6
	v_lshlrev_b32_e32 v13, v13, v7
	v_sub_u32_e32 v12, 29, v12
	v_and_b32_e32 v13, 7, v13
	v_cmp_eq_u16_e32 vcc, 0, v6
	v_cndmask_b32_e32 v2, v2, v13, vcc
	v_cndmask_b32_e32 v6, v6, v12, vcc
	v_lshlrev_b32_e32 v12, 24, v7
	v_mov_b32_e32 v13, 0x3b800000
	v_lshlrev_b32_e32 v2, 20, v2
	v_and_b32_e32 v12, 0x80000000, v12
	v_lshl_add_u32 v6, v6, 23, v13
	v_or3_b32 v2, v12, v6, v2
.LBB14_1700:
	s_or_b64 exec, exec, s[6:7]
	s_movk_i32 s4, 0x7f
	v_cmp_gt_i16_sdwa s[6:7], v3, s4 src0_sel:BYTE_0 src1_sel:DWORD
	s_mov_b64 s[4:5], 0
                                        ; implicit-def: $sgpr10
	s_and_saveexec_b64 s[8:9], s[6:7]
	s_xor_b64 s[6:7], exec, s[8:9]
	s_cbranch_execnz .LBB14_3749
; %bb.1701:
	s_or_saveexec_b64 s[6:7], s[6:7]
	v_mov_b32_e32 v6, s10
	s_xor_b64 exec, exec, s[6:7]
	s_cbranch_execnz .LBB14_3752
.LBB14_1702:
	s_or_b64 exec, exec, s[6:7]
	s_and_saveexec_b64 s[6:7], s[4:5]
	s_cbranch_execz .LBB14_1704
.LBB14_1703:
	v_and_b32_e32 v6, 7, v3
	v_ffbh_u32_e32 v13, v6
	v_min_u32_e32 v13, 32, v13
	v_lshrrev_b16_e32 v12, 3, v3
	v_subrev_u32_e32 v14, 28, v13
	v_and_b32_e32 v12, 15, v12
	v_lshlrev_b32_e32 v14, v14, v3
	v_sub_u32_e32 v13, 29, v13
	v_and_b32_e32 v14, 7, v14
	v_cmp_eq_u16_e32 vcc, 0, v12
	v_cndmask_b32_e32 v6, v6, v14, vcc
	v_cndmask_b32_e32 v12, v12, v13, vcc
	v_lshlrev_b32_e32 v13, 24, v3
	v_mov_b32_e32 v14, 0x3b800000
	v_lshlrev_b32_e32 v6, 20, v6
	v_and_b32_e32 v13, 0x80000000, v13
	v_lshl_add_u32 v12, v12, 23, v14
	v_or3_b32 v6, v13, v12, v6
.LBB14_1704:
	s_or_b64 exec, exec, s[6:7]
	s_nop 0
	v_mfma_f32_16x16x4f32 a[0:3], v2, v6, a[0:3]
	v_lshrrev_b32_e32 v6, 8, v7
	s_movk_i32 s4, 0x7f
	v_cmp_gt_i16_sdwa s[6:7], v6, s4 src0_sel:BYTE_0 src1_sel:DWORD
	s_mov_b64 s[4:5], 0
                                        ; implicit-def: $sgpr10
	s_and_saveexec_b64 s[8:9], s[6:7]
	s_xor_b64 s[6:7], exec, s[8:9]
	s_cbranch_execnz .LBB14_3753
; %bb.1705:
	s_or_saveexec_b64 s[6:7], s[6:7]
	v_mov_b32_e32 v2, s10
	s_xor_b64 exec, exec, s[6:7]
	s_cbranch_execnz .LBB14_3756
.LBB14_1706:
	s_or_b64 exec, exec, s[6:7]
	s_and_saveexec_b64 s[6:7], s[4:5]
	s_cbranch_execz .LBB14_1708
.LBB14_1707:
	v_bfe_u32 v2, v7, 8, 3
	v_ffbh_u32_e32 v13, v2
	v_min_u32_e32 v13, 32, v13
	v_lshrrev_b16_e32 v12, 3, v6
	v_subrev_u32_e32 v14, 28, v13
	v_and_b32_e32 v12, 15, v12
	v_lshlrev_b32_e32 v6, v14, v6
	v_sub_u32_e32 v13, 29, v13
	v_and_b32_e32 v6, 7, v6
	v_cmp_eq_u16_e32 vcc, 0, v12
	v_cndmask_b32_e32 v2, v2, v6, vcc
	v_cndmask_b32_e32 v6, v12, v13, vcc
	v_lshlrev_b32_e32 v12, 16, v7
	v_mov_b32_e32 v13, 0x3b800000
	v_lshlrev_b32_e32 v2, 20, v2
	v_and_b32_e32 v12, 0x80000000, v12
	v_lshl_add_u32 v6, v6, 23, v13
	v_or3_b32 v2, v12, v6, v2
.LBB14_1708:
	s_or_b64 exec, exec, s[6:7]
	v_lshrrev_b32_e32 v6, 8, v3
	s_movk_i32 s4, 0x7f
	v_cmp_gt_i16_sdwa s[6:7], v6, s4 src0_sel:BYTE_0 src1_sel:DWORD
	s_mov_b64 s[4:5], 0
                                        ; implicit-def: $sgpr10
	s_and_saveexec_b64 s[8:9], s[6:7]
	s_xor_b64 s[6:7], exec, s[8:9]
	s_cbranch_execnz .LBB14_3757
; %bb.1709:
	s_or_saveexec_b64 s[6:7], s[6:7]
	v_mov_b32_e32 v12, s10
	s_xor_b64 exec, exec, s[6:7]
	s_cbranch_execnz .LBB14_3760
.LBB14_1710:
	s_or_b64 exec, exec, s[6:7]
	s_and_saveexec_b64 s[6:7], s[4:5]
	s_cbranch_execz .LBB14_1712
.LBB14_1711:
	v_bfe_u32 v12, v3, 8, 3
	v_ffbh_u32_e32 v14, v12
	v_min_u32_e32 v14, 32, v14
	v_lshrrev_b16_e32 v13, 3, v6
	v_subrev_u32_e32 v15, 28, v14
	v_and_b32_e32 v13, 15, v13
	v_lshlrev_b32_e32 v6, v15, v6
	v_sub_u32_e32 v14, 29, v14
	v_and_b32_e32 v6, 7, v6
	v_cmp_eq_u16_e32 vcc, 0, v13
	v_cndmask_b32_e32 v6, v12, v6, vcc
	v_cndmask_b32_e32 v12, v13, v14, vcc
	v_lshlrev_b32_e32 v13, 16, v3
	v_mov_b32_e32 v14, 0x3b800000
	v_lshlrev_b32_e32 v6, 20, v6
	v_and_b32_e32 v13, 0x80000000, v13
	v_lshl_add_u32 v12, v12, 23, v14
	v_or3_b32 v12, v13, v12, v6
.LBB14_1712:
	s_or_b64 exec, exec, s[6:7]
	s_nop 0
	v_mfma_f32_16x16x4f32 a[0:3], v2, v12, a[0:3]
	s_movk_i32 s4, 0xff
	v_and_b32_sdwa v6, v7, s4 dst_sel:DWORD dst_unused:UNUSED_PAD src0_sel:WORD_1 src1_sel:DWORD
	s_movk_i32 s4, 0x7f
	v_cmp_lt_i16_e32 vcc, s4, v6
	s_mov_b64 s[4:5], 0
                                        ; implicit-def: $sgpr10
	s_and_saveexec_b64 s[6:7], vcc
	s_xor_b64 s[6:7], exec, s[6:7]
	s_cbranch_execnz .LBB14_3761
; %bb.1713:
	s_or_saveexec_b64 s[6:7], s[6:7]
	v_mov_b32_e32 v2, s10
	s_xor_b64 exec, exec, s[6:7]
	s_cbranch_execnz .LBB14_3764
.LBB14_1714:
	s_or_b64 exec, exec, s[6:7]
	s_and_saveexec_b64 s[6:7], s[4:5]
	s_cbranch_execz .LBB14_1716
.LBB14_1715:
	v_bfe_u32 v2, v7, 16, 3
	v_ffbh_u32_e32 v13, v2
	v_min_u32_e32 v13, 32, v13
	v_lshrrev_b32_e32 v6, 19, v7
	v_subrev_u32_e32 v14, 28, v13
	v_and_b32_e32 v6, 15, v6
	v_lshlrev_b32_sdwa v14, v14, v7 dst_sel:DWORD dst_unused:UNUSED_PAD src0_sel:DWORD src1_sel:WORD_1
	v_bfe_u32 v12, v7, 19, 4
	v_sub_u32_e32 v13, 29, v13
	v_and_b32_e32 v14, 7, v14
	v_cmp_eq_u16_e32 vcc, 0, v6
	v_cndmask_b32_e32 v2, v2, v14, vcc
	v_cndmask_b32_e32 v6, v12, v13, vcc
	v_lshlrev_b32_e32 v12, 8, v7
	v_mov_b32_e32 v13, 0x3b800000
	v_lshlrev_b32_e32 v2, 20, v2
	v_and_b32_e32 v12, 0x80000000, v12
	v_lshl_add_u32 v6, v6, 23, v13
	v_or3_b32 v2, v12, v6, v2
.LBB14_1716:
	s_or_b64 exec, exec, s[6:7]
	s_movk_i32 s4, 0xff
	v_and_b32_sdwa v6, v3, s4 dst_sel:DWORD dst_unused:UNUSED_PAD src0_sel:WORD_1 src1_sel:DWORD
	s_movk_i32 s4, 0x7f
	v_cmp_lt_i16_e32 vcc, s4, v6
	s_mov_b64 s[4:5], 0
                                        ; implicit-def: $sgpr10
	s_and_saveexec_b64 s[6:7], vcc
	s_xor_b64 s[6:7], exec, s[6:7]
	s_cbranch_execnz .LBB14_3765
; %bb.1717:
	s_or_saveexec_b64 s[6:7], s[6:7]
	v_mov_b32_e32 v12, s10
	s_xor_b64 exec, exec, s[6:7]
	s_cbranch_execnz .LBB14_3768
.LBB14_1718:
	s_or_b64 exec, exec, s[6:7]
	s_and_saveexec_b64 s[6:7], s[4:5]
	s_cbranch_execz .LBB14_1720
.LBB14_1719:
	v_bfe_u32 v6, v3, 16, 3
	v_ffbh_u32_e32 v14, v6
	v_min_u32_e32 v14, 32, v14
	v_lshrrev_b32_e32 v12, 19, v3
	v_subrev_u32_e32 v15, 28, v14
	v_and_b32_e32 v12, 15, v12
	v_lshlrev_b32_sdwa v15, v15, v3 dst_sel:DWORD dst_unused:UNUSED_PAD src0_sel:DWORD src1_sel:WORD_1
	v_bfe_u32 v13, v3, 19, 4
	v_sub_u32_e32 v14, 29, v14
	v_and_b32_e32 v15, 7, v15
	v_cmp_eq_u16_e32 vcc, 0, v12
	v_cndmask_b32_e32 v6, v6, v15, vcc
	v_cndmask_b32_e32 v12, v13, v14, vcc
	v_lshlrev_b32_e32 v13, 8, v3
	v_mov_b32_e32 v14, 0x3b800000
	v_lshlrev_b32_e32 v6, 20, v6
	v_and_b32_e32 v13, 0x80000000, v13
	v_lshl_add_u32 v12, v12, 23, v14
	v_or3_b32 v12, v13, v12, v6
.LBB14_1720:
	s_or_b64 exec, exec, s[6:7]
	s_nop 0
	v_mfma_f32_16x16x4f32 a[0:3], v2, v12, a[0:3]
	s_movk_i32 s4, 0x7f
	v_cmp_gt_i16_sdwa s[6:7], v7, s4 src0_sel:BYTE_3 src1_sel:DWORD
	s_mov_b64 s[4:5], 0
                                        ; implicit-def: $sgpr10
	s_and_saveexec_b64 s[8:9], s[6:7]
	s_xor_b64 s[6:7], exec, s[8:9]
	s_cbranch_execnz .LBB14_3769
; %bb.1721:
	s_or_saveexec_b64 s[6:7], s[6:7]
	v_mov_b32_e32 v2, s10
	s_xor_b64 exec, exec, s[6:7]
	s_cbranch_execnz .LBB14_3772
.LBB14_1722:
	s_or_b64 exec, exec, s[6:7]
	s_and_saveexec_b64 s[6:7], s[4:5]
	s_cbranch_execz .LBB14_1724
.LBB14_1723:
	v_bfe_u32 v2, v7, 24, 3
	v_ffbh_u32_e32 v14, v2
	v_min_u32_e32 v14, 32, v14
	v_lshrrev_b32_e32 v12, 27, v7
	v_subrev_u32_e32 v15, 28, v14
	v_and_b32_e32 v6, 0x80000000, v7
	v_and_b32_e32 v12, 15, v12
	v_bfe_u32 v13, v7, 27, 4
	v_lshlrev_b32_sdwa v7, v15, v7 dst_sel:DWORD dst_unused:UNUSED_PAD src0_sel:DWORD src1_sel:BYTE_3
	v_sub_u32_e32 v14, 29, v14
	v_and_b32_e32 v7, 7, v7
	v_cmp_eq_u16_e32 vcc, 0, v12
	v_cndmask_b32_e32 v2, v2, v7, vcc
	v_cndmask_b32_e32 v7, v13, v14, vcc
	v_mov_b32_e32 v12, 0x3b800000
	v_lshlrev_b32_e32 v2, 20, v2
	v_lshl_add_u32 v7, v7, 23, v12
	v_or3_b32 v2, v6, v7, v2
.LBB14_1724:
	s_or_b64 exec, exec, s[6:7]
	s_movk_i32 s4, 0x7f
	v_cmp_gt_i16_sdwa s[6:7], v3, s4 src0_sel:BYTE_3 src1_sel:DWORD
	s_mov_b64 s[4:5], 0
                                        ; implicit-def: $sgpr10
	s_and_saveexec_b64 s[8:9], s[6:7]
	s_xor_b64 s[6:7], exec, s[8:9]
	s_cbranch_execnz .LBB14_3773
; %bb.1725:
	s_or_saveexec_b64 s[6:7], s[6:7]
	v_mov_b32_e32 v6, s10
	s_xor_b64 exec, exec, s[6:7]
	s_cbranch_execnz .LBB14_3776
.LBB14_1726:
	s_or_b64 exec, exec, s[6:7]
	s_and_saveexec_b64 s[6:7], s[4:5]
	s_cbranch_execz .LBB14_1728
.LBB14_1727:
	v_bfe_u32 v6, v3, 24, 3
	v_ffbh_u32_e32 v14, v6
	v_min_u32_e32 v14, 32, v14
	v_lshrrev_b32_e32 v12, 27, v3
	v_subrev_u32_e32 v15, 28, v14
	v_and_b32_e32 v7, 0x80000000, v3
	v_and_b32_e32 v12, 15, v12
	v_bfe_u32 v13, v3, 27, 4
	v_lshlrev_b32_sdwa v3, v15, v3 dst_sel:DWORD dst_unused:UNUSED_PAD src0_sel:DWORD src1_sel:BYTE_3
	v_sub_u32_e32 v14, 29, v14
	v_and_b32_e32 v3, 7, v3
	v_cmp_eq_u16_e32 vcc, 0, v12
	v_cndmask_b32_e32 v3, v6, v3, vcc
	v_cndmask_b32_e32 v6, v13, v14, vcc
	v_mov_b32_e32 v12, 0x3b800000
	v_lshlrev_b32_e32 v3, 20, v3
	v_lshl_add_u32 v6, v6, 23, v12
	v_or3_b32 v6, v7, v6, v3
.LBB14_1728:
	s_or_b64 exec, exec, s[6:7]
	s_nop 0
	v_mfma_f32_16x16x4f32 a[0:3], v2, v6, a[0:3]
	s_movk_i32 s4, 0x7f
	v_cmp_gt_i16_sdwa s[6:7], v8, s4 src0_sel:BYTE_0 src1_sel:DWORD
	s_mov_b64 s[4:5], 0
                                        ; implicit-def: $sgpr10
	s_and_saveexec_b64 s[8:9], s[6:7]
	s_xor_b64 s[6:7], exec, s[8:9]
	s_cbranch_execnz .LBB14_3777
; %bb.1729:
	s_or_saveexec_b64 s[6:7], s[6:7]
	v_mov_b32_e32 v2, s10
	s_xor_b64 exec, exec, s[6:7]
	s_cbranch_execnz .LBB14_3780
.LBB14_1730:
	s_or_b64 exec, exec, s[6:7]
	s_and_saveexec_b64 s[6:7], s[4:5]
	s_cbranch_execz .LBB14_1732
.LBB14_1731:
	v_and_b32_e32 v2, 7, v8
	v_ffbh_u32_e32 v6, v2
	v_min_u32_e32 v6, 32, v6
	v_lshrrev_b16_e32 v3, 3, v8
	v_subrev_u32_e32 v7, 28, v6
	v_and_b32_e32 v3, 15, v3
	v_lshlrev_b32_e32 v7, v7, v8
	v_sub_u32_e32 v6, 29, v6
	v_and_b32_e32 v7, 7, v7
	v_cmp_eq_u16_e32 vcc, 0, v3
	v_cndmask_b32_e32 v2, v2, v7, vcc
	v_cndmask_b32_e32 v3, v3, v6, vcc
	v_lshlrev_b32_e32 v6, 24, v8
	v_mov_b32_e32 v7, 0x3b800000
	v_lshlrev_b32_e32 v2, 20, v2
	v_and_b32_e32 v6, 0x80000000, v6
	v_lshl_add_u32 v3, v3, 23, v7
	v_or3_b32 v2, v6, v3, v2
.LBB14_1732:
	s_or_b64 exec, exec, s[6:7]
	s_movk_i32 s4, 0x7f
	v_cmp_gt_i16_sdwa s[6:7], v4, s4 src0_sel:BYTE_0 src1_sel:DWORD
	s_mov_b64 s[4:5], 0
                                        ; implicit-def: $sgpr10
	s_and_saveexec_b64 s[8:9], s[6:7]
	s_xor_b64 s[6:7], exec, s[8:9]
	s_cbranch_execnz .LBB14_3781
; %bb.1733:
	s_or_saveexec_b64 s[6:7], s[6:7]
	v_mov_b32_e32 v3, s10
	s_xor_b64 exec, exec, s[6:7]
	s_cbranch_execnz .LBB14_3784
.LBB14_1734:
	s_or_b64 exec, exec, s[6:7]
	s_and_saveexec_b64 s[6:7], s[4:5]
	s_cbranch_execz .LBB14_1736
.LBB14_1735:
	v_and_b32_e32 v3, 7, v4
	v_ffbh_u32_e32 v7, v3
	v_min_u32_e32 v7, 32, v7
	v_lshrrev_b16_e32 v6, 3, v4
	v_subrev_u32_e32 v12, 28, v7
	v_and_b32_e32 v6, 15, v6
	v_lshlrev_b32_e32 v12, v12, v4
	v_sub_u32_e32 v7, 29, v7
	v_and_b32_e32 v12, 7, v12
	v_cmp_eq_u16_e32 vcc, 0, v6
	v_cndmask_b32_e32 v3, v3, v12, vcc
	v_cndmask_b32_e32 v6, v6, v7, vcc
	v_lshlrev_b32_e32 v7, 24, v4
	v_mov_b32_e32 v12, 0x3b800000
	v_lshlrev_b32_e32 v3, 20, v3
	v_and_b32_e32 v7, 0x80000000, v7
	v_lshl_add_u32 v6, v6, 23, v12
	v_or3_b32 v3, v7, v6, v3
.LBB14_1736:
	s_or_b64 exec, exec, s[6:7]
	s_nop 0
	v_mfma_f32_16x16x4f32 a[0:3], v2, v3, a[0:3]
	v_lshrrev_b32_e32 v3, 8, v8
	s_movk_i32 s4, 0x7f
	v_cmp_gt_i16_sdwa s[6:7], v3, s4 src0_sel:BYTE_0 src1_sel:DWORD
	s_mov_b64 s[4:5], 0
                                        ; implicit-def: $sgpr10
	s_and_saveexec_b64 s[8:9], s[6:7]
	s_xor_b64 s[6:7], exec, s[8:9]
	s_cbranch_execnz .LBB14_3785
; %bb.1737:
	s_or_saveexec_b64 s[6:7], s[6:7]
	v_mov_b32_e32 v2, s10
	s_xor_b64 exec, exec, s[6:7]
	s_cbranch_execnz .LBB14_3788
.LBB14_1738:
	s_or_b64 exec, exec, s[6:7]
	s_and_saveexec_b64 s[6:7], s[4:5]
	s_cbranch_execz .LBB14_1740
.LBB14_1739:
	v_bfe_u32 v2, v8, 8, 3
	v_ffbh_u32_e32 v7, v2
	v_min_u32_e32 v7, 32, v7
	v_lshrrev_b16_e32 v6, 3, v3
	v_subrev_u32_e32 v12, 28, v7
	v_and_b32_e32 v6, 15, v6
	v_lshlrev_b32_e32 v3, v12, v3
	v_sub_u32_e32 v7, 29, v7
	v_and_b32_e32 v3, 7, v3
	v_cmp_eq_u16_e32 vcc, 0, v6
	v_cndmask_b32_e32 v2, v2, v3, vcc
	v_cndmask_b32_e32 v3, v6, v7, vcc
	v_lshlrev_b32_e32 v6, 16, v8
	v_mov_b32_e32 v7, 0x3b800000
	v_lshlrev_b32_e32 v2, 20, v2
	v_and_b32_e32 v6, 0x80000000, v6
	v_lshl_add_u32 v3, v3, 23, v7
	v_or3_b32 v2, v6, v3, v2
.LBB14_1740:
	s_or_b64 exec, exec, s[6:7]
	v_lshrrev_b32_e32 v3, 8, v4
	s_movk_i32 s4, 0x7f
	v_cmp_gt_i16_sdwa s[6:7], v3, s4 src0_sel:BYTE_0 src1_sel:DWORD
	s_mov_b64 s[4:5], 0
                                        ; implicit-def: $sgpr10
	s_and_saveexec_b64 s[8:9], s[6:7]
	s_xor_b64 s[6:7], exec, s[8:9]
	s_cbranch_execnz .LBB14_3789
; %bb.1741:
	s_or_saveexec_b64 s[6:7], s[6:7]
	v_mov_b32_e32 v6, s10
	s_xor_b64 exec, exec, s[6:7]
	s_cbranch_execnz .LBB14_3792
.LBB14_1742:
	s_or_b64 exec, exec, s[6:7]
	s_and_saveexec_b64 s[6:7], s[4:5]
	s_cbranch_execz .LBB14_1744
.LBB14_1743:
	v_bfe_u32 v6, v4, 8, 3
	v_ffbh_u32_e32 v12, v6
	v_min_u32_e32 v12, 32, v12
	v_lshrrev_b16_e32 v7, 3, v3
	v_subrev_u32_e32 v13, 28, v12
	v_and_b32_e32 v7, 15, v7
	v_lshlrev_b32_e32 v3, v13, v3
	v_sub_u32_e32 v12, 29, v12
	v_and_b32_e32 v3, 7, v3
	v_cmp_eq_u16_e32 vcc, 0, v7
	v_cndmask_b32_e32 v3, v6, v3, vcc
	v_cndmask_b32_e32 v6, v7, v12, vcc
	v_lshlrev_b32_e32 v7, 16, v4
	v_mov_b32_e32 v12, 0x3b800000
	v_lshlrev_b32_e32 v3, 20, v3
	v_and_b32_e32 v7, 0x80000000, v7
	v_lshl_add_u32 v6, v6, 23, v12
	v_or3_b32 v6, v7, v6, v3
.LBB14_1744:
	s_or_b64 exec, exec, s[6:7]
	s_nop 0
	v_mfma_f32_16x16x4f32 a[0:3], v2, v6, a[0:3]
	s_movk_i32 s4, 0xff
	v_and_b32_sdwa v3, v8, s4 dst_sel:DWORD dst_unused:UNUSED_PAD src0_sel:WORD_1 src1_sel:DWORD
	s_movk_i32 s4, 0x7f
	v_cmp_lt_i16_e32 vcc, s4, v3
	s_mov_b64 s[4:5], 0
                                        ; implicit-def: $sgpr10
	s_and_saveexec_b64 s[6:7], vcc
	s_xor_b64 s[6:7], exec, s[6:7]
	s_cbranch_execnz .LBB14_3793
; %bb.1745:
	s_or_saveexec_b64 s[6:7], s[6:7]
	v_mov_b32_e32 v2, s10
	s_xor_b64 exec, exec, s[6:7]
	s_cbranch_execnz .LBB14_3796
.LBB14_1746:
	s_or_b64 exec, exec, s[6:7]
	s_and_saveexec_b64 s[6:7], s[4:5]
	s_cbranch_execz .LBB14_1748
.LBB14_1747:
	v_bfe_u32 v2, v8, 16, 3
	v_ffbh_u32_e32 v7, v2
	v_min_u32_e32 v7, 32, v7
	v_lshrrev_b32_e32 v3, 19, v8
	v_subrev_u32_e32 v12, 28, v7
	v_and_b32_e32 v3, 15, v3
	v_lshlrev_b32_sdwa v12, v12, v8 dst_sel:DWORD dst_unused:UNUSED_PAD src0_sel:DWORD src1_sel:WORD_1
	v_bfe_u32 v6, v8, 19, 4
	v_sub_u32_e32 v7, 29, v7
	v_and_b32_e32 v12, 7, v12
	v_cmp_eq_u16_e32 vcc, 0, v3
	v_cndmask_b32_e32 v2, v2, v12, vcc
	v_cndmask_b32_e32 v3, v6, v7, vcc
	v_lshlrev_b32_e32 v6, 8, v8
	v_mov_b32_e32 v7, 0x3b800000
	v_lshlrev_b32_e32 v2, 20, v2
	v_and_b32_e32 v6, 0x80000000, v6
	v_lshl_add_u32 v3, v3, 23, v7
	v_or3_b32 v2, v6, v3, v2
.LBB14_1748:
	s_or_b64 exec, exec, s[6:7]
	s_movk_i32 s4, 0xff
	v_and_b32_sdwa v3, v4, s4 dst_sel:DWORD dst_unused:UNUSED_PAD src0_sel:WORD_1 src1_sel:DWORD
	s_movk_i32 s4, 0x7f
	v_cmp_lt_i16_e32 vcc, s4, v3
	s_mov_b64 s[4:5], 0
                                        ; implicit-def: $sgpr10
	s_and_saveexec_b64 s[6:7], vcc
	s_xor_b64 s[6:7], exec, s[6:7]
	s_cbranch_execnz .LBB14_3797
; %bb.1749:
	s_or_saveexec_b64 s[6:7], s[6:7]
	v_mov_b32_e32 v6, s10
	s_xor_b64 exec, exec, s[6:7]
	s_cbranch_execnz .LBB14_3800
.LBB14_1750:
	s_or_b64 exec, exec, s[6:7]
	s_and_saveexec_b64 s[6:7], s[4:5]
	s_cbranch_execz .LBB14_1752
.LBB14_1751:
	v_bfe_u32 v3, v4, 16, 3
	v_ffbh_u32_e32 v12, v3
	v_min_u32_e32 v12, 32, v12
	v_lshrrev_b32_e32 v6, 19, v4
	v_subrev_u32_e32 v13, 28, v12
	v_and_b32_e32 v6, 15, v6
	v_lshlrev_b32_sdwa v13, v13, v4 dst_sel:DWORD dst_unused:UNUSED_PAD src0_sel:DWORD src1_sel:WORD_1
	v_bfe_u32 v7, v4, 19, 4
	v_sub_u32_e32 v12, 29, v12
	v_and_b32_e32 v13, 7, v13
	v_cmp_eq_u16_e32 vcc, 0, v6
	v_cndmask_b32_e32 v3, v3, v13, vcc
	v_cndmask_b32_e32 v6, v7, v12, vcc
	v_lshlrev_b32_e32 v7, 8, v4
	v_mov_b32_e32 v12, 0x3b800000
	v_lshlrev_b32_e32 v3, 20, v3
	v_and_b32_e32 v7, 0x80000000, v7
	v_lshl_add_u32 v6, v6, 23, v12
	v_or3_b32 v6, v7, v6, v3
.LBB14_1752:
	s_or_b64 exec, exec, s[6:7]
	s_nop 0
	v_mfma_f32_16x16x4f32 a[0:3], v2, v6, a[0:3]
	s_movk_i32 s4, 0x7f
	v_cmp_gt_i16_sdwa s[6:7], v8, s4 src0_sel:BYTE_3 src1_sel:DWORD
	s_mov_b64 s[4:5], 0
                                        ; implicit-def: $sgpr10
	s_and_saveexec_b64 s[8:9], s[6:7]
	s_xor_b64 s[6:7], exec, s[8:9]
	s_cbranch_execnz .LBB14_3801
; %bb.1753:
	s_or_saveexec_b64 s[6:7], s[6:7]
	v_mov_b32_e32 v2, s10
	s_xor_b64 exec, exec, s[6:7]
	s_cbranch_execnz .LBB14_3804
.LBB14_1754:
	s_or_b64 exec, exec, s[6:7]
	s_and_saveexec_b64 s[6:7], s[4:5]
	s_cbranch_execz .LBB14_1756
.LBB14_1755:
	v_bfe_u32 v2, v8, 24, 3
	v_ffbh_u32_e32 v12, v2
	v_min_u32_e32 v12, 32, v12
	v_lshrrev_b32_e32 v6, 27, v8
	v_subrev_u32_e32 v13, 28, v12
	v_and_b32_e32 v3, 0x80000000, v8
	v_and_b32_e32 v6, 15, v6
	v_bfe_u32 v7, v8, 27, 4
	v_lshlrev_b32_sdwa v8, v13, v8 dst_sel:DWORD dst_unused:UNUSED_PAD src0_sel:DWORD src1_sel:BYTE_3
	v_sub_u32_e32 v12, 29, v12
	v_and_b32_e32 v8, 7, v8
	v_cmp_eq_u16_e32 vcc, 0, v6
	v_cndmask_b32_e32 v2, v2, v8, vcc
	v_cndmask_b32_e32 v6, v7, v12, vcc
	v_mov_b32_e32 v7, 0x3b800000
	v_lshlrev_b32_e32 v2, 20, v2
	v_lshl_add_u32 v6, v6, 23, v7
	v_or3_b32 v2, v3, v6, v2
.LBB14_1756:
	s_or_b64 exec, exec, s[6:7]
	s_movk_i32 s4, 0x7f
	v_cmp_gt_i16_sdwa s[6:7], v4, s4 src0_sel:BYTE_3 src1_sel:DWORD
	s_mov_b64 s[4:5], 0
                                        ; implicit-def: $sgpr10
	s_and_saveexec_b64 s[8:9], s[6:7]
	s_xor_b64 s[6:7], exec, s[8:9]
	s_cbranch_execnz .LBB14_3805
; %bb.1757:
	s_or_saveexec_b64 s[6:7], s[6:7]
	v_mov_b32_e32 v3, s10
	s_xor_b64 exec, exec, s[6:7]
	s_cbranch_execnz .LBB14_3808
.LBB14_1758:
	s_or_b64 exec, exec, s[6:7]
	s_and_saveexec_b64 s[6:7], s[4:5]
	s_cbranch_execz .LBB14_1760
.LBB14_1759:
	v_bfe_u32 v3, v4, 24, 3
	v_ffbh_u32_e32 v12, v3
	v_min_u32_e32 v12, 32, v12
	v_lshrrev_b32_e32 v7, 27, v4
	v_subrev_u32_e32 v13, 28, v12
	v_and_b32_e32 v6, 0x80000000, v4
	v_and_b32_e32 v7, 15, v7
	v_bfe_u32 v8, v4, 27, 4
	v_lshlrev_b32_sdwa v4, v13, v4 dst_sel:DWORD dst_unused:UNUSED_PAD src0_sel:DWORD src1_sel:BYTE_3
	v_sub_u32_e32 v12, 29, v12
	v_and_b32_e32 v4, 7, v4
	v_cmp_eq_u16_e32 vcc, 0, v7
	v_cndmask_b32_e32 v3, v3, v4, vcc
	v_cndmask_b32_e32 v4, v8, v12, vcc
	v_mov_b32_e32 v7, 0x3b800000
	v_lshlrev_b32_e32 v3, 20, v3
	v_lshl_add_u32 v4, v4, 23, v7
	v_or3_b32 v3, v6, v4, v3
.LBB14_1760:
	s_or_b64 exec, exec, s[6:7]
	s_nop 0
	v_mfma_f32_16x16x4f32 a[0:3], v2, v3, a[0:3]
	s_movk_i32 s4, 0x7f
	v_cmp_gt_i16_sdwa s[6:7], v9, s4 src0_sel:BYTE_0 src1_sel:DWORD
	s_mov_b64 s[4:5], 0
                                        ; implicit-def: $sgpr10
	s_and_saveexec_b64 s[8:9], s[6:7]
	s_xor_b64 s[6:7], exec, s[8:9]
	s_cbranch_execnz .LBB14_3809
; %bb.1761:
	s_or_saveexec_b64 s[6:7], s[6:7]
	v_mov_b32_e32 v2, s10
	s_xor_b64 exec, exec, s[6:7]
	s_cbranch_execnz .LBB14_3812
.LBB14_1762:
	s_or_b64 exec, exec, s[6:7]
	s_and_saveexec_b64 s[6:7], s[4:5]
	s_cbranch_execz .LBB14_1764
.LBB14_1763:
	v_mov_b32_e32 v2, 8
	v_and_b32_e32 v3, 7, v9
	v_lshrrev_b32_sdwa v2, v2, v9 dst_sel:BYTE_1 dst_unused:UNUSED_PAD src0_sel:DWORD src1_sel:DWORD
	v_ffbh_u32_e32 v4, v3
	v_or_b32_sdwa v2, v9, v2 dst_sel:DWORD dst_unused:UNUSED_PAD src0_sel:BYTE_0 src1_sel:DWORD
	v_min_u32_e32 v4, 32, v4
	v_lshrrev_b16_e32 v2, 3, v2
	v_subrev_u32_e32 v6, 28, v4
	v_and_b32_e32 v2, 15, v2
	v_lshlrev_b32_e32 v6, v6, v9
	v_sub_u32_e32 v4, 29, v4
	v_and_b32_e32 v6, 7, v6
	v_cmp_eq_u16_e32 vcc, 0, v2
	v_cndmask_b32_e32 v3, v3, v6, vcc
	v_cndmask_b32_e32 v2, v2, v4, vcc
	v_lshlrev_b32_e32 v4, 24, v9
	v_mov_b32_e32 v6, 0x3b800000
	v_lshlrev_b32_e32 v3, 20, v3
	v_and_b32_e32 v4, 0x80000000, v4
	v_lshl_add_u32 v2, v2, 23, v6
	v_or3_b32 v2, v4, v2, v3
.LBB14_1764:
	s_or_b64 exec, exec, s[6:7]
	s_movk_i32 s4, 0x7f
	v_cmp_gt_i16_sdwa s[6:7], v5, s4 src0_sel:BYTE_0 src1_sel:DWORD
	s_mov_b64 s[4:5], 0
                                        ; implicit-def: $sgpr10
	s_and_saveexec_b64 s[8:9], s[6:7]
	s_xor_b64 s[6:7], exec, s[8:9]
	s_cbranch_execnz .LBB14_3813
; %bb.1765:
	s_or_saveexec_b64 s[6:7], s[6:7]
	v_mov_b32_e32 v3, s10
	s_xor_b64 exec, exec, s[6:7]
	s_cbranch_execnz .LBB14_3816
.LBB14_1766:
	s_or_b64 exec, exec, s[6:7]
	s_and_saveexec_b64 s[6:7], s[4:5]
	s_cbranch_execz .LBB14_1768
.LBB14_1767:
	v_mov_b32_e32 v3, 8
	v_and_b32_e32 v4, 7, v5
	v_lshrrev_b32_sdwa v3, v3, v5 dst_sel:BYTE_1 dst_unused:UNUSED_PAD src0_sel:DWORD src1_sel:DWORD
	v_ffbh_u32_e32 v6, v4
	v_or_b32_sdwa v3, v5, v3 dst_sel:DWORD dst_unused:UNUSED_PAD src0_sel:BYTE_0 src1_sel:DWORD
	v_min_u32_e32 v6, 32, v6
	v_lshrrev_b16_e32 v3, 3, v3
	v_subrev_u32_e32 v7, 28, v6
	v_and_b32_e32 v3, 15, v3
	v_lshlrev_b32_e32 v7, v7, v5
	v_sub_u32_e32 v6, 29, v6
	v_and_b32_e32 v7, 7, v7
	v_cmp_eq_u16_e32 vcc, 0, v3
	v_cndmask_b32_e32 v4, v4, v7, vcc
	v_cndmask_b32_e32 v3, v3, v6, vcc
	v_lshlrev_b32_e32 v6, 24, v5
	v_mov_b32_e32 v7, 0x3b800000
	v_lshlrev_b32_e32 v4, 20, v4
	v_and_b32_e32 v6, 0x80000000, v6
	v_lshl_add_u32 v3, v3, 23, v7
	v_or3_b32 v3, v6, v3, v4
.LBB14_1768:
	s_or_b64 exec, exec, s[6:7]
	s_nop 0
	v_mfma_f32_16x16x4f32 a[0:3], v2, v3, a[0:3]
	v_lshrrev_b32_e32 v3, 8, v9
	s_movk_i32 s4, 0x7f
	v_cmp_gt_i16_sdwa s[6:7], v3, s4 src0_sel:BYTE_0 src1_sel:DWORD
	s_mov_b64 s[4:5], 0
                                        ; implicit-def: $sgpr10
	s_and_saveexec_b64 s[8:9], s[6:7]
	s_xor_b64 s[6:7], exec, s[8:9]
	s_cbranch_execnz .LBB14_3817
; %bb.1769:
	s_or_saveexec_b64 s[6:7], s[6:7]
	v_mov_b32_e32 v2, s10
	s_xor_b64 exec, exec, s[6:7]
	s_cbranch_execnz .LBB14_3820
.LBB14_1770:
	s_or_b64 exec, exec, s[6:7]
	s_and_saveexec_b64 s[6:7], s[4:5]
	s_cbranch_execz .LBB14_1772
.LBB14_1771:
	v_bfe_u32 v2, v9, 8, 3
	v_ffbh_u32_e32 v6, v2
	v_min_u32_e32 v6, 32, v6
	v_lshrrev_b16_e32 v4, 3, v3
	v_subrev_u32_e32 v7, 28, v6
	v_and_b32_e32 v4, 15, v4
	v_lshlrev_b32_e32 v3, v7, v3
	v_sub_u32_e32 v6, 29, v6
	v_and_b32_e32 v3, 7, v3
	v_cmp_eq_u16_e32 vcc, 0, v4
	v_cndmask_b32_e32 v2, v2, v3, vcc
	v_cndmask_b32_e32 v3, v4, v6, vcc
	v_lshlrev_b32_e32 v4, 16, v9
	v_mov_b32_e32 v6, 0x3b800000
	v_lshlrev_b32_e32 v2, 20, v2
	v_and_b32_e32 v4, 0x80000000, v4
	v_lshl_add_u32 v3, v3, 23, v6
	v_or3_b32 v2, v4, v3, v2
.LBB14_1772:
	s_or_b64 exec, exec, s[6:7]
	v_lshrrev_b32_e32 v3, 8, v5
	s_movk_i32 s4, 0x7f
	v_cmp_gt_i16_sdwa s[6:7], v3, s4 src0_sel:BYTE_0 src1_sel:DWORD
	s_mov_b64 s[4:5], 0
                                        ; implicit-def: $sgpr10
	s_and_saveexec_b64 s[8:9], s[6:7]
	s_xor_b64 s[6:7], exec, s[8:9]
	s_cbranch_execnz .LBB14_3821
; %bb.1773:
	s_or_saveexec_b64 s[6:7], s[6:7]
	v_mov_b32_e32 v4, s10
	s_xor_b64 exec, exec, s[6:7]
	s_cbranch_execnz .LBB14_3824
.LBB14_1774:
	s_or_b64 exec, exec, s[6:7]
	s_and_saveexec_b64 s[6:7], s[4:5]
	s_cbranch_execz .LBB14_1776
.LBB14_1775:
	v_bfe_u32 v4, v5, 8, 3
	v_ffbh_u32_e32 v7, v4
	v_min_u32_e32 v7, 32, v7
	v_lshrrev_b16_e32 v6, 3, v3
	v_subrev_u32_e32 v8, 28, v7
	v_and_b32_e32 v6, 15, v6
	v_lshlrev_b32_e32 v3, v8, v3
	v_sub_u32_e32 v7, 29, v7
	v_and_b32_e32 v3, 7, v3
	v_cmp_eq_u16_e32 vcc, 0, v6
	v_cndmask_b32_e32 v3, v4, v3, vcc
	v_cndmask_b32_e32 v4, v6, v7, vcc
	v_lshlrev_b32_e32 v6, 16, v5
	v_mov_b32_e32 v7, 0x3b800000
	v_lshlrev_b32_e32 v3, 20, v3
	v_and_b32_e32 v6, 0x80000000, v6
	v_lshl_add_u32 v4, v4, 23, v7
	v_or3_b32 v4, v6, v4, v3
.LBB14_1776:
	s_or_b64 exec, exec, s[6:7]
	s_nop 0
	v_mfma_f32_16x16x4f32 a[0:3], v2, v4, a[0:3]
	s_movk_i32 s4, 0xff
	v_and_b32_sdwa v3, v9, s4 dst_sel:DWORD dst_unused:UNUSED_PAD src0_sel:WORD_1 src1_sel:DWORD
	s_movk_i32 s4, 0x7f
	v_cmp_lt_i16_e32 vcc, s4, v3
	s_mov_b64 s[4:5], 0
                                        ; implicit-def: $sgpr10
	s_and_saveexec_b64 s[6:7], vcc
	s_xor_b64 s[6:7], exec, s[6:7]
	s_cbranch_execnz .LBB14_3825
; %bb.1777:
	s_or_saveexec_b64 s[6:7], s[6:7]
	v_mov_b32_e32 v2, s10
	s_xor_b64 exec, exec, s[6:7]
	s_cbranch_execnz .LBB14_3828
.LBB14_1778:
	s_or_b64 exec, exec, s[6:7]
	s_and_saveexec_b64 s[6:7], s[4:5]
	s_cbranch_execz .LBB14_1780
.LBB14_1779:
	v_bfe_u32 v2, v9, 16, 3
	v_ffbh_u32_e32 v6, v2
	v_min_u32_e32 v6, 32, v6
	v_lshrrev_b32_e32 v3, 19, v9
	v_subrev_u32_e32 v7, 28, v6
	v_and_b32_e32 v3, 15, v3
	v_lshlrev_b32_sdwa v7, v7, v9 dst_sel:DWORD dst_unused:UNUSED_PAD src0_sel:DWORD src1_sel:WORD_1
	v_bfe_u32 v4, v9, 19, 4
	v_sub_u32_e32 v6, 29, v6
	v_and_b32_e32 v7, 7, v7
	v_cmp_eq_u16_e32 vcc, 0, v3
	v_cndmask_b32_e32 v2, v2, v7, vcc
	v_cndmask_b32_e32 v3, v4, v6, vcc
	v_lshlrev_b32_e32 v4, 8, v9
	v_mov_b32_e32 v6, 0x3b800000
	v_lshlrev_b32_e32 v2, 20, v2
	v_and_b32_e32 v4, 0x80000000, v4
	v_lshl_add_u32 v3, v3, 23, v6
	v_or3_b32 v2, v4, v3, v2
.LBB14_1780:
	s_or_b64 exec, exec, s[6:7]
	s_movk_i32 s4, 0xff
	v_and_b32_sdwa v3, v5, s4 dst_sel:DWORD dst_unused:UNUSED_PAD src0_sel:WORD_1 src1_sel:DWORD
	s_movk_i32 s4, 0x7f
	v_cmp_lt_i16_e32 vcc, s4, v3
	s_mov_b64 s[4:5], 0
                                        ; implicit-def: $sgpr10
	s_and_saveexec_b64 s[6:7], vcc
	s_xor_b64 s[6:7], exec, s[6:7]
	s_cbranch_execnz .LBB14_3829
; %bb.1781:
	s_or_saveexec_b64 s[6:7], s[6:7]
	v_mov_b32_e32 v4, s10
	s_xor_b64 exec, exec, s[6:7]
	s_cbranch_execnz .LBB14_3832
.LBB14_1782:
	s_or_b64 exec, exec, s[6:7]
	s_and_saveexec_b64 s[6:7], s[4:5]
	s_cbranch_execz .LBB14_1784
.LBB14_1783:
	v_bfe_u32 v3, v5, 16, 3
	v_ffbh_u32_e32 v7, v3
	v_min_u32_e32 v7, 32, v7
	v_lshrrev_b32_e32 v4, 19, v5
	v_subrev_u32_e32 v8, 28, v7
	v_and_b32_e32 v4, 15, v4
	v_lshlrev_b32_sdwa v8, v8, v5 dst_sel:DWORD dst_unused:UNUSED_PAD src0_sel:DWORD src1_sel:WORD_1
	v_bfe_u32 v6, v5, 19, 4
	v_sub_u32_e32 v7, 29, v7
	v_and_b32_e32 v8, 7, v8
	v_cmp_eq_u16_e32 vcc, 0, v4
	v_cndmask_b32_e32 v3, v3, v8, vcc
	v_cndmask_b32_e32 v4, v6, v7, vcc
	v_lshlrev_b32_e32 v6, 8, v5
	v_mov_b32_e32 v7, 0x3b800000
	v_lshlrev_b32_e32 v3, 20, v3
	v_and_b32_e32 v6, 0x80000000, v6
	v_lshl_add_u32 v4, v4, 23, v7
	v_or3_b32 v4, v6, v4, v3
.LBB14_1784:
	s_or_b64 exec, exec, s[6:7]
	s_nop 0
	v_mfma_f32_16x16x4f32 a[0:3], v2, v4, a[0:3]
	s_movk_i32 s4, 0x7f
	v_cmp_gt_i16_sdwa s[6:7], v9, s4 src0_sel:BYTE_3 src1_sel:DWORD
	s_mov_b64 s[4:5], 0
                                        ; implicit-def: $sgpr10
	s_and_saveexec_b64 s[8:9], s[6:7]
	s_xor_b64 s[6:7], exec, s[8:9]
	s_cbranch_execnz .LBB14_3833
; %bb.1785:
	s_or_saveexec_b64 s[6:7], s[6:7]
	v_mov_b32_e32 v2, s10
	s_xor_b64 exec, exec, s[6:7]
	s_cbranch_execnz .LBB14_3836
.LBB14_1786:
	s_or_b64 exec, exec, s[6:7]
	s_and_saveexec_b64 s[6:7], s[4:5]
	s_cbranch_execz .LBB14_1788
.LBB14_1787:
	v_bfe_u32 v2, v9, 24, 3
	v_ffbh_u32_e32 v7, v2
	v_min_u32_e32 v7, 32, v7
	v_lshrrev_b32_e32 v4, 27, v9
	v_subrev_u32_e32 v8, 28, v7
	v_and_b32_e32 v4, 15, v4
	v_lshlrev_b32_sdwa v8, v8, v9 dst_sel:DWORD dst_unused:UNUSED_PAD src0_sel:DWORD src1_sel:BYTE_3
	v_bfe_u32 v6, v9, 27, 4
	v_sub_u32_e32 v7, 29, v7
	v_and_b32_e32 v8, 7, v8
	v_cmp_eq_u16_e32 vcc, 0, v4
	v_cndmask_b32_e32 v2, v2, v8, vcc
	v_cndmask_b32_e32 v4, v6, v7, vcc
	v_mov_b32_e32 v6, 0x3b800000
	v_and_b32_e32 v3, 0x80000000, v9
	v_lshlrev_b32_e32 v2, 20, v2
	v_lshl_add_u32 v4, v4, 23, v6
	v_or3_b32 v2, v3, v4, v2
.LBB14_1788:
	s_or_b64 exec, exec, s[6:7]
	s_movk_i32 s4, 0x7f
	v_cmp_gt_i16_sdwa s[6:7], v5, s4 src0_sel:BYTE_3 src1_sel:DWORD
	s_mov_b64 s[4:5], 0
                                        ; implicit-def: $sgpr10
	s_and_saveexec_b64 s[8:9], s[6:7]
	s_xor_b64 s[6:7], exec, s[8:9]
	s_cbranch_execnz .LBB14_3837
; %bb.1789:
	s_or_saveexec_b64 s[6:7], s[6:7]
	v_mov_b32_e32 v3, s10
	s_xor_b64 exec, exec, s[6:7]
	s_cbranch_execnz .LBB14_3840
.LBB14_1790:
	s_or_b64 exec, exec, s[6:7]
	s_and_saveexec_b64 s[6:7], s[4:5]
	s_cbranch_execz .LBB14_1792
.LBB14_1791:
	v_bfe_u32 v3, v5, 24, 3
	v_ffbh_u32_e32 v8, v3
	v_min_u32_e32 v8, 32, v8
	v_lshrrev_b32_e32 v6, 27, v5
	v_subrev_u32_e32 v9, 28, v8
	v_and_b32_e32 v4, 0x80000000, v5
	v_and_b32_e32 v6, 15, v6
	v_bfe_u32 v7, v5, 27, 4
	v_lshlrev_b32_sdwa v5, v9, v5 dst_sel:DWORD dst_unused:UNUSED_PAD src0_sel:DWORD src1_sel:BYTE_3
	v_sub_u32_e32 v8, 29, v8
	v_and_b32_e32 v5, 7, v5
	v_cmp_eq_u16_e32 vcc, 0, v6
	v_cndmask_b32_e32 v3, v3, v5, vcc
	v_cndmask_b32_e32 v5, v7, v8, vcc
	v_mov_b32_e32 v6, 0x3b800000
	v_lshlrev_b32_e32 v3, 20, v3
	v_lshl_add_u32 v5, v5, 23, v6
	v_or3_b32 v3, v4, v5, v3
.LBB14_1792:
	s_or_b64 exec, exec, s[6:7]
	s_nop 0
	v_mfma_f32_16x16x4f32 a[0:3], v2, v3, a[0:3]
	s_movk_i32 s4, 0x7f
                                        ; implicit-def: $sgpr10
	s_nop 7
	s_nop 1
	flat_store_dwordx4 v[10:11], a[0:3] offset:208
	flat_load_dwordx4 v[12:15], v[0:1] offset:8
	s_nop 0
	flat_load_dwordx2 v[10:11], v[0:1] offset:32
	s_waitcnt vmcnt(0) lgkmcnt(0)
	flat_load_dwordx4 v[6:9], v[12:13] offset:96
	flat_load_dwordx4 v[2:5], v[14:15] offset:64
	s_waitcnt vmcnt(0) lgkmcnt(0)
	v_cmp_gt_i16_sdwa s[6:7], v6, s4 src0_sel:BYTE_0 src1_sel:DWORD
	s_mov_b64 s[4:5], 0
	s_and_saveexec_b64 s[8:9], s[6:7]
	s_xor_b64 s[6:7], exec, s[8:9]
	s_cbranch_execnz .LBB14_3841
; %bb.1793:
	s_or_saveexec_b64 s[6:7], s[6:7]
	v_mov_b32_e32 v12, s10
	s_xor_b64 exec, exec, s[6:7]
	s_cbranch_execnz .LBB14_3844
.LBB14_1794:
	s_or_b64 exec, exec, s[6:7]
	s_and_saveexec_b64 s[6:7], s[4:5]
	s_cbranch_execz .LBB14_1796
.LBB14_1795:
	v_and_b32_e32 v12, 7, v6
	v_ffbh_u32_e32 v14, v12
	v_min_u32_e32 v14, 32, v14
	v_lshrrev_b16_e32 v13, 3, v6
	v_subrev_u32_e32 v15, 28, v14
	v_and_b32_e32 v13, 15, v13
	v_lshlrev_b32_e32 v15, v15, v6
	v_sub_u32_e32 v14, 29, v14
	v_and_b32_e32 v15, 7, v15
	v_cmp_eq_u16_e32 vcc, 0, v13
	v_cndmask_b32_e32 v12, v12, v15, vcc
	v_cndmask_b32_e32 v13, v13, v14, vcc
	v_lshlrev_b32_e32 v14, 24, v6
	v_mov_b32_e32 v15, 0x3b800000
	v_lshlrev_b32_e32 v12, 20, v12
	v_and_b32_e32 v14, 0x80000000, v14
	v_lshl_add_u32 v13, v13, 23, v15
	v_or3_b32 v12, v14, v13, v12
.LBB14_1796:
	s_or_b64 exec, exec, s[6:7]
	s_movk_i32 s4, 0x7f
	v_cmp_gt_i16_sdwa s[6:7], v2, s4 src0_sel:BYTE_0 src1_sel:DWORD
	s_mov_b64 s[4:5], 0
                                        ; implicit-def: $sgpr10
	s_and_saveexec_b64 s[8:9], s[6:7]
	s_xor_b64 s[6:7], exec, s[8:9]
	s_cbranch_execnz .LBB14_3845
; %bb.1797:
	s_or_saveexec_b64 s[6:7], s[6:7]
	v_mov_b32_e32 v13, s10
	s_xor_b64 exec, exec, s[6:7]
	s_cbranch_execnz .LBB14_3848
.LBB14_1798:
	s_or_b64 exec, exec, s[6:7]
	s_and_saveexec_b64 s[6:7], s[4:5]
	s_cbranch_execz .LBB14_1800
.LBB14_1799:
	v_and_b32_e32 v13, 7, v2
	v_ffbh_u32_e32 v15, v13
	v_min_u32_e32 v15, 32, v15
	v_lshrrev_b16_e32 v14, 3, v2
	v_subrev_u32_e32 v16, 28, v15
	v_and_b32_e32 v14, 15, v14
	v_lshlrev_b32_e32 v16, v16, v2
	v_sub_u32_e32 v15, 29, v15
	v_and_b32_e32 v16, 7, v16
	v_cmp_eq_u16_e32 vcc, 0, v14
	v_cndmask_b32_e32 v13, v13, v16, vcc
	v_cndmask_b32_e32 v14, v14, v15, vcc
	v_lshlrev_b32_e32 v15, 24, v2
	v_mov_b32_e32 v16, 0x3b800000
	v_lshlrev_b32_e32 v13, 20, v13
	v_and_b32_e32 v15, 0x80000000, v15
	v_lshl_add_u32 v14, v14, 23, v16
	v_or3_b32 v13, v15, v14, v13
.LBB14_1800:
	s_or_b64 exec, exec, s[6:7]
	flat_load_dwordx4 a[0:3], v[10:11] offset:224
	s_movk_i32 s4, 0x7f
                                        ; implicit-def: $sgpr10
	s_waitcnt vmcnt(0) lgkmcnt(0)
	v_mfma_f32_16x16x4f32 a[0:3], v12, v13, a[0:3]
	v_lshrrev_b32_e32 v13, 8, v6
	v_cmp_gt_i16_sdwa s[6:7], v13, s4 src0_sel:BYTE_0 src1_sel:DWORD
	s_mov_b64 s[4:5], 0
	s_and_saveexec_b64 s[8:9], s[6:7]
	s_xor_b64 s[6:7], exec, s[8:9]
	s_cbranch_execnz .LBB14_3849
; %bb.1801:
	s_or_saveexec_b64 s[6:7], s[6:7]
	v_mov_b32_e32 v12, s10
	s_xor_b64 exec, exec, s[6:7]
	s_cbranch_execnz .LBB14_3852
.LBB14_1802:
	s_or_b64 exec, exec, s[6:7]
	s_and_saveexec_b64 s[6:7], s[4:5]
	s_cbranch_execz .LBB14_1804
.LBB14_1803:
	v_bfe_u32 v12, v6, 8, 3
	v_ffbh_u32_e32 v15, v12
	v_min_u32_e32 v15, 32, v15
	v_lshrrev_b16_e32 v14, 3, v13
	v_subrev_u32_e32 v16, 28, v15
	v_and_b32_e32 v14, 15, v14
	v_lshlrev_b32_e32 v13, v16, v13
	v_sub_u32_e32 v15, 29, v15
	v_and_b32_e32 v13, 7, v13
	v_cmp_eq_u16_e32 vcc, 0, v14
	v_cndmask_b32_e32 v12, v12, v13, vcc
	v_cndmask_b32_e32 v13, v14, v15, vcc
	v_lshlrev_b32_e32 v14, 16, v6
	v_mov_b32_e32 v15, 0x3b800000
	v_lshlrev_b32_e32 v12, 20, v12
	v_and_b32_e32 v14, 0x80000000, v14
	v_lshl_add_u32 v13, v13, 23, v15
	v_or3_b32 v12, v14, v13, v12
.LBB14_1804:
	s_or_b64 exec, exec, s[6:7]
	v_lshrrev_b32_e32 v13, 8, v2
	s_movk_i32 s4, 0x7f
	v_cmp_gt_i16_sdwa s[6:7], v13, s4 src0_sel:BYTE_0 src1_sel:DWORD
	s_mov_b64 s[4:5], 0
                                        ; implicit-def: $sgpr10
	s_and_saveexec_b64 s[8:9], s[6:7]
	s_xor_b64 s[6:7], exec, s[8:9]
	s_cbranch_execnz .LBB14_3853
; %bb.1805:
	s_or_saveexec_b64 s[6:7], s[6:7]
	v_mov_b32_e32 v14, s10
	s_xor_b64 exec, exec, s[6:7]
	s_cbranch_execnz .LBB14_3856
.LBB14_1806:
	s_or_b64 exec, exec, s[6:7]
	s_and_saveexec_b64 s[6:7], s[4:5]
	s_cbranch_execz .LBB14_1808
.LBB14_1807:
	v_bfe_u32 v14, v2, 8, 3
	v_ffbh_u32_e32 v16, v14
	v_min_u32_e32 v16, 32, v16
	v_lshrrev_b16_e32 v15, 3, v13
	v_subrev_u32_e32 v17, 28, v16
	v_and_b32_e32 v15, 15, v15
	v_lshlrev_b32_e32 v13, v17, v13
	v_sub_u32_e32 v16, 29, v16
	v_and_b32_e32 v13, 7, v13
	v_cmp_eq_u16_e32 vcc, 0, v15
	v_cndmask_b32_e32 v13, v14, v13, vcc
	v_cndmask_b32_e32 v14, v15, v16, vcc
	v_lshlrev_b32_e32 v15, 16, v2
	v_mov_b32_e32 v16, 0x3b800000
	v_lshlrev_b32_e32 v13, 20, v13
	v_and_b32_e32 v15, 0x80000000, v15
	v_lshl_add_u32 v14, v14, 23, v16
	v_or3_b32 v14, v15, v14, v13
.LBB14_1808:
	s_or_b64 exec, exec, s[6:7]
	s_nop 0
	v_mfma_f32_16x16x4f32 a[0:3], v12, v14, a[0:3]
	s_movk_i32 s4, 0xff
	v_and_b32_sdwa v13, v6, s4 dst_sel:DWORD dst_unused:UNUSED_PAD src0_sel:WORD_1 src1_sel:DWORD
	s_movk_i32 s4, 0x7f
	v_cmp_lt_i16_e32 vcc, s4, v13
	s_mov_b64 s[4:5], 0
                                        ; implicit-def: $sgpr10
	s_and_saveexec_b64 s[6:7], vcc
	s_xor_b64 s[6:7], exec, s[6:7]
	s_cbranch_execnz .LBB14_3857
; %bb.1809:
	s_or_saveexec_b64 s[6:7], s[6:7]
	v_mov_b32_e32 v12, s10
	s_xor_b64 exec, exec, s[6:7]
	s_cbranch_execnz .LBB14_3860
.LBB14_1810:
	s_or_b64 exec, exec, s[6:7]
	s_and_saveexec_b64 s[6:7], s[4:5]
	s_cbranch_execz .LBB14_1812
.LBB14_1811:
	v_bfe_u32 v12, v6, 16, 3
	v_ffbh_u32_e32 v15, v12
	v_min_u32_e32 v15, 32, v15
	v_lshrrev_b32_e32 v13, 19, v6
	v_subrev_u32_e32 v16, 28, v15
	v_and_b32_e32 v13, 15, v13
	v_lshlrev_b32_sdwa v16, v16, v6 dst_sel:DWORD dst_unused:UNUSED_PAD src0_sel:DWORD src1_sel:WORD_1
	v_bfe_u32 v14, v6, 19, 4
	v_sub_u32_e32 v15, 29, v15
	v_and_b32_e32 v16, 7, v16
	v_cmp_eq_u16_e32 vcc, 0, v13
	v_cndmask_b32_e32 v12, v12, v16, vcc
	v_cndmask_b32_e32 v13, v14, v15, vcc
	v_lshlrev_b32_e32 v14, 8, v6
	v_mov_b32_e32 v15, 0x3b800000
	v_lshlrev_b32_e32 v12, 20, v12
	v_and_b32_e32 v14, 0x80000000, v14
	v_lshl_add_u32 v13, v13, 23, v15
	v_or3_b32 v12, v14, v13, v12
.LBB14_1812:
	s_or_b64 exec, exec, s[6:7]
	s_movk_i32 s4, 0xff
	v_and_b32_sdwa v13, v2, s4 dst_sel:DWORD dst_unused:UNUSED_PAD src0_sel:WORD_1 src1_sel:DWORD
	s_movk_i32 s4, 0x7f
	v_cmp_lt_i16_e32 vcc, s4, v13
	s_mov_b64 s[4:5], 0
                                        ; implicit-def: $sgpr10
	s_and_saveexec_b64 s[6:7], vcc
	s_xor_b64 s[6:7], exec, s[6:7]
	s_cbranch_execnz .LBB14_3861
; %bb.1813:
	s_or_saveexec_b64 s[6:7], s[6:7]
	v_mov_b32_e32 v14, s10
	s_xor_b64 exec, exec, s[6:7]
	s_cbranch_execnz .LBB14_3864
.LBB14_1814:
	s_or_b64 exec, exec, s[6:7]
	s_and_saveexec_b64 s[6:7], s[4:5]
	s_cbranch_execz .LBB14_1816
.LBB14_1815:
	v_bfe_u32 v13, v2, 16, 3
	v_ffbh_u32_e32 v16, v13
	v_min_u32_e32 v16, 32, v16
	v_lshrrev_b32_e32 v14, 19, v2
	v_subrev_u32_e32 v17, 28, v16
	v_and_b32_e32 v14, 15, v14
	v_lshlrev_b32_sdwa v17, v17, v2 dst_sel:DWORD dst_unused:UNUSED_PAD src0_sel:DWORD src1_sel:WORD_1
	v_bfe_u32 v15, v2, 19, 4
	v_sub_u32_e32 v16, 29, v16
	v_and_b32_e32 v17, 7, v17
	v_cmp_eq_u16_e32 vcc, 0, v14
	v_cndmask_b32_e32 v13, v13, v17, vcc
	v_cndmask_b32_e32 v14, v15, v16, vcc
	v_lshlrev_b32_e32 v15, 8, v2
	v_mov_b32_e32 v16, 0x3b800000
	v_lshlrev_b32_e32 v13, 20, v13
	v_and_b32_e32 v15, 0x80000000, v15
	v_lshl_add_u32 v14, v14, 23, v16
	v_or3_b32 v14, v15, v14, v13
.LBB14_1816:
	s_or_b64 exec, exec, s[6:7]
	s_nop 0
	v_mfma_f32_16x16x4f32 a[0:3], v12, v14, a[0:3]
	s_movk_i32 s4, 0x7f
	v_cmp_gt_i16_sdwa s[6:7], v6, s4 src0_sel:BYTE_3 src1_sel:DWORD
	s_mov_b64 s[4:5], 0
                                        ; implicit-def: $sgpr10
	s_and_saveexec_b64 s[8:9], s[6:7]
	s_xor_b64 s[6:7], exec, s[8:9]
	s_cbranch_execnz .LBB14_3865
; %bb.1817:
	s_or_saveexec_b64 s[6:7], s[6:7]
	v_mov_b32_e32 v12, s10
	s_xor_b64 exec, exec, s[6:7]
	s_cbranch_execnz .LBB14_3868
.LBB14_1818:
	s_or_b64 exec, exec, s[6:7]
	s_and_saveexec_b64 s[6:7], s[4:5]
	s_cbranch_execz .LBB14_1820
.LBB14_1819:
	v_bfe_u32 v12, v6, 24, 3
	v_ffbh_u32_e32 v16, v12
	v_min_u32_e32 v16, 32, v16
	v_lshrrev_b32_e32 v14, 27, v6
	v_subrev_u32_e32 v17, 28, v16
	v_and_b32_e32 v13, 0x80000000, v6
	v_and_b32_e32 v14, 15, v14
	v_bfe_u32 v15, v6, 27, 4
	v_lshlrev_b32_sdwa v6, v17, v6 dst_sel:DWORD dst_unused:UNUSED_PAD src0_sel:DWORD src1_sel:BYTE_3
	v_sub_u32_e32 v16, 29, v16
	v_and_b32_e32 v6, 7, v6
	v_cmp_eq_u16_e32 vcc, 0, v14
	v_cndmask_b32_e32 v6, v12, v6, vcc
	v_cndmask_b32_e32 v12, v15, v16, vcc
	v_mov_b32_e32 v14, 0x3b800000
	v_lshlrev_b32_e32 v6, 20, v6
	v_lshl_add_u32 v12, v12, 23, v14
	v_or3_b32 v12, v13, v12, v6
.LBB14_1820:
	s_or_b64 exec, exec, s[6:7]
	s_movk_i32 s4, 0x7f
	v_cmp_gt_i16_sdwa s[6:7], v2, s4 src0_sel:BYTE_3 src1_sel:DWORD
	s_mov_b64 s[4:5], 0
                                        ; implicit-def: $sgpr10
	s_and_saveexec_b64 s[8:9], s[6:7]
	s_xor_b64 s[6:7], exec, s[8:9]
	s_cbranch_execnz .LBB14_3869
; %bb.1821:
	s_or_saveexec_b64 s[6:7], s[6:7]
	v_mov_b32_e32 v6, s10
	s_xor_b64 exec, exec, s[6:7]
	s_cbranch_execnz .LBB14_3872
.LBB14_1822:
	s_or_b64 exec, exec, s[6:7]
	s_and_saveexec_b64 s[6:7], s[4:5]
	s_cbranch_execz .LBB14_1824
.LBB14_1823:
	v_bfe_u32 v6, v2, 24, 3
	v_ffbh_u32_e32 v16, v6
	v_min_u32_e32 v16, 32, v16
	v_lshrrev_b32_e32 v14, 27, v2
	v_subrev_u32_e32 v17, 28, v16
	v_and_b32_e32 v13, 0x80000000, v2
	v_and_b32_e32 v14, 15, v14
	v_bfe_u32 v15, v2, 27, 4
	v_lshlrev_b32_sdwa v2, v17, v2 dst_sel:DWORD dst_unused:UNUSED_PAD src0_sel:DWORD src1_sel:BYTE_3
	v_sub_u32_e32 v16, 29, v16
	v_and_b32_e32 v2, 7, v2
	v_cmp_eq_u16_e32 vcc, 0, v14
	v_cndmask_b32_e32 v2, v6, v2, vcc
	v_cndmask_b32_e32 v6, v15, v16, vcc
	v_mov_b32_e32 v14, 0x3b800000
	v_lshlrev_b32_e32 v2, 20, v2
	v_lshl_add_u32 v6, v6, 23, v14
	v_or3_b32 v6, v13, v6, v2
.LBB14_1824:
	s_or_b64 exec, exec, s[6:7]
	s_nop 0
	v_mfma_f32_16x16x4f32 a[0:3], v12, v6, a[0:3]
	s_movk_i32 s4, 0x7f
	v_cmp_gt_i16_sdwa s[6:7], v7, s4 src0_sel:BYTE_0 src1_sel:DWORD
	s_mov_b64 s[4:5], 0
                                        ; implicit-def: $sgpr10
	s_and_saveexec_b64 s[8:9], s[6:7]
	s_xor_b64 s[6:7], exec, s[8:9]
	s_cbranch_execnz .LBB14_3873
; %bb.1825:
	s_or_saveexec_b64 s[6:7], s[6:7]
	v_mov_b32_e32 v2, s10
	s_xor_b64 exec, exec, s[6:7]
	s_cbranch_execnz .LBB14_3876
.LBB14_1826:
	s_or_b64 exec, exec, s[6:7]
	s_and_saveexec_b64 s[6:7], s[4:5]
	s_cbranch_execz .LBB14_1828
.LBB14_1827:
	v_and_b32_e32 v2, 7, v7
	v_ffbh_u32_e32 v12, v2
	v_min_u32_e32 v12, 32, v12
	v_lshrrev_b16_e32 v6, 3, v7
	v_subrev_u32_e32 v13, 28, v12
	v_and_b32_e32 v6, 15, v6
	v_lshlrev_b32_e32 v13, v13, v7
	v_sub_u32_e32 v12, 29, v12
	v_and_b32_e32 v13, 7, v13
	v_cmp_eq_u16_e32 vcc, 0, v6
	v_cndmask_b32_e32 v2, v2, v13, vcc
	v_cndmask_b32_e32 v6, v6, v12, vcc
	v_lshlrev_b32_e32 v12, 24, v7
	v_mov_b32_e32 v13, 0x3b800000
	v_lshlrev_b32_e32 v2, 20, v2
	v_and_b32_e32 v12, 0x80000000, v12
	v_lshl_add_u32 v6, v6, 23, v13
	v_or3_b32 v2, v12, v6, v2
.LBB14_1828:
	s_or_b64 exec, exec, s[6:7]
	s_movk_i32 s4, 0x7f
	v_cmp_gt_i16_sdwa s[6:7], v3, s4 src0_sel:BYTE_0 src1_sel:DWORD
	s_mov_b64 s[4:5], 0
                                        ; implicit-def: $sgpr10
	s_and_saveexec_b64 s[8:9], s[6:7]
	s_xor_b64 s[6:7], exec, s[8:9]
	s_cbranch_execnz .LBB14_3877
; %bb.1829:
	s_or_saveexec_b64 s[6:7], s[6:7]
	v_mov_b32_e32 v6, s10
	s_xor_b64 exec, exec, s[6:7]
	s_cbranch_execnz .LBB14_3880
.LBB14_1830:
	s_or_b64 exec, exec, s[6:7]
	s_and_saveexec_b64 s[6:7], s[4:5]
	s_cbranch_execz .LBB14_1832
.LBB14_1831:
	v_and_b32_e32 v6, 7, v3
	v_ffbh_u32_e32 v13, v6
	v_min_u32_e32 v13, 32, v13
	v_lshrrev_b16_e32 v12, 3, v3
	v_subrev_u32_e32 v14, 28, v13
	v_and_b32_e32 v12, 15, v12
	v_lshlrev_b32_e32 v14, v14, v3
	v_sub_u32_e32 v13, 29, v13
	v_and_b32_e32 v14, 7, v14
	v_cmp_eq_u16_e32 vcc, 0, v12
	v_cndmask_b32_e32 v6, v6, v14, vcc
	v_cndmask_b32_e32 v12, v12, v13, vcc
	v_lshlrev_b32_e32 v13, 24, v3
	v_mov_b32_e32 v14, 0x3b800000
	v_lshlrev_b32_e32 v6, 20, v6
	v_and_b32_e32 v13, 0x80000000, v13
	v_lshl_add_u32 v12, v12, 23, v14
	v_or3_b32 v6, v13, v12, v6
.LBB14_1832:
	s_or_b64 exec, exec, s[6:7]
	s_nop 0
	v_mfma_f32_16x16x4f32 a[0:3], v2, v6, a[0:3]
	v_lshrrev_b32_e32 v6, 8, v7
	s_movk_i32 s4, 0x7f
	v_cmp_gt_i16_sdwa s[6:7], v6, s4 src0_sel:BYTE_0 src1_sel:DWORD
	s_mov_b64 s[4:5], 0
                                        ; implicit-def: $sgpr10
	s_and_saveexec_b64 s[8:9], s[6:7]
	s_xor_b64 s[6:7], exec, s[8:9]
	s_cbranch_execnz .LBB14_3881
; %bb.1833:
	s_or_saveexec_b64 s[6:7], s[6:7]
	v_mov_b32_e32 v2, s10
	s_xor_b64 exec, exec, s[6:7]
	s_cbranch_execnz .LBB14_3884
.LBB14_1834:
	s_or_b64 exec, exec, s[6:7]
	s_and_saveexec_b64 s[6:7], s[4:5]
	s_cbranch_execz .LBB14_1836
.LBB14_1835:
	v_bfe_u32 v2, v7, 8, 3
	v_ffbh_u32_e32 v13, v2
	v_min_u32_e32 v13, 32, v13
	v_lshrrev_b16_e32 v12, 3, v6
	v_subrev_u32_e32 v14, 28, v13
	v_and_b32_e32 v12, 15, v12
	v_lshlrev_b32_e32 v6, v14, v6
	v_sub_u32_e32 v13, 29, v13
	v_and_b32_e32 v6, 7, v6
	v_cmp_eq_u16_e32 vcc, 0, v12
	v_cndmask_b32_e32 v2, v2, v6, vcc
	v_cndmask_b32_e32 v6, v12, v13, vcc
	v_lshlrev_b32_e32 v12, 16, v7
	v_mov_b32_e32 v13, 0x3b800000
	v_lshlrev_b32_e32 v2, 20, v2
	v_and_b32_e32 v12, 0x80000000, v12
	v_lshl_add_u32 v6, v6, 23, v13
	v_or3_b32 v2, v12, v6, v2
.LBB14_1836:
	s_or_b64 exec, exec, s[6:7]
	v_lshrrev_b32_e32 v6, 8, v3
	s_movk_i32 s4, 0x7f
	v_cmp_gt_i16_sdwa s[6:7], v6, s4 src0_sel:BYTE_0 src1_sel:DWORD
	s_mov_b64 s[4:5], 0
                                        ; implicit-def: $sgpr10
	s_and_saveexec_b64 s[8:9], s[6:7]
	s_xor_b64 s[6:7], exec, s[8:9]
	s_cbranch_execnz .LBB14_3885
; %bb.1837:
	s_or_saveexec_b64 s[6:7], s[6:7]
	v_mov_b32_e32 v12, s10
	s_xor_b64 exec, exec, s[6:7]
	s_cbranch_execnz .LBB14_3888
.LBB14_1838:
	s_or_b64 exec, exec, s[6:7]
	s_and_saveexec_b64 s[6:7], s[4:5]
	s_cbranch_execz .LBB14_1840
.LBB14_1839:
	v_bfe_u32 v12, v3, 8, 3
	v_ffbh_u32_e32 v14, v12
	v_min_u32_e32 v14, 32, v14
	v_lshrrev_b16_e32 v13, 3, v6
	v_subrev_u32_e32 v15, 28, v14
	v_and_b32_e32 v13, 15, v13
	v_lshlrev_b32_e32 v6, v15, v6
	v_sub_u32_e32 v14, 29, v14
	v_and_b32_e32 v6, 7, v6
	v_cmp_eq_u16_e32 vcc, 0, v13
	v_cndmask_b32_e32 v6, v12, v6, vcc
	v_cndmask_b32_e32 v12, v13, v14, vcc
	v_lshlrev_b32_e32 v13, 16, v3
	v_mov_b32_e32 v14, 0x3b800000
	v_lshlrev_b32_e32 v6, 20, v6
	v_and_b32_e32 v13, 0x80000000, v13
	v_lshl_add_u32 v12, v12, 23, v14
	v_or3_b32 v12, v13, v12, v6
.LBB14_1840:
	s_or_b64 exec, exec, s[6:7]
	s_nop 0
	v_mfma_f32_16x16x4f32 a[0:3], v2, v12, a[0:3]
	s_movk_i32 s4, 0xff
	v_and_b32_sdwa v6, v7, s4 dst_sel:DWORD dst_unused:UNUSED_PAD src0_sel:WORD_1 src1_sel:DWORD
	s_movk_i32 s4, 0x7f
	v_cmp_lt_i16_e32 vcc, s4, v6
	s_mov_b64 s[4:5], 0
                                        ; implicit-def: $sgpr10
	s_and_saveexec_b64 s[6:7], vcc
	s_xor_b64 s[6:7], exec, s[6:7]
	s_cbranch_execnz .LBB14_3889
; %bb.1841:
	s_or_saveexec_b64 s[6:7], s[6:7]
	v_mov_b32_e32 v2, s10
	s_xor_b64 exec, exec, s[6:7]
	s_cbranch_execnz .LBB14_3892
.LBB14_1842:
	s_or_b64 exec, exec, s[6:7]
	s_and_saveexec_b64 s[6:7], s[4:5]
	s_cbranch_execz .LBB14_1844
.LBB14_1843:
	v_bfe_u32 v2, v7, 16, 3
	v_ffbh_u32_e32 v13, v2
	v_min_u32_e32 v13, 32, v13
	v_lshrrev_b32_e32 v6, 19, v7
	v_subrev_u32_e32 v14, 28, v13
	v_and_b32_e32 v6, 15, v6
	v_lshlrev_b32_sdwa v14, v14, v7 dst_sel:DWORD dst_unused:UNUSED_PAD src0_sel:DWORD src1_sel:WORD_1
	v_bfe_u32 v12, v7, 19, 4
	v_sub_u32_e32 v13, 29, v13
	v_and_b32_e32 v14, 7, v14
	v_cmp_eq_u16_e32 vcc, 0, v6
	v_cndmask_b32_e32 v2, v2, v14, vcc
	v_cndmask_b32_e32 v6, v12, v13, vcc
	v_lshlrev_b32_e32 v12, 8, v7
	v_mov_b32_e32 v13, 0x3b800000
	v_lshlrev_b32_e32 v2, 20, v2
	v_and_b32_e32 v12, 0x80000000, v12
	v_lshl_add_u32 v6, v6, 23, v13
	v_or3_b32 v2, v12, v6, v2
.LBB14_1844:
	s_or_b64 exec, exec, s[6:7]
	s_movk_i32 s4, 0xff
	v_and_b32_sdwa v6, v3, s4 dst_sel:DWORD dst_unused:UNUSED_PAD src0_sel:WORD_1 src1_sel:DWORD
	s_movk_i32 s4, 0x7f
	v_cmp_lt_i16_e32 vcc, s4, v6
	s_mov_b64 s[4:5], 0
                                        ; implicit-def: $sgpr10
	s_and_saveexec_b64 s[6:7], vcc
	s_xor_b64 s[6:7], exec, s[6:7]
	s_cbranch_execnz .LBB14_3893
; %bb.1845:
	s_or_saveexec_b64 s[6:7], s[6:7]
	v_mov_b32_e32 v12, s10
	s_xor_b64 exec, exec, s[6:7]
	s_cbranch_execnz .LBB14_3896
.LBB14_1846:
	s_or_b64 exec, exec, s[6:7]
	s_and_saveexec_b64 s[6:7], s[4:5]
	s_cbranch_execz .LBB14_1848
.LBB14_1847:
	v_bfe_u32 v6, v3, 16, 3
	v_ffbh_u32_e32 v14, v6
	v_min_u32_e32 v14, 32, v14
	v_lshrrev_b32_e32 v12, 19, v3
	v_subrev_u32_e32 v15, 28, v14
	v_and_b32_e32 v12, 15, v12
	v_lshlrev_b32_sdwa v15, v15, v3 dst_sel:DWORD dst_unused:UNUSED_PAD src0_sel:DWORD src1_sel:WORD_1
	v_bfe_u32 v13, v3, 19, 4
	v_sub_u32_e32 v14, 29, v14
	v_and_b32_e32 v15, 7, v15
	v_cmp_eq_u16_e32 vcc, 0, v12
	v_cndmask_b32_e32 v6, v6, v15, vcc
	v_cndmask_b32_e32 v12, v13, v14, vcc
	v_lshlrev_b32_e32 v13, 8, v3
	v_mov_b32_e32 v14, 0x3b800000
	v_lshlrev_b32_e32 v6, 20, v6
	v_and_b32_e32 v13, 0x80000000, v13
	v_lshl_add_u32 v12, v12, 23, v14
	v_or3_b32 v12, v13, v12, v6
.LBB14_1848:
	s_or_b64 exec, exec, s[6:7]
	s_nop 0
	v_mfma_f32_16x16x4f32 a[0:3], v2, v12, a[0:3]
	s_movk_i32 s4, 0x7f
	v_cmp_gt_i16_sdwa s[6:7], v7, s4 src0_sel:BYTE_3 src1_sel:DWORD
	s_mov_b64 s[4:5], 0
                                        ; implicit-def: $sgpr10
	s_and_saveexec_b64 s[8:9], s[6:7]
	s_xor_b64 s[6:7], exec, s[8:9]
	s_cbranch_execnz .LBB14_3897
; %bb.1849:
	s_or_saveexec_b64 s[6:7], s[6:7]
	v_mov_b32_e32 v2, s10
	s_xor_b64 exec, exec, s[6:7]
	s_cbranch_execnz .LBB14_3900
.LBB14_1850:
	s_or_b64 exec, exec, s[6:7]
	s_and_saveexec_b64 s[6:7], s[4:5]
	s_cbranch_execz .LBB14_1852
.LBB14_1851:
	v_bfe_u32 v2, v7, 24, 3
	v_ffbh_u32_e32 v14, v2
	v_min_u32_e32 v14, 32, v14
	v_lshrrev_b32_e32 v12, 27, v7
	v_subrev_u32_e32 v15, 28, v14
	v_and_b32_e32 v6, 0x80000000, v7
	v_and_b32_e32 v12, 15, v12
	v_bfe_u32 v13, v7, 27, 4
	v_lshlrev_b32_sdwa v7, v15, v7 dst_sel:DWORD dst_unused:UNUSED_PAD src0_sel:DWORD src1_sel:BYTE_3
	v_sub_u32_e32 v14, 29, v14
	v_and_b32_e32 v7, 7, v7
	v_cmp_eq_u16_e32 vcc, 0, v12
	v_cndmask_b32_e32 v2, v2, v7, vcc
	v_cndmask_b32_e32 v7, v13, v14, vcc
	v_mov_b32_e32 v12, 0x3b800000
	v_lshlrev_b32_e32 v2, 20, v2
	v_lshl_add_u32 v7, v7, 23, v12
	v_or3_b32 v2, v6, v7, v2
.LBB14_1852:
	s_or_b64 exec, exec, s[6:7]
	s_movk_i32 s4, 0x7f
	v_cmp_gt_i16_sdwa s[6:7], v3, s4 src0_sel:BYTE_3 src1_sel:DWORD
	s_mov_b64 s[4:5], 0
                                        ; implicit-def: $sgpr10
	s_and_saveexec_b64 s[8:9], s[6:7]
	s_xor_b64 s[6:7], exec, s[8:9]
	s_cbranch_execnz .LBB14_3901
; %bb.1853:
	s_or_saveexec_b64 s[6:7], s[6:7]
	v_mov_b32_e32 v6, s10
	s_xor_b64 exec, exec, s[6:7]
	s_cbranch_execnz .LBB14_3904
.LBB14_1854:
	s_or_b64 exec, exec, s[6:7]
	s_and_saveexec_b64 s[6:7], s[4:5]
	s_cbranch_execz .LBB14_1856
.LBB14_1855:
	v_bfe_u32 v6, v3, 24, 3
	v_ffbh_u32_e32 v14, v6
	v_min_u32_e32 v14, 32, v14
	v_lshrrev_b32_e32 v12, 27, v3
	v_subrev_u32_e32 v15, 28, v14
	v_and_b32_e32 v7, 0x80000000, v3
	v_and_b32_e32 v12, 15, v12
	v_bfe_u32 v13, v3, 27, 4
	v_lshlrev_b32_sdwa v3, v15, v3 dst_sel:DWORD dst_unused:UNUSED_PAD src0_sel:DWORD src1_sel:BYTE_3
	v_sub_u32_e32 v14, 29, v14
	v_and_b32_e32 v3, 7, v3
	v_cmp_eq_u16_e32 vcc, 0, v12
	v_cndmask_b32_e32 v3, v6, v3, vcc
	v_cndmask_b32_e32 v6, v13, v14, vcc
	v_mov_b32_e32 v12, 0x3b800000
	v_lshlrev_b32_e32 v3, 20, v3
	v_lshl_add_u32 v6, v6, 23, v12
	v_or3_b32 v6, v7, v6, v3
.LBB14_1856:
	s_or_b64 exec, exec, s[6:7]
	s_nop 0
	v_mfma_f32_16x16x4f32 a[0:3], v2, v6, a[0:3]
	s_movk_i32 s4, 0x7f
	v_cmp_gt_i16_sdwa s[6:7], v8, s4 src0_sel:BYTE_0 src1_sel:DWORD
	s_mov_b64 s[4:5], 0
                                        ; implicit-def: $sgpr10
	s_and_saveexec_b64 s[8:9], s[6:7]
	s_xor_b64 s[6:7], exec, s[8:9]
	s_cbranch_execnz .LBB14_3905
; %bb.1857:
	s_or_saveexec_b64 s[6:7], s[6:7]
	v_mov_b32_e32 v2, s10
	s_xor_b64 exec, exec, s[6:7]
	s_cbranch_execnz .LBB14_3908
.LBB14_1858:
	s_or_b64 exec, exec, s[6:7]
	s_and_saveexec_b64 s[6:7], s[4:5]
	s_cbranch_execz .LBB14_1860
.LBB14_1859:
	v_and_b32_e32 v2, 7, v8
	v_ffbh_u32_e32 v6, v2
	v_min_u32_e32 v6, 32, v6
	v_lshrrev_b16_e32 v3, 3, v8
	v_subrev_u32_e32 v7, 28, v6
	v_and_b32_e32 v3, 15, v3
	v_lshlrev_b32_e32 v7, v7, v8
	v_sub_u32_e32 v6, 29, v6
	v_and_b32_e32 v7, 7, v7
	v_cmp_eq_u16_e32 vcc, 0, v3
	v_cndmask_b32_e32 v2, v2, v7, vcc
	v_cndmask_b32_e32 v3, v3, v6, vcc
	v_lshlrev_b32_e32 v6, 24, v8
	v_mov_b32_e32 v7, 0x3b800000
	v_lshlrev_b32_e32 v2, 20, v2
	v_and_b32_e32 v6, 0x80000000, v6
	v_lshl_add_u32 v3, v3, 23, v7
	v_or3_b32 v2, v6, v3, v2
.LBB14_1860:
	s_or_b64 exec, exec, s[6:7]
	s_movk_i32 s4, 0x7f
	v_cmp_gt_i16_sdwa s[6:7], v4, s4 src0_sel:BYTE_0 src1_sel:DWORD
	s_mov_b64 s[4:5], 0
                                        ; implicit-def: $sgpr10
	s_and_saveexec_b64 s[8:9], s[6:7]
	s_xor_b64 s[6:7], exec, s[8:9]
	s_cbranch_execnz .LBB14_3909
; %bb.1861:
	s_or_saveexec_b64 s[6:7], s[6:7]
	v_mov_b32_e32 v3, s10
	s_xor_b64 exec, exec, s[6:7]
	s_cbranch_execnz .LBB14_3912
.LBB14_1862:
	s_or_b64 exec, exec, s[6:7]
	s_and_saveexec_b64 s[6:7], s[4:5]
	s_cbranch_execz .LBB14_1864
.LBB14_1863:
	v_and_b32_e32 v3, 7, v4
	v_ffbh_u32_e32 v7, v3
	v_min_u32_e32 v7, 32, v7
	v_lshrrev_b16_e32 v6, 3, v4
	v_subrev_u32_e32 v12, 28, v7
	v_and_b32_e32 v6, 15, v6
	v_lshlrev_b32_e32 v12, v12, v4
	v_sub_u32_e32 v7, 29, v7
	v_and_b32_e32 v12, 7, v12
	v_cmp_eq_u16_e32 vcc, 0, v6
	v_cndmask_b32_e32 v3, v3, v12, vcc
	v_cndmask_b32_e32 v6, v6, v7, vcc
	v_lshlrev_b32_e32 v7, 24, v4
	v_mov_b32_e32 v12, 0x3b800000
	v_lshlrev_b32_e32 v3, 20, v3
	v_and_b32_e32 v7, 0x80000000, v7
	v_lshl_add_u32 v6, v6, 23, v12
	v_or3_b32 v3, v7, v6, v3
.LBB14_1864:
	s_or_b64 exec, exec, s[6:7]
	s_nop 0
	v_mfma_f32_16x16x4f32 a[0:3], v2, v3, a[0:3]
	v_lshrrev_b32_e32 v3, 8, v8
	s_movk_i32 s4, 0x7f
	v_cmp_gt_i16_sdwa s[6:7], v3, s4 src0_sel:BYTE_0 src1_sel:DWORD
	s_mov_b64 s[4:5], 0
                                        ; implicit-def: $sgpr10
	s_and_saveexec_b64 s[8:9], s[6:7]
	s_xor_b64 s[6:7], exec, s[8:9]
	s_cbranch_execnz .LBB14_3913
; %bb.1865:
	s_or_saveexec_b64 s[6:7], s[6:7]
	v_mov_b32_e32 v2, s10
	s_xor_b64 exec, exec, s[6:7]
	s_cbranch_execnz .LBB14_3916
.LBB14_1866:
	s_or_b64 exec, exec, s[6:7]
	s_and_saveexec_b64 s[6:7], s[4:5]
	s_cbranch_execz .LBB14_1868
.LBB14_1867:
	v_bfe_u32 v2, v8, 8, 3
	v_ffbh_u32_e32 v7, v2
	v_min_u32_e32 v7, 32, v7
	v_lshrrev_b16_e32 v6, 3, v3
	v_subrev_u32_e32 v12, 28, v7
	v_and_b32_e32 v6, 15, v6
	v_lshlrev_b32_e32 v3, v12, v3
	v_sub_u32_e32 v7, 29, v7
	v_and_b32_e32 v3, 7, v3
	v_cmp_eq_u16_e32 vcc, 0, v6
	v_cndmask_b32_e32 v2, v2, v3, vcc
	v_cndmask_b32_e32 v3, v6, v7, vcc
	v_lshlrev_b32_e32 v6, 16, v8
	v_mov_b32_e32 v7, 0x3b800000
	v_lshlrev_b32_e32 v2, 20, v2
	v_and_b32_e32 v6, 0x80000000, v6
	v_lshl_add_u32 v3, v3, 23, v7
	v_or3_b32 v2, v6, v3, v2
.LBB14_1868:
	s_or_b64 exec, exec, s[6:7]
	v_lshrrev_b32_e32 v3, 8, v4
	s_movk_i32 s4, 0x7f
	v_cmp_gt_i16_sdwa s[6:7], v3, s4 src0_sel:BYTE_0 src1_sel:DWORD
	s_mov_b64 s[4:5], 0
                                        ; implicit-def: $sgpr10
	s_and_saveexec_b64 s[8:9], s[6:7]
	s_xor_b64 s[6:7], exec, s[8:9]
	s_cbranch_execnz .LBB14_3917
; %bb.1869:
	s_or_saveexec_b64 s[6:7], s[6:7]
	v_mov_b32_e32 v6, s10
	s_xor_b64 exec, exec, s[6:7]
	s_cbranch_execnz .LBB14_3920
.LBB14_1870:
	s_or_b64 exec, exec, s[6:7]
	s_and_saveexec_b64 s[6:7], s[4:5]
	s_cbranch_execz .LBB14_1872
.LBB14_1871:
	v_bfe_u32 v6, v4, 8, 3
	v_ffbh_u32_e32 v12, v6
	v_min_u32_e32 v12, 32, v12
	v_lshrrev_b16_e32 v7, 3, v3
	v_subrev_u32_e32 v13, 28, v12
	v_and_b32_e32 v7, 15, v7
	v_lshlrev_b32_e32 v3, v13, v3
	v_sub_u32_e32 v12, 29, v12
	v_and_b32_e32 v3, 7, v3
	v_cmp_eq_u16_e32 vcc, 0, v7
	v_cndmask_b32_e32 v3, v6, v3, vcc
	v_cndmask_b32_e32 v6, v7, v12, vcc
	v_lshlrev_b32_e32 v7, 16, v4
	v_mov_b32_e32 v12, 0x3b800000
	v_lshlrev_b32_e32 v3, 20, v3
	v_and_b32_e32 v7, 0x80000000, v7
	v_lshl_add_u32 v6, v6, 23, v12
	v_or3_b32 v6, v7, v6, v3
.LBB14_1872:
	s_or_b64 exec, exec, s[6:7]
	s_nop 0
	v_mfma_f32_16x16x4f32 a[0:3], v2, v6, a[0:3]
	s_movk_i32 s4, 0xff
	v_and_b32_sdwa v3, v8, s4 dst_sel:DWORD dst_unused:UNUSED_PAD src0_sel:WORD_1 src1_sel:DWORD
	s_movk_i32 s4, 0x7f
	v_cmp_lt_i16_e32 vcc, s4, v3
	s_mov_b64 s[4:5], 0
                                        ; implicit-def: $sgpr10
	s_and_saveexec_b64 s[6:7], vcc
	s_xor_b64 s[6:7], exec, s[6:7]
	s_cbranch_execnz .LBB14_3921
; %bb.1873:
	s_or_saveexec_b64 s[6:7], s[6:7]
	v_mov_b32_e32 v2, s10
	s_xor_b64 exec, exec, s[6:7]
	s_cbranch_execnz .LBB14_3924
.LBB14_1874:
	s_or_b64 exec, exec, s[6:7]
	s_and_saveexec_b64 s[6:7], s[4:5]
	s_cbranch_execz .LBB14_1876
.LBB14_1875:
	v_bfe_u32 v2, v8, 16, 3
	v_ffbh_u32_e32 v7, v2
	v_min_u32_e32 v7, 32, v7
	v_lshrrev_b32_e32 v3, 19, v8
	v_subrev_u32_e32 v12, 28, v7
	v_and_b32_e32 v3, 15, v3
	v_lshlrev_b32_sdwa v12, v12, v8 dst_sel:DWORD dst_unused:UNUSED_PAD src0_sel:DWORD src1_sel:WORD_1
	v_bfe_u32 v6, v8, 19, 4
	v_sub_u32_e32 v7, 29, v7
	v_and_b32_e32 v12, 7, v12
	v_cmp_eq_u16_e32 vcc, 0, v3
	v_cndmask_b32_e32 v2, v2, v12, vcc
	v_cndmask_b32_e32 v3, v6, v7, vcc
	v_lshlrev_b32_e32 v6, 8, v8
	v_mov_b32_e32 v7, 0x3b800000
	v_lshlrev_b32_e32 v2, 20, v2
	v_and_b32_e32 v6, 0x80000000, v6
	v_lshl_add_u32 v3, v3, 23, v7
	v_or3_b32 v2, v6, v3, v2
.LBB14_1876:
	s_or_b64 exec, exec, s[6:7]
	s_movk_i32 s4, 0xff
	v_and_b32_sdwa v3, v4, s4 dst_sel:DWORD dst_unused:UNUSED_PAD src0_sel:WORD_1 src1_sel:DWORD
	s_movk_i32 s4, 0x7f
	v_cmp_lt_i16_e32 vcc, s4, v3
	s_mov_b64 s[4:5], 0
                                        ; implicit-def: $sgpr10
	s_and_saveexec_b64 s[6:7], vcc
	s_xor_b64 s[6:7], exec, s[6:7]
	s_cbranch_execnz .LBB14_3925
; %bb.1877:
	s_or_saveexec_b64 s[6:7], s[6:7]
	v_mov_b32_e32 v6, s10
	s_xor_b64 exec, exec, s[6:7]
	s_cbranch_execnz .LBB14_3928
.LBB14_1878:
	s_or_b64 exec, exec, s[6:7]
	s_and_saveexec_b64 s[6:7], s[4:5]
	s_cbranch_execz .LBB14_1880
.LBB14_1879:
	v_bfe_u32 v3, v4, 16, 3
	v_ffbh_u32_e32 v12, v3
	v_min_u32_e32 v12, 32, v12
	v_lshrrev_b32_e32 v6, 19, v4
	v_subrev_u32_e32 v13, 28, v12
	v_and_b32_e32 v6, 15, v6
	v_lshlrev_b32_sdwa v13, v13, v4 dst_sel:DWORD dst_unused:UNUSED_PAD src0_sel:DWORD src1_sel:WORD_1
	v_bfe_u32 v7, v4, 19, 4
	v_sub_u32_e32 v12, 29, v12
	v_and_b32_e32 v13, 7, v13
	v_cmp_eq_u16_e32 vcc, 0, v6
	v_cndmask_b32_e32 v3, v3, v13, vcc
	v_cndmask_b32_e32 v6, v7, v12, vcc
	v_lshlrev_b32_e32 v7, 8, v4
	v_mov_b32_e32 v12, 0x3b800000
	v_lshlrev_b32_e32 v3, 20, v3
	v_and_b32_e32 v7, 0x80000000, v7
	v_lshl_add_u32 v6, v6, 23, v12
	v_or3_b32 v6, v7, v6, v3
.LBB14_1880:
	s_or_b64 exec, exec, s[6:7]
	s_nop 0
	v_mfma_f32_16x16x4f32 a[0:3], v2, v6, a[0:3]
	s_movk_i32 s4, 0x7f
	v_cmp_gt_i16_sdwa s[6:7], v8, s4 src0_sel:BYTE_3 src1_sel:DWORD
	s_mov_b64 s[4:5], 0
                                        ; implicit-def: $sgpr10
	s_and_saveexec_b64 s[8:9], s[6:7]
	s_xor_b64 s[6:7], exec, s[8:9]
	s_cbranch_execnz .LBB14_3929
; %bb.1881:
	s_or_saveexec_b64 s[6:7], s[6:7]
	v_mov_b32_e32 v2, s10
	s_xor_b64 exec, exec, s[6:7]
	s_cbranch_execnz .LBB14_3932
.LBB14_1882:
	s_or_b64 exec, exec, s[6:7]
	s_and_saveexec_b64 s[6:7], s[4:5]
	s_cbranch_execz .LBB14_1884
.LBB14_1883:
	v_bfe_u32 v2, v8, 24, 3
	v_ffbh_u32_e32 v12, v2
	v_min_u32_e32 v12, 32, v12
	v_lshrrev_b32_e32 v6, 27, v8
	v_subrev_u32_e32 v13, 28, v12
	v_and_b32_e32 v3, 0x80000000, v8
	v_and_b32_e32 v6, 15, v6
	v_bfe_u32 v7, v8, 27, 4
	v_lshlrev_b32_sdwa v8, v13, v8 dst_sel:DWORD dst_unused:UNUSED_PAD src0_sel:DWORD src1_sel:BYTE_3
	v_sub_u32_e32 v12, 29, v12
	v_and_b32_e32 v8, 7, v8
	v_cmp_eq_u16_e32 vcc, 0, v6
	v_cndmask_b32_e32 v2, v2, v8, vcc
	v_cndmask_b32_e32 v6, v7, v12, vcc
	v_mov_b32_e32 v7, 0x3b800000
	v_lshlrev_b32_e32 v2, 20, v2
	v_lshl_add_u32 v6, v6, 23, v7
	v_or3_b32 v2, v3, v6, v2
.LBB14_1884:
	s_or_b64 exec, exec, s[6:7]
	s_movk_i32 s4, 0x7f
	v_cmp_gt_i16_sdwa s[6:7], v4, s4 src0_sel:BYTE_3 src1_sel:DWORD
	s_mov_b64 s[4:5], 0
                                        ; implicit-def: $sgpr10
	s_and_saveexec_b64 s[8:9], s[6:7]
	s_xor_b64 s[6:7], exec, s[8:9]
	s_cbranch_execnz .LBB14_3933
; %bb.1885:
	s_or_saveexec_b64 s[6:7], s[6:7]
	v_mov_b32_e32 v3, s10
	s_xor_b64 exec, exec, s[6:7]
	s_cbranch_execnz .LBB14_3936
.LBB14_1886:
	s_or_b64 exec, exec, s[6:7]
	s_and_saveexec_b64 s[6:7], s[4:5]
	s_cbranch_execz .LBB14_1888
.LBB14_1887:
	v_bfe_u32 v3, v4, 24, 3
	v_ffbh_u32_e32 v12, v3
	v_min_u32_e32 v12, 32, v12
	v_lshrrev_b32_e32 v7, 27, v4
	v_subrev_u32_e32 v13, 28, v12
	v_and_b32_e32 v6, 0x80000000, v4
	v_and_b32_e32 v7, 15, v7
	v_bfe_u32 v8, v4, 27, 4
	v_lshlrev_b32_sdwa v4, v13, v4 dst_sel:DWORD dst_unused:UNUSED_PAD src0_sel:DWORD src1_sel:BYTE_3
	v_sub_u32_e32 v12, 29, v12
	v_and_b32_e32 v4, 7, v4
	v_cmp_eq_u16_e32 vcc, 0, v7
	v_cndmask_b32_e32 v3, v3, v4, vcc
	v_cndmask_b32_e32 v4, v8, v12, vcc
	v_mov_b32_e32 v7, 0x3b800000
	v_lshlrev_b32_e32 v3, 20, v3
	v_lshl_add_u32 v4, v4, 23, v7
	v_or3_b32 v3, v6, v4, v3
.LBB14_1888:
	s_or_b64 exec, exec, s[6:7]
	s_nop 0
	v_mfma_f32_16x16x4f32 a[0:3], v2, v3, a[0:3]
	s_movk_i32 s4, 0x7f
	v_cmp_gt_i16_sdwa s[6:7], v9, s4 src0_sel:BYTE_0 src1_sel:DWORD
	s_mov_b64 s[4:5], 0
                                        ; implicit-def: $sgpr10
	s_and_saveexec_b64 s[8:9], s[6:7]
	s_xor_b64 s[6:7], exec, s[8:9]
	s_cbranch_execnz .LBB14_3937
; %bb.1889:
	s_or_saveexec_b64 s[6:7], s[6:7]
	v_mov_b32_e32 v2, s10
	s_xor_b64 exec, exec, s[6:7]
	s_cbranch_execnz .LBB14_3940
.LBB14_1890:
	s_or_b64 exec, exec, s[6:7]
	s_and_saveexec_b64 s[6:7], s[4:5]
	s_cbranch_execz .LBB14_1892
.LBB14_1891:
	v_mov_b32_e32 v2, 8
	v_and_b32_e32 v3, 7, v9
	v_lshrrev_b32_sdwa v2, v2, v9 dst_sel:BYTE_1 dst_unused:UNUSED_PAD src0_sel:DWORD src1_sel:DWORD
	v_ffbh_u32_e32 v4, v3
	v_or_b32_sdwa v2, v9, v2 dst_sel:DWORD dst_unused:UNUSED_PAD src0_sel:BYTE_0 src1_sel:DWORD
	v_min_u32_e32 v4, 32, v4
	v_lshrrev_b16_e32 v2, 3, v2
	v_subrev_u32_e32 v6, 28, v4
	v_and_b32_e32 v2, 15, v2
	v_lshlrev_b32_e32 v6, v6, v9
	v_sub_u32_e32 v4, 29, v4
	v_and_b32_e32 v6, 7, v6
	v_cmp_eq_u16_e32 vcc, 0, v2
	v_cndmask_b32_e32 v3, v3, v6, vcc
	v_cndmask_b32_e32 v2, v2, v4, vcc
	v_lshlrev_b32_e32 v4, 24, v9
	v_mov_b32_e32 v6, 0x3b800000
	v_lshlrev_b32_e32 v3, 20, v3
	v_and_b32_e32 v4, 0x80000000, v4
	v_lshl_add_u32 v2, v2, 23, v6
	v_or3_b32 v2, v4, v2, v3
.LBB14_1892:
	s_or_b64 exec, exec, s[6:7]
	s_movk_i32 s4, 0x7f
	v_cmp_gt_i16_sdwa s[6:7], v5, s4 src0_sel:BYTE_0 src1_sel:DWORD
	s_mov_b64 s[4:5], 0
                                        ; implicit-def: $sgpr10
	s_and_saveexec_b64 s[8:9], s[6:7]
	s_xor_b64 s[6:7], exec, s[8:9]
	s_cbranch_execnz .LBB14_3941
; %bb.1893:
	s_or_saveexec_b64 s[6:7], s[6:7]
	v_mov_b32_e32 v3, s10
	s_xor_b64 exec, exec, s[6:7]
	s_cbranch_execnz .LBB14_3944
.LBB14_1894:
	s_or_b64 exec, exec, s[6:7]
	s_and_saveexec_b64 s[6:7], s[4:5]
	s_cbranch_execz .LBB14_1896
.LBB14_1895:
	v_mov_b32_e32 v3, 8
	v_and_b32_e32 v4, 7, v5
	v_lshrrev_b32_sdwa v3, v3, v5 dst_sel:BYTE_1 dst_unused:UNUSED_PAD src0_sel:DWORD src1_sel:DWORD
	v_ffbh_u32_e32 v6, v4
	v_or_b32_sdwa v3, v5, v3 dst_sel:DWORD dst_unused:UNUSED_PAD src0_sel:BYTE_0 src1_sel:DWORD
	v_min_u32_e32 v6, 32, v6
	v_lshrrev_b16_e32 v3, 3, v3
	v_subrev_u32_e32 v7, 28, v6
	v_and_b32_e32 v3, 15, v3
	v_lshlrev_b32_e32 v7, v7, v5
	v_sub_u32_e32 v6, 29, v6
	v_and_b32_e32 v7, 7, v7
	v_cmp_eq_u16_e32 vcc, 0, v3
	v_cndmask_b32_e32 v4, v4, v7, vcc
	v_cndmask_b32_e32 v3, v3, v6, vcc
	v_lshlrev_b32_e32 v6, 24, v5
	v_mov_b32_e32 v7, 0x3b800000
	v_lshlrev_b32_e32 v4, 20, v4
	v_and_b32_e32 v6, 0x80000000, v6
	v_lshl_add_u32 v3, v3, 23, v7
	v_or3_b32 v3, v6, v3, v4
.LBB14_1896:
	s_or_b64 exec, exec, s[6:7]
	s_nop 0
	v_mfma_f32_16x16x4f32 a[0:3], v2, v3, a[0:3]
	v_lshrrev_b32_e32 v3, 8, v9
	s_movk_i32 s4, 0x7f
	v_cmp_gt_i16_sdwa s[6:7], v3, s4 src0_sel:BYTE_0 src1_sel:DWORD
	s_mov_b64 s[4:5], 0
                                        ; implicit-def: $sgpr10
	s_and_saveexec_b64 s[8:9], s[6:7]
	s_xor_b64 s[6:7], exec, s[8:9]
	s_cbranch_execnz .LBB14_3945
; %bb.1897:
	s_or_saveexec_b64 s[6:7], s[6:7]
	v_mov_b32_e32 v2, s10
	s_xor_b64 exec, exec, s[6:7]
	s_cbranch_execnz .LBB14_3948
.LBB14_1898:
	s_or_b64 exec, exec, s[6:7]
	s_and_saveexec_b64 s[6:7], s[4:5]
	s_cbranch_execz .LBB14_1900
.LBB14_1899:
	v_bfe_u32 v2, v9, 8, 3
	v_ffbh_u32_e32 v6, v2
	v_min_u32_e32 v6, 32, v6
	v_lshrrev_b16_e32 v4, 3, v3
	v_subrev_u32_e32 v7, 28, v6
	v_and_b32_e32 v4, 15, v4
	v_lshlrev_b32_e32 v3, v7, v3
	v_sub_u32_e32 v6, 29, v6
	v_and_b32_e32 v3, 7, v3
	v_cmp_eq_u16_e32 vcc, 0, v4
	v_cndmask_b32_e32 v2, v2, v3, vcc
	v_cndmask_b32_e32 v3, v4, v6, vcc
	v_lshlrev_b32_e32 v4, 16, v9
	v_mov_b32_e32 v6, 0x3b800000
	v_lshlrev_b32_e32 v2, 20, v2
	v_and_b32_e32 v4, 0x80000000, v4
	v_lshl_add_u32 v3, v3, 23, v6
	v_or3_b32 v2, v4, v3, v2
.LBB14_1900:
	s_or_b64 exec, exec, s[6:7]
	v_lshrrev_b32_e32 v3, 8, v5
	s_movk_i32 s4, 0x7f
	v_cmp_gt_i16_sdwa s[6:7], v3, s4 src0_sel:BYTE_0 src1_sel:DWORD
	s_mov_b64 s[4:5], 0
                                        ; implicit-def: $sgpr10
	s_and_saveexec_b64 s[8:9], s[6:7]
	s_xor_b64 s[6:7], exec, s[8:9]
	s_cbranch_execnz .LBB14_3949
; %bb.1901:
	s_or_saveexec_b64 s[6:7], s[6:7]
	v_mov_b32_e32 v4, s10
	s_xor_b64 exec, exec, s[6:7]
	s_cbranch_execnz .LBB14_3952
.LBB14_1902:
	s_or_b64 exec, exec, s[6:7]
	s_and_saveexec_b64 s[6:7], s[4:5]
	s_cbranch_execz .LBB14_1904
.LBB14_1903:
	v_bfe_u32 v4, v5, 8, 3
	v_ffbh_u32_e32 v7, v4
	v_min_u32_e32 v7, 32, v7
	v_lshrrev_b16_e32 v6, 3, v3
	v_subrev_u32_e32 v8, 28, v7
	v_and_b32_e32 v6, 15, v6
	v_lshlrev_b32_e32 v3, v8, v3
	v_sub_u32_e32 v7, 29, v7
	v_and_b32_e32 v3, 7, v3
	v_cmp_eq_u16_e32 vcc, 0, v6
	v_cndmask_b32_e32 v3, v4, v3, vcc
	v_cndmask_b32_e32 v4, v6, v7, vcc
	v_lshlrev_b32_e32 v6, 16, v5
	v_mov_b32_e32 v7, 0x3b800000
	v_lshlrev_b32_e32 v3, 20, v3
	v_and_b32_e32 v6, 0x80000000, v6
	v_lshl_add_u32 v4, v4, 23, v7
	v_or3_b32 v4, v6, v4, v3
.LBB14_1904:
	s_or_b64 exec, exec, s[6:7]
	s_nop 0
	v_mfma_f32_16x16x4f32 a[0:3], v2, v4, a[0:3]
	s_movk_i32 s4, 0xff
	v_and_b32_sdwa v3, v9, s4 dst_sel:DWORD dst_unused:UNUSED_PAD src0_sel:WORD_1 src1_sel:DWORD
	s_movk_i32 s4, 0x7f
	v_cmp_lt_i16_e32 vcc, s4, v3
	s_mov_b64 s[4:5], 0
                                        ; implicit-def: $sgpr10
	s_and_saveexec_b64 s[6:7], vcc
	s_xor_b64 s[6:7], exec, s[6:7]
	s_cbranch_execnz .LBB14_3953
; %bb.1905:
	s_or_saveexec_b64 s[6:7], s[6:7]
	v_mov_b32_e32 v2, s10
	s_xor_b64 exec, exec, s[6:7]
	s_cbranch_execnz .LBB14_3956
.LBB14_1906:
	s_or_b64 exec, exec, s[6:7]
	s_and_saveexec_b64 s[6:7], s[4:5]
	s_cbranch_execz .LBB14_1908
.LBB14_1907:
	v_bfe_u32 v2, v9, 16, 3
	v_ffbh_u32_e32 v6, v2
	v_min_u32_e32 v6, 32, v6
	v_lshrrev_b32_e32 v3, 19, v9
	v_subrev_u32_e32 v7, 28, v6
	v_and_b32_e32 v3, 15, v3
	v_lshlrev_b32_sdwa v7, v7, v9 dst_sel:DWORD dst_unused:UNUSED_PAD src0_sel:DWORD src1_sel:WORD_1
	v_bfe_u32 v4, v9, 19, 4
	v_sub_u32_e32 v6, 29, v6
	v_and_b32_e32 v7, 7, v7
	v_cmp_eq_u16_e32 vcc, 0, v3
	v_cndmask_b32_e32 v2, v2, v7, vcc
	v_cndmask_b32_e32 v3, v4, v6, vcc
	v_lshlrev_b32_e32 v4, 8, v9
	v_mov_b32_e32 v6, 0x3b800000
	v_lshlrev_b32_e32 v2, 20, v2
	v_and_b32_e32 v4, 0x80000000, v4
	v_lshl_add_u32 v3, v3, 23, v6
	v_or3_b32 v2, v4, v3, v2
.LBB14_1908:
	s_or_b64 exec, exec, s[6:7]
	s_movk_i32 s4, 0xff
	v_and_b32_sdwa v3, v5, s4 dst_sel:DWORD dst_unused:UNUSED_PAD src0_sel:WORD_1 src1_sel:DWORD
	s_movk_i32 s4, 0x7f
	v_cmp_lt_i16_e32 vcc, s4, v3
	s_mov_b64 s[4:5], 0
                                        ; implicit-def: $sgpr10
	s_and_saveexec_b64 s[6:7], vcc
	s_xor_b64 s[6:7], exec, s[6:7]
	s_cbranch_execnz .LBB14_3957
; %bb.1909:
	s_or_saveexec_b64 s[6:7], s[6:7]
	v_mov_b32_e32 v4, s10
	s_xor_b64 exec, exec, s[6:7]
	s_cbranch_execnz .LBB14_3960
.LBB14_1910:
	s_or_b64 exec, exec, s[6:7]
	s_and_saveexec_b64 s[6:7], s[4:5]
	s_cbranch_execz .LBB14_1912
.LBB14_1911:
	v_bfe_u32 v3, v5, 16, 3
	v_ffbh_u32_e32 v7, v3
	v_min_u32_e32 v7, 32, v7
	v_lshrrev_b32_e32 v4, 19, v5
	v_subrev_u32_e32 v8, 28, v7
	v_and_b32_e32 v4, 15, v4
	v_lshlrev_b32_sdwa v8, v8, v5 dst_sel:DWORD dst_unused:UNUSED_PAD src0_sel:DWORD src1_sel:WORD_1
	v_bfe_u32 v6, v5, 19, 4
	v_sub_u32_e32 v7, 29, v7
	v_and_b32_e32 v8, 7, v8
	v_cmp_eq_u16_e32 vcc, 0, v4
	v_cndmask_b32_e32 v3, v3, v8, vcc
	v_cndmask_b32_e32 v4, v6, v7, vcc
	v_lshlrev_b32_e32 v6, 8, v5
	v_mov_b32_e32 v7, 0x3b800000
	v_lshlrev_b32_e32 v3, 20, v3
	v_and_b32_e32 v6, 0x80000000, v6
	v_lshl_add_u32 v4, v4, 23, v7
	v_or3_b32 v4, v6, v4, v3
.LBB14_1912:
	s_or_b64 exec, exec, s[6:7]
	s_nop 0
	v_mfma_f32_16x16x4f32 a[0:3], v2, v4, a[0:3]
	s_movk_i32 s4, 0x7f
	v_cmp_gt_i16_sdwa s[6:7], v9, s4 src0_sel:BYTE_3 src1_sel:DWORD
	s_mov_b64 s[4:5], 0
                                        ; implicit-def: $sgpr10
	s_and_saveexec_b64 s[8:9], s[6:7]
	s_xor_b64 s[6:7], exec, s[8:9]
	s_cbranch_execnz .LBB14_3961
; %bb.1913:
	s_or_saveexec_b64 s[6:7], s[6:7]
	v_mov_b32_e32 v2, s10
	s_xor_b64 exec, exec, s[6:7]
	s_cbranch_execnz .LBB14_3964
.LBB14_1914:
	s_or_b64 exec, exec, s[6:7]
	s_and_saveexec_b64 s[6:7], s[4:5]
	s_cbranch_execz .LBB14_1916
.LBB14_1915:
	v_bfe_u32 v2, v9, 24, 3
	v_ffbh_u32_e32 v7, v2
	v_min_u32_e32 v7, 32, v7
	v_lshrrev_b32_e32 v4, 27, v9
	v_subrev_u32_e32 v8, 28, v7
	v_and_b32_e32 v4, 15, v4
	v_lshlrev_b32_sdwa v8, v8, v9 dst_sel:DWORD dst_unused:UNUSED_PAD src0_sel:DWORD src1_sel:BYTE_3
	v_bfe_u32 v6, v9, 27, 4
	v_sub_u32_e32 v7, 29, v7
	v_and_b32_e32 v8, 7, v8
	v_cmp_eq_u16_e32 vcc, 0, v4
	v_cndmask_b32_e32 v2, v2, v8, vcc
	v_cndmask_b32_e32 v4, v6, v7, vcc
	v_mov_b32_e32 v6, 0x3b800000
	v_and_b32_e32 v3, 0x80000000, v9
	v_lshlrev_b32_e32 v2, 20, v2
	v_lshl_add_u32 v4, v4, 23, v6
	v_or3_b32 v2, v3, v4, v2
.LBB14_1916:
	s_or_b64 exec, exec, s[6:7]
	s_movk_i32 s4, 0x7f
	v_cmp_gt_i16_sdwa s[6:7], v5, s4 src0_sel:BYTE_3 src1_sel:DWORD
	s_mov_b64 s[4:5], 0
                                        ; implicit-def: $sgpr10
	s_and_saveexec_b64 s[8:9], s[6:7]
	s_xor_b64 s[6:7], exec, s[8:9]
	s_cbranch_execnz .LBB14_3965
; %bb.1917:
	s_or_saveexec_b64 s[6:7], s[6:7]
	v_mov_b32_e32 v3, s10
	s_xor_b64 exec, exec, s[6:7]
	s_cbranch_execnz .LBB14_3968
.LBB14_1918:
	s_or_b64 exec, exec, s[6:7]
	s_and_saveexec_b64 s[6:7], s[4:5]
	s_cbranch_execz .LBB14_1920
.LBB14_1919:
	v_bfe_u32 v3, v5, 24, 3
	v_ffbh_u32_e32 v8, v3
	v_min_u32_e32 v8, 32, v8
	v_lshrrev_b32_e32 v6, 27, v5
	v_subrev_u32_e32 v9, 28, v8
	v_and_b32_e32 v4, 0x80000000, v5
	v_and_b32_e32 v6, 15, v6
	v_bfe_u32 v7, v5, 27, 4
	v_lshlrev_b32_sdwa v5, v9, v5 dst_sel:DWORD dst_unused:UNUSED_PAD src0_sel:DWORD src1_sel:BYTE_3
	v_sub_u32_e32 v8, 29, v8
	v_and_b32_e32 v5, 7, v5
	v_cmp_eq_u16_e32 vcc, 0, v6
	v_cndmask_b32_e32 v3, v3, v5, vcc
	v_cndmask_b32_e32 v5, v7, v8, vcc
	v_mov_b32_e32 v6, 0x3b800000
	v_lshlrev_b32_e32 v3, 20, v3
	v_lshl_add_u32 v5, v5, 23, v6
	v_or3_b32 v3, v4, v5, v3
.LBB14_1920:
	s_or_b64 exec, exec, s[6:7]
	s_nop 0
	v_mfma_f32_16x16x4f32 a[0:3], v2, v3, a[0:3]
	s_movk_i32 s4, 0x7f
                                        ; implicit-def: $sgpr10
	s_nop 7
	s_nop 1
	flat_store_dwordx4 v[10:11], a[0:3] offset:224
	flat_load_dwordx4 v[10:13], v[0:1] offset:8
	s_nop 0
	flat_load_dwordx2 v[8:9], v[0:1] offset:32
	s_waitcnt vmcnt(0) lgkmcnt(0)
	flat_load_dwordx4 v[4:7], v[10:11] offset:96
	flat_load_dwordx4 v[0:3], v[12:13] offset:96
	s_waitcnt vmcnt(0) lgkmcnt(0)
	v_cmp_gt_i16_sdwa s[6:7], v4, s4 src0_sel:BYTE_0 src1_sel:DWORD
	s_mov_b64 s[4:5], 0
	s_and_saveexec_b64 s[8:9], s[6:7]
	s_xor_b64 s[6:7], exec, s[8:9]
	s_cbranch_execnz .LBB14_3969
; %bb.1921:
	s_or_saveexec_b64 s[6:7], s[6:7]
	v_mov_b32_e32 v10, s10
	s_xor_b64 exec, exec, s[6:7]
	s_cbranch_execnz .LBB14_3972
.LBB14_1922:
	s_or_b64 exec, exec, s[6:7]
	s_and_saveexec_b64 s[6:7], s[4:5]
	s_cbranch_execz .LBB14_1924
.LBB14_1923:
	v_and_b32_e32 v10, 7, v4
	v_ffbh_u32_e32 v12, v10
	v_min_u32_e32 v12, 32, v12
	v_lshrrev_b16_e32 v11, 3, v4
	v_subrev_u32_e32 v13, 28, v12
	v_and_b32_e32 v11, 15, v11
	v_lshlrev_b32_e32 v13, v13, v4
	v_sub_u32_e32 v12, 29, v12
	v_and_b32_e32 v13, 7, v13
	v_cmp_eq_u16_e32 vcc, 0, v11
	v_cndmask_b32_e32 v10, v10, v13, vcc
	v_cndmask_b32_e32 v11, v11, v12, vcc
	v_lshlrev_b32_e32 v12, 24, v4
	v_mov_b32_e32 v13, 0x3b800000
	v_lshlrev_b32_e32 v10, 20, v10
	v_and_b32_e32 v12, 0x80000000, v12
	v_lshl_add_u32 v11, v11, 23, v13
	v_or3_b32 v10, v12, v11, v10
.LBB14_1924:
	s_or_b64 exec, exec, s[6:7]
	s_movk_i32 s4, 0x7f
	v_cmp_gt_i16_sdwa s[6:7], v0, s4 src0_sel:BYTE_0 src1_sel:DWORD
	s_mov_b64 s[4:5], 0
                                        ; implicit-def: $sgpr10
	s_and_saveexec_b64 s[8:9], s[6:7]
	s_xor_b64 s[6:7], exec, s[8:9]
	s_cbranch_execnz .LBB14_3973
; %bb.1925:
	s_or_saveexec_b64 s[6:7], s[6:7]
	v_mov_b32_e32 v11, s10
	s_xor_b64 exec, exec, s[6:7]
	s_cbranch_execnz .LBB14_3976
.LBB14_1926:
	s_or_b64 exec, exec, s[6:7]
	s_and_saveexec_b64 s[6:7], s[4:5]
	s_cbranch_execz .LBB14_1928
.LBB14_1927:
	v_and_b32_e32 v11, 7, v0
	v_ffbh_u32_e32 v13, v11
	v_min_u32_e32 v13, 32, v13
	v_lshrrev_b16_e32 v12, 3, v0
	v_subrev_u32_e32 v14, 28, v13
	v_and_b32_e32 v12, 15, v12
	v_lshlrev_b32_e32 v14, v14, v0
	v_sub_u32_e32 v13, 29, v13
	v_and_b32_e32 v14, 7, v14
	v_cmp_eq_u16_e32 vcc, 0, v12
	v_cndmask_b32_e32 v11, v11, v14, vcc
	v_cndmask_b32_e32 v12, v12, v13, vcc
	v_lshlrev_b32_e32 v13, 24, v0
	v_mov_b32_e32 v14, 0x3b800000
	v_lshlrev_b32_e32 v11, 20, v11
	v_and_b32_e32 v13, 0x80000000, v13
	v_lshl_add_u32 v12, v12, 23, v14
	v_or3_b32 v11, v13, v12, v11
.LBB14_1928:
	s_or_b64 exec, exec, s[6:7]
	flat_load_dwordx4 a[0:3], v[8:9] offset:240
	s_movk_i32 s4, 0x7f
                                        ; implicit-def: $sgpr10
	s_waitcnt vmcnt(0) lgkmcnt(0)
	v_mfma_f32_16x16x4f32 a[0:3], v10, v11, a[0:3]
	v_lshrrev_b32_e32 v11, 8, v4
	v_cmp_gt_i16_sdwa s[6:7], v11, s4 src0_sel:BYTE_0 src1_sel:DWORD
	s_mov_b64 s[4:5], 0
	s_and_saveexec_b64 s[8:9], s[6:7]
	s_xor_b64 s[6:7], exec, s[8:9]
	s_cbranch_execnz .LBB14_3977
; %bb.1929:
	s_or_saveexec_b64 s[6:7], s[6:7]
	v_mov_b32_e32 v10, s10
	s_xor_b64 exec, exec, s[6:7]
	s_cbranch_execnz .LBB14_3980
.LBB14_1930:
	s_or_b64 exec, exec, s[6:7]
	s_and_saveexec_b64 s[6:7], s[4:5]
	s_cbranch_execz .LBB14_1932
.LBB14_1931:
	v_bfe_u32 v10, v4, 8, 3
	v_ffbh_u32_e32 v13, v10
	v_min_u32_e32 v13, 32, v13
	v_lshrrev_b16_e32 v12, 3, v11
	v_subrev_u32_e32 v14, 28, v13
	v_and_b32_e32 v12, 15, v12
	v_lshlrev_b32_e32 v11, v14, v11
	v_sub_u32_e32 v13, 29, v13
	v_and_b32_e32 v11, 7, v11
	v_cmp_eq_u16_e32 vcc, 0, v12
	v_cndmask_b32_e32 v10, v10, v11, vcc
	v_cndmask_b32_e32 v11, v12, v13, vcc
	v_lshlrev_b32_e32 v12, 16, v4
	v_mov_b32_e32 v13, 0x3b800000
	v_lshlrev_b32_e32 v10, 20, v10
	v_and_b32_e32 v12, 0x80000000, v12
	v_lshl_add_u32 v11, v11, 23, v13
	v_or3_b32 v10, v12, v11, v10
.LBB14_1932:
	s_or_b64 exec, exec, s[6:7]
	v_lshrrev_b32_e32 v11, 8, v0
	s_movk_i32 s4, 0x7f
	v_cmp_gt_i16_sdwa s[6:7], v11, s4 src0_sel:BYTE_0 src1_sel:DWORD
	s_mov_b64 s[4:5], 0
                                        ; implicit-def: $sgpr10
	s_and_saveexec_b64 s[8:9], s[6:7]
	s_xor_b64 s[6:7], exec, s[8:9]
	s_cbranch_execnz .LBB14_3981
; %bb.1933:
	s_or_saveexec_b64 s[6:7], s[6:7]
	v_mov_b32_e32 v12, s10
	s_xor_b64 exec, exec, s[6:7]
	s_cbranch_execnz .LBB14_3984
.LBB14_1934:
	s_or_b64 exec, exec, s[6:7]
	s_and_saveexec_b64 s[6:7], s[4:5]
	s_cbranch_execz .LBB14_1936
.LBB14_1935:
	v_bfe_u32 v12, v0, 8, 3
	v_ffbh_u32_e32 v14, v12
	v_min_u32_e32 v14, 32, v14
	v_lshrrev_b16_e32 v13, 3, v11
	v_subrev_u32_e32 v15, 28, v14
	v_and_b32_e32 v13, 15, v13
	v_lshlrev_b32_e32 v11, v15, v11
	v_sub_u32_e32 v14, 29, v14
	v_and_b32_e32 v11, 7, v11
	v_cmp_eq_u16_e32 vcc, 0, v13
	v_cndmask_b32_e32 v11, v12, v11, vcc
	v_cndmask_b32_e32 v12, v13, v14, vcc
	v_lshlrev_b32_e32 v13, 16, v0
	v_mov_b32_e32 v14, 0x3b800000
	v_lshlrev_b32_e32 v11, 20, v11
	v_and_b32_e32 v13, 0x80000000, v13
	v_lshl_add_u32 v12, v12, 23, v14
	v_or3_b32 v12, v13, v12, v11
.LBB14_1936:
	s_or_b64 exec, exec, s[6:7]
	s_nop 0
	v_mfma_f32_16x16x4f32 a[0:3], v10, v12, a[0:3]
	s_movk_i32 s4, 0xff
	v_and_b32_sdwa v11, v4, s4 dst_sel:DWORD dst_unused:UNUSED_PAD src0_sel:WORD_1 src1_sel:DWORD
	s_movk_i32 s4, 0x7f
	v_cmp_lt_i16_e32 vcc, s4, v11
	s_mov_b64 s[4:5], 0
                                        ; implicit-def: $sgpr10
	s_and_saveexec_b64 s[6:7], vcc
	s_xor_b64 s[6:7], exec, s[6:7]
	s_cbranch_execnz .LBB14_3985
; %bb.1937:
	s_or_saveexec_b64 s[6:7], s[6:7]
	v_mov_b32_e32 v10, s10
	s_xor_b64 exec, exec, s[6:7]
	s_cbranch_execnz .LBB14_3988
.LBB14_1938:
	s_or_b64 exec, exec, s[6:7]
	s_and_saveexec_b64 s[6:7], s[4:5]
	s_cbranch_execz .LBB14_1940
.LBB14_1939:
	v_bfe_u32 v10, v4, 16, 3
	v_ffbh_u32_e32 v13, v10
	v_min_u32_e32 v13, 32, v13
	v_lshrrev_b32_e32 v11, 19, v4
	v_subrev_u32_e32 v14, 28, v13
	v_and_b32_e32 v11, 15, v11
	v_lshlrev_b32_sdwa v14, v14, v4 dst_sel:DWORD dst_unused:UNUSED_PAD src0_sel:DWORD src1_sel:WORD_1
	v_bfe_u32 v12, v4, 19, 4
	v_sub_u32_e32 v13, 29, v13
	v_and_b32_e32 v14, 7, v14
	v_cmp_eq_u16_e32 vcc, 0, v11
	v_cndmask_b32_e32 v10, v10, v14, vcc
	v_cndmask_b32_e32 v11, v12, v13, vcc
	v_lshlrev_b32_e32 v12, 8, v4
	v_mov_b32_e32 v13, 0x3b800000
	v_lshlrev_b32_e32 v10, 20, v10
	v_and_b32_e32 v12, 0x80000000, v12
	v_lshl_add_u32 v11, v11, 23, v13
	v_or3_b32 v10, v12, v11, v10
.LBB14_1940:
	s_or_b64 exec, exec, s[6:7]
	s_movk_i32 s4, 0xff
	v_and_b32_sdwa v11, v0, s4 dst_sel:DWORD dst_unused:UNUSED_PAD src0_sel:WORD_1 src1_sel:DWORD
	s_movk_i32 s4, 0x7f
	v_cmp_lt_i16_e32 vcc, s4, v11
	s_mov_b64 s[4:5], 0
                                        ; implicit-def: $sgpr10
	s_and_saveexec_b64 s[6:7], vcc
	s_xor_b64 s[6:7], exec, s[6:7]
	s_cbranch_execnz .LBB14_3989
; %bb.1941:
	s_or_saveexec_b64 s[6:7], s[6:7]
	v_mov_b32_e32 v12, s10
	s_xor_b64 exec, exec, s[6:7]
	s_cbranch_execnz .LBB14_3992
.LBB14_1942:
	s_or_b64 exec, exec, s[6:7]
	s_and_saveexec_b64 s[6:7], s[4:5]
	s_cbranch_execz .LBB14_1944
.LBB14_1943:
	v_bfe_u32 v11, v0, 16, 3
	v_ffbh_u32_e32 v14, v11
	v_min_u32_e32 v14, 32, v14
	v_lshrrev_b32_e32 v12, 19, v0
	v_subrev_u32_e32 v15, 28, v14
	v_and_b32_e32 v12, 15, v12
	v_lshlrev_b32_sdwa v15, v15, v0 dst_sel:DWORD dst_unused:UNUSED_PAD src0_sel:DWORD src1_sel:WORD_1
	v_bfe_u32 v13, v0, 19, 4
	v_sub_u32_e32 v14, 29, v14
	v_and_b32_e32 v15, 7, v15
	v_cmp_eq_u16_e32 vcc, 0, v12
	v_cndmask_b32_e32 v11, v11, v15, vcc
	v_cndmask_b32_e32 v12, v13, v14, vcc
	v_lshlrev_b32_e32 v13, 8, v0
	v_mov_b32_e32 v14, 0x3b800000
	v_lshlrev_b32_e32 v11, 20, v11
	v_and_b32_e32 v13, 0x80000000, v13
	v_lshl_add_u32 v12, v12, 23, v14
	v_or3_b32 v12, v13, v12, v11
.LBB14_1944:
	s_or_b64 exec, exec, s[6:7]
	s_nop 0
	v_mfma_f32_16x16x4f32 a[0:3], v10, v12, a[0:3]
	s_movk_i32 s4, 0x7f
	v_cmp_gt_i16_sdwa s[6:7], v4, s4 src0_sel:BYTE_3 src1_sel:DWORD
	s_mov_b64 s[4:5], 0
                                        ; implicit-def: $sgpr10
	s_and_saveexec_b64 s[8:9], s[6:7]
	s_xor_b64 s[6:7], exec, s[8:9]
	s_cbranch_execnz .LBB14_3993
; %bb.1945:
	s_or_saveexec_b64 s[6:7], s[6:7]
	v_mov_b32_e32 v10, s10
	s_xor_b64 exec, exec, s[6:7]
	s_cbranch_execnz .LBB14_3996
.LBB14_1946:
	s_or_b64 exec, exec, s[6:7]
	s_and_saveexec_b64 s[6:7], s[4:5]
	s_cbranch_execz .LBB14_1948
.LBB14_1947:
	v_bfe_u32 v10, v4, 24, 3
	v_ffbh_u32_e32 v14, v10
	v_min_u32_e32 v14, 32, v14
	v_lshrrev_b32_e32 v12, 27, v4
	v_subrev_u32_e32 v15, 28, v14
	v_and_b32_e32 v11, 0x80000000, v4
	v_and_b32_e32 v12, 15, v12
	v_bfe_u32 v13, v4, 27, 4
	v_lshlrev_b32_sdwa v4, v15, v4 dst_sel:DWORD dst_unused:UNUSED_PAD src0_sel:DWORD src1_sel:BYTE_3
	v_sub_u32_e32 v14, 29, v14
	v_and_b32_e32 v4, 7, v4
	v_cmp_eq_u16_e32 vcc, 0, v12
	v_cndmask_b32_e32 v4, v10, v4, vcc
	v_cndmask_b32_e32 v10, v13, v14, vcc
	v_mov_b32_e32 v12, 0x3b800000
	v_lshlrev_b32_e32 v4, 20, v4
	v_lshl_add_u32 v10, v10, 23, v12
	v_or3_b32 v10, v11, v10, v4
.LBB14_1948:
	s_or_b64 exec, exec, s[6:7]
	s_movk_i32 s4, 0x7f
	v_cmp_gt_i16_sdwa s[6:7], v0, s4 src0_sel:BYTE_3 src1_sel:DWORD
	s_mov_b64 s[4:5], 0
                                        ; implicit-def: $sgpr10
	s_and_saveexec_b64 s[8:9], s[6:7]
	s_xor_b64 s[6:7], exec, s[8:9]
	s_cbranch_execnz .LBB14_3997
; %bb.1949:
	s_or_saveexec_b64 s[6:7], s[6:7]
	v_mov_b32_e32 v4, s10
	s_xor_b64 exec, exec, s[6:7]
	s_cbranch_execnz .LBB14_4000
.LBB14_1950:
	s_or_b64 exec, exec, s[6:7]
	s_and_saveexec_b64 s[6:7], s[4:5]
	s_cbranch_execz .LBB14_1952
.LBB14_1951:
	v_bfe_u32 v4, v0, 24, 3
	v_ffbh_u32_e32 v14, v4
	v_min_u32_e32 v14, 32, v14
	v_lshrrev_b32_e32 v12, 27, v0
	v_subrev_u32_e32 v15, 28, v14
	v_and_b32_e32 v11, 0x80000000, v0
	v_and_b32_e32 v12, 15, v12
	v_bfe_u32 v13, v0, 27, 4
	v_lshlrev_b32_sdwa v0, v15, v0 dst_sel:DWORD dst_unused:UNUSED_PAD src0_sel:DWORD src1_sel:BYTE_3
	v_sub_u32_e32 v14, 29, v14
	v_and_b32_e32 v0, 7, v0
	v_cmp_eq_u16_e32 vcc, 0, v12
	v_cndmask_b32_e32 v0, v4, v0, vcc
	v_cndmask_b32_e32 v4, v13, v14, vcc
	v_mov_b32_e32 v12, 0x3b800000
	v_lshlrev_b32_e32 v0, 20, v0
	v_lshl_add_u32 v4, v4, 23, v12
	v_or3_b32 v4, v11, v4, v0
.LBB14_1952:
	s_or_b64 exec, exec, s[6:7]
	s_nop 0
	v_mfma_f32_16x16x4f32 a[0:3], v10, v4, a[0:3]
	s_movk_i32 s4, 0x7f
	v_cmp_gt_i16_sdwa s[6:7], v5, s4 src0_sel:BYTE_0 src1_sel:DWORD
	s_mov_b64 s[4:5], 0
                                        ; implicit-def: $sgpr10
	s_and_saveexec_b64 s[8:9], s[6:7]
	s_xor_b64 s[6:7], exec, s[8:9]
	s_cbranch_execnz .LBB14_4001
; %bb.1953:
	s_or_saveexec_b64 s[6:7], s[6:7]
	v_mov_b32_e32 v0, s10
	s_xor_b64 exec, exec, s[6:7]
	s_cbranch_execnz .LBB14_4004
.LBB14_1954:
	s_or_b64 exec, exec, s[6:7]
	s_and_saveexec_b64 s[6:7], s[4:5]
	s_cbranch_execz .LBB14_1956
.LBB14_1955:
	v_and_b32_e32 v0, 7, v5
	v_ffbh_u32_e32 v10, v0
	v_min_u32_e32 v10, 32, v10
	v_lshrrev_b16_e32 v4, 3, v5
	v_subrev_u32_e32 v11, 28, v10
	v_and_b32_e32 v4, 15, v4
	v_lshlrev_b32_e32 v11, v11, v5
	v_sub_u32_e32 v10, 29, v10
	v_and_b32_e32 v11, 7, v11
	v_cmp_eq_u16_e32 vcc, 0, v4
	v_cndmask_b32_e32 v0, v0, v11, vcc
	v_cndmask_b32_e32 v4, v4, v10, vcc
	v_lshlrev_b32_e32 v10, 24, v5
	v_mov_b32_e32 v11, 0x3b800000
	v_lshlrev_b32_e32 v0, 20, v0
	v_and_b32_e32 v10, 0x80000000, v10
	v_lshl_add_u32 v4, v4, 23, v11
	v_or3_b32 v0, v10, v4, v0
.LBB14_1956:
	s_or_b64 exec, exec, s[6:7]
	s_movk_i32 s4, 0x7f
	v_cmp_gt_i16_sdwa s[6:7], v1, s4 src0_sel:BYTE_0 src1_sel:DWORD
	s_mov_b64 s[4:5], 0
                                        ; implicit-def: $sgpr10
	s_and_saveexec_b64 s[8:9], s[6:7]
	s_xor_b64 s[6:7], exec, s[8:9]
	s_cbranch_execnz .LBB14_4005
; %bb.1957:
	s_or_saveexec_b64 s[6:7], s[6:7]
	v_mov_b32_e32 v4, s10
	s_xor_b64 exec, exec, s[6:7]
	s_cbranch_execnz .LBB14_4008
.LBB14_1958:
	s_or_b64 exec, exec, s[6:7]
	s_and_saveexec_b64 s[6:7], s[4:5]
	s_cbranch_execz .LBB14_1960
.LBB14_1959:
	v_and_b32_e32 v4, 7, v1
	v_ffbh_u32_e32 v11, v4
	v_min_u32_e32 v11, 32, v11
	v_lshrrev_b16_e32 v10, 3, v1
	v_subrev_u32_e32 v12, 28, v11
	v_and_b32_e32 v10, 15, v10
	v_lshlrev_b32_e32 v12, v12, v1
	v_sub_u32_e32 v11, 29, v11
	v_and_b32_e32 v12, 7, v12
	v_cmp_eq_u16_e32 vcc, 0, v10
	v_cndmask_b32_e32 v4, v4, v12, vcc
	v_cndmask_b32_e32 v10, v10, v11, vcc
	v_lshlrev_b32_e32 v11, 24, v1
	v_mov_b32_e32 v12, 0x3b800000
	v_lshlrev_b32_e32 v4, 20, v4
	v_and_b32_e32 v11, 0x80000000, v11
	v_lshl_add_u32 v10, v10, 23, v12
	v_or3_b32 v4, v11, v10, v4
.LBB14_1960:
	s_or_b64 exec, exec, s[6:7]
	s_nop 0
	v_mfma_f32_16x16x4f32 a[0:3], v0, v4, a[0:3]
	v_lshrrev_b32_e32 v4, 8, v5
	s_movk_i32 s4, 0x7f
	v_cmp_gt_i16_sdwa s[6:7], v4, s4 src0_sel:BYTE_0 src1_sel:DWORD
	s_mov_b64 s[4:5], 0
                                        ; implicit-def: $sgpr10
	s_and_saveexec_b64 s[8:9], s[6:7]
	s_xor_b64 s[6:7], exec, s[8:9]
	s_cbranch_execnz .LBB14_4009
; %bb.1961:
	s_or_saveexec_b64 s[6:7], s[6:7]
	v_mov_b32_e32 v0, s10
	s_xor_b64 exec, exec, s[6:7]
	s_cbranch_execnz .LBB14_4012
.LBB14_1962:
	s_or_b64 exec, exec, s[6:7]
	s_and_saveexec_b64 s[6:7], s[4:5]
	s_cbranch_execz .LBB14_1964
.LBB14_1963:
	v_bfe_u32 v0, v5, 8, 3
	v_ffbh_u32_e32 v11, v0
	v_min_u32_e32 v11, 32, v11
	v_lshrrev_b16_e32 v10, 3, v4
	v_subrev_u32_e32 v12, 28, v11
	v_and_b32_e32 v10, 15, v10
	v_lshlrev_b32_e32 v4, v12, v4
	v_sub_u32_e32 v11, 29, v11
	v_and_b32_e32 v4, 7, v4
	v_cmp_eq_u16_e32 vcc, 0, v10
	v_cndmask_b32_e32 v0, v0, v4, vcc
	v_cndmask_b32_e32 v4, v10, v11, vcc
	v_lshlrev_b32_e32 v10, 16, v5
	v_mov_b32_e32 v11, 0x3b800000
	v_lshlrev_b32_e32 v0, 20, v0
	v_and_b32_e32 v10, 0x80000000, v10
	v_lshl_add_u32 v4, v4, 23, v11
	v_or3_b32 v0, v10, v4, v0
.LBB14_1964:
	s_or_b64 exec, exec, s[6:7]
	v_lshrrev_b32_e32 v4, 8, v1
	s_movk_i32 s4, 0x7f
	v_cmp_gt_i16_sdwa s[6:7], v4, s4 src0_sel:BYTE_0 src1_sel:DWORD
	s_mov_b64 s[4:5], 0
                                        ; implicit-def: $sgpr10
	s_and_saveexec_b64 s[8:9], s[6:7]
	s_xor_b64 s[6:7], exec, s[8:9]
	s_cbranch_execnz .LBB14_4013
; %bb.1965:
	s_or_saveexec_b64 s[6:7], s[6:7]
	v_mov_b32_e32 v10, s10
	s_xor_b64 exec, exec, s[6:7]
	s_cbranch_execnz .LBB14_4016
.LBB14_1966:
	s_or_b64 exec, exec, s[6:7]
	s_and_saveexec_b64 s[6:7], s[4:5]
	s_cbranch_execz .LBB14_1968
.LBB14_1967:
	v_bfe_u32 v10, v1, 8, 3
	v_ffbh_u32_e32 v12, v10
	v_min_u32_e32 v12, 32, v12
	v_lshrrev_b16_e32 v11, 3, v4
	v_subrev_u32_e32 v13, 28, v12
	v_and_b32_e32 v11, 15, v11
	v_lshlrev_b32_e32 v4, v13, v4
	v_sub_u32_e32 v12, 29, v12
	v_and_b32_e32 v4, 7, v4
	v_cmp_eq_u16_e32 vcc, 0, v11
	v_cndmask_b32_e32 v4, v10, v4, vcc
	v_cndmask_b32_e32 v10, v11, v12, vcc
	v_lshlrev_b32_e32 v11, 16, v1
	v_mov_b32_e32 v12, 0x3b800000
	v_lshlrev_b32_e32 v4, 20, v4
	v_and_b32_e32 v11, 0x80000000, v11
	v_lshl_add_u32 v10, v10, 23, v12
	v_or3_b32 v10, v11, v10, v4
.LBB14_1968:
	s_or_b64 exec, exec, s[6:7]
	s_nop 0
	v_mfma_f32_16x16x4f32 a[0:3], v0, v10, a[0:3]
	s_movk_i32 s4, 0xff
	v_and_b32_sdwa v4, v5, s4 dst_sel:DWORD dst_unused:UNUSED_PAD src0_sel:WORD_1 src1_sel:DWORD
	s_movk_i32 s4, 0x7f
	v_cmp_lt_i16_e32 vcc, s4, v4
	s_mov_b64 s[4:5], 0
                                        ; implicit-def: $sgpr10
	s_and_saveexec_b64 s[6:7], vcc
	s_xor_b64 s[6:7], exec, s[6:7]
	s_cbranch_execnz .LBB14_4017
; %bb.1969:
	s_or_saveexec_b64 s[6:7], s[6:7]
	v_mov_b32_e32 v0, s10
	s_xor_b64 exec, exec, s[6:7]
	s_cbranch_execnz .LBB14_4020
.LBB14_1970:
	s_or_b64 exec, exec, s[6:7]
	s_and_saveexec_b64 s[6:7], s[4:5]
	s_cbranch_execz .LBB14_1972
.LBB14_1971:
	v_bfe_u32 v0, v5, 16, 3
	v_ffbh_u32_e32 v11, v0
	v_min_u32_e32 v11, 32, v11
	v_lshrrev_b32_e32 v4, 19, v5
	v_subrev_u32_e32 v12, 28, v11
	v_and_b32_e32 v4, 15, v4
	v_lshlrev_b32_sdwa v12, v12, v5 dst_sel:DWORD dst_unused:UNUSED_PAD src0_sel:DWORD src1_sel:WORD_1
	v_bfe_u32 v10, v5, 19, 4
	v_sub_u32_e32 v11, 29, v11
	v_and_b32_e32 v12, 7, v12
	v_cmp_eq_u16_e32 vcc, 0, v4
	v_cndmask_b32_e32 v0, v0, v12, vcc
	v_cndmask_b32_e32 v4, v10, v11, vcc
	v_lshlrev_b32_e32 v10, 8, v5
	v_mov_b32_e32 v11, 0x3b800000
	v_lshlrev_b32_e32 v0, 20, v0
	v_and_b32_e32 v10, 0x80000000, v10
	v_lshl_add_u32 v4, v4, 23, v11
	v_or3_b32 v0, v10, v4, v0
.LBB14_1972:
	s_or_b64 exec, exec, s[6:7]
	s_movk_i32 s4, 0xff
	v_and_b32_sdwa v4, v1, s4 dst_sel:DWORD dst_unused:UNUSED_PAD src0_sel:WORD_1 src1_sel:DWORD
	s_movk_i32 s4, 0x7f
	v_cmp_lt_i16_e32 vcc, s4, v4
	s_mov_b64 s[4:5], 0
                                        ; implicit-def: $sgpr10
	s_and_saveexec_b64 s[6:7], vcc
	s_xor_b64 s[6:7], exec, s[6:7]
	s_cbranch_execnz .LBB14_4021
; %bb.1973:
	s_or_saveexec_b64 s[6:7], s[6:7]
	v_mov_b32_e32 v10, s10
	s_xor_b64 exec, exec, s[6:7]
	s_cbranch_execnz .LBB14_4024
.LBB14_1974:
	s_or_b64 exec, exec, s[6:7]
	s_and_saveexec_b64 s[6:7], s[4:5]
	s_cbranch_execz .LBB14_1976
.LBB14_1975:
	v_bfe_u32 v4, v1, 16, 3
	v_ffbh_u32_e32 v12, v4
	v_min_u32_e32 v12, 32, v12
	v_lshrrev_b32_e32 v10, 19, v1
	v_subrev_u32_e32 v13, 28, v12
	v_and_b32_e32 v10, 15, v10
	v_lshlrev_b32_sdwa v13, v13, v1 dst_sel:DWORD dst_unused:UNUSED_PAD src0_sel:DWORD src1_sel:WORD_1
	v_bfe_u32 v11, v1, 19, 4
	v_sub_u32_e32 v12, 29, v12
	v_and_b32_e32 v13, 7, v13
	v_cmp_eq_u16_e32 vcc, 0, v10
	v_cndmask_b32_e32 v4, v4, v13, vcc
	v_cndmask_b32_e32 v10, v11, v12, vcc
	v_lshlrev_b32_e32 v11, 8, v1
	v_mov_b32_e32 v12, 0x3b800000
	v_lshlrev_b32_e32 v4, 20, v4
	v_and_b32_e32 v11, 0x80000000, v11
	v_lshl_add_u32 v10, v10, 23, v12
	v_or3_b32 v10, v11, v10, v4
.LBB14_1976:
	s_or_b64 exec, exec, s[6:7]
	s_nop 0
	v_mfma_f32_16x16x4f32 a[0:3], v0, v10, a[0:3]
	s_movk_i32 s4, 0x7f
	v_cmp_gt_i16_sdwa s[6:7], v5, s4 src0_sel:BYTE_3 src1_sel:DWORD
	s_mov_b64 s[4:5], 0
                                        ; implicit-def: $sgpr10
	s_and_saveexec_b64 s[8:9], s[6:7]
	s_xor_b64 s[6:7], exec, s[8:9]
	s_cbranch_execnz .LBB14_4025
; %bb.1977:
	s_or_saveexec_b64 s[6:7], s[6:7]
	v_mov_b32_e32 v0, s10
	s_xor_b64 exec, exec, s[6:7]
	s_cbranch_execnz .LBB14_4028
.LBB14_1978:
	s_or_b64 exec, exec, s[6:7]
	s_and_saveexec_b64 s[6:7], s[4:5]
	s_cbranch_execz .LBB14_1980
.LBB14_1979:
	v_bfe_u32 v0, v5, 24, 3
	v_ffbh_u32_e32 v12, v0
	v_min_u32_e32 v12, 32, v12
	v_lshrrev_b32_e32 v10, 27, v5
	v_subrev_u32_e32 v13, 28, v12
	v_and_b32_e32 v4, 0x80000000, v5
	v_and_b32_e32 v10, 15, v10
	v_bfe_u32 v11, v5, 27, 4
	v_lshlrev_b32_sdwa v5, v13, v5 dst_sel:DWORD dst_unused:UNUSED_PAD src0_sel:DWORD src1_sel:BYTE_3
	v_sub_u32_e32 v12, 29, v12
	v_and_b32_e32 v5, 7, v5
	v_cmp_eq_u16_e32 vcc, 0, v10
	v_cndmask_b32_e32 v0, v0, v5, vcc
	v_cndmask_b32_e32 v5, v11, v12, vcc
	v_mov_b32_e32 v10, 0x3b800000
	v_lshlrev_b32_e32 v0, 20, v0
	v_lshl_add_u32 v5, v5, 23, v10
	v_or3_b32 v0, v4, v5, v0
.LBB14_1980:
	s_or_b64 exec, exec, s[6:7]
	s_movk_i32 s4, 0x7f
	v_cmp_gt_i16_sdwa s[6:7], v1, s4 src0_sel:BYTE_3 src1_sel:DWORD
	s_mov_b64 s[4:5], 0
                                        ; implicit-def: $sgpr10
	s_and_saveexec_b64 s[8:9], s[6:7]
	s_xor_b64 s[6:7], exec, s[8:9]
	s_cbranch_execnz .LBB14_4029
; %bb.1981:
	s_or_saveexec_b64 s[6:7], s[6:7]
	v_mov_b32_e32 v4, s10
	s_xor_b64 exec, exec, s[6:7]
	s_cbranch_execnz .LBB14_4032
.LBB14_1982:
	s_or_b64 exec, exec, s[6:7]
	s_and_saveexec_b64 s[6:7], s[4:5]
	s_cbranch_execz .LBB14_1984
.LBB14_1983:
	v_bfe_u32 v4, v1, 24, 3
	v_ffbh_u32_e32 v12, v4
	v_min_u32_e32 v12, 32, v12
	v_lshrrev_b32_e32 v10, 27, v1
	v_subrev_u32_e32 v13, 28, v12
	v_and_b32_e32 v5, 0x80000000, v1
	v_and_b32_e32 v10, 15, v10
	v_bfe_u32 v11, v1, 27, 4
	v_lshlrev_b32_sdwa v1, v13, v1 dst_sel:DWORD dst_unused:UNUSED_PAD src0_sel:DWORD src1_sel:BYTE_3
	v_sub_u32_e32 v12, 29, v12
	v_and_b32_e32 v1, 7, v1
	v_cmp_eq_u16_e32 vcc, 0, v10
	v_cndmask_b32_e32 v1, v4, v1, vcc
	v_cndmask_b32_e32 v4, v11, v12, vcc
	v_mov_b32_e32 v10, 0x3b800000
	v_lshlrev_b32_e32 v1, 20, v1
	v_lshl_add_u32 v4, v4, 23, v10
	v_or3_b32 v4, v5, v4, v1
.LBB14_1984:
	s_or_b64 exec, exec, s[6:7]
	s_nop 0
	v_mfma_f32_16x16x4f32 a[0:3], v0, v4, a[0:3]
	s_movk_i32 s4, 0x7f
	v_cmp_gt_i16_sdwa s[6:7], v6, s4 src0_sel:BYTE_0 src1_sel:DWORD
	s_mov_b64 s[4:5], 0
                                        ; implicit-def: $sgpr10
	s_and_saveexec_b64 s[8:9], s[6:7]
	s_xor_b64 s[6:7], exec, s[8:9]
	s_cbranch_execnz .LBB14_4033
; %bb.1985:
	s_or_saveexec_b64 s[6:7], s[6:7]
	v_mov_b32_e32 v0, s10
	s_xor_b64 exec, exec, s[6:7]
	s_cbranch_execnz .LBB14_4036
.LBB14_1986:
	s_or_b64 exec, exec, s[6:7]
	s_and_saveexec_b64 s[6:7], s[4:5]
	s_cbranch_execz .LBB14_1988
.LBB14_1987:
	v_and_b32_e32 v0, 7, v6
	v_ffbh_u32_e32 v4, v0
	v_min_u32_e32 v4, 32, v4
	v_lshrrev_b16_e32 v1, 3, v6
	v_subrev_u32_e32 v5, 28, v4
	v_and_b32_e32 v1, 15, v1
	v_lshlrev_b32_e32 v5, v5, v6
	v_sub_u32_e32 v4, 29, v4
	v_and_b32_e32 v5, 7, v5
	v_cmp_eq_u16_e32 vcc, 0, v1
	v_cndmask_b32_e32 v0, v0, v5, vcc
	v_cndmask_b32_e32 v1, v1, v4, vcc
	v_lshlrev_b32_e32 v4, 24, v6
	v_mov_b32_e32 v5, 0x3b800000
	v_lshlrev_b32_e32 v0, 20, v0
	v_and_b32_e32 v4, 0x80000000, v4
	v_lshl_add_u32 v1, v1, 23, v5
	v_or3_b32 v0, v4, v1, v0
.LBB14_1988:
	s_or_b64 exec, exec, s[6:7]
	s_movk_i32 s4, 0x7f
	v_cmp_gt_i16_sdwa s[6:7], v2, s4 src0_sel:BYTE_0 src1_sel:DWORD
	s_mov_b64 s[4:5], 0
                                        ; implicit-def: $sgpr10
	s_and_saveexec_b64 s[8:9], s[6:7]
	s_xor_b64 s[6:7], exec, s[8:9]
	s_cbranch_execnz .LBB14_4037
; %bb.1989:
	s_or_saveexec_b64 s[6:7], s[6:7]
	v_mov_b32_e32 v1, s10
	s_xor_b64 exec, exec, s[6:7]
	s_cbranch_execnz .LBB14_4040
.LBB14_1990:
	s_or_b64 exec, exec, s[6:7]
	s_and_saveexec_b64 s[6:7], s[4:5]
	s_cbranch_execz .LBB14_1992
.LBB14_1991:
	v_and_b32_e32 v1, 7, v2
	v_ffbh_u32_e32 v5, v1
	v_min_u32_e32 v5, 32, v5
	v_lshrrev_b16_e32 v4, 3, v2
	v_subrev_u32_e32 v10, 28, v5
	v_and_b32_e32 v4, 15, v4
	v_lshlrev_b32_e32 v10, v10, v2
	v_sub_u32_e32 v5, 29, v5
	v_and_b32_e32 v10, 7, v10
	v_cmp_eq_u16_e32 vcc, 0, v4
	v_cndmask_b32_e32 v1, v1, v10, vcc
	v_cndmask_b32_e32 v4, v4, v5, vcc
	v_lshlrev_b32_e32 v5, 24, v2
	v_mov_b32_e32 v10, 0x3b800000
	v_lshlrev_b32_e32 v1, 20, v1
	v_and_b32_e32 v5, 0x80000000, v5
	v_lshl_add_u32 v4, v4, 23, v10
	v_or3_b32 v1, v5, v4, v1
.LBB14_1992:
	s_or_b64 exec, exec, s[6:7]
	s_nop 0
	v_mfma_f32_16x16x4f32 a[0:3], v0, v1, a[0:3]
	v_lshrrev_b32_e32 v1, 8, v6
	s_movk_i32 s4, 0x7f
	v_cmp_gt_i16_sdwa s[6:7], v1, s4 src0_sel:BYTE_0 src1_sel:DWORD
	s_mov_b64 s[4:5], 0
                                        ; implicit-def: $sgpr10
	s_and_saveexec_b64 s[8:9], s[6:7]
	s_xor_b64 s[6:7], exec, s[8:9]
	s_cbranch_execnz .LBB14_4041
; %bb.1993:
	s_or_saveexec_b64 s[6:7], s[6:7]
	v_mov_b32_e32 v0, s10
	s_xor_b64 exec, exec, s[6:7]
	s_cbranch_execnz .LBB14_4044
.LBB14_1994:
	s_or_b64 exec, exec, s[6:7]
	s_and_saveexec_b64 s[6:7], s[4:5]
	s_cbranch_execz .LBB14_1996
.LBB14_1995:
	v_bfe_u32 v0, v6, 8, 3
	v_ffbh_u32_e32 v5, v0
	v_min_u32_e32 v5, 32, v5
	v_lshrrev_b16_e32 v4, 3, v1
	v_subrev_u32_e32 v10, 28, v5
	v_and_b32_e32 v4, 15, v4
	v_lshlrev_b32_e32 v1, v10, v1
	v_sub_u32_e32 v5, 29, v5
	v_and_b32_e32 v1, 7, v1
	v_cmp_eq_u16_e32 vcc, 0, v4
	v_cndmask_b32_e32 v0, v0, v1, vcc
	v_cndmask_b32_e32 v1, v4, v5, vcc
	v_lshlrev_b32_e32 v4, 16, v6
	v_mov_b32_e32 v5, 0x3b800000
	v_lshlrev_b32_e32 v0, 20, v0
	v_and_b32_e32 v4, 0x80000000, v4
	v_lshl_add_u32 v1, v1, 23, v5
	v_or3_b32 v0, v4, v1, v0
.LBB14_1996:
	s_or_b64 exec, exec, s[6:7]
	v_lshrrev_b32_e32 v1, 8, v2
	s_movk_i32 s4, 0x7f
	v_cmp_gt_i16_sdwa s[6:7], v1, s4 src0_sel:BYTE_0 src1_sel:DWORD
	s_mov_b64 s[4:5], 0
                                        ; implicit-def: $sgpr10
	s_and_saveexec_b64 s[8:9], s[6:7]
	s_xor_b64 s[6:7], exec, s[8:9]
	s_cbranch_execnz .LBB14_4045
; %bb.1997:
	s_or_saveexec_b64 s[6:7], s[6:7]
	v_mov_b32_e32 v4, s10
	s_xor_b64 exec, exec, s[6:7]
	s_cbranch_execnz .LBB14_4048
.LBB14_1998:
	s_or_b64 exec, exec, s[6:7]
	s_and_saveexec_b64 s[6:7], s[4:5]
	s_cbranch_execz .LBB14_2000
.LBB14_1999:
	v_bfe_u32 v4, v2, 8, 3
	v_ffbh_u32_e32 v10, v4
	v_min_u32_e32 v10, 32, v10
	v_lshrrev_b16_e32 v5, 3, v1
	v_subrev_u32_e32 v11, 28, v10
	v_and_b32_e32 v5, 15, v5
	v_lshlrev_b32_e32 v1, v11, v1
	v_sub_u32_e32 v10, 29, v10
	v_and_b32_e32 v1, 7, v1
	v_cmp_eq_u16_e32 vcc, 0, v5
	v_cndmask_b32_e32 v1, v4, v1, vcc
	v_cndmask_b32_e32 v4, v5, v10, vcc
	v_lshlrev_b32_e32 v5, 16, v2
	v_mov_b32_e32 v10, 0x3b800000
	v_lshlrev_b32_e32 v1, 20, v1
	v_and_b32_e32 v5, 0x80000000, v5
	v_lshl_add_u32 v4, v4, 23, v10
	v_or3_b32 v4, v5, v4, v1
.LBB14_2000:
	s_or_b64 exec, exec, s[6:7]
	s_nop 0
	v_mfma_f32_16x16x4f32 a[0:3], v0, v4, a[0:3]
	s_movk_i32 s4, 0xff
	v_and_b32_sdwa v1, v6, s4 dst_sel:DWORD dst_unused:UNUSED_PAD src0_sel:WORD_1 src1_sel:DWORD
	s_movk_i32 s4, 0x7f
	v_cmp_lt_i16_e32 vcc, s4, v1
	s_mov_b64 s[4:5], 0
                                        ; implicit-def: $sgpr10
	s_and_saveexec_b64 s[6:7], vcc
	s_xor_b64 s[6:7], exec, s[6:7]
	s_cbranch_execnz .LBB14_4049
; %bb.2001:
	s_or_saveexec_b64 s[6:7], s[6:7]
	v_mov_b32_e32 v0, s10
	s_xor_b64 exec, exec, s[6:7]
	s_cbranch_execnz .LBB14_4052
.LBB14_2002:
	s_or_b64 exec, exec, s[6:7]
	s_and_saveexec_b64 s[6:7], s[4:5]
	s_cbranch_execz .LBB14_2004
.LBB14_2003:
	v_bfe_u32 v0, v6, 16, 3
	v_ffbh_u32_e32 v5, v0
	v_min_u32_e32 v5, 32, v5
	v_lshrrev_b32_e32 v1, 19, v6
	v_subrev_u32_e32 v10, 28, v5
	v_and_b32_e32 v1, 15, v1
	v_lshlrev_b32_sdwa v10, v10, v6 dst_sel:DWORD dst_unused:UNUSED_PAD src0_sel:DWORD src1_sel:WORD_1
	v_bfe_u32 v4, v6, 19, 4
	v_sub_u32_e32 v5, 29, v5
	v_and_b32_e32 v10, 7, v10
	v_cmp_eq_u16_e32 vcc, 0, v1
	v_cndmask_b32_e32 v0, v0, v10, vcc
	v_cndmask_b32_e32 v1, v4, v5, vcc
	v_lshlrev_b32_e32 v4, 8, v6
	v_mov_b32_e32 v5, 0x3b800000
	v_lshlrev_b32_e32 v0, 20, v0
	v_and_b32_e32 v4, 0x80000000, v4
	v_lshl_add_u32 v1, v1, 23, v5
	v_or3_b32 v0, v4, v1, v0
.LBB14_2004:
	s_or_b64 exec, exec, s[6:7]
	s_movk_i32 s4, 0xff
	v_and_b32_sdwa v1, v2, s4 dst_sel:DWORD dst_unused:UNUSED_PAD src0_sel:WORD_1 src1_sel:DWORD
	s_movk_i32 s4, 0x7f
	v_cmp_lt_i16_e32 vcc, s4, v1
	s_mov_b64 s[4:5], 0
                                        ; implicit-def: $sgpr10
	s_and_saveexec_b64 s[6:7], vcc
	s_xor_b64 s[6:7], exec, s[6:7]
	s_cbranch_execnz .LBB14_4053
; %bb.2005:
	s_or_saveexec_b64 s[6:7], s[6:7]
	v_mov_b32_e32 v4, s10
	s_xor_b64 exec, exec, s[6:7]
	s_cbranch_execnz .LBB14_4056
.LBB14_2006:
	s_or_b64 exec, exec, s[6:7]
	s_and_saveexec_b64 s[6:7], s[4:5]
	s_cbranch_execz .LBB14_2008
.LBB14_2007:
	v_bfe_u32 v1, v2, 16, 3
	v_ffbh_u32_e32 v10, v1
	v_min_u32_e32 v10, 32, v10
	v_lshrrev_b32_e32 v4, 19, v2
	v_subrev_u32_e32 v11, 28, v10
	v_and_b32_e32 v4, 15, v4
	v_lshlrev_b32_sdwa v11, v11, v2 dst_sel:DWORD dst_unused:UNUSED_PAD src0_sel:DWORD src1_sel:WORD_1
	v_bfe_u32 v5, v2, 19, 4
	v_sub_u32_e32 v10, 29, v10
	v_and_b32_e32 v11, 7, v11
	v_cmp_eq_u16_e32 vcc, 0, v4
	v_cndmask_b32_e32 v1, v1, v11, vcc
	v_cndmask_b32_e32 v4, v5, v10, vcc
	v_lshlrev_b32_e32 v5, 8, v2
	v_mov_b32_e32 v10, 0x3b800000
	v_lshlrev_b32_e32 v1, 20, v1
	v_and_b32_e32 v5, 0x80000000, v5
	v_lshl_add_u32 v4, v4, 23, v10
	v_or3_b32 v4, v5, v4, v1
.LBB14_2008:
	s_or_b64 exec, exec, s[6:7]
	s_nop 0
	v_mfma_f32_16x16x4f32 a[0:3], v0, v4, a[0:3]
	s_movk_i32 s4, 0x7f
	v_cmp_gt_i16_sdwa s[6:7], v6, s4 src0_sel:BYTE_3 src1_sel:DWORD
	s_mov_b64 s[4:5], 0
                                        ; implicit-def: $sgpr10
	s_and_saveexec_b64 s[8:9], s[6:7]
	s_xor_b64 s[6:7], exec, s[8:9]
	s_cbranch_execnz .LBB14_4057
; %bb.2009:
	s_or_saveexec_b64 s[6:7], s[6:7]
	v_mov_b32_e32 v0, s10
	s_xor_b64 exec, exec, s[6:7]
	s_cbranch_execnz .LBB14_4060
.LBB14_2010:
	s_or_b64 exec, exec, s[6:7]
	s_and_saveexec_b64 s[6:7], s[4:5]
	s_cbranch_execz .LBB14_2012
.LBB14_2011:
	v_bfe_u32 v0, v6, 24, 3
	v_ffbh_u32_e32 v10, v0
	v_min_u32_e32 v10, 32, v10
	v_lshrrev_b32_e32 v4, 27, v6
	v_subrev_u32_e32 v11, 28, v10
	v_and_b32_e32 v1, 0x80000000, v6
	v_and_b32_e32 v4, 15, v4
	v_bfe_u32 v5, v6, 27, 4
	v_lshlrev_b32_sdwa v6, v11, v6 dst_sel:DWORD dst_unused:UNUSED_PAD src0_sel:DWORD src1_sel:BYTE_3
	v_sub_u32_e32 v10, 29, v10
	v_and_b32_e32 v6, 7, v6
	v_cmp_eq_u16_e32 vcc, 0, v4
	v_cndmask_b32_e32 v0, v0, v6, vcc
	v_cndmask_b32_e32 v4, v5, v10, vcc
	v_mov_b32_e32 v5, 0x3b800000
	v_lshlrev_b32_e32 v0, 20, v0
	v_lshl_add_u32 v4, v4, 23, v5
	v_or3_b32 v0, v1, v4, v0
.LBB14_2012:
	s_or_b64 exec, exec, s[6:7]
	s_movk_i32 s4, 0x7f
	v_cmp_gt_i16_sdwa s[6:7], v2, s4 src0_sel:BYTE_3 src1_sel:DWORD
	s_mov_b64 s[4:5], 0
                                        ; implicit-def: $sgpr10
	s_and_saveexec_b64 s[8:9], s[6:7]
	s_xor_b64 s[6:7], exec, s[8:9]
	s_cbranch_execnz .LBB14_4061
; %bb.2013:
	s_or_saveexec_b64 s[6:7], s[6:7]
	v_mov_b32_e32 v1, s10
	s_xor_b64 exec, exec, s[6:7]
	s_cbranch_execnz .LBB14_4064
.LBB14_2014:
	s_or_b64 exec, exec, s[6:7]
	s_and_saveexec_b64 s[6:7], s[4:5]
	s_cbranch_execz .LBB14_2016
.LBB14_2015:
	v_bfe_u32 v1, v2, 24, 3
	v_ffbh_u32_e32 v10, v1
	v_min_u32_e32 v10, 32, v10
	v_lshrrev_b32_e32 v5, 27, v2
	v_subrev_u32_e32 v11, 28, v10
	v_and_b32_e32 v4, 0x80000000, v2
	v_and_b32_e32 v5, 15, v5
	v_bfe_u32 v6, v2, 27, 4
	v_lshlrev_b32_sdwa v2, v11, v2 dst_sel:DWORD dst_unused:UNUSED_PAD src0_sel:DWORD src1_sel:BYTE_3
	v_sub_u32_e32 v10, 29, v10
	v_and_b32_e32 v2, 7, v2
	v_cmp_eq_u16_e32 vcc, 0, v5
	v_cndmask_b32_e32 v1, v1, v2, vcc
	v_cndmask_b32_e32 v2, v6, v10, vcc
	v_mov_b32_e32 v5, 0x3b800000
	v_lshlrev_b32_e32 v1, 20, v1
	v_lshl_add_u32 v2, v2, 23, v5
	v_or3_b32 v1, v4, v2, v1
.LBB14_2016:
	s_or_b64 exec, exec, s[6:7]
	s_nop 0
	v_mfma_f32_16x16x4f32 a[0:3], v0, v1, a[0:3]
	s_movk_i32 s4, 0x7f
	v_cmp_gt_i16_sdwa s[6:7], v7, s4 src0_sel:BYTE_0 src1_sel:DWORD
	s_mov_b64 s[4:5], 0
                                        ; implicit-def: $sgpr10
	s_and_saveexec_b64 s[8:9], s[6:7]
	s_xor_b64 s[6:7], exec, s[8:9]
	s_cbranch_execnz .LBB14_4065
; %bb.2017:
	s_or_saveexec_b64 s[6:7], s[6:7]
	v_mov_b32_e32 v0, s10
	s_xor_b64 exec, exec, s[6:7]
	s_cbranch_execnz .LBB14_4068
.LBB14_2018:
	s_or_b64 exec, exec, s[6:7]
	s_and_saveexec_b64 s[6:7], s[4:5]
	s_cbranch_execz .LBB14_2020
.LBB14_2019:
	v_mov_b32_e32 v0, 8
	v_and_b32_e32 v1, 7, v7
	v_lshrrev_b32_sdwa v0, v0, v7 dst_sel:BYTE_1 dst_unused:UNUSED_PAD src0_sel:DWORD src1_sel:DWORD
	v_ffbh_u32_e32 v2, v1
	v_or_b32_sdwa v0, v7, v0 dst_sel:DWORD dst_unused:UNUSED_PAD src0_sel:BYTE_0 src1_sel:DWORD
	v_min_u32_e32 v2, 32, v2
	v_lshrrev_b16_e32 v0, 3, v0
	v_subrev_u32_e32 v4, 28, v2
	v_and_b32_e32 v0, 15, v0
	v_lshlrev_b32_e32 v4, v4, v7
	v_sub_u32_e32 v2, 29, v2
	v_and_b32_e32 v4, 7, v4
	v_cmp_eq_u16_e32 vcc, 0, v0
	v_cndmask_b32_e32 v1, v1, v4, vcc
	v_cndmask_b32_e32 v0, v0, v2, vcc
	v_lshlrev_b32_e32 v2, 24, v7
	v_mov_b32_e32 v4, 0x3b800000
	v_lshlrev_b32_e32 v1, 20, v1
	v_and_b32_e32 v2, 0x80000000, v2
	v_lshl_add_u32 v0, v0, 23, v4
	v_or3_b32 v0, v2, v0, v1
.LBB14_2020:
	s_or_b64 exec, exec, s[6:7]
	s_movk_i32 s4, 0x7f
	v_cmp_gt_i16_sdwa s[6:7], v3, s4 src0_sel:BYTE_0 src1_sel:DWORD
	s_mov_b64 s[4:5], 0
                                        ; implicit-def: $sgpr10
	s_and_saveexec_b64 s[8:9], s[6:7]
	s_xor_b64 s[6:7], exec, s[8:9]
	s_cbranch_execnz .LBB14_4069
; %bb.2021:
	s_or_saveexec_b64 s[6:7], s[6:7]
	v_mov_b32_e32 v1, s10
	s_xor_b64 exec, exec, s[6:7]
	s_cbranch_execnz .LBB14_4072
.LBB14_2022:
	s_or_b64 exec, exec, s[6:7]
	s_and_saveexec_b64 s[6:7], s[4:5]
	s_cbranch_execz .LBB14_2024
.LBB14_2023:
	v_mov_b32_e32 v1, 8
	v_and_b32_e32 v2, 7, v3
	v_lshrrev_b32_sdwa v1, v1, v3 dst_sel:BYTE_1 dst_unused:UNUSED_PAD src0_sel:DWORD src1_sel:DWORD
	v_ffbh_u32_e32 v4, v2
	v_or_b32_sdwa v1, v3, v1 dst_sel:DWORD dst_unused:UNUSED_PAD src0_sel:BYTE_0 src1_sel:DWORD
	v_min_u32_e32 v4, 32, v4
	v_lshrrev_b16_e32 v1, 3, v1
	v_subrev_u32_e32 v5, 28, v4
	v_and_b32_e32 v1, 15, v1
	v_lshlrev_b32_e32 v5, v5, v3
	v_sub_u32_e32 v4, 29, v4
	v_and_b32_e32 v5, 7, v5
	v_cmp_eq_u16_e32 vcc, 0, v1
	v_cndmask_b32_e32 v2, v2, v5, vcc
	v_cndmask_b32_e32 v1, v1, v4, vcc
	v_lshlrev_b32_e32 v4, 24, v3
	v_mov_b32_e32 v5, 0x3b800000
	v_lshlrev_b32_e32 v2, 20, v2
	v_and_b32_e32 v4, 0x80000000, v4
	v_lshl_add_u32 v1, v1, 23, v5
	v_or3_b32 v1, v4, v1, v2
.LBB14_2024:
	s_or_b64 exec, exec, s[6:7]
	s_nop 0
	v_mfma_f32_16x16x4f32 a[0:3], v0, v1, a[0:3]
	v_lshrrev_b32_e32 v1, 8, v7
	s_movk_i32 s4, 0x7f
	v_cmp_gt_i16_sdwa s[6:7], v1, s4 src0_sel:BYTE_0 src1_sel:DWORD
	s_mov_b64 s[4:5], 0
                                        ; implicit-def: $sgpr10
	s_and_saveexec_b64 s[8:9], s[6:7]
	s_xor_b64 s[6:7], exec, s[8:9]
	s_cbranch_execnz .LBB14_4073
; %bb.2025:
	s_or_saveexec_b64 s[6:7], s[6:7]
	v_mov_b32_e32 v0, s10
	s_xor_b64 exec, exec, s[6:7]
	s_cbranch_execnz .LBB14_4076
.LBB14_2026:
	s_or_b64 exec, exec, s[6:7]
	s_and_saveexec_b64 s[6:7], s[4:5]
	s_cbranch_execz .LBB14_2028
.LBB14_2027:
	v_bfe_u32 v0, v7, 8, 3
	v_ffbh_u32_e32 v4, v0
	v_min_u32_e32 v4, 32, v4
	v_lshrrev_b16_e32 v2, 3, v1
	v_subrev_u32_e32 v5, 28, v4
	v_and_b32_e32 v2, 15, v2
	v_lshlrev_b32_e32 v1, v5, v1
	v_sub_u32_e32 v4, 29, v4
	v_and_b32_e32 v1, 7, v1
	v_cmp_eq_u16_e32 vcc, 0, v2
	v_cndmask_b32_e32 v0, v0, v1, vcc
	v_cndmask_b32_e32 v1, v2, v4, vcc
	v_lshlrev_b32_e32 v2, 16, v7
	v_mov_b32_e32 v4, 0x3b800000
	v_lshlrev_b32_e32 v0, 20, v0
	v_and_b32_e32 v2, 0x80000000, v2
	v_lshl_add_u32 v1, v1, 23, v4
	v_or3_b32 v0, v2, v1, v0
.LBB14_2028:
	s_or_b64 exec, exec, s[6:7]
	v_lshrrev_b32_e32 v1, 8, v3
	s_movk_i32 s4, 0x7f
	v_cmp_gt_i16_sdwa s[6:7], v1, s4 src0_sel:BYTE_0 src1_sel:DWORD
	s_mov_b64 s[4:5], 0
                                        ; implicit-def: $sgpr10
	s_and_saveexec_b64 s[8:9], s[6:7]
	s_xor_b64 s[6:7], exec, s[8:9]
	s_cbranch_execnz .LBB14_4077
; %bb.2029:
	s_or_saveexec_b64 s[6:7], s[6:7]
	v_mov_b32_e32 v2, s10
	s_xor_b64 exec, exec, s[6:7]
	s_cbranch_execnz .LBB14_4080
.LBB14_2030:
	s_or_b64 exec, exec, s[6:7]
	s_and_saveexec_b64 s[6:7], s[4:5]
	s_cbranch_execz .LBB14_2032
.LBB14_2031:
	v_bfe_u32 v2, v3, 8, 3
	v_ffbh_u32_e32 v5, v2
	v_min_u32_e32 v5, 32, v5
	v_lshrrev_b16_e32 v4, 3, v1
	v_subrev_u32_e32 v6, 28, v5
	v_and_b32_e32 v4, 15, v4
	v_lshlrev_b32_e32 v1, v6, v1
	v_sub_u32_e32 v5, 29, v5
	v_and_b32_e32 v1, 7, v1
	v_cmp_eq_u16_e32 vcc, 0, v4
	v_cndmask_b32_e32 v1, v2, v1, vcc
	v_cndmask_b32_e32 v2, v4, v5, vcc
	v_lshlrev_b32_e32 v4, 16, v3
	v_mov_b32_e32 v5, 0x3b800000
	v_lshlrev_b32_e32 v1, 20, v1
	v_and_b32_e32 v4, 0x80000000, v4
	v_lshl_add_u32 v2, v2, 23, v5
	v_or3_b32 v2, v4, v2, v1
.LBB14_2032:
	s_or_b64 exec, exec, s[6:7]
	s_nop 0
	v_mfma_f32_16x16x4f32 a[0:3], v0, v2, a[0:3]
	s_movk_i32 s4, 0xff
	v_and_b32_sdwa v1, v7, s4 dst_sel:DWORD dst_unused:UNUSED_PAD src0_sel:WORD_1 src1_sel:DWORD
	s_movk_i32 s4, 0x7f
	v_cmp_lt_i16_e32 vcc, s4, v1
	s_mov_b64 s[4:5], 0
                                        ; implicit-def: $sgpr10
	s_and_saveexec_b64 s[6:7], vcc
	s_xor_b64 s[6:7], exec, s[6:7]
	s_cbranch_execnz .LBB14_4081
; %bb.2033:
	s_or_saveexec_b64 s[6:7], s[6:7]
	v_mov_b32_e32 v0, s10
	s_xor_b64 exec, exec, s[6:7]
	s_cbranch_execnz .LBB14_4084
.LBB14_2034:
	s_or_b64 exec, exec, s[6:7]
	s_and_saveexec_b64 s[6:7], s[4:5]
	s_cbranch_execz .LBB14_2036
.LBB14_2035:
	v_bfe_u32 v0, v7, 16, 3
	v_ffbh_u32_e32 v4, v0
	v_min_u32_e32 v4, 32, v4
	v_lshrrev_b32_e32 v1, 19, v7
	v_subrev_u32_e32 v5, 28, v4
	v_and_b32_e32 v1, 15, v1
	v_lshlrev_b32_sdwa v5, v5, v7 dst_sel:DWORD dst_unused:UNUSED_PAD src0_sel:DWORD src1_sel:WORD_1
	v_bfe_u32 v2, v7, 19, 4
	v_sub_u32_e32 v4, 29, v4
	v_and_b32_e32 v5, 7, v5
	v_cmp_eq_u16_e32 vcc, 0, v1
	v_cndmask_b32_e32 v0, v0, v5, vcc
	v_cndmask_b32_e32 v1, v2, v4, vcc
	v_lshlrev_b32_e32 v2, 8, v7
	v_mov_b32_e32 v4, 0x3b800000
	v_lshlrev_b32_e32 v0, 20, v0
	v_and_b32_e32 v2, 0x80000000, v2
	v_lshl_add_u32 v1, v1, 23, v4
	v_or3_b32 v0, v2, v1, v0
.LBB14_2036:
	s_or_b64 exec, exec, s[6:7]
	s_movk_i32 s4, 0xff
	v_and_b32_sdwa v1, v3, s4 dst_sel:DWORD dst_unused:UNUSED_PAD src0_sel:WORD_1 src1_sel:DWORD
	s_movk_i32 s4, 0x7f
	v_cmp_lt_i16_e32 vcc, s4, v1
	s_mov_b64 s[4:5], 0
                                        ; implicit-def: $sgpr10
	s_and_saveexec_b64 s[6:7], vcc
	s_xor_b64 s[6:7], exec, s[6:7]
	s_cbranch_execnz .LBB14_4085
; %bb.2037:
	s_or_saveexec_b64 s[6:7], s[6:7]
	v_mov_b32_e32 v2, s10
	s_xor_b64 exec, exec, s[6:7]
	s_cbranch_execnz .LBB14_4088
.LBB14_2038:
	s_or_b64 exec, exec, s[6:7]
	s_and_saveexec_b64 s[6:7], s[4:5]
	s_cbranch_execz .LBB14_2040
.LBB14_2039:
	v_bfe_u32 v1, v3, 16, 3
	v_ffbh_u32_e32 v5, v1
	v_min_u32_e32 v5, 32, v5
	v_lshrrev_b32_e32 v2, 19, v3
	v_subrev_u32_e32 v6, 28, v5
	v_and_b32_e32 v2, 15, v2
	v_lshlrev_b32_sdwa v6, v6, v3 dst_sel:DWORD dst_unused:UNUSED_PAD src0_sel:DWORD src1_sel:WORD_1
	v_bfe_u32 v4, v3, 19, 4
	v_sub_u32_e32 v5, 29, v5
	v_and_b32_e32 v6, 7, v6
	v_cmp_eq_u16_e32 vcc, 0, v2
	v_cndmask_b32_e32 v1, v1, v6, vcc
	v_cndmask_b32_e32 v2, v4, v5, vcc
	v_lshlrev_b32_e32 v4, 8, v3
	v_mov_b32_e32 v5, 0x3b800000
	v_lshlrev_b32_e32 v1, 20, v1
	v_and_b32_e32 v4, 0x80000000, v4
	v_lshl_add_u32 v2, v2, 23, v5
	v_or3_b32 v2, v4, v2, v1
.LBB14_2040:
	s_or_b64 exec, exec, s[6:7]
	s_nop 0
	v_mfma_f32_16x16x4f32 a[0:3], v0, v2, a[0:3]
	s_movk_i32 s4, 0x7f
	v_cmp_gt_i16_sdwa s[6:7], v7, s4 src0_sel:BYTE_3 src1_sel:DWORD
	s_mov_b64 s[4:5], 0
                                        ; implicit-def: $sgpr10
	s_and_saveexec_b64 s[8:9], s[6:7]
	s_xor_b64 s[6:7], exec, s[8:9]
	s_cbranch_execnz .LBB14_4089
; %bb.2041:
	s_or_saveexec_b64 s[6:7], s[6:7]
	v_mov_b32_e32 v0, s10
	s_xor_b64 exec, exec, s[6:7]
	s_cbranch_execnz .LBB14_4092
.LBB14_2042:
	s_or_b64 exec, exec, s[6:7]
	s_and_saveexec_b64 s[6:7], s[4:5]
	s_cbranch_execz .LBB14_2044
.LBB14_2043:
	v_bfe_u32 v0, v7, 24, 3
	v_ffbh_u32_e32 v5, v0
	v_min_u32_e32 v5, 32, v5
	v_lshrrev_b32_e32 v2, 27, v7
	v_subrev_u32_e32 v6, 28, v5
	v_and_b32_e32 v2, 15, v2
	v_lshlrev_b32_sdwa v6, v6, v7 dst_sel:DWORD dst_unused:UNUSED_PAD src0_sel:DWORD src1_sel:BYTE_3
	v_bfe_u32 v4, v7, 27, 4
	v_sub_u32_e32 v5, 29, v5
	v_and_b32_e32 v6, 7, v6
	v_cmp_eq_u16_e32 vcc, 0, v2
	v_cndmask_b32_e32 v0, v0, v6, vcc
	v_cndmask_b32_e32 v2, v4, v5, vcc
	v_mov_b32_e32 v4, 0x3b800000
	v_and_b32_e32 v1, 0x80000000, v7
	v_lshlrev_b32_e32 v0, 20, v0
	v_lshl_add_u32 v2, v2, 23, v4
	v_or3_b32 v0, v1, v2, v0
.LBB14_2044:
	s_or_b64 exec, exec, s[6:7]
	s_movk_i32 s4, 0x7f
	v_cmp_gt_i16_sdwa s[6:7], v3, s4 src0_sel:BYTE_3 src1_sel:DWORD
	s_mov_b64 s[4:5], 0
                                        ; implicit-def: $sgpr10
	s_and_saveexec_b64 s[8:9], s[6:7]
	s_xor_b64 s[6:7], exec, s[8:9]
	s_cbranch_execnz .LBB14_4093
; %bb.2045:
	s_or_saveexec_b64 s[6:7], s[6:7]
	v_mov_b32_e32 v1, s10
	s_xor_b64 exec, exec, s[6:7]
	s_cbranch_execnz .LBB14_4096
.LBB14_2046:
	s_or_b64 exec, exec, s[6:7]
	s_and_saveexec_b64 s[6:7], s[4:5]
	s_cbranch_execz .LBB14_2048
.LBB14_2047:
	v_bfe_u32 v1, v3, 24, 3
	v_ffbh_u32_e32 v6, v1
	v_min_u32_e32 v6, 32, v6
	v_lshrrev_b32_e32 v4, 27, v3
	v_subrev_u32_e32 v7, 28, v6
	v_and_b32_e32 v2, 0x80000000, v3
	v_and_b32_e32 v4, 15, v4
	v_bfe_u32 v5, v3, 27, 4
	v_lshlrev_b32_sdwa v3, v7, v3 dst_sel:DWORD dst_unused:UNUSED_PAD src0_sel:DWORD src1_sel:BYTE_3
	v_sub_u32_e32 v6, 29, v6
	v_and_b32_e32 v3, 7, v3
	v_cmp_eq_u16_e32 vcc, 0, v4
	v_cndmask_b32_e32 v1, v1, v3, vcc
	v_cndmask_b32_e32 v3, v5, v6, vcc
	v_mov_b32_e32 v4, 0x3b800000
	v_lshlrev_b32_e32 v1, 20, v1
	v_lshl_add_u32 v3, v3, 23, v4
	v_or3_b32 v1, v2, v3, v1
.LBB14_2048:
	s_or_b64 exec, exec, s[6:7]
	s_nop 0
	v_mfma_f32_16x16x4f32 a[0:3], v0, v1, a[0:3]
	s_nop 7
	s_nop 2
	flat_store_dwordx4 v[8:9], a[0:3] offset:240
	s_waitcnt vmcnt(0) lgkmcnt(0)
	s_setpc_b64 s[30:31]
.LBB14_2049:
	s_movk_i32 s4, 0x80
	v_cmp_eq_u16_sdwa s[12:13], v6, s4 src0_sel:BYTE_0 src1_sel:DWORD
	s_mov_b64 s[4:5], -1
                                        ; implicit-def: $sgpr10
	s_and_saveexec_b64 s[8:9], s[12:13]
; %bb.2050:
	s_mov_b32 s10, 0x7f800001
	s_xor_b64 s[4:5], exec, -1
; %bb.2051:
	s_or_b64 exec, exec, s[8:9]
	s_and_b64 s[4:5], s[4:5], exec
	s_or_saveexec_b64 s[6:7], s[6:7]
	v_mov_b32_e32 v12, s10
	s_xor_b64 exec, exec, s[6:7]
	s_cbranch_execz .LBB14_2
.LBB14_2052:
	v_mov_b32_e32 v12, 0
	v_cmp_ne_u16_sdwa s[8:9], v6, v12 src0_sel:BYTE_0 src1_sel:DWORD
	s_andn2_b64 s[4:5], s[4:5], exec
	s_and_b64 s[8:9], s[8:9], exec
	s_or_b64 s[4:5], s[4:5], s[8:9]
	s_or_b64 exec, exec, s[6:7]
	s_and_saveexec_b64 s[6:7], s[4:5]
	s_cbranch_execnz .LBB14_3
	s_branch .LBB14_4
.LBB14_2053:
	s_movk_i32 s4, 0x80
	v_cmp_eq_u16_sdwa s[12:13], v2, s4 src0_sel:BYTE_0 src1_sel:DWORD
	s_mov_b64 s[4:5], -1
                                        ; implicit-def: $sgpr10
	s_and_saveexec_b64 s[8:9], s[12:13]
; %bb.2054:
	s_mov_b32 s10, 0x7f800001
	s_xor_b64 s[4:5], exec, -1
; %bb.2055:
	s_or_b64 exec, exec, s[8:9]
	s_and_b64 s[4:5], s[4:5], exec
	s_or_saveexec_b64 s[6:7], s[6:7]
	v_mov_b32_e32 v13, s10
	s_xor_b64 exec, exec, s[6:7]
	s_cbranch_execz .LBB14_6
.LBB14_2056:
	v_mov_b32_e32 v13, 0
	v_cmp_ne_u16_sdwa s[8:9], v2, v13 src0_sel:BYTE_0 src1_sel:DWORD
	s_andn2_b64 s[4:5], s[4:5], exec
	s_and_b64 s[8:9], s[8:9], exec
	s_or_b64 s[4:5], s[4:5], s[8:9]
	s_or_b64 exec, exec, s[6:7]
	s_and_saveexec_b64 s[6:7], s[4:5]
	s_cbranch_execnz .LBB14_7
	s_branch .LBB14_8
.LBB14_2057:
	s_movk_i32 s4, 0x80
	v_cmp_eq_u16_sdwa s[12:13], v13, s4 src0_sel:BYTE_0 src1_sel:DWORD
	s_mov_b64 s[4:5], -1
                                        ; implicit-def: $sgpr10
	s_and_saveexec_b64 s[8:9], s[12:13]
; %bb.2058:
	s_mov_b32 s10, 0x7f800001
	s_xor_b64 s[4:5], exec, -1
; %bb.2059:
	s_or_b64 exec, exec, s[8:9]
	s_and_b64 s[4:5], s[4:5], exec
	s_or_saveexec_b64 s[6:7], s[6:7]
	v_mov_b32_e32 v12, s10
	s_xor_b64 exec, exec, s[6:7]
	s_cbranch_execz .LBB14_10
.LBB14_2060:
	v_mov_b32_e32 v12, 0
	v_cmp_ne_u16_sdwa s[8:9], v13, v12 src0_sel:BYTE_0 src1_sel:DWORD
	s_andn2_b64 s[4:5], s[4:5], exec
	s_and_b64 s[8:9], s[8:9], exec
	s_or_b64 s[4:5], s[4:5], s[8:9]
	s_or_b64 exec, exec, s[6:7]
	s_and_saveexec_b64 s[6:7], s[4:5]
	s_cbranch_execnz .LBB14_11
	s_branch .LBB14_12
.LBB14_2061:
	s_movk_i32 s4, 0x80
	v_cmp_eq_u16_sdwa s[12:13], v13, s4 src0_sel:BYTE_0 src1_sel:DWORD
	s_mov_b64 s[4:5], -1
                                        ; implicit-def: $sgpr10
	s_and_saveexec_b64 s[8:9], s[12:13]
; %bb.2062:
	s_mov_b32 s10, 0x7f800001
	s_xor_b64 s[4:5], exec, -1
; %bb.2063:
	s_or_b64 exec, exec, s[8:9]
	s_and_b64 s[4:5], s[4:5], exec
	s_or_saveexec_b64 s[6:7], s[6:7]
	v_mov_b32_e32 v14, s10
	s_xor_b64 exec, exec, s[6:7]
	s_cbranch_execz .LBB14_14
.LBB14_2064:
	v_mov_b32_e32 v14, 0
	v_cmp_ne_u16_sdwa s[8:9], v13, v14 src0_sel:BYTE_0 src1_sel:DWORD
	s_andn2_b64 s[4:5], s[4:5], exec
	s_and_b64 s[8:9], s[8:9], exec
	s_or_b64 s[4:5], s[4:5], s[8:9]
	s_or_b64 exec, exec, s[6:7]
	s_and_saveexec_b64 s[6:7], s[4:5]
	s_cbranch_execnz .LBB14_15
	s_branch .LBB14_16
.LBB14_2065:
	s_movk_i32 s4, 0x80
	v_cmp_eq_u16_e32 vcc, s4, v13
	s_mov_b64 s[4:5], -1
                                        ; implicit-def: $sgpr10
	s_and_saveexec_b64 s[8:9], vcc
; %bb.2066:
	s_mov_b32 s10, 0x7f800001
	s_xor_b64 s[4:5], exec, -1
; %bb.2067:
	s_or_b64 exec, exec, s[8:9]
	s_and_b64 s[4:5], s[4:5], exec
                                        ; implicit-def: $vgpr13
	s_or_saveexec_b64 s[6:7], s[6:7]
	v_mov_b32_e32 v12, s10
	s_xor_b64 exec, exec, s[6:7]
	s_cbranch_execz .LBB14_18
.LBB14_2068:
	v_cmp_ne_u16_e32 vcc, 0, v13
	s_andn2_b64 s[4:5], s[4:5], exec
	s_and_b64 s[8:9], vcc, exec
	v_mov_b32_e32 v12, 0
	s_or_b64 s[4:5], s[4:5], s[8:9]
	s_or_b64 exec, exec, s[6:7]
	s_and_saveexec_b64 s[6:7], s[4:5]
	s_cbranch_execnz .LBB14_19
	s_branch .LBB14_20
.LBB14_2069:
	s_movk_i32 s4, 0x80
	v_cmp_eq_u16_e32 vcc, s4, v13
	s_mov_b64 s[4:5], -1
                                        ; implicit-def: $sgpr10
	s_and_saveexec_b64 s[8:9], vcc
; %bb.2070:
	s_mov_b32 s10, 0x7f800001
	s_xor_b64 s[4:5], exec, -1
; %bb.2071:
	s_or_b64 exec, exec, s[8:9]
	s_and_b64 s[4:5], s[4:5], exec
                                        ; implicit-def: $vgpr13
	s_or_saveexec_b64 s[6:7], s[6:7]
	v_mov_b32_e32 v14, s10
	s_xor_b64 exec, exec, s[6:7]
	s_cbranch_execz .LBB14_22
.LBB14_2072:
	v_cmp_ne_u16_e32 vcc, 0, v13
	s_andn2_b64 s[4:5], s[4:5], exec
	s_and_b64 s[8:9], vcc, exec
	v_mov_b32_e32 v14, 0
	s_or_b64 s[4:5], s[4:5], s[8:9]
	s_or_b64 exec, exec, s[6:7]
	s_and_saveexec_b64 s[6:7], s[4:5]
	s_cbranch_execnz .LBB14_23
	s_branch .LBB14_24
.LBB14_2073:
	s_movk_i32 s4, 0x80
	v_cmp_eq_u16_sdwa s[12:13], v6, s4 src0_sel:BYTE_3 src1_sel:DWORD
	s_mov_b64 s[4:5], -1
                                        ; implicit-def: $sgpr10
	s_and_saveexec_b64 s[8:9], s[12:13]
; %bb.2074:
	s_mov_b32 s10, 0x7f800001
	s_xor_b64 s[4:5], exec, -1
; %bb.2075:
	s_or_b64 exec, exec, s[8:9]
	s_and_b64 s[4:5], s[4:5], exec
	s_or_saveexec_b64 s[6:7], s[6:7]
	v_mov_b32_e32 v12, s10
	s_xor_b64 exec, exec, s[6:7]
	s_cbranch_execz .LBB14_26
.LBB14_2076:
	v_mov_b32_e32 v12, 0
	v_cmp_ne_u16_sdwa s[8:9], v6, v12 src0_sel:BYTE_3 src1_sel:DWORD
	s_andn2_b64 s[4:5], s[4:5], exec
	s_and_b64 s[8:9], s[8:9], exec
	s_or_b64 s[4:5], s[4:5], s[8:9]
	s_or_b64 exec, exec, s[6:7]
	s_and_saveexec_b64 s[6:7], s[4:5]
	s_cbranch_execnz .LBB14_27
	s_branch .LBB14_28
.LBB14_2077:
	s_movk_i32 s4, 0x80
	v_cmp_eq_u16_sdwa s[12:13], v2, s4 src0_sel:BYTE_3 src1_sel:DWORD
	s_mov_b64 s[4:5], -1
                                        ; implicit-def: $sgpr10
	s_and_saveexec_b64 s[8:9], s[12:13]
; %bb.2078:
	s_mov_b32 s10, 0x7f800001
	s_xor_b64 s[4:5], exec, -1
; %bb.2079:
	s_or_b64 exec, exec, s[8:9]
	s_and_b64 s[4:5], s[4:5], exec
	s_or_saveexec_b64 s[6:7], s[6:7]
	v_mov_b32_e32 v6, s10
	s_xor_b64 exec, exec, s[6:7]
	s_cbranch_execz .LBB14_30
.LBB14_2080:
	v_mov_b32_e32 v6, 0
	v_cmp_ne_u16_sdwa s[8:9], v2, v6 src0_sel:BYTE_3 src1_sel:DWORD
	s_andn2_b64 s[4:5], s[4:5], exec
	s_and_b64 s[8:9], s[8:9], exec
	s_or_b64 s[4:5], s[4:5], s[8:9]
	s_or_b64 exec, exec, s[6:7]
	s_and_saveexec_b64 s[6:7], s[4:5]
	s_cbranch_execnz .LBB14_31
	s_branch .LBB14_32
.LBB14_2081:
	s_movk_i32 s4, 0x80
	v_cmp_eq_u16_sdwa s[12:13], v7, s4 src0_sel:BYTE_0 src1_sel:DWORD
	s_mov_b64 s[4:5], -1
                                        ; implicit-def: $sgpr10
	s_and_saveexec_b64 s[8:9], s[12:13]
; %bb.2082:
	s_mov_b32 s10, 0x7f800001
	s_xor_b64 s[4:5], exec, -1
; %bb.2083:
	s_or_b64 exec, exec, s[8:9]
	s_and_b64 s[4:5], s[4:5], exec
	s_or_saveexec_b64 s[6:7], s[6:7]
	v_mov_b32_e32 v2, s10
	s_xor_b64 exec, exec, s[6:7]
	s_cbranch_execz .LBB14_34
.LBB14_2084:
	v_mov_b32_e32 v2, 0
	v_cmp_ne_u16_sdwa s[8:9], v7, v2 src0_sel:BYTE_0 src1_sel:DWORD
	s_andn2_b64 s[4:5], s[4:5], exec
	s_and_b64 s[8:9], s[8:9], exec
	s_or_b64 s[4:5], s[4:5], s[8:9]
	s_or_b64 exec, exec, s[6:7]
	s_and_saveexec_b64 s[6:7], s[4:5]
	s_cbranch_execnz .LBB14_35
	s_branch .LBB14_36
.LBB14_2085:
	s_movk_i32 s4, 0x80
	v_cmp_eq_u16_sdwa s[12:13], v3, s4 src0_sel:BYTE_0 src1_sel:DWORD
	s_mov_b64 s[4:5], -1
                                        ; implicit-def: $sgpr10
	s_and_saveexec_b64 s[8:9], s[12:13]
; %bb.2086:
	s_mov_b32 s10, 0x7f800001
	s_xor_b64 s[4:5], exec, -1
; %bb.2087:
	s_or_b64 exec, exec, s[8:9]
	s_and_b64 s[4:5], s[4:5], exec
	s_or_saveexec_b64 s[6:7], s[6:7]
	v_mov_b32_e32 v6, s10
	s_xor_b64 exec, exec, s[6:7]
	s_cbranch_execz .LBB14_38
.LBB14_2088:
	v_mov_b32_e32 v6, 0
	v_cmp_ne_u16_sdwa s[8:9], v3, v6 src0_sel:BYTE_0 src1_sel:DWORD
	s_andn2_b64 s[4:5], s[4:5], exec
	s_and_b64 s[8:9], s[8:9], exec
	s_or_b64 s[4:5], s[4:5], s[8:9]
	s_or_b64 exec, exec, s[6:7]
	s_and_saveexec_b64 s[6:7], s[4:5]
	s_cbranch_execnz .LBB14_39
	s_branch .LBB14_40
.LBB14_2089:
	s_movk_i32 s4, 0x80
	v_cmp_eq_u16_sdwa s[12:13], v6, s4 src0_sel:BYTE_0 src1_sel:DWORD
	s_mov_b64 s[4:5], -1
                                        ; implicit-def: $sgpr10
	s_and_saveexec_b64 s[8:9], s[12:13]
; %bb.2090:
	s_mov_b32 s10, 0x7f800001
	s_xor_b64 s[4:5], exec, -1
; %bb.2091:
	s_or_b64 exec, exec, s[8:9]
	s_and_b64 s[4:5], s[4:5], exec
	s_or_saveexec_b64 s[6:7], s[6:7]
	v_mov_b32_e32 v2, s10
	s_xor_b64 exec, exec, s[6:7]
	s_cbranch_execz .LBB14_42
.LBB14_2092:
	v_mov_b32_e32 v2, 0
	v_cmp_ne_u16_sdwa s[8:9], v6, v2 src0_sel:BYTE_0 src1_sel:DWORD
	s_andn2_b64 s[4:5], s[4:5], exec
	s_and_b64 s[8:9], s[8:9], exec
	s_or_b64 s[4:5], s[4:5], s[8:9]
	s_or_b64 exec, exec, s[6:7]
	s_and_saveexec_b64 s[6:7], s[4:5]
	s_cbranch_execnz .LBB14_43
	s_branch .LBB14_44
.LBB14_2093:
	s_movk_i32 s4, 0x80
	v_cmp_eq_u16_sdwa s[12:13], v6, s4 src0_sel:BYTE_0 src1_sel:DWORD
	s_mov_b64 s[4:5], -1
                                        ; implicit-def: $sgpr10
	s_and_saveexec_b64 s[8:9], s[12:13]
; %bb.2094:
	s_mov_b32 s10, 0x7f800001
	s_xor_b64 s[4:5], exec, -1
; %bb.2095:
	s_or_b64 exec, exec, s[8:9]
	s_and_b64 s[4:5], s[4:5], exec
	s_or_saveexec_b64 s[6:7], s[6:7]
	v_mov_b32_e32 v12, s10
	s_xor_b64 exec, exec, s[6:7]
	s_cbranch_execz .LBB14_46
.LBB14_2096:
	v_mov_b32_e32 v12, 0
	v_cmp_ne_u16_sdwa s[8:9], v6, v12 src0_sel:BYTE_0 src1_sel:DWORD
	s_andn2_b64 s[4:5], s[4:5], exec
	s_and_b64 s[8:9], s[8:9], exec
	s_or_b64 s[4:5], s[4:5], s[8:9]
	s_or_b64 exec, exec, s[6:7]
	s_and_saveexec_b64 s[6:7], s[4:5]
	s_cbranch_execnz .LBB14_47
	s_branch .LBB14_48
.LBB14_2097:
	s_movk_i32 s4, 0x80
	v_cmp_eq_u16_e32 vcc, s4, v6
	s_mov_b64 s[4:5], -1
                                        ; implicit-def: $sgpr10
	s_and_saveexec_b64 s[8:9], vcc
; %bb.2098:
	s_mov_b32 s10, 0x7f800001
	s_xor_b64 s[4:5], exec, -1
; %bb.2099:
	s_or_b64 exec, exec, s[8:9]
	s_and_b64 s[4:5], s[4:5], exec
                                        ; implicit-def: $vgpr6
	s_or_saveexec_b64 s[6:7], s[6:7]
	v_mov_b32_e32 v2, s10
	s_xor_b64 exec, exec, s[6:7]
	s_cbranch_execz .LBB14_50
.LBB14_2100:
	v_cmp_ne_u16_e32 vcc, 0, v6
	s_andn2_b64 s[4:5], s[4:5], exec
	s_and_b64 s[8:9], vcc, exec
	v_mov_b32_e32 v2, 0
	s_or_b64 s[4:5], s[4:5], s[8:9]
	s_or_b64 exec, exec, s[6:7]
	s_and_saveexec_b64 s[6:7], s[4:5]
	s_cbranch_execnz .LBB14_51
	s_branch .LBB14_52
.LBB14_2101:
	s_movk_i32 s4, 0x80
	v_cmp_eq_u16_e32 vcc, s4, v6
	s_mov_b64 s[4:5], -1
                                        ; implicit-def: $sgpr10
	s_and_saveexec_b64 s[8:9], vcc
; %bb.2102:
	s_mov_b32 s10, 0x7f800001
	s_xor_b64 s[4:5], exec, -1
; %bb.2103:
	s_or_b64 exec, exec, s[8:9]
	s_and_b64 s[4:5], s[4:5], exec
                                        ; implicit-def: $vgpr6
	s_or_saveexec_b64 s[6:7], s[6:7]
	v_mov_b32_e32 v12, s10
	s_xor_b64 exec, exec, s[6:7]
	s_cbranch_execz .LBB14_54
.LBB14_2104:
	v_cmp_ne_u16_e32 vcc, 0, v6
	s_andn2_b64 s[4:5], s[4:5], exec
	s_and_b64 s[8:9], vcc, exec
	v_mov_b32_e32 v12, 0
	s_or_b64 s[4:5], s[4:5], s[8:9]
	s_or_b64 exec, exec, s[6:7]
	s_and_saveexec_b64 s[6:7], s[4:5]
	s_cbranch_execnz .LBB14_55
	s_branch .LBB14_56
.LBB14_2105:
	s_movk_i32 s4, 0x80
	v_cmp_eq_u16_sdwa s[12:13], v7, s4 src0_sel:BYTE_3 src1_sel:DWORD
	s_mov_b64 s[4:5], -1
                                        ; implicit-def: $sgpr10
	s_and_saveexec_b64 s[8:9], s[12:13]
; %bb.2106:
	s_mov_b32 s10, 0x7f800001
	s_xor_b64 s[4:5], exec, -1
; %bb.2107:
	s_or_b64 exec, exec, s[8:9]
	s_and_b64 s[4:5], s[4:5], exec
	s_or_saveexec_b64 s[6:7], s[6:7]
	v_mov_b32_e32 v2, s10
	s_xor_b64 exec, exec, s[6:7]
	s_cbranch_execz .LBB14_58
.LBB14_2108:
	v_mov_b32_e32 v2, 0
	v_cmp_ne_u16_sdwa s[8:9], v7, v2 src0_sel:BYTE_3 src1_sel:DWORD
	s_andn2_b64 s[4:5], s[4:5], exec
	s_and_b64 s[8:9], s[8:9], exec
	s_or_b64 s[4:5], s[4:5], s[8:9]
	s_or_b64 exec, exec, s[6:7]
	s_and_saveexec_b64 s[6:7], s[4:5]
	s_cbranch_execnz .LBB14_59
	s_branch .LBB14_60
.LBB14_2109:
	s_movk_i32 s4, 0x80
	v_cmp_eq_u16_sdwa s[12:13], v3, s4 src0_sel:BYTE_3 src1_sel:DWORD
	s_mov_b64 s[4:5], -1
                                        ; implicit-def: $sgpr10
	s_and_saveexec_b64 s[8:9], s[12:13]
; %bb.2110:
	s_mov_b32 s10, 0x7f800001
	s_xor_b64 s[4:5], exec, -1
; %bb.2111:
	s_or_b64 exec, exec, s[8:9]
	s_and_b64 s[4:5], s[4:5], exec
	s_or_saveexec_b64 s[6:7], s[6:7]
	v_mov_b32_e32 v6, s10
	s_xor_b64 exec, exec, s[6:7]
	s_cbranch_execz .LBB14_62
.LBB14_2112:
	v_mov_b32_e32 v6, 0
	v_cmp_ne_u16_sdwa s[8:9], v3, v6 src0_sel:BYTE_3 src1_sel:DWORD
	s_andn2_b64 s[4:5], s[4:5], exec
	s_and_b64 s[8:9], s[8:9], exec
	s_or_b64 s[4:5], s[4:5], s[8:9]
	s_or_b64 exec, exec, s[6:7]
	s_and_saveexec_b64 s[6:7], s[4:5]
	s_cbranch_execnz .LBB14_63
	s_branch .LBB14_64
.LBB14_2113:
	s_movk_i32 s4, 0x80
	v_cmp_eq_u16_sdwa s[12:13], v8, s4 src0_sel:BYTE_0 src1_sel:DWORD
	s_mov_b64 s[4:5], -1
                                        ; implicit-def: $sgpr10
	s_and_saveexec_b64 s[8:9], s[12:13]
; %bb.2114:
	s_mov_b32 s10, 0x7f800001
	s_xor_b64 s[4:5], exec, -1
; %bb.2115:
	s_or_b64 exec, exec, s[8:9]
	s_and_b64 s[4:5], s[4:5], exec
	s_or_saveexec_b64 s[6:7], s[6:7]
	v_mov_b32_e32 v2, s10
	s_xor_b64 exec, exec, s[6:7]
	s_cbranch_execz .LBB14_66
.LBB14_2116:
	v_mov_b32_e32 v2, 0
	v_cmp_ne_u16_sdwa s[8:9], v8, v2 src0_sel:BYTE_0 src1_sel:DWORD
	s_andn2_b64 s[4:5], s[4:5], exec
	s_and_b64 s[8:9], s[8:9], exec
	s_or_b64 s[4:5], s[4:5], s[8:9]
	s_or_b64 exec, exec, s[6:7]
	s_and_saveexec_b64 s[6:7], s[4:5]
	s_cbranch_execnz .LBB14_67
	s_branch .LBB14_68
.LBB14_2117:
	s_movk_i32 s4, 0x80
	v_cmp_eq_u16_sdwa s[12:13], v4, s4 src0_sel:BYTE_0 src1_sel:DWORD
	s_mov_b64 s[4:5], -1
                                        ; implicit-def: $sgpr10
	s_and_saveexec_b64 s[8:9], s[12:13]
; %bb.2118:
	s_mov_b32 s10, 0x7f800001
	s_xor_b64 s[4:5], exec, -1
; %bb.2119:
	s_or_b64 exec, exec, s[8:9]
	s_and_b64 s[4:5], s[4:5], exec
	s_or_saveexec_b64 s[6:7], s[6:7]
	v_mov_b32_e32 v3, s10
	s_xor_b64 exec, exec, s[6:7]
	s_cbranch_execz .LBB14_70
.LBB14_2120:
	v_mov_b32_e32 v3, 0
	v_cmp_ne_u16_sdwa s[8:9], v4, v3 src0_sel:BYTE_0 src1_sel:DWORD
	s_andn2_b64 s[4:5], s[4:5], exec
	s_and_b64 s[8:9], s[8:9], exec
	s_or_b64 s[4:5], s[4:5], s[8:9]
	s_or_b64 exec, exec, s[6:7]
	s_and_saveexec_b64 s[6:7], s[4:5]
	s_cbranch_execnz .LBB14_71
	s_branch .LBB14_72
.LBB14_2121:
	s_movk_i32 s4, 0x80
	v_cmp_eq_u16_sdwa s[12:13], v3, s4 src0_sel:BYTE_0 src1_sel:DWORD
	s_mov_b64 s[4:5], -1
                                        ; implicit-def: $sgpr10
	s_and_saveexec_b64 s[8:9], s[12:13]
; %bb.2122:
	s_mov_b32 s10, 0x7f800001
	s_xor_b64 s[4:5], exec, -1
; %bb.2123:
	s_or_b64 exec, exec, s[8:9]
	s_and_b64 s[4:5], s[4:5], exec
	s_or_saveexec_b64 s[6:7], s[6:7]
	v_mov_b32_e32 v2, s10
	s_xor_b64 exec, exec, s[6:7]
	s_cbranch_execz .LBB14_74
.LBB14_2124:
	v_mov_b32_e32 v2, 0
	v_cmp_ne_u16_sdwa s[8:9], v3, v2 src0_sel:BYTE_0 src1_sel:DWORD
	s_andn2_b64 s[4:5], s[4:5], exec
	s_and_b64 s[8:9], s[8:9], exec
	s_or_b64 s[4:5], s[4:5], s[8:9]
	s_or_b64 exec, exec, s[6:7]
	s_and_saveexec_b64 s[6:7], s[4:5]
	s_cbranch_execnz .LBB14_75
	s_branch .LBB14_76
.LBB14_2125:
	s_movk_i32 s4, 0x80
	v_cmp_eq_u16_sdwa s[12:13], v3, s4 src0_sel:BYTE_0 src1_sel:DWORD
	s_mov_b64 s[4:5], -1
                                        ; implicit-def: $sgpr10
	s_and_saveexec_b64 s[8:9], s[12:13]
; %bb.2126:
	s_mov_b32 s10, 0x7f800001
	s_xor_b64 s[4:5], exec, -1
; %bb.2127:
	s_or_b64 exec, exec, s[8:9]
	s_and_b64 s[4:5], s[4:5], exec
	s_or_saveexec_b64 s[6:7], s[6:7]
	v_mov_b32_e32 v6, s10
	s_xor_b64 exec, exec, s[6:7]
	s_cbranch_execz .LBB14_78
.LBB14_2128:
	v_mov_b32_e32 v6, 0
	v_cmp_ne_u16_sdwa s[8:9], v3, v6 src0_sel:BYTE_0 src1_sel:DWORD
	s_andn2_b64 s[4:5], s[4:5], exec
	s_and_b64 s[8:9], s[8:9], exec
	s_or_b64 s[4:5], s[4:5], s[8:9]
	s_or_b64 exec, exec, s[6:7]
	s_and_saveexec_b64 s[6:7], s[4:5]
	s_cbranch_execnz .LBB14_79
	s_branch .LBB14_80
.LBB14_2129:
	s_movk_i32 s4, 0x80
	v_cmp_eq_u16_e32 vcc, s4, v3
	s_mov_b64 s[4:5], -1
                                        ; implicit-def: $sgpr10
	s_and_saveexec_b64 s[8:9], vcc
; %bb.2130:
	s_mov_b32 s10, 0x7f800001
	s_xor_b64 s[4:5], exec, -1
; %bb.2131:
	s_or_b64 exec, exec, s[8:9]
	s_and_b64 s[4:5], s[4:5], exec
                                        ; implicit-def: $vgpr3
	s_or_saveexec_b64 s[6:7], s[6:7]
	v_mov_b32_e32 v2, s10
	s_xor_b64 exec, exec, s[6:7]
	s_cbranch_execz .LBB14_82
.LBB14_2132:
	v_cmp_ne_u16_e32 vcc, 0, v3
	s_andn2_b64 s[4:5], s[4:5], exec
	s_and_b64 s[8:9], vcc, exec
	v_mov_b32_e32 v2, 0
	s_or_b64 s[4:5], s[4:5], s[8:9]
	s_or_b64 exec, exec, s[6:7]
	s_and_saveexec_b64 s[6:7], s[4:5]
	s_cbranch_execnz .LBB14_83
	s_branch .LBB14_84
.LBB14_2133:
	s_movk_i32 s4, 0x80
	v_cmp_eq_u16_e32 vcc, s4, v3
	s_mov_b64 s[4:5], -1
                                        ; implicit-def: $sgpr10
	s_and_saveexec_b64 s[8:9], vcc
; %bb.2134:
	s_mov_b32 s10, 0x7f800001
	s_xor_b64 s[4:5], exec, -1
; %bb.2135:
	s_or_b64 exec, exec, s[8:9]
	s_and_b64 s[4:5], s[4:5], exec
                                        ; implicit-def: $vgpr3
	s_or_saveexec_b64 s[6:7], s[6:7]
	v_mov_b32_e32 v6, s10
	s_xor_b64 exec, exec, s[6:7]
	s_cbranch_execz .LBB14_86
.LBB14_2136:
	v_cmp_ne_u16_e32 vcc, 0, v3
	s_andn2_b64 s[4:5], s[4:5], exec
	s_and_b64 s[8:9], vcc, exec
	v_mov_b32_e32 v6, 0
	s_or_b64 s[4:5], s[4:5], s[8:9]
	s_or_b64 exec, exec, s[6:7]
	s_and_saveexec_b64 s[6:7], s[4:5]
	s_cbranch_execnz .LBB14_87
	s_branch .LBB14_88
.LBB14_2137:
	s_movk_i32 s4, 0x80
	v_cmp_eq_u16_sdwa s[12:13], v8, s4 src0_sel:BYTE_3 src1_sel:DWORD
	s_mov_b64 s[4:5], -1
                                        ; implicit-def: $sgpr10
	s_and_saveexec_b64 s[8:9], s[12:13]
; %bb.2138:
	s_mov_b32 s10, 0x7f800001
	s_xor_b64 s[4:5], exec, -1
; %bb.2139:
	s_or_b64 exec, exec, s[8:9]
	s_and_b64 s[4:5], s[4:5], exec
	s_or_saveexec_b64 s[6:7], s[6:7]
	v_mov_b32_e32 v2, s10
	s_xor_b64 exec, exec, s[6:7]
	s_cbranch_execz .LBB14_90
.LBB14_2140:
	v_mov_b32_e32 v2, 0
	v_cmp_ne_u16_sdwa s[8:9], v8, v2 src0_sel:BYTE_3 src1_sel:DWORD
	s_andn2_b64 s[4:5], s[4:5], exec
	s_and_b64 s[8:9], s[8:9], exec
	s_or_b64 s[4:5], s[4:5], s[8:9]
	s_or_b64 exec, exec, s[6:7]
	s_and_saveexec_b64 s[6:7], s[4:5]
	s_cbranch_execnz .LBB14_91
	s_branch .LBB14_92
.LBB14_2141:
	s_movk_i32 s4, 0x80
	v_cmp_eq_u16_sdwa s[12:13], v4, s4 src0_sel:BYTE_3 src1_sel:DWORD
	s_mov_b64 s[4:5], -1
                                        ; implicit-def: $sgpr10
	s_and_saveexec_b64 s[8:9], s[12:13]
; %bb.2142:
	s_mov_b32 s10, 0x7f800001
	s_xor_b64 s[4:5], exec, -1
; %bb.2143:
	s_or_b64 exec, exec, s[8:9]
	s_and_b64 s[4:5], s[4:5], exec
	s_or_saveexec_b64 s[6:7], s[6:7]
	v_mov_b32_e32 v3, s10
	s_xor_b64 exec, exec, s[6:7]
	s_cbranch_execz .LBB14_94
.LBB14_2144:
	v_mov_b32_e32 v3, 0
	v_cmp_ne_u16_sdwa s[8:9], v4, v3 src0_sel:BYTE_3 src1_sel:DWORD
	s_andn2_b64 s[4:5], s[4:5], exec
	s_and_b64 s[8:9], s[8:9], exec
	s_or_b64 s[4:5], s[4:5], s[8:9]
	s_or_b64 exec, exec, s[6:7]
	s_and_saveexec_b64 s[6:7], s[4:5]
	s_cbranch_execnz .LBB14_95
	s_branch .LBB14_96
.LBB14_2145:
	s_movk_i32 s4, 0x80
	v_cmp_eq_u16_sdwa s[12:13], v9, s4 src0_sel:BYTE_0 src1_sel:DWORD
	s_mov_b64 s[4:5], -1
                                        ; implicit-def: $sgpr10
	s_and_saveexec_b64 s[8:9], s[12:13]
; %bb.2146:
	s_mov_b32 s10, 0x7f800001
	s_xor_b64 s[4:5], exec, -1
; %bb.2147:
	s_or_b64 exec, exec, s[8:9]
	s_and_b64 s[4:5], s[4:5], exec
	s_or_saveexec_b64 s[6:7], s[6:7]
	v_mov_b32_e32 v2, s10
	s_xor_b64 exec, exec, s[6:7]
	s_cbranch_execz .LBB14_98
.LBB14_2148:
	v_mov_b32_e32 v2, 0
	v_cmp_ne_u16_sdwa s[8:9], v9, v2 src0_sel:BYTE_0 src1_sel:DWORD
	s_andn2_b64 s[4:5], s[4:5], exec
	s_and_b64 s[8:9], s[8:9], exec
	s_or_b64 s[4:5], s[4:5], s[8:9]
	s_or_b64 exec, exec, s[6:7]
	s_and_saveexec_b64 s[6:7], s[4:5]
	s_cbranch_execnz .LBB14_99
	s_branch .LBB14_100
.LBB14_2149:
	s_movk_i32 s4, 0x80
	v_cmp_eq_u16_sdwa s[12:13], v5, s4 src0_sel:BYTE_0 src1_sel:DWORD
	s_mov_b64 s[4:5], -1
                                        ; implicit-def: $sgpr10
	s_and_saveexec_b64 s[8:9], s[12:13]
; %bb.2150:
	s_mov_b32 s10, 0x7f800001
	s_xor_b64 s[4:5], exec, -1
; %bb.2151:
	s_or_b64 exec, exec, s[8:9]
	s_and_b64 s[4:5], s[4:5], exec
	s_or_saveexec_b64 s[6:7], s[6:7]
	v_mov_b32_e32 v3, s10
	s_xor_b64 exec, exec, s[6:7]
	s_cbranch_execz .LBB14_102
.LBB14_2152:
	v_mov_b32_e32 v3, 0
	v_cmp_ne_u16_sdwa s[8:9], v5, v3 src0_sel:BYTE_0 src1_sel:DWORD
	s_andn2_b64 s[4:5], s[4:5], exec
	s_and_b64 s[8:9], s[8:9], exec
	s_or_b64 s[4:5], s[4:5], s[8:9]
	s_or_b64 exec, exec, s[6:7]
	s_and_saveexec_b64 s[6:7], s[4:5]
	s_cbranch_execnz .LBB14_103
	s_branch .LBB14_104
.LBB14_2153:
	s_movk_i32 s4, 0x80
	v_cmp_eq_u16_sdwa s[12:13], v3, s4 src0_sel:BYTE_0 src1_sel:DWORD
	s_mov_b64 s[4:5], -1
                                        ; implicit-def: $sgpr10
	s_and_saveexec_b64 s[8:9], s[12:13]
; %bb.2154:
	s_mov_b32 s10, 0x7f800001
	s_xor_b64 s[4:5], exec, -1
; %bb.2155:
	s_or_b64 exec, exec, s[8:9]
	s_and_b64 s[4:5], s[4:5], exec
	s_or_saveexec_b64 s[6:7], s[6:7]
	v_mov_b32_e32 v2, s10
	s_xor_b64 exec, exec, s[6:7]
	s_cbranch_execz .LBB14_106
.LBB14_2156:
	v_mov_b32_e32 v2, 0
	v_cmp_ne_u16_sdwa s[8:9], v3, v2 src0_sel:BYTE_0 src1_sel:DWORD
	s_andn2_b64 s[4:5], s[4:5], exec
	s_and_b64 s[8:9], s[8:9], exec
	s_or_b64 s[4:5], s[4:5], s[8:9]
	s_or_b64 exec, exec, s[6:7]
	s_and_saveexec_b64 s[6:7], s[4:5]
	s_cbranch_execnz .LBB14_107
	s_branch .LBB14_108
.LBB14_2157:
	s_movk_i32 s4, 0x80
	v_cmp_eq_u16_sdwa s[12:13], v3, s4 src0_sel:BYTE_0 src1_sel:DWORD
	s_mov_b64 s[4:5], -1
                                        ; implicit-def: $sgpr10
	s_and_saveexec_b64 s[8:9], s[12:13]
; %bb.2158:
	s_mov_b32 s10, 0x7f800001
	s_xor_b64 s[4:5], exec, -1
; %bb.2159:
	s_or_b64 exec, exec, s[8:9]
	s_and_b64 s[4:5], s[4:5], exec
	s_or_saveexec_b64 s[6:7], s[6:7]
	v_mov_b32_e32 v4, s10
	s_xor_b64 exec, exec, s[6:7]
	s_cbranch_execz .LBB14_110
.LBB14_2160:
	v_mov_b32_e32 v4, 0
	v_cmp_ne_u16_sdwa s[8:9], v3, v4 src0_sel:BYTE_0 src1_sel:DWORD
	s_andn2_b64 s[4:5], s[4:5], exec
	s_and_b64 s[8:9], s[8:9], exec
	s_or_b64 s[4:5], s[4:5], s[8:9]
	s_or_b64 exec, exec, s[6:7]
	s_and_saveexec_b64 s[6:7], s[4:5]
	s_cbranch_execnz .LBB14_111
	s_branch .LBB14_112
.LBB14_2161:
	s_movk_i32 s4, 0x80
	v_cmp_eq_u16_e32 vcc, s4, v3
	s_mov_b64 s[4:5], -1
                                        ; implicit-def: $sgpr10
	s_and_saveexec_b64 s[8:9], vcc
; %bb.2162:
	s_mov_b32 s10, 0x7f800001
	s_xor_b64 s[4:5], exec, -1
; %bb.2163:
	s_or_b64 exec, exec, s[8:9]
	s_and_b64 s[4:5], s[4:5], exec
                                        ; implicit-def: $vgpr3
	s_or_saveexec_b64 s[6:7], s[6:7]
	v_mov_b32_e32 v2, s10
	s_xor_b64 exec, exec, s[6:7]
	s_cbranch_execz .LBB14_114
.LBB14_2164:
	v_cmp_ne_u16_e32 vcc, 0, v3
	s_andn2_b64 s[4:5], s[4:5], exec
	s_and_b64 s[8:9], vcc, exec
	v_mov_b32_e32 v2, 0
	s_or_b64 s[4:5], s[4:5], s[8:9]
	s_or_b64 exec, exec, s[6:7]
	s_and_saveexec_b64 s[6:7], s[4:5]
	s_cbranch_execnz .LBB14_115
	s_branch .LBB14_116
.LBB14_2165:
	s_movk_i32 s4, 0x80
	v_cmp_eq_u16_e32 vcc, s4, v3
	s_mov_b64 s[4:5], -1
                                        ; implicit-def: $sgpr10
	s_and_saveexec_b64 s[8:9], vcc
; %bb.2166:
	s_mov_b32 s10, 0x7f800001
	s_xor_b64 s[4:5], exec, -1
; %bb.2167:
	s_or_b64 exec, exec, s[8:9]
	s_and_b64 s[4:5], s[4:5], exec
                                        ; implicit-def: $vgpr3
	s_or_saveexec_b64 s[6:7], s[6:7]
	v_mov_b32_e32 v4, s10
	s_xor_b64 exec, exec, s[6:7]
	s_cbranch_execz .LBB14_118
.LBB14_2168:
	v_cmp_ne_u16_e32 vcc, 0, v3
	s_andn2_b64 s[4:5], s[4:5], exec
	s_and_b64 s[8:9], vcc, exec
	v_mov_b32_e32 v4, 0
	s_or_b64 s[4:5], s[4:5], s[8:9]
	s_or_b64 exec, exec, s[6:7]
	s_and_saveexec_b64 s[6:7], s[4:5]
	s_cbranch_execnz .LBB14_119
	s_branch .LBB14_120
.LBB14_2169:
	s_movk_i32 s4, 0x80
	v_cmp_eq_u16_sdwa s[12:13], v9, s4 src0_sel:BYTE_3 src1_sel:DWORD
	s_mov_b64 s[4:5], -1
                                        ; implicit-def: $sgpr10
	s_and_saveexec_b64 s[8:9], s[12:13]
; %bb.2170:
	s_mov_b32 s10, 0x7f800001
	s_xor_b64 s[4:5], exec, -1
; %bb.2171:
	s_or_b64 exec, exec, s[8:9]
	s_and_b64 s[4:5], s[4:5], exec
	s_or_saveexec_b64 s[6:7], s[6:7]
	v_mov_b32_e32 v2, s10
	s_xor_b64 exec, exec, s[6:7]
	s_cbranch_execz .LBB14_122
.LBB14_2172:
	v_mov_b32_e32 v2, 0
	v_cmp_ne_u16_sdwa s[8:9], v9, v2 src0_sel:BYTE_3 src1_sel:DWORD
	s_andn2_b64 s[4:5], s[4:5], exec
	s_and_b64 s[8:9], s[8:9], exec
	s_or_b64 s[4:5], s[4:5], s[8:9]
	s_or_b64 exec, exec, s[6:7]
	s_and_saveexec_b64 s[6:7], s[4:5]
	s_cbranch_execnz .LBB14_123
	s_branch .LBB14_124
.LBB14_2173:
	s_movk_i32 s4, 0x80
	v_cmp_eq_u16_sdwa s[12:13], v5, s4 src0_sel:BYTE_3 src1_sel:DWORD
	s_mov_b64 s[4:5], -1
                                        ; implicit-def: $sgpr10
	s_and_saveexec_b64 s[8:9], s[12:13]
; %bb.2174:
	s_mov_b32 s10, 0x7f800001
	s_xor_b64 s[4:5], exec, -1
; %bb.2175:
	s_or_b64 exec, exec, s[8:9]
	s_and_b64 s[4:5], s[4:5], exec
	s_or_saveexec_b64 s[6:7], s[6:7]
	v_mov_b32_e32 v3, s10
	s_xor_b64 exec, exec, s[6:7]
	s_cbranch_execz .LBB14_126
.LBB14_2176:
	v_mov_b32_e32 v3, 0
	v_cmp_ne_u16_sdwa s[8:9], v5, v3 src0_sel:BYTE_3 src1_sel:DWORD
	s_andn2_b64 s[4:5], s[4:5], exec
	s_and_b64 s[8:9], s[8:9], exec
	s_or_b64 s[4:5], s[4:5], s[8:9]
	s_or_b64 exec, exec, s[6:7]
	s_and_saveexec_b64 s[6:7], s[4:5]
	s_cbranch_execnz .LBB14_127
	s_branch .LBB14_128
.LBB14_2177:
	s_movk_i32 s4, 0x80
	v_cmp_eq_u16_sdwa s[12:13], v6, s4 src0_sel:BYTE_0 src1_sel:DWORD
	s_mov_b64 s[4:5], -1
                                        ; implicit-def: $sgpr10
	s_and_saveexec_b64 s[8:9], s[12:13]
; %bb.2178:
	s_mov_b32 s10, 0x7f800001
	s_xor_b64 s[4:5], exec, -1
; %bb.2179:
	s_or_b64 exec, exec, s[8:9]
	s_and_b64 s[4:5], s[4:5], exec
	s_or_saveexec_b64 s[6:7], s[6:7]
	v_mov_b32_e32 v12, s10
	s_xor_b64 exec, exec, s[6:7]
	s_cbranch_execz .LBB14_130
.LBB14_2180:
	v_mov_b32_e32 v12, 0
	v_cmp_ne_u16_sdwa s[8:9], v6, v12 src0_sel:BYTE_0 src1_sel:DWORD
	s_andn2_b64 s[4:5], s[4:5], exec
	s_and_b64 s[8:9], s[8:9], exec
	s_or_b64 s[4:5], s[4:5], s[8:9]
	s_or_b64 exec, exec, s[6:7]
	s_and_saveexec_b64 s[6:7], s[4:5]
	s_cbranch_execnz .LBB14_131
	s_branch .LBB14_132
.LBB14_2181:
	s_movk_i32 s4, 0x80
	v_cmp_eq_u16_sdwa s[12:13], v2, s4 src0_sel:BYTE_0 src1_sel:DWORD
	s_mov_b64 s[4:5], -1
                                        ; implicit-def: $sgpr10
	s_and_saveexec_b64 s[8:9], s[12:13]
; %bb.2182:
	s_mov_b32 s10, 0x7f800001
	s_xor_b64 s[4:5], exec, -1
; %bb.2183:
	s_or_b64 exec, exec, s[8:9]
	s_and_b64 s[4:5], s[4:5], exec
	s_or_saveexec_b64 s[6:7], s[6:7]
	v_mov_b32_e32 v13, s10
	s_xor_b64 exec, exec, s[6:7]
	s_cbranch_execz .LBB14_134
.LBB14_2184:
	v_mov_b32_e32 v13, 0
	v_cmp_ne_u16_sdwa s[8:9], v2, v13 src0_sel:BYTE_0 src1_sel:DWORD
	s_andn2_b64 s[4:5], s[4:5], exec
	s_and_b64 s[8:9], s[8:9], exec
	s_or_b64 s[4:5], s[4:5], s[8:9]
	s_or_b64 exec, exec, s[6:7]
	s_and_saveexec_b64 s[6:7], s[4:5]
	s_cbranch_execnz .LBB14_135
	s_branch .LBB14_136
.LBB14_2185:
	s_movk_i32 s4, 0x80
	v_cmp_eq_u16_sdwa s[12:13], v13, s4 src0_sel:BYTE_0 src1_sel:DWORD
	s_mov_b64 s[4:5], -1
                                        ; implicit-def: $sgpr10
	s_and_saveexec_b64 s[8:9], s[12:13]
; %bb.2186:
	s_mov_b32 s10, 0x7f800001
	s_xor_b64 s[4:5], exec, -1
; %bb.2187:
	s_or_b64 exec, exec, s[8:9]
	s_and_b64 s[4:5], s[4:5], exec
	s_or_saveexec_b64 s[6:7], s[6:7]
	v_mov_b32_e32 v12, s10
	s_xor_b64 exec, exec, s[6:7]
	s_cbranch_execz .LBB14_138
.LBB14_2188:
	v_mov_b32_e32 v12, 0
	v_cmp_ne_u16_sdwa s[8:9], v13, v12 src0_sel:BYTE_0 src1_sel:DWORD
	s_andn2_b64 s[4:5], s[4:5], exec
	s_and_b64 s[8:9], s[8:9], exec
	s_or_b64 s[4:5], s[4:5], s[8:9]
	s_or_b64 exec, exec, s[6:7]
	s_and_saveexec_b64 s[6:7], s[4:5]
	s_cbranch_execnz .LBB14_139
	s_branch .LBB14_140
.LBB14_2189:
	s_movk_i32 s4, 0x80
	v_cmp_eq_u16_sdwa s[12:13], v13, s4 src0_sel:BYTE_0 src1_sel:DWORD
	s_mov_b64 s[4:5], -1
                                        ; implicit-def: $sgpr10
	s_and_saveexec_b64 s[8:9], s[12:13]
; %bb.2190:
	s_mov_b32 s10, 0x7f800001
	s_xor_b64 s[4:5], exec, -1
; %bb.2191:
	s_or_b64 exec, exec, s[8:9]
	s_and_b64 s[4:5], s[4:5], exec
	s_or_saveexec_b64 s[6:7], s[6:7]
	v_mov_b32_e32 v14, s10
	s_xor_b64 exec, exec, s[6:7]
	s_cbranch_execz .LBB14_142
.LBB14_2192:
	v_mov_b32_e32 v14, 0
	v_cmp_ne_u16_sdwa s[8:9], v13, v14 src0_sel:BYTE_0 src1_sel:DWORD
	s_andn2_b64 s[4:5], s[4:5], exec
	s_and_b64 s[8:9], s[8:9], exec
	s_or_b64 s[4:5], s[4:5], s[8:9]
	s_or_b64 exec, exec, s[6:7]
	s_and_saveexec_b64 s[6:7], s[4:5]
	s_cbranch_execnz .LBB14_143
	s_branch .LBB14_144
.LBB14_2193:
	s_movk_i32 s4, 0x80
	v_cmp_eq_u16_e32 vcc, s4, v13
	s_mov_b64 s[4:5], -1
                                        ; implicit-def: $sgpr10
	s_and_saveexec_b64 s[8:9], vcc
; %bb.2194:
	s_mov_b32 s10, 0x7f800001
	s_xor_b64 s[4:5], exec, -1
; %bb.2195:
	s_or_b64 exec, exec, s[8:9]
	s_and_b64 s[4:5], s[4:5], exec
                                        ; implicit-def: $vgpr13
	s_or_saveexec_b64 s[6:7], s[6:7]
	v_mov_b32_e32 v12, s10
	s_xor_b64 exec, exec, s[6:7]
	s_cbranch_execz .LBB14_146
.LBB14_2196:
	v_cmp_ne_u16_e32 vcc, 0, v13
	s_andn2_b64 s[4:5], s[4:5], exec
	s_and_b64 s[8:9], vcc, exec
	v_mov_b32_e32 v12, 0
	s_or_b64 s[4:5], s[4:5], s[8:9]
	s_or_b64 exec, exec, s[6:7]
	s_and_saveexec_b64 s[6:7], s[4:5]
	s_cbranch_execnz .LBB14_147
	s_branch .LBB14_148
.LBB14_2197:
	s_movk_i32 s4, 0x80
	v_cmp_eq_u16_e32 vcc, s4, v13
	s_mov_b64 s[4:5], -1
                                        ; implicit-def: $sgpr10
	s_and_saveexec_b64 s[8:9], vcc
; %bb.2198:
	s_mov_b32 s10, 0x7f800001
	s_xor_b64 s[4:5], exec, -1
; %bb.2199:
	s_or_b64 exec, exec, s[8:9]
	s_and_b64 s[4:5], s[4:5], exec
                                        ; implicit-def: $vgpr13
	s_or_saveexec_b64 s[6:7], s[6:7]
	v_mov_b32_e32 v14, s10
	s_xor_b64 exec, exec, s[6:7]
	s_cbranch_execz .LBB14_150
.LBB14_2200:
	v_cmp_ne_u16_e32 vcc, 0, v13
	s_andn2_b64 s[4:5], s[4:5], exec
	s_and_b64 s[8:9], vcc, exec
	v_mov_b32_e32 v14, 0
	s_or_b64 s[4:5], s[4:5], s[8:9]
	s_or_b64 exec, exec, s[6:7]
	s_and_saveexec_b64 s[6:7], s[4:5]
	s_cbranch_execnz .LBB14_151
	s_branch .LBB14_152
.LBB14_2201:
	s_movk_i32 s4, 0x80
	v_cmp_eq_u16_sdwa s[12:13], v6, s4 src0_sel:BYTE_3 src1_sel:DWORD
	s_mov_b64 s[4:5], -1
                                        ; implicit-def: $sgpr10
	s_and_saveexec_b64 s[8:9], s[12:13]
; %bb.2202:
	s_mov_b32 s10, 0x7f800001
	s_xor_b64 s[4:5], exec, -1
; %bb.2203:
	s_or_b64 exec, exec, s[8:9]
	s_and_b64 s[4:5], s[4:5], exec
	s_or_saveexec_b64 s[6:7], s[6:7]
	v_mov_b32_e32 v12, s10
	s_xor_b64 exec, exec, s[6:7]
	s_cbranch_execz .LBB14_154
.LBB14_2204:
	v_mov_b32_e32 v12, 0
	v_cmp_ne_u16_sdwa s[8:9], v6, v12 src0_sel:BYTE_3 src1_sel:DWORD
	s_andn2_b64 s[4:5], s[4:5], exec
	s_and_b64 s[8:9], s[8:9], exec
	s_or_b64 s[4:5], s[4:5], s[8:9]
	s_or_b64 exec, exec, s[6:7]
	s_and_saveexec_b64 s[6:7], s[4:5]
	s_cbranch_execnz .LBB14_155
	s_branch .LBB14_156
.LBB14_2205:
	s_movk_i32 s4, 0x80
	v_cmp_eq_u16_sdwa s[12:13], v2, s4 src0_sel:BYTE_3 src1_sel:DWORD
	s_mov_b64 s[4:5], -1
                                        ; implicit-def: $sgpr10
	s_and_saveexec_b64 s[8:9], s[12:13]
; %bb.2206:
	s_mov_b32 s10, 0x7f800001
	s_xor_b64 s[4:5], exec, -1
; %bb.2207:
	s_or_b64 exec, exec, s[8:9]
	s_and_b64 s[4:5], s[4:5], exec
	s_or_saveexec_b64 s[6:7], s[6:7]
	v_mov_b32_e32 v6, s10
	s_xor_b64 exec, exec, s[6:7]
	s_cbranch_execz .LBB14_158
.LBB14_2208:
	v_mov_b32_e32 v6, 0
	v_cmp_ne_u16_sdwa s[8:9], v2, v6 src0_sel:BYTE_3 src1_sel:DWORD
	s_andn2_b64 s[4:5], s[4:5], exec
	s_and_b64 s[8:9], s[8:9], exec
	s_or_b64 s[4:5], s[4:5], s[8:9]
	s_or_b64 exec, exec, s[6:7]
	s_and_saveexec_b64 s[6:7], s[4:5]
	s_cbranch_execnz .LBB14_159
	s_branch .LBB14_160
.LBB14_2209:
	s_movk_i32 s4, 0x80
	v_cmp_eq_u16_sdwa s[12:13], v7, s4 src0_sel:BYTE_0 src1_sel:DWORD
	s_mov_b64 s[4:5], -1
                                        ; implicit-def: $sgpr10
	s_and_saveexec_b64 s[8:9], s[12:13]
; %bb.2210:
	s_mov_b32 s10, 0x7f800001
	s_xor_b64 s[4:5], exec, -1
; %bb.2211:
	s_or_b64 exec, exec, s[8:9]
	s_and_b64 s[4:5], s[4:5], exec
	s_or_saveexec_b64 s[6:7], s[6:7]
	v_mov_b32_e32 v2, s10
	s_xor_b64 exec, exec, s[6:7]
	s_cbranch_execz .LBB14_162
.LBB14_2212:
	v_mov_b32_e32 v2, 0
	v_cmp_ne_u16_sdwa s[8:9], v7, v2 src0_sel:BYTE_0 src1_sel:DWORD
	s_andn2_b64 s[4:5], s[4:5], exec
	s_and_b64 s[8:9], s[8:9], exec
	s_or_b64 s[4:5], s[4:5], s[8:9]
	s_or_b64 exec, exec, s[6:7]
	s_and_saveexec_b64 s[6:7], s[4:5]
	s_cbranch_execnz .LBB14_163
	s_branch .LBB14_164
.LBB14_2213:
	s_movk_i32 s4, 0x80
	v_cmp_eq_u16_sdwa s[12:13], v3, s4 src0_sel:BYTE_0 src1_sel:DWORD
	s_mov_b64 s[4:5], -1
                                        ; implicit-def: $sgpr10
	s_and_saveexec_b64 s[8:9], s[12:13]
; %bb.2214:
	s_mov_b32 s10, 0x7f800001
	s_xor_b64 s[4:5], exec, -1
; %bb.2215:
	s_or_b64 exec, exec, s[8:9]
	s_and_b64 s[4:5], s[4:5], exec
	s_or_saveexec_b64 s[6:7], s[6:7]
	v_mov_b32_e32 v6, s10
	s_xor_b64 exec, exec, s[6:7]
	s_cbranch_execz .LBB14_166
.LBB14_2216:
	v_mov_b32_e32 v6, 0
	v_cmp_ne_u16_sdwa s[8:9], v3, v6 src0_sel:BYTE_0 src1_sel:DWORD
	s_andn2_b64 s[4:5], s[4:5], exec
	s_and_b64 s[8:9], s[8:9], exec
	s_or_b64 s[4:5], s[4:5], s[8:9]
	s_or_b64 exec, exec, s[6:7]
	s_and_saveexec_b64 s[6:7], s[4:5]
	s_cbranch_execnz .LBB14_167
	s_branch .LBB14_168
.LBB14_2217:
	s_movk_i32 s4, 0x80
	v_cmp_eq_u16_sdwa s[12:13], v6, s4 src0_sel:BYTE_0 src1_sel:DWORD
	s_mov_b64 s[4:5], -1
                                        ; implicit-def: $sgpr10
	s_and_saveexec_b64 s[8:9], s[12:13]
; %bb.2218:
	s_mov_b32 s10, 0x7f800001
	s_xor_b64 s[4:5], exec, -1
; %bb.2219:
	s_or_b64 exec, exec, s[8:9]
	s_and_b64 s[4:5], s[4:5], exec
	s_or_saveexec_b64 s[6:7], s[6:7]
	v_mov_b32_e32 v2, s10
	s_xor_b64 exec, exec, s[6:7]
	s_cbranch_execz .LBB14_170
.LBB14_2220:
	v_mov_b32_e32 v2, 0
	v_cmp_ne_u16_sdwa s[8:9], v6, v2 src0_sel:BYTE_0 src1_sel:DWORD
	s_andn2_b64 s[4:5], s[4:5], exec
	s_and_b64 s[8:9], s[8:9], exec
	s_or_b64 s[4:5], s[4:5], s[8:9]
	s_or_b64 exec, exec, s[6:7]
	s_and_saveexec_b64 s[6:7], s[4:5]
	s_cbranch_execnz .LBB14_171
	s_branch .LBB14_172
.LBB14_2221:
	s_movk_i32 s4, 0x80
	v_cmp_eq_u16_sdwa s[12:13], v6, s4 src0_sel:BYTE_0 src1_sel:DWORD
	s_mov_b64 s[4:5], -1
                                        ; implicit-def: $sgpr10
	s_and_saveexec_b64 s[8:9], s[12:13]
; %bb.2222:
	s_mov_b32 s10, 0x7f800001
	s_xor_b64 s[4:5], exec, -1
; %bb.2223:
	s_or_b64 exec, exec, s[8:9]
	s_and_b64 s[4:5], s[4:5], exec
	s_or_saveexec_b64 s[6:7], s[6:7]
	v_mov_b32_e32 v12, s10
	s_xor_b64 exec, exec, s[6:7]
	s_cbranch_execz .LBB14_174
.LBB14_2224:
	v_mov_b32_e32 v12, 0
	v_cmp_ne_u16_sdwa s[8:9], v6, v12 src0_sel:BYTE_0 src1_sel:DWORD
	s_andn2_b64 s[4:5], s[4:5], exec
	s_and_b64 s[8:9], s[8:9], exec
	s_or_b64 s[4:5], s[4:5], s[8:9]
	s_or_b64 exec, exec, s[6:7]
	s_and_saveexec_b64 s[6:7], s[4:5]
	s_cbranch_execnz .LBB14_175
	s_branch .LBB14_176
.LBB14_2225:
	s_movk_i32 s4, 0x80
	v_cmp_eq_u16_e32 vcc, s4, v6
	s_mov_b64 s[4:5], -1
                                        ; implicit-def: $sgpr10
	s_and_saveexec_b64 s[8:9], vcc
; %bb.2226:
	s_mov_b32 s10, 0x7f800001
	s_xor_b64 s[4:5], exec, -1
; %bb.2227:
	s_or_b64 exec, exec, s[8:9]
	s_and_b64 s[4:5], s[4:5], exec
                                        ; implicit-def: $vgpr6
	s_or_saveexec_b64 s[6:7], s[6:7]
	v_mov_b32_e32 v2, s10
	s_xor_b64 exec, exec, s[6:7]
	s_cbranch_execz .LBB14_178
.LBB14_2228:
	v_cmp_ne_u16_e32 vcc, 0, v6
	s_andn2_b64 s[4:5], s[4:5], exec
	s_and_b64 s[8:9], vcc, exec
	v_mov_b32_e32 v2, 0
	s_or_b64 s[4:5], s[4:5], s[8:9]
	s_or_b64 exec, exec, s[6:7]
	s_and_saveexec_b64 s[6:7], s[4:5]
	s_cbranch_execnz .LBB14_179
	s_branch .LBB14_180
.LBB14_2229:
	s_movk_i32 s4, 0x80
	v_cmp_eq_u16_e32 vcc, s4, v6
	s_mov_b64 s[4:5], -1
                                        ; implicit-def: $sgpr10
	s_and_saveexec_b64 s[8:9], vcc
; %bb.2230:
	s_mov_b32 s10, 0x7f800001
	s_xor_b64 s[4:5], exec, -1
; %bb.2231:
	s_or_b64 exec, exec, s[8:9]
	s_and_b64 s[4:5], s[4:5], exec
                                        ; implicit-def: $vgpr6
	s_or_saveexec_b64 s[6:7], s[6:7]
	v_mov_b32_e32 v12, s10
	s_xor_b64 exec, exec, s[6:7]
	s_cbranch_execz .LBB14_182
.LBB14_2232:
	v_cmp_ne_u16_e32 vcc, 0, v6
	s_andn2_b64 s[4:5], s[4:5], exec
	s_and_b64 s[8:9], vcc, exec
	v_mov_b32_e32 v12, 0
	s_or_b64 s[4:5], s[4:5], s[8:9]
	s_or_b64 exec, exec, s[6:7]
	s_and_saveexec_b64 s[6:7], s[4:5]
	s_cbranch_execnz .LBB14_183
	s_branch .LBB14_184
.LBB14_2233:
	s_movk_i32 s4, 0x80
	v_cmp_eq_u16_sdwa s[12:13], v7, s4 src0_sel:BYTE_3 src1_sel:DWORD
	s_mov_b64 s[4:5], -1
                                        ; implicit-def: $sgpr10
	s_and_saveexec_b64 s[8:9], s[12:13]
; %bb.2234:
	s_mov_b32 s10, 0x7f800001
	s_xor_b64 s[4:5], exec, -1
; %bb.2235:
	s_or_b64 exec, exec, s[8:9]
	s_and_b64 s[4:5], s[4:5], exec
	s_or_saveexec_b64 s[6:7], s[6:7]
	v_mov_b32_e32 v2, s10
	s_xor_b64 exec, exec, s[6:7]
	s_cbranch_execz .LBB14_186
.LBB14_2236:
	v_mov_b32_e32 v2, 0
	v_cmp_ne_u16_sdwa s[8:9], v7, v2 src0_sel:BYTE_3 src1_sel:DWORD
	s_andn2_b64 s[4:5], s[4:5], exec
	s_and_b64 s[8:9], s[8:9], exec
	s_or_b64 s[4:5], s[4:5], s[8:9]
	s_or_b64 exec, exec, s[6:7]
	s_and_saveexec_b64 s[6:7], s[4:5]
	s_cbranch_execnz .LBB14_187
	s_branch .LBB14_188
.LBB14_2237:
	s_movk_i32 s4, 0x80
	v_cmp_eq_u16_sdwa s[12:13], v3, s4 src0_sel:BYTE_3 src1_sel:DWORD
	s_mov_b64 s[4:5], -1
                                        ; implicit-def: $sgpr10
	s_and_saveexec_b64 s[8:9], s[12:13]
; %bb.2238:
	s_mov_b32 s10, 0x7f800001
	s_xor_b64 s[4:5], exec, -1
; %bb.2239:
	s_or_b64 exec, exec, s[8:9]
	s_and_b64 s[4:5], s[4:5], exec
	s_or_saveexec_b64 s[6:7], s[6:7]
	v_mov_b32_e32 v6, s10
	s_xor_b64 exec, exec, s[6:7]
	s_cbranch_execz .LBB14_190
.LBB14_2240:
	v_mov_b32_e32 v6, 0
	v_cmp_ne_u16_sdwa s[8:9], v3, v6 src0_sel:BYTE_3 src1_sel:DWORD
	s_andn2_b64 s[4:5], s[4:5], exec
	s_and_b64 s[8:9], s[8:9], exec
	s_or_b64 s[4:5], s[4:5], s[8:9]
	s_or_b64 exec, exec, s[6:7]
	s_and_saveexec_b64 s[6:7], s[4:5]
	s_cbranch_execnz .LBB14_191
	s_branch .LBB14_192
.LBB14_2241:
	s_movk_i32 s4, 0x80
	v_cmp_eq_u16_sdwa s[12:13], v8, s4 src0_sel:BYTE_0 src1_sel:DWORD
	s_mov_b64 s[4:5], -1
                                        ; implicit-def: $sgpr10
	s_and_saveexec_b64 s[8:9], s[12:13]
; %bb.2242:
	s_mov_b32 s10, 0x7f800001
	s_xor_b64 s[4:5], exec, -1
; %bb.2243:
	s_or_b64 exec, exec, s[8:9]
	s_and_b64 s[4:5], s[4:5], exec
	s_or_saveexec_b64 s[6:7], s[6:7]
	v_mov_b32_e32 v2, s10
	s_xor_b64 exec, exec, s[6:7]
	s_cbranch_execz .LBB14_194
.LBB14_2244:
	v_mov_b32_e32 v2, 0
	v_cmp_ne_u16_sdwa s[8:9], v8, v2 src0_sel:BYTE_0 src1_sel:DWORD
	s_andn2_b64 s[4:5], s[4:5], exec
	s_and_b64 s[8:9], s[8:9], exec
	s_or_b64 s[4:5], s[4:5], s[8:9]
	s_or_b64 exec, exec, s[6:7]
	s_and_saveexec_b64 s[6:7], s[4:5]
	s_cbranch_execnz .LBB14_195
	s_branch .LBB14_196
.LBB14_2245:
	s_movk_i32 s4, 0x80
	v_cmp_eq_u16_sdwa s[12:13], v4, s4 src0_sel:BYTE_0 src1_sel:DWORD
	s_mov_b64 s[4:5], -1
                                        ; implicit-def: $sgpr10
	s_and_saveexec_b64 s[8:9], s[12:13]
; %bb.2246:
	s_mov_b32 s10, 0x7f800001
	s_xor_b64 s[4:5], exec, -1
; %bb.2247:
	s_or_b64 exec, exec, s[8:9]
	s_and_b64 s[4:5], s[4:5], exec
	s_or_saveexec_b64 s[6:7], s[6:7]
	v_mov_b32_e32 v3, s10
	s_xor_b64 exec, exec, s[6:7]
	s_cbranch_execz .LBB14_198
.LBB14_2248:
	v_mov_b32_e32 v3, 0
	v_cmp_ne_u16_sdwa s[8:9], v4, v3 src0_sel:BYTE_0 src1_sel:DWORD
	s_andn2_b64 s[4:5], s[4:5], exec
	s_and_b64 s[8:9], s[8:9], exec
	s_or_b64 s[4:5], s[4:5], s[8:9]
	s_or_b64 exec, exec, s[6:7]
	s_and_saveexec_b64 s[6:7], s[4:5]
	s_cbranch_execnz .LBB14_199
	s_branch .LBB14_200
.LBB14_2249:
	s_movk_i32 s4, 0x80
	v_cmp_eq_u16_sdwa s[12:13], v3, s4 src0_sel:BYTE_0 src1_sel:DWORD
	s_mov_b64 s[4:5], -1
                                        ; implicit-def: $sgpr10
	s_and_saveexec_b64 s[8:9], s[12:13]
; %bb.2250:
	s_mov_b32 s10, 0x7f800001
	s_xor_b64 s[4:5], exec, -1
; %bb.2251:
	s_or_b64 exec, exec, s[8:9]
	s_and_b64 s[4:5], s[4:5], exec
	s_or_saveexec_b64 s[6:7], s[6:7]
	v_mov_b32_e32 v2, s10
	s_xor_b64 exec, exec, s[6:7]
	s_cbranch_execz .LBB14_202
.LBB14_2252:
	v_mov_b32_e32 v2, 0
	v_cmp_ne_u16_sdwa s[8:9], v3, v2 src0_sel:BYTE_0 src1_sel:DWORD
	s_andn2_b64 s[4:5], s[4:5], exec
	s_and_b64 s[8:9], s[8:9], exec
	s_or_b64 s[4:5], s[4:5], s[8:9]
	s_or_b64 exec, exec, s[6:7]
	s_and_saveexec_b64 s[6:7], s[4:5]
	s_cbranch_execnz .LBB14_203
	s_branch .LBB14_204
.LBB14_2253:
	s_movk_i32 s4, 0x80
	v_cmp_eq_u16_sdwa s[12:13], v3, s4 src0_sel:BYTE_0 src1_sel:DWORD
	s_mov_b64 s[4:5], -1
                                        ; implicit-def: $sgpr10
	s_and_saveexec_b64 s[8:9], s[12:13]
; %bb.2254:
	s_mov_b32 s10, 0x7f800001
	s_xor_b64 s[4:5], exec, -1
; %bb.2255:
	s_or_b64 exec, exec, s[8:9]
	s_and_b64 s[4:5], s[4:5], exec
	s_or_saveexec_b64 s[6:7], s[6:7]
	v_mov_b32_e32 v6, s10
	s_xor_b64 exec, exec, s[6:7]
	s_cbranch_execz .LBB14_206
.LBB14_2256:
	v_mov_b32_e32 v6, 0
	v_cmp_ne_u16_sdwa s[8:9], v3, v6 src0_sel:BYTE_0 src1_sel:DWORD
	s_andn2_b64 s[4:5], s[4:5], exec
	s_and_b64 s[8:9], s[8:9], exec
	s_or_b64 s[4:5], s[4:5], s[8:9]
	s_or_b64 exec, exec, s[6:7]
	s_and_saveexec_b64 s[6:7], s[4:5]
	s_cbranch_execnz .LBB14_207
	s_branch .LBB14_208
.LBB14_2257:
	s_movk_i32 s4, 0x80
	v_cmp_eq_u16_e32 vcc, s4, v3
	s_mov_b64 s[4:5], -1
                                        ; implicit-def: $sgpr10
	s_and_saveexec_b64 s[8:9], vcc
; %bb.2258:
	s_mov_b32 s10, 0x7f800001
	s_xor_b64 s[4:5], exec, -1
; %bb.2259:
	s_or_b64 exec, exec, s[8:9]
	s_and_b64 s[4:5], s[4:5], exec
                                        ; implicit-def: $vgpr3
	s_or_saveexec_b64 s[6:7], s[6:7]
	v_mov_b32_e32 v2, s10
	s_xor_b64 exec, exec, s[6:7]
	s_cbranch_execz .LBB14_210
.LBB14_2260:
	v_cmp_ne_u16_e32 vcc, 0, v3
	s_andn2_b64 s[4:5], s[4:5], exec
	s_and_b64 s[8:9], vcc, exec
	v_mov_b32_e32 v2, 0
	s_or_b64 s[4:5], s[4:5], s[8:9]
	s_or_b64 exec, exec, s[6:7]
	s_and_saveexec_b64 s[6:7], s[4:5]
	s_cbranch_execnz .LBB14_211
	s_branch .LBB14_212
.LBB14_2261:
	s_movk_i32 s4, 0x80
	v_cmp_eq_u16_e32 vcc, s4, v3
	s_mov_b64 s[4:5], -1
                                        ; implicit-def: $sgpr10
	s_and_saveexec_b64 s[8:9], vcc
; %bb.2262:
	s_mov_b32 s10, 0x7f800001
	s_xor_b64 s[4:5], exec, -1
; %bb.2263:
	s_or_b64 exec, exec, s[8:9]
	s_and_b64 s[4:5], s[4:5], exec
                                        ; implicit-def: $vgpr3
	s_or_saveexec_b64 s[6:7], s[6:7]
	v_mov_b32_e32 v6, s10
	s_xor_b64 exec, exec, s[6:7]
	s_cbranch_execz .LBB14_214
.LBB14_2264:
	v_cmp_ne_u16_e32 vcc, 0, v3
	s_andn2_b64 s[4:5], s[4:5], exec
	s_and_b64 s[8:9], vcc, exec
	v_mov_b32_e32 v6, 0
	s_or_b64 s[4:5], s[4:5], s[8:9]
	s_or_b64 exec, exec, s[6:7]
	s_and_saveexec_b64 s[6:7], s[4:5]
	s_cbranch_execnz .LBB14_215
	s_branch .LBB14_216
.LBB14_2265:
	s_movk_i32 s4, 0x80
	v_cmp_eq_u16_sdwa s[12:13], v8, s4 src0_sel:BYTE_3 src1_sel:DWORD
	s_mov_b64 s[4:5], -1
                                        ; implicit-def: $sgpr10
	s_and_saveexec_b64 s[8:9], s[12:13]
; %bb.2266:
	s_mov_b32 s10, 0x7f800001
	s_xor_b64 s[4:5], exec, -1
; %bb.2267:
	s_or_b64 exec, exec, s[8:9]
	s_and_b64 s[4:5], s[4:5], exec
	s_or_saveexec_b64 s[6:7], s[6:7]
	v_mov_b32_e32 v2, s10
	s_xor_b64 exec, exec, s[6:7]
	s_cbranch_execz .LBB14_218
.LBB14_2268:
	v_mov_b32_e32 v2, 0
	v_cmp_ne_u16_sdwa s[8:9], v8, v2 src0_sel:BYTE_3 src1_sel:DWORD
	s_andn2_b64 s[4:5], s[4:5], exec
	s_and_b64 s[8:9], s[8:9], exec
	s_or_b64 s[4:5], s[4:5], s[8:9]
	s_or_b64 exec, exec, s[6:7]
	s_and_saveexec_b64 s[6:7], s[4:5]
	s_cbranch_execnz .LBB14_219
	s_branch .LBB14_220
.LBB14_2269:
	s_movk_i32 s4, 0x80
	v_cmp_eq_u16_sdwa s[12:13], v4, s4 src0_sel:BYTE_3 src1_sel:DWORD
	s_mov_b64 s[4:5], -1
                                        ; implicit-def: $sgpr10
	s_and_saveexec_b64 s[8:9], s[12:13]
; %bb.2270:
	s_mov_b32 s10, 0x7f800001
	s_xor_b64 s[4:5], exec, -1
; %bb.2271:
	s_or_b64 exec, exec, s[8:9]
	s_and_b64 s[4:5], s[4:5], exec
	s_or_saveexec_b64 s[6:7], s[6:7]
	v_mov_b32_e32 v3, s10
	s_xor_b64 exec, exec, s[6:7]
	s_cbranch_execz .LBB14_222
.LBB14_2272:
	v_mov_b32_e32 v3, 0
	v_cmp_ne_u16_sdwa s[8:9], v4, v3 src0_sel:BYTE_3 src1_sel:DWORD
	s_andn2_b64 s[4:5], s[4:5], exec
	s_and_b64 s[8:9], s[8:9], exec
	s_or_b64 s[4:5], s[4:5], s[8:9]
	s_or_b64 exec, exec, s[6:7]
	s_and_saveexec_b64 s[6:7], s[4:5]
	s_cbranch_execnz .LBB14_223
	s_branch .LBB14_224
.LBB14_2273:
	s_movk_i32 s4, 0x80
	v_cmp_eq_u16_sdwa s[12:13], v9, s4 src0_sel:BYTE_0 src1_sel:DWORD
	s_mov_b64 s[4:5], -1
                                        ; implicit-def: $sgpr10
	s_and_saveexec_b64 s[8:9], s[12:13]
; %bb.2274:
	s_mov_b32 s10, 0x7f800001
	s_xor_b64 s[4:5], exec, -1
; %bb.2275:
	s_or_b64 exec, exec, s[8:9]
	s_and_b64 s[4:5], s[4:5], exec
	s_or_saveexec_b64 s[6:7], s[6:7]
	v_mov_b32_e32 v2, s10
	s_xor_b64 exec, exec, s[6:7]
	s_cbranch_execz .LBB14_226
.LBB14_2276:
	v_mov_b32_e32 v2, 0
	v_cmp_ne_u16_sdwa s[8:9], v9, v2 src0_sel:BYTE_0 src1_sel:DWORD
	s_andn2_b64 s[4:5], s[4:5], exec
	s_and_b64 s[8:9], s[8:9], exec
	s_or_b64 s[4:5], s[4:5], s[8:9]
	s_or_b64 exec, exec, s[6:7]
	s_and_saveexec_b64 s[6:7], s[4:5]
	s_cbranch_execnz .LBB14_227
	s_branch .LBB14_228
.LBB14_2277:
	s_movk_i32 s4, 0x80
	v_cmp_eq_u16_sdwa s[12:13], v5, s4 src0_sel:BYTE_0 src1_sel:DWORD
	s_mov_b64 s[4:5], -1
                                        ; implicit-def: $sgpr10
	s_and_saveexec_b64 s[8:9], s[12:13]
; %bb.2278:
	s_mov_b32 s10, 0x7f800001
	s_xor_b64 s[4:5], exec, -1
; %bb.2279:
	s_or_b64 exec, exec, s[8:9]
	s_and_b64 s[4:5], s[4:5], exec
	s_or_saveexec_b64 s[6:7], s[6:7]
	v_mov_b32_e32 v3, s10
	s_xor_b64 exec, exec, s[6:7]
	s_cbranch_execz .LBB14_230
.LBB14_2280:
	v_mov_b32_e32 v3, 0
	v_cmp_ne_u16_sdwa s[8:9], v5, v3 src0_sel:BYTE_0 src1_sel:DWORD
	s_andn2_b64 s[4:5], s[4:5], exec
	s_and_b64 s[8:9], s[8:9], exec
	s_or_b64 s[4:5], s[4:5], s[8:9]
	s_or_b64 exec, exec, s[6:7]
	s_and_saveexec_b64 s[6:7], s[4:5]
	s_cbranch_execnz .LBB14_231
	s_branch .LBB14_232
.LBB14_2281:
	s_movk_i32 s4, 0x80
	v_cmp_eq_u16_sdwa s[12:13], v3, s4 src0_sel:BYTE_0 src1_sel:DWORD
	s_mov_b64 s[4:5], -1
                                        ; implicit-def: $sgpr10
	s_and_saveexec_b64 s[8:9], s[12:13]
; %bb.2282:
	s_mov_b32 s10, 0x7f800001
	s_xor_b64 s[4:5], exec, -1
; %bb.2283:
	s_or_b64 exec, exec, s[8:9]
	s_and_b64 s[4:5], s[4:5], exec
	s_or_saveexec_b64 s[6:7], s[6:7]
	v_mov_b32_e32 v2, s10
	s_xor_b64 exec, exec, s[6:7]
	s_cbranch_execz .LBB14_234
.LBB14_2284:
	v_mov_b32_e32 v2, 0
	v_cmp_ne_u16_sdwa s[8:9], v3, v2 src0_sel:BYTE_0 src1_sel:DWORD
	s_andn2_b64 s[4:5], s[4:5], exec
	s_and_b64 s[8:9], s[8:9], exec
	s_or_b64 s[4:5], s[4:5], s[8:9]
	s_or_b64 exec, exec, s[6:7]
	s_and_saveexec_b64 s[6:7], s[4:5]
	s_cbranch_execnz .LBB14_235
	s_branch .LBB14_236
.LBB14_2285:
	s_movk_i32 s4, 0x80
	v_cmp_eq_u16_sdwa s[12:13], v3, s4 src0_sel:BYTE_0 src1_sel:DWORD
	s_mov_b64 s[4:5], -1
                                        ; implicit-def: $sgpr10
	s_and_saveexec_b64 s[8:9], s[12:13]
; %bb.2286:
	s_mov_b32 s10, 0x7f800001
	s_xor_b64 s[4:5], exec, -1
; %bb.2287:
	s_or_b64 exec, exec, s[8:9]
	s_and_b64 s[4:5], s[4:5], exec
	s_or_saveexec_b64 s[6:7], s[6:7]
	v_mov_b32_e32 v4, s10
	s_xor_b64 exec, exec, s[6:7]
	s_cbranch_execz .LBB14_238
.LBB14_2288:
	v_mov_b32_e32 v4, 0
	v_cmp_ne_u16_sdwa s[8:9], v3, v4 src0_sel:BYTE_0 src1_sel:DWORD
	s_andn2_b64 s[4:5], s[4:5], exec
	s_and_b64 s[8:9], s[8:9], exec
	s_or_b64 s[4:5], s[4:5], s[8:9]
	s_or_b64 exec, exec, s[6:7]
	s_and_saveexec_b64 s[6:7], s[4:5]
	s_cbranch_execnz .LBB14_239
	s_branch .LBB14_240
.LBB14_2289:
	s_movk_i32 s4, 0x80
	v_cmp_eq_u16_e32 vcc, s4, v3
	s_mov_b64 s[4:5], -1
                                        ; implicit-def: $sgpr10
	s_and_saveexec_b64 s[8:9], vcc
; %bb.2290:
	s_mov_b32 s10, 0x7f800001
	s_xor_b64 s[4:5], exec, -1
; %bb.2291:
	s_or_b64 exec, exec, s[8:9]
	s_and_b64 s[4:5], s[4:5], exec
                                        ; implicit-def: $vgpr3
	s_or_saveexec_b64 s[6:7], s[6:7]
	v_mov_b32_e32 v2, s10
	s_xor_b64 exec, exec, s[6:7]
	s_cbranch_execz .LBB14_242
.LBB14_2292:
	v_cmp_ne_u16_e32 vcc, 0, v3
	s_andn2_b64 s[4:5], s[4:5], exec
	s_and_b64 s[8:9], vcc, exec
	v_mov_b32_e32 v2, 0
	s_or_b64 s[4:5], s[4:5], s[8:9]
	s_or_b64 exec, exec, s[6:7]
	s_and_saveexec_b64 s[6:7], s[4:5]
	s_cbranch_execnz .LBB14_243
	s_branch .LBB14_244
.LBB14_2293:
	s_movk_i32 s4, 0x80
	v_cmp_eq_u16_e32 vcc, s4, v3
	s_mov_b64 s[4:5], -1
                                        ; implicit-def: $sgpr10
	s_and_saveexec_b64 s[8:9], vcc
; %bb.2294:
	s_mov_b32 s10, 0x7f800001
	s_xor_b64 s[4:5], exec, -1
; %bb.2295:
	s_or_b64 exec, exec, s[8:9]
	s_and_b64 s[4:5], s[4:5], exec
                                        ; implicit-def: $vgpr3
	s_or_saveexec_b64 s[6:7], s[6:7]
	v_mov_b32_e32 v4, s10
	s_xor_b64 exec, exec, s[6:7]
	s_cbranch_execz .LBB14_246
.LBB14_2296:
	v_cmp_ne_u16_e32 vcc, 0, v3
	s_andn2_b64 s[4:5], s[4:5], exec
	s_and_b64 s[8:9], vcc, exec
	v_mov_b32_e32 v4, 0
	s_or_b64 s[4:5], s[4:5], s[8:9]
	s_or_b64 exec, exec, s[6:7]
	s_and_saveexec_b64 s[6:7], s[4:5]
	s_cbranch_execnz .LBB14_247
	s_branch .LBB14_248
.LBB14_2297:
	s_movk_i32 s4, 0x80
	v_cmp_eq_u16_sdwa s[12:13], v9, s4 src0_sel:BYTE_3 src1_sel:DWORD
	s_mov_b64 s[4:5], -1
                                        ; implicit-def: $sgpr10
	s_and_saveexec_b64 s[8:9], s[12:13]
; %bb.2298:
	s_mov_b32 s10, 0x7f800001
	s_xor_b64 s[4:5], exec, -1
; %bb.2299:
	s_or_b64 exec, exec, s[8:9]
	s_and_b64 s[4:5], s[4:5], exec
	s_or_saveexec_b64 s[6:7], s[6:7]
	v_mov_b32_e32 v2, s10
	s_xor_b64 exec, exec, s[6:7]
	s_cbranch_execz .LBB14_250
.LBB14_2300:
	v_mov_b32_e32 v2, 0
	v_cmp_ne_u16_sdwa s[8:9], v9, v2 src0_sel:BYTE_3 src1_sel:DWORD
	s_andn2_b64 s[4:5], s[4:5], exec
	s_and_b64 s[8:9], s[8:9], exec
	s_or_b64 s[4:5], s[4:5], s[8:9]
	s_or_b64 exec, exec, s[6:7]
	s_and_saveexec_b64 s[6:7], s[4:5]
	s_cbranch_execnz .LBB14_251
	s_branch .LBB14_252
.LBB14_2301:
	s_movk_i32 s4, 0x80
	v_cmp_eq_u16_sdwa s[12:13], v5, s4 src0_sel:BYTE_3 src1_sel:DWORD
	s_mov_b64 s[4:5], -1
                                        ; implicit-def: $sgpr10
	s_and_saveexec_b64 s[8:9], s[12:13]
; %bb.2302:
	s_mov_b32 s10, 0x7f800001
	s_xor_b64 s[4:5], exec, -1
; %bb.2303:
	s_or_b64 exec, exec, s[8:9]
	s_and_b64 s[4:5], s[4:5], exec
	s_or_saveexec_b64 s[6:7], s[6:7]
	v_mov_b32_e32 v3, s10
	s_xor_b64 exec, exec, s[6:7]
	s_cbranch_execz .LBB14_254
.LBB14_2304:
	v_mov_b32_e32 v3, 0
	v_cmp_ne_u16_sdwa s[8:9], v5, v3 src0_sel:BYTE_3 src1_sel:DWORD
	s_andn2_b64 s[4:5], s[4:5], exec
	s_and_b64 s[8:9], s[8:9], exec
	s_or_b64 s[4:5], s[4:5], s[8:9]
	s_or_b64 exec, exec, s[6:7]
	s_and_saveexec_b64 s[6:7], s[4:5]
	s_cbranch_execnz .LBB14_255
	s_branch .LBB14_256
.LBB14_2305:
	s_movk_i32 s4, 0x80
	v_cmp_eq_u16_sdwa s[12:13], v6, s4 src0_sel:BYTE_0 src1_sel:DWORD
	s_mov_b64 s[4:5], -1
                                        ; implicit-def: $sgpr10
	s_and_saveexec_b64 s[8:9], s[12:13]
; %bb.2306:
	s_mov_b32 s10, 0x7f800001
	s_xor_b64 s[4:5], exec, -1
; %bb.2307:
	s_or_b64 exec, exec, s[8:9]
	s_and_b64 s[4:5], s[4:5], exec
	s_or_saveexec_b64 s[6:7], s[6:7]
	v_mov_b32_e32 v12, s10
	s_xor_b64 exec, exec, s[6:7]
	s_cbranch_execz .LBB14_258
.LBB14_2308:
	v_mov_b32_e32 v12, 0
	v_cmp_ne_u16_sdwa s[8:9], v6, v12 src0_sel:BYTE_0 src1_sel:DWORD
	s_andn2_b64 s[4:5], s[4:5], exec
	s_and_b64 s[8:9], s[8:9], exec
	s_or_b64 s[4:5], s[4:5], s[8:9]
	s_or_b64 exec, exec, s[6:7]
	s_and_saveexec_b64 s[6:7], s[4:5]
	s_cbranch_execnz .LBB14_259
	s_branch .LBB14_260
.LBB14_2309:
	s_movk_i32 s4, 0x80
	v_cmp_eq_u16_sdwa s[12:13], v2, s4 src0_sel:BYTE_0 src1_sel:DWORD
	s_mov_b64 s[4:5], -1
                                        ; implicit-def: $sgpr10
	s_and_saveexec_b64 s[8:9], s[12:13]
; %bb.2310:
	s_mov_b32 s10, 0x7f800001
	s_xor_b64 s[4:5], exec, -1
; %bb.2311:
	s_or_b64 exec, exec, s[8:9]
	s_and_b64 s[4:5], s[4:5], exec
	s_or_saveexec_b64 s[6:7], s[6:7]
	v_mov_b32_e32 v13, s10
	s_xor_b64 exec, exec, s[6:7]
	s_cbranch_execz .LBB14_262
.LBB14_2312:
	v_mov_b32_e32 v13, 0
	v_cmp_ne_u16_sdwa s[8:9], v2, v13 src0_sel:BYTE_0 src1_sel:DWORD
	s_andn2_b64 s[4:5], s[4:5], exec
	s_and_b64 s[8:9], s[8:9], exec
	s_or_b64 s[4:5], s[4:5], s[8:9]
	s_or_b64 exec, exec, s[6:7]
	s_and_saveexec_b64 s[6:7], s[4:5]
	s_cbranch_execnz .LBB14_263
	s_branch .LBB14_264
.LBB14_2313:
	s_movk_i32 s4, 0x80
	v_cmp_eq_u16_sdwa s[12:13], v13, s4 src0_sel:BYTE_0 src1_sel:DWORD
	s_mov_b64 s[4:5], -1
                                        ; implicit-def: $sgpr10
	s_and_saveexec_b64 s[8:9], s[12:13]
; %bb.2314:
	s_mov_b32 s10, 0x7f800001
	s_xor_b64 s[4:5], exec, -1
; %bb.2315:
	s_or_b64 exec, exec, s[8:9]
	s_and_b64 s[4:5], s[4:5], exec
	s_or_saveexec_b64 s[6:7], s[6:7]
	v_mov_b32_e32 v12, s10
	s_xor_b64 exec, exec, s[6:7]
	s_cbranch_execz .LBB14_266
.LBB14_2316:
	v_mov_b32_e32 v12, 0
	v_cmp_ne_u16_sdwa s[8:9], v13, v12 src0_sel:BYTE_0 src1_sel:DWORD
	s_andn2_b64 s[4:5], s[4:5], exec
	s_and_b64 s[8:9], s[8:9], exec
	s_or_b64 s[4:5], s[4:5], s[8:9]
	s_or_b64 exec, exec, s[6:7]
	s_and_saveexec_b64 s[6:7], s[4:5]
	s_cbranch_execnz .LBB14_267
	s_branch .LBB14_268
.LBB14_2317:
	s_movk_i32 s4, 0x80
	v_cmp_eq_u16_sdwa s[12:13], v13, s4 src0_sel:BYTE_0 src1_sel:DWORD
	s_mov_b64 s[4:5], -1
                                        ; implicit-def: $sgpr10
	s_and_saveexec_b64 s[8:9], s[12:13]
; %bb.2318:
	s_mov_b32 s10, 0x7f800001
	s_xor_b64 s[4:5], exec, -1
; %bb.2319:
	s_or_b64 exec, exec, s[8:9]
	s_and_b64 s[4:5], s[4:5], exec
	s_or_saveexec_b64 s[6:7], s[6:7]
	v_mov_b32_e32 v14, s10
	s_xor_b64 exec, exec, s[6:7]
	s_cbranch_execz .LBB14_270
.LBB14_2320:
	v_mov_b32_e32 v14, 0
	v_cmp_ne_u16_sdwa s[8:9], v13, v14 src0_sel:BYTE_0 src1_sel:DWORD
	s_andn2_b64 s[4:5], s[4:5], exec
	s_and_b64 s[8:9], s[8:9], exec
	s_or_b64 s[4:5], s[4:5], s[8:9]
	s_or_b64 exec, exec, s[6:7]
	s_and_saveexec_b64 s[6:7], s[4:5]
	s_cbranch_execnz .LBB14_271
	s_branch .LBB14_272
.LBB14_2321:
	s_movk_i32 s4, 0x80
	v_cmp_eq_u16_e32 vcc, s4, v13
	s_mov_b64 s[4:5], -1
                                        ; implicit-def: $sgpr10
	s_and_saveexec_b64 s[8:9], vcc
; %bb.2322:
	s_mov_b32 s10, 0x7f800001
	s_xor_b64 s[4:5], exec, -1
; %bb.2323:
	s_or_b64 exec, exec, s[8:9]
	s_and_b64 s[4:5], s[4:5], exec
                                        ; implicit-def: $vgpr13
	s_or_saveexec_b64 s[6:7], s[6:7]
	v_mov_b32_e32 v12, s10
	s_xor_b64 exec, exec, s[6:7]
	s_cbranch_execz .LBB14_274
.LBB14_2324:
	v_cmp_ne_u16_e32 vcc, 0, v13
	s_andn2_b64 s[4:5], s[4:5], exec
	s_and_b64 s[8:9], vcc, exec
	v_mov_b32_e32 v12, 0
	s_or_b64 s[4:5], s[4:5], s[8:9]
	s_or_b64 exec, exec, s[6:7]
	s_and_saveexec_b64 s[6:7], s[4:5]
	s_cbranch_execnz .LBB14_275
	s_branch .LBB14_276
.LBB14_2325:
	s_movk_i32 s4, 0x80
	v_cmp_eq_u16_e32 vcc, s4, v13
	s_mov_b64 s[4:5], -1
                                        ; implicit-def: $sgpr10
	s_and_saveexec_b64 s[8:9], vcc
; %bb.2326:
	s_mov_b32 s10, 0x7f800001
	s_xor_b64 s[4:5], exec, -1
; %bb.2327:
	s_or_b64 exec, exec, s[8:9]
	s_and_b64 s[4:5], s[4:5], exec
                                        ; implicit-def: $vgpr13
	s_or_saveexec_b64 s[6:7], s[6:7]
	v_mov_b32_e32 v14, s10
	s_xor_b64 exec, exec, s[6:7]
	s_cbranch_execz .LBB14_278
.LBB14_2328:
	v_cmp_ne_u16_e32 vcc, 0, v13
	s_andn2_b64 s[4:5], s[4:5], exec
	s_and_b64 s[8:9], vcc, exec
	v_mov_b32_e32 v14, 0
	s_or_b64 s[4:5], s[4:5], s[8:9]
	s_or_b64 exec, exec, s[6:7]
	s_and_saveexec_b64 s[6:7], s[4:5]
	s_cbranch_execnz .LBB14_279
	s_branch .LBB14_280
.LBB14_2329:
	s_movk_i32 s4, 0x80
	v_cmp_eq_u16_sdwa s[12:13], v6, s4 src0_sel:BYTE_3 src1_sel:DWORD
	s_mov_b64 s[4:5], -1
                                        ; implicit-def: $sgpr10
	s_and_saveexec_b64 s[8:9], s[12:13]
; %bb.2330:
	s_mov_b32 s10, 0x7f800001
	s_xor_b64 s[4:5], exec, -1
; %bb.2331:
	s_or_b64 exec, exec, s[8:9]
	s_and_b64 s[4:5], s[4:5], exec
	s_or_saveexec_b64 s[6:7], s[6:7]
	v_mov_b32_e32 v12, s10
	s_xor_b64 exec, exec, s[6:7]
	s_cbranch_execz .LBB14_282
.LBB14_2332:
	v_mov_b32_e32 v12, 0
	v_cmp_ne_u16_sdwa s[8:9], v6, v12 src0_sel:BYTE_3 src1_sel:DWORD
	s_andn2_b64 s[4:5], s[4:5], exec
	s_and_b64 s[8:9], s[8:9], exec
	s_or_b64 s[4:5], s[4:5], s[8:9]
	s_or_b64 exec, exec, s[6:7]
	s_and_saveexec_b64 s[6:7], s[4:5]
	s_cbranch_execnz .LBB14_283
	s_branch .LBB14_284
.LBB14_2333:
	s_movk_i32 s4, 0x80
	v_cmp_eq_u16_sdwa s[12:13], v2, s4 src0_sel:BYTE_3 src1_sel:DWORD
	s_mov_b64 s[4:5], -1
                                        ; implicit-def: $sgpr10
	s_and_saveexec_b64 s[8:9], s[12:13]
; %bb.2334:
	s_mov_b32 s10, 0x7f800001
	s_xor_b64 s[4:5], exec, -1
; %bb.2335:
	s_or_b64 exec, exec, s[8:9]
	s_and_b64 s[4:5], s[4:5], exec
	s_or_saveexec_b64 s[6:7], s[6:7]
	v_mov_b32_e32 v6, s10
	s_xor_b64 exec, exec, s[6:7]
	s_cbranch_execz .LBB14_286
.LBB14_2336:
	v_mov_b32_e32 v6, 0
	v_cmp_ne_u16_sdwa s[8:9], v2, v6 src0_sel:BYTE_3 src1_sel:DWORD
	s_andn2_b64 s[4:5], s[4:5], exec
	s_and_b64 s[8:9], s[8:9], exec
	s_or_b64 s[4:5], s[4:5], s[8:9]
	s_or_b64 exec, exec, s[6:7]
	s_and_saveexec_b64 s[6:7], s[4:5]
	s_cbranch_execnz .LBB14_287
	s_branch .LBB14_288
.LBB14_2337:
	s_movk_i32 s4, 0x80
	v_cmp_eq_u16_sdwa s[12:13], v7, s4 src0_sel:BYTE_0 src1_sel:DWORD
	s_mov_b64 s[4:5], -1
                                        ; implicit-def: $sgpr10
	s_and_saveexec_b64 s[8:9], s[12:13]
; %bb.2338:
	s_mov_b32 s10, 0x7f800001
	s_xor_b64 s[4:5], exec, -1
; %bb.2339:
	s_or_b64 exec, exec, s[8:9]
	s_and_b64 s[4:5], s[4:5], exec
	s_or_saveexec_b64 s[6:7], s[6:7]
	v_mov_b32_e32 v2, s10
	s_xor_b64 exec, exec, s[6:7]
	s_cbranch_execz .LBB14_290
.LBB14_2340:
	v_mov_b32_e32 v2, 0
	v_cmp_ne_u16_sdwa s[8:9], v7, v2 src0_sel:BYTE_0 src1_sel:DWORD
	s_andn2_b64 s[4:5], s[4:5], exec
	s_and_b64 s[8:9], s[8:9], exec
	s_or_b64 s[4:5], s[4:5], s[8:9]
	s_or_b64 exec, exec, s[6:7]
	s_and_saveexec_b64 s[6:7], s[4:5]
	s_cbranch_execnz .LBB14_291
	s_branch .LBB14_292
.LBB14_2341:
	s_movk_i32 s4, 0x80
	v_cmp_eq_u16_sdwa s[12:13], v3, s4 src0_sel:BYTE_0 src1_sel:DWORD
	s_mov_b64 s[4:5], -1
                                        ; implicit-def: $sgpr10
	s_and_saveexec_b64 s[8:9], s[12:13]
; %bb.2342:
	s_mov_b32 s10, 0x7f800001
	s_xor_b64 s[4:5], exec, -1
; %bb.2343:
	s_or_b64 exec, exec, s[8:9]
	s_and_b64 s[4:5], s[4:5], exec
	s_or_saveexec_b64 s[6:7], s[6:7]
	v_mov_b32_e32 v6, s10
	s_xor_b64 exec, exec, s[6:7]
	s_cbranch_execz .LBB14_294
.LBB14_2344:
	v_mov_b32_e32 v6, 0
	v_cmp_ne_u16_sdwa s[8:9], v3, v6 src0_sel:BYTE_0 src1_sel:DWORD
	s_andn2_b64 s[4:5], s[4:5], exec
	s_and_b64 s[8:9], s[8:9], exec
	s_or_b64 s[4:5], s[4:5], s[8:9]
	s_or_b64 exec, exec, s[6:7]
	s_and_saveexec_b64 s[6:7], s[4:5]
	s_cbranch_execnz .LBB14_295
	s_branch .LBB14_296
.LBB14_2345:
	s_movk_i32 s4, 0x80
	v_cmp_eq_u16_sdwa s[12:13], v6, s4 src0_sel:BYTE_0 src1_sel:DWORD
	s_mov_b64 s[4:5], -1
                                        ; implicit-def: $sgpr10
	s_and_saveexec_b64 s[8:9], s[12:13]
; %bb.2346:
	s_mov_b32 s10, 0x7f800001
	s_xor_b64 s[4:5], exec, -1
; %bb.2347:
	s_or_b64 exec, exec, s[8:9]
	s_and_b64 s[4:5], s[4:5], exec
	s_or_saveexec_b64 s[6:7], s[6:7]
	v_mov_b32_e32 v2, s10
	s_xor_b64 exec, exec, s[6:7]
	s_cbranch_execz .LBB14_298
.LBB14_2348:
	v_mov_b32_e32 v2, 0
	v_cmp_ne_u16_sdwa s[8:9], v6, v2 src0_sel:BYTE_0 src1_sel:DWORD
	s_andn2_b64 s[4:5], s[4:5], exec
	s_and_b64 s[8:9], s[8:9], exec
	s_or_b64 s[4:5], s[4:5], s[8:9]
	s_or_b64 exec, exec, s[6:7]
	s_and_saveexec_b64 s[6:7], s[4:5]
	s_cbranch_execnz .LBB14_299
	s_branch .LBB14_300
.LBB14_2349:
	s_movk_i32 s4, 0x80
	v_cmp_eq_u16_sdwa s[12:13], v6, s4 src0_sel:BYTE_0 src1_sel:DWORD
	s_mov_b64 s[4:5], -1
                                        ; implicit-def: $sgpr10
	s_and_saveexec_b64 s[8:9], s[12:13]
; %bb.2350:
	s_mov_b32 s10, 0x7f800001
	s_xor_b64 s[4:5], exec, -1
; %bb.2351:
	s_or_b64 exec, exec, s[8:9]
	s_and_b64 s[4:5], s[4:5], exec
	s_or_saveexec_b64 s[6:7], s[6:7]
	v_mov_b32_e32 v12, s10
	s_xor_b64 exec, exec, s[6:7]
	s_cbranch_execz .LBB14_302
.LBB14_2352:
	v_mov_b32_e32 v12, 0
	v_cmp_ne_u16_sdwa s[8:9], v6, v12 src0_sel:BYTE_0 src1_sel:DWORD
	s_andn2_b64 s[4:5], s[4:5], exec
	s_and_b64 s[8:9], s[8:9], exec
	s_or_b64 s[4:5], s[4:5], s[8:9]
	s_or_b64 exec, exec, s[6:7]
	s_and_saveexec_b64 s[6:7], s[4:5]
	s_cbranch_execnz .LBB14_303
	s_branch .LBB14_304
.LBB14_2353:
	s_movk_i32 s4, 0x80
	v_cmp_eq_u16_e32 vcc, s4, v6
	s_mov_b64 s[4:5], -1
                                        ; implicit-def: $sgpr10
	s_and_saveexec_b64 s[8:9], vcc
; %bb.2354:
	s_mov_b32 s10, 0x7f800001
	s_xor_b64 s[4:5], exec, -1
; %bb.2355:
	s_or_b64 exec, exec, s[8:9]
	s_and_b64 s[4:5], s[4:5], exec
                                        ; implicit-def: $vgpr6
	s_or_saveexec_b64 s[6:7], s[6:7]
	v_mov_b32_e32 v2, s10
	s_xor_b64 exec, exec, s[6:7]
	s_cbranch_execz .LBB14_306
.LBB14_2356:
	v_cmp_ne_u16_e32 vcc, 0, v6
	s_andn2_b64 s[4:5], s[4:5], exec
	s_and_b64 s[8:9], vcc, exec
	v_mov_b32_e32 v2, 0
	s_or_b64 s[4:5], s[4:5], s[8:9]
	s_or_b64 exec, exec, s[6:7]
	s_and_saveexec_b64 s[6:7], s[4:5]
	s_cbranch_execnz .LBB14_307
	s_branch .LBB14_308
.LBB14_2357:
	s_movk_i32 s4, 0x80
	v_cmp_eq_u16_e32 vcc, s4, v6
	s_mov_b64 s[4:5], -1
                                        ; implicit-def: $sgpr10
	s_and_saveexec_b64 s[8:9], vcc
; %bb.2358:
	s_mov_b32 s10, 0x7f800001
	s_xor_b64 s[4:5], exec, -1
; %bb.2359:
	s_or_b64 exec, exec, s[8:9]
	s_and_b64 s[4:5], s[4:5], exec
                                        ; implicit-def: $vgpr6
	s_or_saveexec_b64 s[6:7], s[6:7]
	v_mov_b32_e32 v12, s10
	s_xor_b64 exec, exec, s[6:7]
	s_cbranch_execz .LBB14_310
.LBB14_2360:
	v_cmp_ne_u16_e32 vcc, 0, v6
	s_andn2_b64 s[4:5], s[4:5], exec
	s_and_b64 s[8:9], vcc, exec
	v_mov_b32_e32 v12, 0
	s_or_b64 s[4:5], s[4:5], s[8:9]
	s_or_b64 exec, exec, s[6:7]
	s_and_saveexec_b64 s[6:7], s[4:5]
	s_cbranch_execnz .LBB14_311
	s_branch .LBB14_312
.LBB14_2361:
	s_movk_i32 s4, 0x80
	v_cmp_eq_u16_sdwa s[12:13], v7, s4 src0_sel:BYTE_3 src1_sel:DWORD
	s_mov_b64 s[4:5], -1
                                        ; implicit-def: $sgpr10
	s_and_saveexec_b64 s[8:9], s[12:13]
; %bb.2362:
	s_mov_b32 s10, 0x7f800001
	s_xor_b64 s[4:5], exec, -1
; %bb.2363:
	s_or_b64 exec, exec, s[8:9]
	s_and_b64 s[4:5], s[4:5], exec
	s_or_saveexec_b64 s[6:7], s[6:7]
	v_mov_b32_e32 v2, s10
	s_xor_b64 exec, exec, s[6:7]
	s_cbranch_execz .LBB14_314
.LBB14_2364:
	v_mov_b32_e32 v2, 0
	v_cmp_ne_u16_sdwa s[8:9], v7, v2 src0_sel:BYTE_3 src1_sel:DWORD
	s_andn2_b64 s[4:5], s[4:5], exec
	s_and_b64 s[8:9], s[8:9], exec
	s_or_b64 s[4:5], s[4:5], s[8:9]
	s_or_b64 exec, exec, s[6:7]
	s_and_saveexec_b64 s[6:7], s[4:5]
	s_cbranch_execnz .LBB14_315
	s_branch .LBB14_316
.LBB14_2365:
	s_movk_i32 s4, 0x80
	v_cmp_eq_u16_sdwa s[12:13], v3, s4 src0_sel:BYTE_3 src1_sel:DWORD
	s_mov_b64 s[4:5], -1
                                        ; implicit-def: $sgpr10
	s_and_saveexec_b64 s[8:9], s[12:13]
; %bb.2366:
	s_mov_b32 s10, 0x7f800001
	s_xor_b64 s[4:5], exec, -1
; %bb.2367:
	s_or_b64 exec, exec, s[8:9]
	s_and_b64 s[4:5], s[4:5], exec
	s_or_saveexec_b64 s[6:7], s[6:7]
	v_mov_b32_e32 v6, s10
	s_xor_b64 exec, exec, s[6:7]
	s_cbranch_execz .LBB14_318
.LBB14_2368:
	v_mov_b32_e32 v6, 0
	v_cmp_ne_u16_sdwa s[8:9], v3, v6 src0_sel:BYTE_3 src1_sel:DWORD
	s_andn2_b64 s[4:5], s[4:5], exec
	s_and_b64 s[8:9], s[8:9], exec
	s_or_b64 s[4:5], s[4:5], s[8:9]
	s_or_b64 exec, exec, s[6:7]
	s_and_saveexec_b64 s[6:7], s[4:5]
	s_cbranch_execnz .LBB14_319
	s_branch .LBB14_320
.LBB14_2369:
	s_movk_i32 s4, 0x80
	v_cmp_eq_u16_sdwa s[12:13], v8, s4 src0_sel:BYTE_0 src1_sel:DWORD
	s_mov_b64 s[4:5], -1
                                        ; implicit-def: $sgpr10
	s_and_saveexec_b64 s[8:9], s[12:13]
; %bb.2370:
	s_mov_b32 s10, 0x7f800001
	s_xor_b64 s[4:5], exec, -1
; %bb.2371:
	s_or_b64 exec, exec, s[8:9]
	s_and_b64 s[4:5], s[4:5], exec
	s_or_saveexec_b64 s[6:7], s[6:7]
	v_mov_b32_e32 v2, s10
	s_xor_b64 exec, exec, s[6:7]
	s_cbranch_execz .LBB14_322
.LBB14_2372:
	v_mov_b32_e32 v2, 0
	v_cmp_ne_u16_sdwa s[8:9], v8, v2 src0_sel:BYTE_0 src1_sel:DWORD
	s_andn2_b64 s[4:5], s[4:5], exec
	s_and_b64 s[8:9], s[8:9], exec
	s_or_b64 s[4:5], s[4:5], s[8:9]
	s_or_b64 exec, exec, s[6:7]
	s_and_saveexec_b64 s[6:7], s[4:5]
	s_cbranch_execnz .LBB14_323
	s_branch .LBB14_324
.LBB14_2373:
	s_movk_i32 s4, 0x80
	v_cmp_eq_u16_sdwa s[12:13], v4, s4 src0_sel:BYTE_0 src1_sel:DWORD
	s_mov_b64 s[4:5], -1
                                        ; implicit-def: $sgpr10
	s_and_saveexec_b64 s[8:9], s[12:13]
; %bb.2374:
	s_mov_b32 s10, 0x7f800001
	s_xor_b64 s[4:5], exec, -1
; %bb.2375:
	s_or_b64 exec, exec, s[8:9]
	s_and_b64 s[4:5], s[4:5], exec
	s_or_saveexec_b64 s[6:7], s[6:7]
	v_mov_b32_e32 v3, s10
	s_xor_b64 exec, exec, s[6:7]
	s_cbranch_execz .LBB14_326
.LBB14_2376:
	v_mov_b32_e32 v3, 0
	v_cmp_ne_u16_sdwa s[8:9], v4, v3 src0_sel:BYTE_0 src1_sel:DWORD
	s_andn2_b64 s[4:5], s[4:5], exec
	s_and_b64 s[8:9], s[8:9], exec
	s_or_b64 s[4:5], s[4:5], s[8:9]
	s_or_b64 exec, exec, s[6:7]
	s_and_saveexec_b64 s[6:7], s[4:5]
	s_cbranch_execnz .LBB14_327
	s_branch .LBB14_328
.LBB14_2377:
	s_movk_i32 s4, 0x80
	v_cmp_eq_u16_sdwa s[12:13], v3, s4 src0_sel:BYTE_0 src1_sel:DWORD
	s_mov_b64 s[4:5], -1
                                        ; implicit-def: $sgpr10
	s_and_saveexec_b64 s[8:9], s[12:13]
; %bb.2378:
	s_mov_b32 s10, 0x7f800001
	s_xor_b64 s[4:5], exec, -1
; %bb.2379:
	s_or_b64 exec, exec, s[8:9]
	s_and_b64 s[4:5], s[4:5], exec
	s_or_saveexec_b64 s[6:7], s[6:7]
	v_mov_b32_e32 v2, s10
	s_xor_b64 exec, exec, s[6:7]
	s_cbranch_execz .LBB14_330
.LBB14_2380:
	v_mov_b32_e32 v2, 0
	v_cmp_ne_u16_sdwa s[8:9], v3, v2 src0_sel:BYTE_0 src1_sel:DWORD
	s_andn2_b64 s[4:5], s[4:5], exec
	s_and_b64 s[8:9], s[8:9], exec
	s_or_b64 s[4:5], s[4:5], s[8:9]
	s_or_b64 exec, exec, s[6:7]
	s_and_saveexec_b64 s[6:7], s[4:5]
	s_cbranch_execnz .LBB14_331
	s_branch .LBB14_332
.LBB14_2381:
	s_movk_i32 s4, 0x80
	v_cmp_eq_u16_sdwa s[12:13], v3, s4 src0_sel:BYTE_0 src1_sel:DWORD
	s_mov_b64 s[4:5], -1
                                        ; implicit-def: $sgpr10
	s_and_saveexec_b64 s[8:9], s[12:13]
; %bb.2382:
	s_mov_b32 s10, 0x7f800001
	s_xor_b64 s[4:5], exec, -1
; %bb.2383:
	s_or_b64 exec, exec, s[8:9]
	s_and_b64 s[4:5], s[4:5], exec
	s_or_saveexec_b64 s[6:7], s[6:7]
	v_mov_b32_e32 v6, s10
	s_xor_b64 exec, exec, s[6:7]
	s_cbranch_execz .LBB14_334
.LBB14_2384:
	v_mov_b32_e32 v6, 0
	v_cmp_ne_u16_sdwa s[8:9], v3, v6 src0_sel:BYTE_0 src1_sel:DWORD
	s_andn2_b64 s[4:5], s[4:5], exec
	s_and_b64 s[8:9], s[8:9], exec
	s_or_b64 s[4:5], s[4:5], s[8:9]
	s_or_b64 exec, exec, s[6:7]
	s_and_saveexec_b64 s[6:7], s[4:5]
	s_cbranch_execnz .LBB14_335
	s_branch .LBB14_336
.LBB14_2385:
	s_movk_i32 s4, 0x80
	v_cmp_eq_u16_e32 vcc, s4, v3
	s_mov_b64 s[4:5], -1
                                        ; implicit-def: $sgpr10
	s_and_saveexec_b64 s[8:9], vcc
; %bb.2386:
	s_mov_b32 s10, 0x7f800001
	s_xor_b64 s[4:5], exec, -1
; %bb.2387:
	s_or_b64 exec, exec, s[8:9]
	s_and_b64 s[4:5], s[4:5], exec
                                        ; implicit-def: $vgpr3
	s_or_saveexec_b64 s[6:7], s[6:7]
	v_mov_b32_e32 v2, s10
	s_xor_b64 exec, exec, s[6:7]
	s_cbranch_execz .LBB14_338
.LBB14_2388:
	v_cmp_ne_u16_e32 vcc, 0, v3
	s_andn2_b64 s[4:5], s[4:5], exec
	s_and_b64 s[8:9], vcc, exec
	v_mov_b32_e32 v2, 0
	s_or_b64 s[4:5], s[4:5], s[8:9]
	s_or_b64 exec, exec, s[6:7]
	s_and_saveexec_b64 s[6:7], s[4:5]
	s_cbranch_execnz .LBB14_339
	s_branch .LBB14_340
.LBB14_2389:
	s_movk_i32 s4, 0x80
	v_cmp_eq_u16_e32 vcc, s4, v3
	s_mov_b64 s[4:5], -1
                                        ; implicit-def: $sgpr10
	s_and_saveexec_b64 s[8:9], vcc
; %bb.2390:
	s_mov_b32 s10, 0x7f800001
	s_xor_b64 s[4:5], exec, -1
; %bb.2391:
	s_or_b64 exec, exec, s[8:9]
	s_and_b64 s[4:5], s[4:5], exec
                                        ; implicit-def: $vgpr3
	s_or_saveexec_b64 s[6:7], s[6:7]
	v_mov_b32_e32 v6, s10
	s_xor_b64 exec, exec, s[6:7]
	s_cbranch_execz .LBB14_342
.LBB14_2392:
	v_cmp_ne_u16_e32 vcc, 0, v3
	s_andn2_b64 s[4:5], s[4:5], exec
	s_and_b64 s[8:9], vcc, exec
	v_mov_b32_e32 v6, 0
	s_or_b64 s[4:5], s[4:5], s[8:9]
	s_or_b64 exec, exec, s[6:7]
	s_and_saveexec_b64 s[6:7], s[4:5]
	s_cbranch_execnz .LBB14_343
	s_branch .LBB14_344
.LBB14_2393:
	s_movk_i32 s4, 0x80
	v_cmp_eq_u16_sdwa s[12:13], v8, s4 src0_sel:BYTE_3 src1_sel:DWORD
	s_mov_b64 s[4:5], -1
                                        ; implicit-def: $sgpr10
	s_and_saveexec_b64 s[8:9], s[12:13]
; %bb.2394:
	s_mov_b32 s10, 0x7f800001
	s_xor_b64 s[4:5], exec, -1
; %bb.2395:
	s_or_b64 exec, exec, s[8:9]
	s_and_b64 s[4:5], s[4:5], exec
	s_or_saveexec_b64 s[6:7], s[6:7]
	v_mov_b32_e32 v2, s10
	s_xor_b64 exec, exec, s[6:7]
	s_cbranch_execz .LBB14_346
.LBB14_2396:
	v_mov_b32_e32 v2, 0
	v_cmp_ne_u16_sdwa s[8:9], v8, v2 src0_sel:BYTE_3 src1_sel:DWORD
	s_andn2_b64 s[4:5], s[4:5], exec
	s_and_b64 s[8:9], s[8:9], exec
	s_or_b64 s[4:5], s[4:5], s[8:9]
	s_or_b64 exec, exec, s[6:7]
	s_and_saveexec_b64 s[6:7], s[4:5]
	s_cbranch_execnz .LBB14_347
	s_branch .LBB14_348
.LBB14_2397:
	s_movk_i32 s4, 0x80
	v_cmp_eq_u16_sdwa s[12:13], v4, s4 src0_sel:BYTE_3 src1_sel:DWORD
	s_mov_b64 s[4:5], -1
                                        ; implicit-def: $sgpr10
	s_and_saveexec_b64 s[8:9], s[12:13]
; %bb.2398:
	s_mov_b32 s10, 0x7f800001
	s_xor_b64 s[4:5], exec, -1
; %bb.2399:
	s_or_b64 exec, exec, s[8:9]
	s_and_b64 s[4:5], s[4:5], exec
	s_or_saveexec_b64 s[6:7], s[6:7]
	v_mov_b32_e32 v3, s10
	s_xor_b64 exec, exec, s[6:7]
	s_cbranch_execz .LBB14_350
.LBB14_2400:
	v_mov_b32_e32 v3, 0
	v_cmp_ne_u16_sdwa s[8:9], v4, v3 src0_sel:BYTE_3 src1_sel:DWORD
	s_andn2_b64 s[4:5], s[4:5], exec
	s_and_b64 s[8:9], s[8:9], exec
	s_or_b64 s[4:5], s[4:5], s[8:9]
	s_or_b64 exec, exec, s[6:7]
	s_and_saveexec_b64 s[6:7], s[4:5]
	s_cbranch_execnz .LBB14_351
	s_branch .LBB14_352
.LBB14_2401:
	s_movk_i32 s4, 0x80
	v_cmp_eq_u16_sdwa s[12:13], v9, s4 src0_sel:BYTE_0 src1_sel:DWORD
	s_mov_b64 s[4:5], -1
                                        ; implicit-def: $sgpr10
	s_and_saveexec_b64 s[8:9], s[12:13]
; %bb.2402:
	s_mov_b32 s10, 0x7f800001
	s_xor_b64 s[4:5], exec, -1
; %bb.2403:
	s_or_b64 exec, exec, s[8:9]
	s_and_b64 s[4:5], s[4:5], exec
	s_or_saveexec_b64 s[6:7], s[6:7]
	v_mov_b32_e32 v2, s10
	s_xor_b64 exec, exec, s[6:7]
	s_cbranch_execz .LBB14_354
.LBB14_2404:
	v_mov_b32_e32 v2, 0
	v_cmp_ne_u16_sdwa s[8:9], v9, v2 src0_sel:BYTE_0 src1_sel:DWORD
	s_andn2_b64 s[4:5], s[4:5], exec
	s_and_b64 s[8:9], s[8:9], exec
	s_or_b64 s[4:5], s[4:5], s[8:9]
	s_or_b64 exec, exec, s[6:7]
	s_and_saveexec_b64 s[6:7], s[4:5]
	s_cbranch_execnz .LBB14_355
	s_branch .LBB14_356
.LBB14_2405:
	s_movk_i32 s4, 0x80
	v_cmp_eq_u16_sdwa s[12:13], v5, s4 src0_sel:BYTE_0 src1_sel:DWORD
	s_mov_b64 s[4:5], -1
                                        ; implicit-def: $sgpr10
	s_and_saveexec_b64 s[8:9], s[12:13]
; %bb.2406:
	s_mov_b32 s10, 0x7f800001
	s_xor_b64 s[4:5], exec, -1
; %bb.2407:
	s_or_b64 exec, exec, s[8:9]
	s_and_b64 s[4:5], s[4:5], exec
	s_or_saveexec_b64 s[6:7], s[6:7]
	v_mov_b32_e32 v3, s10
	s_xor_b64 exec, exec, s[6:7]
	s_cbranch_execz .LBB14_358
.LBB14_2408:
	v_mov_b32_e32 v3, 0
	v_cmp_ne_u16_sdwa s[8:9], v5, v3 src0_sel:BYTE_0 src1_sel:DWORD
	s_andn2_b64 s[4:5], s[4:5], exec
	s_and_b64 s[8:9], s[8:9], exec
	s_or_b64 s[4:5], s[4:5], s[8:9]
	s_or_b64 exec, exec, s[6:7]
	s_and_saveexec_b64 s[6:7], s[4:5]
	s_cbranch_execnz .LBB14_359
	s_branch .LBB14_360
.LBB14_2409:
	s_movk_i32 s4, 0x80
	v_cmp_eq_u16_sdwa s[12:13], v3, s4 src0_sel:BYTE_0 src1_sel:DWORD
	s_mov_b64 s[4:5], -1
                                        ; implicit-def: $sgpr10
	s_and_saveexec_b64 s[8:9], s[12:13]
; %bb.2410:
	s_mov_b32 s10, 0x7f800001
	s_xor_b64 s[4:5], exec, -1
; %bb.2411:
	s_or_b64 exec, exec, s[8:9]
	s_and_b64 s[4:5], s[4:5], exec
	s_or_saveexec_b64 s[6:7], s[6:7]
	v_mov_b32_e32 v2, s10
	s_xor_b64 exec, exec, s[6:7]
	s_cbranch_execz .LBB14_362
.LBB14_2412:
	v_mov_b32_e32 v2, 0
	v_cmp_ne_u16_sdwa s[8:9], v3, v2 src0_sel:BYTE_0 src1_sel:DWORD
	s_andn2_b64 s[4:5], s[4:5], exec
	s_and_b64 s[8:9], s[8:9], exec
	s_or_b64 s[4:5], s[4:5], s[8:9]
	s_or_b64 exec, exec, s[6:7]
	s_and_saveexec_b64 s[6:7], s[4:5]
	s_cbranch_execnz .LBB14_363
	s_branch .LBB14_364
.LBB14_2413:
	s_movk_i32 s4, 0x80
	v_cmp_eq_u16_sdwa s[12:13], v3, s4 src0_sel:BYTE_0 src1_sel:DWORD
	s_mov_b64 s[4:5], -1
                                        ; implicit-def: $sgpr10
	s_and_saveexec_b64 s[8:9], s[12:13]
; %bb.2414:
	s_mov_b32 s10, 0x7f800001
	s_xor_b64 s[4:5], exec, -1
; %bb.2415:
	s_or_b64 exec, exec, s[8:9]
	s_and_b64 s[4:5], s[4:5], exec
	s_or_saveexec_b64 s[6:7], s[6:7]
	v_mov_b32_e32 v4, s10
	s_xor_b64 exec, exec, s[6:7]
	s_cbranch_execz .LBB14_366
.LBB14_2416:
	v_mov_b32_e32 v4, 0
	v_cmp_ne_u16_sdwa s[8:9], v3, v4 src0_sel:BYTE_0 src1_sel:DWORD
	s_andn2_b64 s[4:5], s[4:5], exec
	s_and_b64 s[8:9], s[8:9], exec
	s_or_b64 s[4:5], s[4:5], s[8:9]
	s_or_b64 exec, exec, s[6:7]
	s_and_saveexec_b64 s[6:7], s[4:5]
	s_cbranch_execnz .LBB14_367
	s_branch .LBB14_368
.LBB14_2417:
	s_movk_i32 s4, 0x80
	v_cmp_eq_u16_e32 vcc, s4, v3
	s_mov_b64 s[4:5], -1
                                        ; implicit-def: $sgpr10
	s_and_saveexec_b64 s[8:9], vcc
; %bb.2418:
	s_mov_b32 s10, 0x7f800001
	s_xor_b64 s[4:5], exec, -1
; %bb.2419:
	s_or_b64 exec, exec, s[8:9]
	s_and_b64 s[4:5], s[4:5], exec
                                        ; implicit-def: $vgpr3
	s_or_saveexec_b64 s[6:7], s[6:7]
	v_mov_b32_e32 v2, s10
	s_xor_b64 exec, exec, s[6:7]
	s_cbranch_execz .LBB14_370
.LBB14_2420:
	v_cmp_ne_u16_e32 vcc, 0, v3
	s_andn2_b64 s[4:5], s[4:5], exec
	s_and_b64 s[8:9], vcc, exec
	v_mov_b32_e32 v2, 0
	s_or_b64 s[4:5], s[4:5], s[8:9]
	s_or_b64 exec, exec, s[6:7]
	s_and_saveexec_b64 s[6:7], s[4:5]
	s_cbranch_execnz .LBB14_371
	s_branch .LBB14_372
.LBB14_2421:
	s_movk_i32 s4, 0x80
	v_cmp_eq_u16_e32 vcc, s4, v3
	s_mov_b64 s[4:5], -1
                                        ; implicit-def: $sgpr10
	s_and_saveexec_b64 s[8:9], vcc
; %bb.2422:
	s_mov_b32 s10, 0x7f800001
	s_xor_b64 s[4:5], exec, -1
; %bb.2423:
	s_or_b64 exec, exec, s[8:9]
	s_and_b64 s[4:5], s[4:5], exec
                                        ; implicit-def: $vgpr3
	s_or_saveexec_b64 s[6:7], s[6:7]
	v_mov_b32_e32 v4, s10
	s_xor_b64 exec, exec, s[6:7]
	s_cbranch_execz .LBB14_374
.LBB14_2424:
	v_cmp_ne_u16_e32 vcc, 0, v3
	s_andn2_b64 s[4:5], s[4:5], exec
	s_and_b64 s[8:9], vcc, exec
	v_mov_b32_e32 v4, 0
	s_or_b64 s[4:5], s[4:5], s[8:9]
	s_or_b64 exec, exec, s[6:7]
	s_and_saveexec_b64 s[6:7], s[4:5]
	s_cbranch_execnz .LBB14_375
	s_branch .LBB14_376
.LBB14_2425:
	s_movk_i32 s4, 0x80
	v_cmp_eq_u16_sdwa s[12:13], v9, s4 src0_sel:BYTE_3 src1_sel:DWORD
	s_mov_b64 s[4:5], -1
                                        ; implicit-def: $sgpr10
	s_and_saveexec_b64 s[8:9], s[12:13]
; %bb.2426:
	s_mov_b32 s10, 0x7f800001
	s_xor_b64 s[4:5], exec, -1
; %bb.2427:
	s_or_b64 exec, exec, s[8:9]
	s_and_b64 s[4:5], s[4:5], exec
	s_or_saveexec_b64 s[6:7], s[6:7]
	v_mov_b32_e32 v2, s10
	s_xor_b64 exec, exec, s[6:7]
	s_cbranch_execz .LBB14_378
.LBB14_2428:
	v_mov_b32_e32 v2, 0
	v_cmp_ne_u16_sdwa s[8:9], v9, v2 src0_sel:BYTE_3 src1_sel:DWORD
	s_andn2_b64 s[4:5], s[4:5], exec
	s_and_b64 s[8:9], s[8:9], exec
	s_or_b64 s[4:5], s[4:5], s[8:9]
	s_or_b64 exec, exec, s[6:7]
	s_and_saveexec_b64 s[6:7], s[4:5]
	s_cbranch_execnz .LBB14_379
	s_branch .LBB14_380
.LBB14_2429:
	s_movk_i32 s4, 0x80
	v_cmp_eq_u16_sdwa s[12:13], v5, s4 src0_sel:BYTE_3 src1_sel:DWORD
	s_mov_b64 s[4:5], -1
                                        ; implicit-def: $sgpr10
	s_and_saveexec_b64 s[8:9], s[12:13]
; %bb.2430:
	s_mov_b32 s10, 0x7f800001
	s_xor_b64 s[4:5], exec, -1
; %bb.2431:
	s_or_b64 exec, exec, s[8:9]
	s_and_b64 s[4:5], s[4:5], exec
	s_or_saveexec_b64 s[6:7], s[6:7]
	v_mov_b32_e32 v3, s10
	s_xor_b64 exec, exec, s[6:7]
	s_cbranch_execz .LBB14_382
.LBB14_2432:
	v_mov_b32_e32 v3, 0
	v_cmp_ne_u16_sdwa s[8:9], v5, v3 src0_sel:BYTE_3 src1_sel:DWORD
	s_andn2_b64 s[4:5], s[4:5], exec
	s_and_b64 s[8:9], s[8:9], exec
	s_or_b64 s[4:5], s[4:5], s[8:9]
	s_or_b64 exec, exec, s[6:7]
	s_and_saveexec_b64 s[6:7], s[4:5]
	s_cbranch_execnz .LBB14_383
	s_branch .LBB14_384
.LBB14_2433:
	s_movk_i32 s4, 0x80
	v_cmp_eq_u16_sdwa s[12:13], v6, s4 src0_sel:BYTE_0 src1_sel:DWORD
	s_mov_b64 s[4:5], -1
                                        ; implicit-def: $sgpr10
	s_and_saveexec_b64 s[8:9], s[12:13]
; %bb.2434:
	s_mov_b32 s10, 0x7f800001
	s_xor_b64 s[4:5], exec, -1
; %bb.2435:
	s_or_b64 exec, exec, s[8:9]
	s_and_b64 s[4:5], s[4:5], exec
	s_or_saveexec_b64 s[6:7], s[6:7]
	v_mov_b32_e32 v12, s10
	s_xor_b64 exec, exec, s[6:7]
	s_cbranch_execz .LBB14_386
.LBB14_2436:
	v_mov_b32_e32 v12, 0
	v_cmp_ne_u16_sdwa s[8:9], v6, v12 src0_sel:BYTE_0 src1_sel:DWORD
	s_andn2_b64 s[4:5], s[4:5], exec
	s_and_b64 s[8:9], s[8:9], exec
	s_or_b64 s[4:5], s[4:5], s[8:9]
	s_or_b64 exec, exec, s[6:7]
	s_and_saveexec_b64 s[6:7], s[4:5]
	s_cbranch_execnz .LBB14_387
	s_branch .LBB14_388
.LBB14_2437:
	s_movk_i32 s4, 0x80
	v_cmp_eq_u16_sdwa s[12:13], v2, s4 src0_sel:BYTE_0 src1_sel:DWORD
	s_mov_b64 s[4:5], -1
                                        ; implicit-def: $sgpr10
	s_and_saveexec_b64 s[8:9], s[12:13]
; %bb.2438:
	s_mov_b32 s10, 0x7f800001
	s_xor_b64 s[4:5], exec, -1
; %bb.2439:
	s_or_b64 exec, exec, s[8:9]
	s_and_b64 s[4:5], s[4:5], exec
	s_or_saveexec_b64 s[6:7], s[6:7]
	v_mov_b32_e32 v13, s10
	s_xor_b64 exec, exec, s[6:7]
	s_cbranch_execz .LBB14_390
.LBB14_2440:
	v_mov_b32_e32 v13, 0
	v_cmp_ne_u16_sdwa s[8:9], v2, v13 src0_sel:BYTE_0 src1_sel:DWORD
	s_andn2_b64 s[4:5], s[4:5], exec
	s_and_b64 s[8:9], s[8:9], exec
	s_or_b64 s[4:5], s[4:5], s[8:9]
	s_or_b64 exec, exec, s[6:7]
	s_and_saveexec_b64 s[6:7], s[4:5]
	s_cbranch_execnz .LBB14_391
	s_branch .LBB14_392
.LBB14_2441:
	s_movk_i32 s4, 0x80
	v_cmp_eq_u16_sdwa s[12:13], v13, s4 src0_sel:BYTE_0 src1_sel:DWORD
	s_mov_b64 s[4:5], -1
                                        ; implicit-def: $sgpr10
	s_and_saveexec_b64 s[8:9], s[12:13]
; %bb.2442:
	s_mov_b32 s10, 0x7f800001
	s_xor_b64 s[4:5], exec, -1
; %bb.2443:
	s_or_b64 exec, exec, s[8:9]
	s_and_b64 s[4:5], s[4:5], exec
	s_or_saveexec_b64 s[6:7], s[6:7]
	v_mov_b32_e32 v12, s10
	s_xor_b64 exec, exec, s[6:7]
	s_cbranch_execz .LBB14_394
.LBB14_2444:
	v_mov_b32_e32 v12, 0
	v_cmp_ne_u16_sdwa s[8:9], v13, v12 src0_sel:BYTE_0 src1_sel:DWORD
	s_andn2_b64 s[4:5], s[4:5], exec
	s_and_b64 s[8:9], s[8:9], exec
	s_or_b64 s[4:5], s[4:5], s[8:9]
	s_or_b64 exec, exec, s[6:7]
	s_and_saveexec_b64 s[6:7], s[4:5]
	s_cbranch_execnz .LBB14_395
	s_branch .LBB14_396
.LBB14_2445:
	s_movk_i32 s4, 0x80
	v_cmp_eq_u16_sdwa s[12:13], v13, s4 src0_sel:BYTE_0 src1_sel:DWORD
	s_mov_b64 s[4:5], -1
                                        ; implicit-def: $sgpr10
	s_and_saveexec_b64 s[8:9], s[12:13]
; %bb.2446:
	s_mov_b32 s10, 0x7f800001
	s_xor_b64 s[4:5], exec, -1
; %bb.2447:
	s_or_b64 exec, exec, s[8:9]
	s_and_b64 s[4:5], s[4:5], exec
	s_or_saveexec_b64 s[6:7], s[6:7]
	v_mov_b32_e32 v14, s10
	s_xor_b64 exec, exec, s[6:7]
	s_cbranch_execz .LBB14_398
.LBB14_2448:
	v_mov_b32_e32 v14, 0
	v_cmp_ne_u16_sdwa s[8:9], v13, v14 src0_sel:BYTE_0 src1_sel:DWORD
	s_andn2_b64 s[4:5], s[4:5], exec
	s_and_b64 s[8:9], s[8:9], exec
	s_or_b64 s[4:5], s[4:5], s[8:9]
	s_or_b64 exec, exec, s[6:7]
	s_and_saveexec_b64 s[6:7], s[4:5]
	s_cbranch_execnz .LBB14_399
	s_branch .LBB14_400
.LBB14_2449:
	s_movk_i32 s4, 0x80
	v_cmp_eq_u16_e32 vcc, s4, v13
	s_mov_b64 s[4:5], -1
                                        ; implicit-def: $sgpr10
	s_and_saveexec_b64 s[8:9], vcc
; %bb.2450:
	s_mov_b32 s10, 0x7f800001
	s_xor_b64 s[4:5], exec, -1
; %bb.2451:
	s_or_b64 exec, exec, s[8:9]
	s_and_b64 s[4:5], s[4:5], exec
                                        ; implicit-def: $vgpr13
	s_or_saveexec_b64 s[6:7], s[6:7]
	v_mov_b32_e32 v12, s10
	s_xor_b64 exec, exec, s[6:7]
	s_cbranch_execz .LBB14_402
.LBB14_2452:
	v_cmp_ne_u16_e32 vcc, 0, v13
	s_andn2_b64 s[4:5], s[4:5], exec
	s_and_b64 s[8:9], vcc, exec
	v_mov_b32_e32 v12, 0
	s_or_b64 s[4:5], s[4:5], s[8:9]
	s_or_b64 exec, exec, s[6:7]
	s_and_saveexec_b64 s[6:7], s[4:5]
	s_cbranch_execnz .LBB14_403
	s_branch .LBB14_404
.LBB14_2453:
	s_movk_i32 s4, 0x80
	v_cmp_eq_u16_e32 vcc, s4, v13
	s_mov_b64 s[4:5], -1
                                        ; implicit-def: $sgpr10
	s_and_saveexec_b64 s[8:9], vcc
; %bb.2454:
	s_mov_b32 s10, 0x7f800001
	s_xor_b64 s[4:5], exec, -1
; %bb.2455:
	s_or_b64 exec, exec, s[8:9]
	s_and_b64 s[4:5], s[4:5], exec
                                        ; implicit-def: $vgpr13
	s_or_saveexec_b64 s[6:7], s[6:7]
	v_mov_b32_e32 v14, s10
	s_xor_b64 exec, exec, s[6:7]
	s_cbranch_execz .LBB14_406
.LBB14_2456:
	v_cmp_ne_u16_e32 vcc, 0, v13
	s_andn2_b64 s[4:5], s[4:5], exec
	s_and_b64 s[8:9], vcc, exec
	v_mov_b32_e32 v14, 0
	s_or_b64 s[4:5], s[4:5], s[8:9]
	s_or_b64 exec, exec, s[6:7]
	s_and_saveexec_b64 s[6:7], s[4:5]
	s_cbranch_execnz .LBB14_407
	s_branch .LBB14_408
.LBB14_2457:
	s_movk_i32 s4, 0x80
	v_cmp_eq_u16_sdwa s[12:13], v6, s4 src0_sel:BYTE_3 src1_sel:DWORD
	s_mov_b64 s[4:5], -1
                                        ; implicit-def: $sgpr10
	s_and_saveexec_b64 s[8:9], s[12:13]
; %bb.2458:
	s_mov_b32 s10, 0x7f800001
	s_xor_b64 s[4:5], exec, -1
; %bb.2459:
	s_or_b64 exec, exec, s[8:9]
	s_and_b64 s[4:5], s[4:5], exec
	s_or_saveexec_b64 s[6:7], s[6:7]
	v_mov_b32_e32 v12, s10
	s_xor_b64 exec, exec, s[6:7]
	s_cbranch_execz .LBB14_410
.LBB14_2460:
	v_mov_b32_e32 v12, 0
	v_cmp_ne_u16_sdwa s[8:9], v6, v12 src0_sel:BYTE_3 src1_sel:DWORD
	s_andn2_b64 s[4:5], s[4:5], exec
	s_and_b64 s[8:9], s[8:9], exec
	s_or_b64 s[4:5], s[4:5], s[8:9]
	s_or_b64 exec, exec, s[6:7]
	s_and_saveexec_b64 s[6:7], s[4:5]
	s_cbranch_execnz .LBB14_411
	s_branch .LBB14_412
.LBB14_2461:
	s_movk_i32 s4, 0x80
	v_cmp_eq_u16_sdwa s[12:13], v2, s4 src0_sel:BYTE_3 src1_sel:DWORD
	s_mov_b64 s[4:5], -1
                                        ; implicit-def: $sgpr10
	s_and_saveexec_b64 s[8:9], s[12:13]
; %bb.2462:
	s_mov_b32 s10, 0x7f800001
	s_xor_b64 s[4:5], exec, -1
; %bb.2463:
	s_or_b64 exec, exec, s[8:9]
	s_and_b64 s[4:5], s[4:5], exec
	s_or_saveexec_b64 s[6:7], s[6:7]
	v_mov_b32_e32 v6, s10
	s_xor_b64 exec, exec, s[6:7]
	s_cbranch_execz .LBB14_414
.LBB14_2464:
	v_mov_b32_e32 v6, 0
	v_cmp_ne_u16_sdwa s[8:9], v2, v6 src0_sel:BYTE_3 src1_sel:DWORD
	s_andn2_b64 s[4:5], s[4:5], exec
	s_and_b64 s[8:9], s[8:9], exec
	s_or_b64 s[4:5], s[4:5], s[8:9]
	s_or_b64 exec, exec, s[6:7]
	s_and_saveexec_b64 s[6:7], s[4:5]
	s_cbranch_execnz .LBB14_415
	s_branch .LBB14_416
.LBB14_2465:
	s_movk_i32 s4, 0x80
	v_cmp_eq_u16_sdwa s[12:13], v7, s4 src0_sel:BYTE_0 src1_sel:DWORD
	s_mov_b64 s[4:5], -1
                                        ; implicit-def: $sgpr10
	s_and_saveexec_b64 s[8:9], s[12:13]
; %bb.2466:
	s_mov_b32 s10, 0x7f800001
	s_xor_b64 s[4:5], exec, -1
; %bb.2467:
	s_or_b64 exec, exec, s[8:9]
	s_and_b64 s[4:5], s[4:5], exec
	s_or_saveexec_b64 s[6:7], s[6:7]
	v_mov_b32_e32 v2, s10
	s_xor_b64 exec, exec, s[6:7]
	s_cbranch_execz .LBB14_418
.LBB14_2468:
	v_mov_b32_e32 v2, 0
	v_cmp_ne_u16_sdwa s[8:9], v7, v2 src0_sel:BYTE_0 src1_sel:DWORD
	s_andn2_b64 s[4:5], s[4:5], exec
	s_and_b64 s[8:9], s[8:9], exec
	s_or_b64 s[4:5], s[4:5], s[8:9]
	s_or_b64 exec, exec, s[6:7]
	s_and_saveexec_b64 s[6:7], s[4:5]
	s_cbranch_execnz .LBB14_419
	s_branch .LBB14_420
.LBB14_2469:
	s_movk_i32 s4, 0x80
	v_cmp_eq_u16_sdwa s[12:13], v3, s4 src0_sel:BYTE_0 src1_sel:DWORD
	s_mov_b64 s[4:5], -1
                                        ; implicit-def: $sgpr10
	s_and_saveexec_b64 s[8:9], s[12:13]
; %bb.2470:
	s_mov_b32 s10, 0x7f800001
	s_xor_b64 s[4:5], exec, -1
; %bb.2471:
	s_or_b64 exec, exec, s[8:9]
	s_and_b64 s[4:5], s[4:5], exec
	s_or_saveexec_b64 s[6:7], s[6:7]
	v_mov_b32_e32 v6, s10
	s_xor_b64 exec, exec, s[6:7]
	s_cbranch_execz .LBB14_422
.LBB14_2472:
	v_mov_b32_e32 v6, 0
	v_cmp_ne_u16_sdwa s[8:9], v3, v6 src0_sel:BYTE_0 src1_sel:DWORD
	s_andn2_b64 s[4:5], s[4:5], exec
	s_and_b64 s[8:9], s[8:9], exec
	s_or_b64 s[4:5], s[4:5], s[8:9]
	s_or_b64 exec, exec, s[6:7]
	s_and_saveexec_b64 s[6:7], s[4:5]
	s_cbranch_execnz .LBB14_423
	s_branch .LBB14_424
.LBB14_2473:
	s_movk_i32 s4, 0x80
	v_cmp_eq_u16_sdwa s[12:13], v6, s4 src0_sel:BYTE_0 src1_sel:DWORD
	s_mov_b64 s[4:5], -1
                                        ; implicit-def: $sgpr10
	s_and_saveexec_b64 s[8:9], s[12:13]
; %bb.2474:
	s_mov_b32 s10, 0x7f800001
	s_xor_b64 s[4:5], exec, -1
; %bb.2475:
	s_or_b64 exec, exec, s[8:9]
	s_and_b64 s[4:5], s[4:5], exec
	s_or_saveexec_b64 s[6:7], s[6:7]
	v_mov_b32_e32 v2, s10
	s_xor_b64 exec, exec, s[6:7]
	s_cbranch_execz .LBB14_426
.LBB14_2476:
	v_mov_b32_e32 v2, 0
	v_cmp_ne_u16_sdwa s[8:9], v6, v2 src0_sel:BYTE_0 src1_sel:DWORD
	s_andn2_b64 s[4:5], s[4:5], exec
	s_and_b64 s[8:9], s[8:9], exec
	s_or_b64 s[4:5], s[4:5], s[8:9]
	s_or_b64 exec, exec, s[6:7]
	s_and_saveexec_b64 s[6:7], s[4:5]
	s_cbranch_execnz .LBB14_427
	s_branch .LBB14_428
.LBB14_2477:
	s_movk_i32 s4, 0x80
	v_cmp_eq_u16_sdwa s[12:13], v6, s4 src0_sel:BYTE_0 src1_sel:DWORD
	s_mov_b64 s[4:5], -1
                                        ; implicit-def: $sgpr10
	s_and_saveexec_b64 s[8:9], s[12:13]
; %bb.2478:
	s_mov_b32 s10, 0x7f800001
	s_xor_b64 s[4:5], exec, -1
; %bb.2479:
	s_or_b64 exec, exec, s[8:9]
	s_and_b64 s[4:5], s[4:5], exec
	s_or_saveexec_b64 s[6:7], s[6:7]
	v_mov_b32_e32 v12, s10
	s_xor_b64 exec, exec, s[6:7]
	s_cbranch_execz .LBB14_430
.LBB14_2480:
	v_mov_b32_e32 v12, 0
	v_cmp_ne_u16_sdwa s[8:9], v6, v12 src0_sel:BYTE_0 src1_sel:DWORD
	s_andn2_b64 s[4:5], s[4:5], exec
	s_and_b64 s[8:9], s[8:9], exec
	s_or_b64 s[4:5], s[4:5], s[8:9]
	s_or_b64 exec, exec, s[6:7]
	s_and_saveexec_b64 s[6:7], s[4:5]
	s_cbranch_execnz .LBB14_431
	s_branch .LBB14_432
.LBB14_2481:
	s_movk_i32 s4, 0x80
	v_cmp_eq_u16_e32 vcc, s4, v6
	s_mov_b64 s[4:5], -1
                                        ; implicit-def: $sgpr10
	s_and_saveexec_b64 s[8:9], vcc
; %bb.2482:
	s_mov_b32 s10, 0x7f800001
	s_xor_b64 s[4:5], exec, -1
; %bb.2483:
	s_or_b64 exec, exec, s[8:9]
	s_and_b64 s[4:5], s[4:5], exec
                                        ; implicit-def: $vgpr6
	s_or_saveexec_b64 s[6:7], s[6:7]
	v_mov_b32_e32 v2, s10
	s_xor_b64 exec, exec, s[6:7]
	s_cbranch_execz .LBB14_434
.LBB14_2484:
	v_cmp_ne_u16_e32 vcc, 0, v6
	s_andn2_b64 s[4:5], s[4:5], exec
	s_and_b64 s[8:9], vcc, exec
	v_mov_b32_e32 v2, 0
	s_or_b64 s[4:5], s[4:5], s[8:9]
	s_or_b64 exec, exec, s[6:7]
	s_and_saveexec_b64 s[6:7], s[4:5]
	s_cbranch_execnz .LBB14_435
	s_branch .LBB14_436
.LBB14_2485:
	s_movk_i32 s4, 0x80
	v_cmp_eq_u16_e32 vcc, s4, v6
	s_mov_b64 s[4:5], -1
                                        ; implicit-def: $sgpr10
	s_and_saveexec_b64 s[8:9], vcc
; %bb.2486:
	s_mov_b32 s10, 0x7f800001
	s_xor_b64 s[4:5], exec, -1
; %bb.2487:
	s_or_b64 exec, exec, s[8:9]
	s_and_b64 s[4:5], s[4:5], exec
                                        ; implicit-def: $vgpr6
	s_or_saveexec_b64 s[6:7], s[6:7]
	v_mov_b32_e32 v12, s10
	s_xor_b64 exec, exec, s[6:7]
	s_cbranch_execz .LBB14_438
.LBB14_2488:
	v_cmp_ne_u16_e32 vcc, 0, v6
	s_andn2_b64 s[4:5], s[4:5], exec
	s_and_b64 s[8:9], vcc, exec
	v_mov_b32_e32 v12, 0
	s_or_b64 s[4:5], s[4:5], s[8:9]
	s_or_b64 exec, exec, s[6:7]
	s_and_saveexec_b64 s[6:7], s[4:5]
	s_cbranch_execnz .LBB14_439
	s_branch .LBB14_440
.LBB14_2489:
	s_movk_i32 s4, 0x80
	v_cmp_eq_u16_sdwa s[12:13], v7, s4 src0_sel:BYTE_3 src1_sel:DWORD
	s_mov_b64 s[4:5], -1
                                        ; implicit-def: $sgpr10
	s_and_saveexec_b64 s[8:9], s[12:13]
; %bb.2490:
	s_mov_b32 s10, 0x7f800001
	s_xor_b64 s[4:5], exec, -1
; %bb.2491:
	s_or_b64 exec, exec, s[8:9]
	s_and_b64 s[4:5], s[4:5], exec
	s_or_saveexec_b64 s[6:7], s[6:7]
	v_mov_b32_e32 v2, s10
	s_xor_b64 exec, exec, s[6:7]
	s_cbranch_execz .LBB14_442
.LBB14_2492:
	v_mov_b32_e32 v2, 0
	v_cmp_ne_u16_sdwa s[8:9], v7, v2 src0_sel:BYTE_3 src1_sel:DWORD
	s_andn2_b64 s[4:5], s[4:5], exec
	s_and_b64 s[8:9], s[8:9], exec
	s_or_b64 s[4:5], s[4:5], s[8:9]
	s_or_b64 exec, exec, s[6:7]
	s_and_saveexec_b64 s[6:7], s[4:5]
	s_cbranch_execnz .LBB14_443
	s_branch .LBB14_444
.LBB14_2493:
	s_movk_i32 s4, 0x80
	v_cmp_eq_u16_sdwa s[12:13], v3, s4 src0_sel:BYTE_3 src1_sel:DWORD
	s_mov_b64 s[4:5], -1
                                        ; implicit-def: $sgpr10
	s_and_saveexec_b64 s[8:9], s[12:13]
; %bb.2494:
	s_mov_b32 s10, 0x7f800001
	s_xor_b64 s[4:5], exec, -1
; %bb.2495:
	s_or_b64 exec, exec, s[8:9]
	s_and_b64 s[4:5], s[4:5], exec
	s_or_saveexec_b64 s[6:7], s[6:7]
	v_mov_b32_e32 v6, s10
	s_xor_b64 exec, exec, s[6:7]
	s_cbranch_execz .LBB14_446
.LBB14_2496:
	v_mov_b32_e32 v6, 0
	v_cmp_ne_u16_sdwa s[8:9], v3, v6 src0_sel:BYTE_3 src1_sel:DWORD
	s_andn2_b64 s[4:5], s[4:5], exec
	s_and_b64 s[8:9], s[8:9], exec
	s_or_b64 s[4:5], s[4:5], s[8:9]
	s_or_b64 exec, exec, s[6:7]
	s_and_saveexec_b64 s[6:7], s[4:5]
	s_cbranch_execnz .LBB14_447
	s_branch .LBB14_448
.LBB14_2497:
	s_movk_i32 s4, 0x80
	v_cmp_eq_u16_sdwa s[12:13], v8, s4 src0_sel:BYTE_0 src1_sel:DWORD
	s_mov_b64 s[4:5], -1
                                        ; implicit-def: $sgpr10
	s_and_saveexec_b64 s[8:9], s[12:13]
; %bb.2498:
	s_mov_b32 s10, 0x7f800001
	s_xor_b64 s[4:5], exec, -1
; %bb.2499:
	s_or_b64 exec, exec, s[8:9]
	s_and_b64 s[4:5], s[4:5], exec
	s_or_saveexec_b64 s[6:7], s[6:7]
	v_mov_b32_e32 v2, s10
	s_xor_b64 exec, exec, s[6:7]
	s_cbranch_execz .LBB14_450
.LBB14_2500:
	v_mov_b32_e32 v2, 0
	v_cmp_ne_u16_sdwa s[8:9], v8, v2 src0_sel:BYTE_0 src1_sel:DWORD
	s_andn2_b64 s[4:5], s[4:5], exec
	s_and_b64 s[8:9], s[8:9], exec
	s_or_b64 s[4:5], s[4:5], s[8:9]
	s_or_b64 exec, exec, s[6:7]
	s_and_saveexec_b64 s[6:7], s[4:5]
	s_cbranch_execnz .LBB14_451
	s_branch .LBB14_452
.LBB14_2501:
	s_movk_i32 s4, 0x80
	v_cmp_eq_u16_sdwa s[12:13], v4, s4 src0_sel:BYTE_0 src1_sel:DWORD
	s_mov_b64 s[4:5], -1
                                        ; implicit-def: $sgpr10
	s_and_saveexec_b64 s[8:9], s[12:13]
; %bb.2502:
	s_mov_b32 s10, 0x7f800001
	s_xor_b64 s[4:5], exec, -1
; %bb.2503:
	s_or_b64 exec, exec, s[8:9]
	s_and_b64 s[4:5], s[4:5], exec
	s_or_saveexec_b64 s[6:7], s[6:7]
	v_mov_b32_e32 v3, s10
	s_xor_b64 exec, exec, s[6:7]
	s_cbranch_execz .LBB14_454
.LBB14_2504:
	v_mov_b32_e32 v3, 0
	v_cmp_ne_u16_sdwa s[8:9], v4, v3 src0_sel:BYTE_0 src1_sel:DWORD
	s_andn2_b64 s[4:5], s[4:5], exec
	s_and_b64 s[8:9], s[8:9], exec
	s_or_b64 s[4:5], s[4:5], s[8:9]
	s_or_b64 exec, exec, s[6:7]
	s_and_saveexec_b64 s[6:7], s[4:5]
	s_cbranch_execnz .LBB14_455
	s_branch .LBB14_456
.LBB14_2505:
	s_movk_i32 s4, 0x80
	v_cmp_eq_u16_sdwa s[12:13], v3, s4 src0_sel:BYTE_0 src1_sel:DWORD
	s_mov_b64 s[4:5], -1
                                        ; implicit-def: $sgpr10
	s_and_saveexec_b64 s[8:9], s[12:13]
; %bb.2506:
	s_mov_b32 s10, 0x7f800001
	s_xor_b64 s[4:5], exec, -1
; %bb.2507:
	s_or_b64 exec, exec, s[8:9]
	s_and_b64 s[4:5], s[4:5], exec
	s_or_saveexec_b64 s[6:7], s[6:7]
	v_mov_b32_e32 v2, s10
	s_xor_b64 exec, exec, s[6:7]
	s_cbranch_execz .LBB14_458
.LBB14_2508:
	v_mov_b32_e32 v2, 0
	v_cmp_ne_u16_sdwa s[8:9], v3, v2 src0_sel:BYTE_0 src1_sel:DWORD
	s_andn2_b64 s[4:5], s[4:5], exec
	s_and_b64 s[8:9], s[8:9], exec
	s_or_b64 s[4:5], s[4:5], s[8:9]
	s_or_b64 exec, exec, s[6:7]
	s_and_saveexec_b64 s[6:7], s[4:5]
	s_cbranch_execnz .LBB14_459
	s_branch .LBB14_460
.LBB14_2509:
	s_movk_i32 s4, 0x80
	v_cmp_eq_u16_sdwa s[12:13], v3, s4 src0_sel:BYTE_0 src1_sel:DWORD
	s_mov_b64 s[4:5], -1
                                        ; implicit-def: $sgpr10
	s_and_saveexec_b64 s[8:9], s[12:13]
; %bb.2510:
	s_mov_b32 s10, 0x7f800001
	s_xor_b64 s[4:5], exec, -1
; %bb.2511:
	s_or_b64 exec, exec, s[8:9]
	s_and_b64 s[4:5], s[4:5], exec
	s_or_saveexec_b64 s[6:7], s[6:7]
	v_mov_b32_e32 v6, s10
	s_xor_b64 exec, exec, s[6:7]
	s_cbranch_execz .LBB14_462
.LBB14_2512:
	v_mov_b32_e32 v6, 0
	v_cmp_ne_u16_sdwa s[8:9], v3, v6 src0_sel:BYTE_0 src1_sel:DWORD
	s_andn2_b64 s[4:5], s[4:5], exec
	s_and_b64 s[8:9], s[8:9], exec
	s_or_b64 s[4:5], s[4:5], s[8:9]
	s_or_b64 exec, exec, s[6:7]
	s_and_saveexec_b64 s[6:7], s[4:5]
	s_cbranch_execnz .LBB14_463
	s_branch .LBB14_464
.LBB14_2513:
	s_movk_i32 s4, 0x80
	v_cmp_eq_u16_e32 vcc, s4, v3
	s_mov_b64 s[4:5], -1
                                        ; implicit-def: $sgpr10
	s_and_saveexec_b64 s[8:9], vcc
; %bb.2514:
	s_mov_b32 s10, 0x7f800001
	s_xor_b64 s[4:5], exec, -1
; %bb.2515:
	s_or_b64 exec, exec, s[8:9]
	s_and_b64 s[4:5], s[4:5], exec
                                        ; implicit-def: $vgpr3
	s_or_saveexec_b64 s[6:7], s[6:7]
	v_mov_b32_e32 v2, s10
	s_xor_b64 exec, exec, s[6:7]
	s_cbranch_execz .LBB14_466
.LBB14_2516:
	v_cmp_ne_u16_e32 vcc, 0, v3
	s_andn2_b64 s[4:5], s[4:5], exec
	s_and_b64 s[8:9], vcc, exec
	v_mov_b32_e32 v2, 0
	s_or_b64 s[4:5], s[4:5], s[8:9]
	s_or_b64 exec, exec, s[6:7]
	s_and_saveexec_b64 s[6:7], s[4:5]
	s_cbranch_execnz .LBB14_467
	s_branch .LBB14_468
.LBB14_2517:
	s_movk_i32 s4, 0x80
	v_cmp_eq_u16_e32 vcc, s4, v3
	s_mov_b64 s[4:5], -1
                                        ; implicit-def: $sgpr10
	s_and_saveexec_b64 s[8:9], vcc
; %bb.2518:
	s_mov_b32 s10, 0x7f800001
	s_xor_b64 s[4:5], exec, -1
; %bb.2519:
	s_or_b64 exec, exec, s[8:9]
	s_and_b64 s[4:5], s[4:5], exec
                                        ; implicit-def: $vgpr3
	s_or_saveexec_b64 s[6:7], s[6:7]
	v_mov_b32_e32 v6, s10
	s_xor_b64 exec, exec, s[6:7]
	s_cbranch_execz .LBB14_470
.LBB14_2520:
	v_cmp_ne_u16_e32 vcc, 0, v3
	s_andn2_b64 s[4:5], s[4:5], exec
	s_and_b64 s[8:9], vcc, exec
	v_mov_b32_e32 v6, 0
	s_or_b64 s[4:5], s[4:5], s[8:9]
	s_or_b64 exec, exec, s[6:7]
	s_and_saveexec_b64 s[6:7], s[4:5]
	s_cbranch_execnz .LBB14_471
	s_branch .LBB14_472
.LBB14_2521:
	s_movk_i32 s4, 0x80
	v_cmp_eq_u16_sdwa s[12:13], v8, s4 src0_sel:BYTE_3 src1_sel:DWORD
	s_mov_b64 s[4:5], -1
                                        ; implicit-def: $sgpr10
	s_and_saveexec_b64 s[8:9], s[12:13]
; %bb.2522:
	s_mov_b32 s10, 0x7f800001
	s_xor_b64 s[4:5], exec, -1
; %bb.2523:
	s_or_b64 exec, exec, s[8:9]
	s_and_b64 s[4:5], s[4:5], exec
	s_or_saveexec_b64 s[6:7], s[6:7]
	v_mov_b32_e32 v2, s10
	s_xor_b64 exec, exec, s[6:7]
	s_cbranch_execz .LBB14_474
.LBB14_2524:
	v_mov_b32_e32 v2, 0
	v_cmp_ne_u16_sdwa s[8:9], v8, v2 src0_sel:BYTE_3 src1_sel:DWORD
	s_andn2_b64 s[4:5], s[4:5], exec
	s_and_b64 s[8:9], s[8:9], exec
	s_or_b64 s[4:5], s[4:5], s[8:9]
	s_or_b64 exec, exec, s[6:7]
	s_and_saveexec_b64 s[6:7], s[4:5]
	s_cbranch_execnz .LBB14_475
	s_branch .LBB14_476
.LBB14_2525:
	s_movk_i32 s4, 0x80
	v_cmp_eq_u16_sdwa s[12:13], v4, s4 src0_sel:BYTE_3 src1_sel:DWORD
	s_mov_b64 s[4:5], -1
                                        ; implicit-def: $sgpr10
	s_and_saveexec_b64 s[8:9], s[12:13]
; %bb.2526:
	s_mov_b32 s10, 0x7f800001
	s_xor_b64 s[4:5], exec, -1
; %bb.2527:
	s_or_b64 exec, exec, s[8:9]
	s_and_b64 s[4:5], s[4:5], exec
	s_or_saveexec_b64 s[6:7], s[6:7]
	v_mov_b32_e32 v3, s10
	s_xor_b64 exec, exec, s[6:7]
	s_cbranch_execz .LBB14_478
.LBB14_2528:
	v_mov_b32_e32 v3, 0
	v_cmp_ne_u16_sdwa s[8:9], v4, v3 src0_sel:BYTE_3 src1_sel:DWORD
	s_andn2_b64 s[4:5], s[4:5], exec
	s_and_b64 s[8:9], s[8:9], exec
	s_or_b64 s[4:5], s[4:5], s[8:9]
	s_or_b64 exec, exec, s[6:7]
	s_and_saveexec_b64 s[6:7], s[4:5]
	s_cbranch_execnz .LBB14_479
	s_branch .LBB14_480
.LBB14_2529:
	s_movk_i32 s4, 0x80
	v_cmp_eq_u16_sdwa s[12:13], v9, s4 src0_sel:BYTE_0 src1_sel:DWORD
	s_mov_b64 s[4:5], -1
                                        ; implicit-def: $sgpr10
	s_and_saveexec_b64 s[8:9], s[12:13]
; %bb.2530:
	s_mov_b32 s10, 0x7f800001
	s_xor_b64 s[4:5], exec, -1
; %bb.2531:
	s_or_b64 exec, exec, s[8:9]
	s_and_b64 s[4:5], s[4:5], exec
	s_or_saveexec_b64 s[6:7], s[6:7]
	v_mov_b32_e32 v2, s10
	s_xor_b64 exec, exec, s[6:7]
	s_cbranch_execz .LBB14_482
.LBB14_2532:
	v_mov_b32_e32 v2, 0
	v_cmp_ne_u16_sdwa s[8:9], v9, v2 src0_sel:BYTE_0 src1_sel:DWORD
	s_andn2_b64 s[4:5], s[4:5], exec
	s_and_b64 s[8:9], s[8:9], exec
	s_or_b64 s[4:5], s[4:5], s[8:9]
	s_or_b64 exec, exec, s[6:7]
	s_and_saveexec_b64 s[6:7], s[4:5]
	s_cbranch_execnz .LBB14_483
	s_branch .LBB14_484
.LBB14_2533:
	s_movk_i32 s4, 0x80
	v_cmp_eq_u16_sdwa s[12:13], v5, s4 src0_sel:BYTE_0 src1_sel:DWORD
	s_mov_b64 s[4:5], -1
                                        ; implicit-def: $sgpr10
	s_and_saveexec_b64 s[8:9], s[12:13]
; %bb.2534:
	s_mov_b32 s10, 0x7f800001
	s_xor_b64 s[4:5], exec, -1
; %bb.2535:
	s_or_b64 exec, exec, s[8:9]
	s_and_b64 s[4:5], s[4:5], exec
	s_or_saveexec_b64 s[6:7], s[6:7]
	v_mov_b32_e32 v3, s10
	s_xor_b64 exec, exec, s[6:7]
	s_cbranch_execz .LBB14_486
.LBB14_2536:
	v_mov_b32_e32 v3, 0
	v_cmp_ne_u16_sdwa s[8:9], v5, v3 src0_sel:BYTE_0 src1_sel:DWORD
	s_andn2_b64 s[4:5], s[4:5], exec
	s_and_b64 s[8:9], s[8:9], exec
	s_or_b64 s[4:5], s[4:5], s[8:9]
	s_or_b64 exec, exec, s[6:7]
	s_and_saveexec_b64 s[6:7], s[4:5]
	s_cbranch_execnz .LBB14_487
	s_branch .LBB14_488
.LBB14_2537:
	s_movk_i32 s4, 0x80
	v_cmp_eq_u16_sdwa s[12:13], v3, s4 src0_sel:BYTE_0 src1_sel:DWORD
	s_mov_b64 s[4:5], -1
                                        ; implicit-def: $sgpr10
	s_and_saveexec_b64 s[8:9], s[12:13]
; %bb.2538:
	s_mov_b32 s10, 0x7f800001
	s_xor_b64 s[4:5], exec, -1
; %bb.2539:
	s_or_b64 exec, exec, s[8:9]
	s_and_b64 s[4:5], s[4:5], exec
	s_or_saveexec_b64 s[6:7], s[6:7]
	v_mov_b32_e32 v2, s10
	s_xor_b64 exec, exec, s[6:7]
	s_cbranch_execz .LBB14_490
.LBB14_2540:
	v_mov_b32_e32 v2, 0
	v_cmp_ne_u16_sdwa s[8:9], v3, v2 src0_sel:BYTE_0 src1_sel:DWORD
	s_andn2_b64 s[4:5], s[4:5], exec
	s_and_b64 s[8:9], s[8:9], exec
	s_or_b64 s[4:5], s[4:5], s[8:9]
	s_or_b64 exec, exec, s[6:7]
	s_and_saveexec_b64 s[6:7], s[4:5]
	s_cbranch_execnz .LBB14_491
	s_branch .LBB14_492
.LBB14_2541:
	s_movk_i32 s4, 0x80
	v_cmp_eq_u16_sdwa s[12:13], v3, s4 src0_sel:BYTE_0 src1_sel:DWORD
	s_mov_b64 s[4:5], -1
                                        ; implicit-def: $sgpr10
	s_and_saveexec_b64 s[8:9], s[12:13]
; %bb.2542:
	s_mov_b32 s10, 0x7f800001
	s_xor_b64 s[4:5], exec, -1
; %bb.2543:
	s_or_b64 exec, exec, s[8:9]
	s_and_b64 s[4:5], s[4:5], exec
	s_or_saveexec_b64 s[6:7], s[6:7]
	v_mov_b32_e32 v4, s10
	s_xor_b64 exec, exec, s[6:7]
	s_cbranch_execz .LBB14_494
.LBB14_2544:
	v_mov_b32_e32 v4, 0
	v_cmp_ne_u16_sdwa s[8:9], v3, v4 src0_sel:BYTE_0 src1_sel:DWORD
	s_andn2_b64 s[4:5], s[4:5], exec
	s_and_b64 s[8:9], s[8:9], exec
	s_or_b64 s[4:5], s[4:5], s[8:9]
	s_or_b64 exec, exec, s[6:7]
	s_and_saveexec_b64 s[6:7], s[4:5]
	s_cbranch_execnz .LBB14_495
	s_branch .LBB14_496
.LBB14_2545:
	s_movk_i32 s4, 0x80
	v_cmp_eq_u16_e32 vcc, s4, v3
	s_mov_b64 s[4:5], -1
                                        ; implicit-def: $sgpr10
	s_and_saveexec_b64 s[8:9], vcc
; %bb.2546:
	s_mov_b32 s10, 0x7f800001
	s_xor_b64 s[4:5], exec, -1
; %bb.2547:
	s_or_b64 exec, exec, s[8:9]
	s_and_b64 s[4:5], s[4:5], exec
                                        ; implicit-def: $vgpr3
	s_or_saveexec_b64 s[6:7], s[6:7]
	v_mov_b32_e32 v2, s10
	s_xor_b64 exec, exec, s[6:7]
	s_cbranch_execz .LBB14_498
.LBB14_2548:
	v_cmp_ne_u16_e32 vcc, 0, v3
	s_andn2_b64 s[4:5], s[4:5], exec
	s_and_b64 s[8:9], vcc, exec
	v_mov_b32_e32 v2, 0
	s_or_b64 s[4:5], s[4:5], s[8:9]
	s_or_b64 exec, exec, s[6:7]
	s_and_saveexec_b64 s[6:7], s[4:5]
	s_cbranch_execnz .LBB14_499
	s_branch .LBB14_500
.LBB14_2549:
	s_movk_i32 s4, 0x80
	v_cmp_eq_u16_e32 vcc, s4, v3
	s_mov_b64 s[4:5], -1
                                        ; implicit-def: $sgpr10
	s_and_saveexec_b64 s[8:9], vcc
; %bb.2550:
	s_mov_b32 s10, 0x7f800001
	s_xor_b64 s[4:5], exec, -1
; %bb.2551:
	s_or_b64 exec, exec, s[8:9]
	s_and_b64 s[4:5], s[4:5], exec
                                        ; implicit-def: $vgpr3
	s_or_saveexec_b64 s[6:7], s[6:7]
	v_mov_b32_e32 v4, s10
	s_xor_b64 exec, exec, s[6:7]
	s_cbranch_execz .LBB14_502
.LBB14_2552:
	v_cmp_ne_u16_e32 vcc, 0, v3
	s_andn2_b64 s[4:5], s[4:5], exec
	s_and_b64 s[8:9], vcc, exec
	v_mov_b32_e32 v4, 0
	s_or_b64 s[4:5], s[4:5], s[8:9]
	s_or_b64 exec, exec, s[6:7]
	s_and_saveexec_b64 s[6:7], s[4:5]
	s_cbranch_execnz .LBB14_503
	s_branch .LBB14_504
.LBB14_2553:
	s_movk_i32 s4, 0x80
	v_cmp_eq_u16_sdwa s[12:13], v9, s4 src0_sel:BYTE_3 src1_sel:DWORD
	s_mov_b64 s[4:5], -1
                                        ; implicit-def: $sgpr10
	s_and_saveexec_b64 s[8:9], s[12:13]
; %bb.2554:
	s_mov_b32 s10, 0x7f800001
	s_xor_b64 s[4:5], exec, -1
; %bb.2555:
	s_or_b64 exec, exec, s[8:9]
	s_and_b64 s[4:5], s[4:5], exec
	s_or_saveexec_b64 s[6:7], s[6:7]
	v_mov_b32_e32 v2, s10
	s_xor_b64 exec, exec, s[6:7]
	s_cbranch_execz .LBB14_506
.LBB14_2556:
	v_mov_b32_e32 v2, 0
	v_cmp_ne_u16_sdwa s[8:9], v9, v2 src0_sel:BYTE_3 src1_sel:DWORD
	s_andn2_b64 s[4:5], s[4:5], exec
	s_and_b64 s[8:9], s[8:9], exec
	s_or_b64 s[4:5], s[4:5], s[8:9]
	s_or_b64 exec, exec, s[6:7]
	s_and_saveexec_b64 s[6:7], s[4:5]
	s_cbranch_execnz .LBB14_507
	s_branch .LBB14_508
.LBB14_2557:
	s_movk_i32 s4, 0x80
	v_cmp_eq_u16_sdwa s[12:13], v5, s4 src0_sel:BYTE_3 src1_sel:DWORD
	s_mov_b64 s[4:5], -1
                                        ; implicit-def: $sgpr10
	s_and_saveexec_b64 s[8:9], s[12:13]
; %bb.2558:
	s_mov_b32 s10, 0x7f800001
	s_xor_b64 s[4:5], exec, -1
; %bb.2559:
	s_or_b64 exec, exec, s[8:9]
	s_and_b64 s[4:5], s[4:5], exec
	s_or_saveexec_b64 s[6:7], s[6:7]
	v_mov_b32_e32 v3, s10
	s_xor_b64 exec, exec, s[6:7]
	s_cbranch_execz .LBB14_510
.LBB14_2560:
	v_mov_b32_e32 v3, 0
	v_cmp_ne_u16_sdwa s[8:9], v5, v3 src0_sel:BYTE_3 src1_sel:DWORD
	s_andn2_b64 s[4:5], s[4:5], exec
	s_and_b64 s[8:9], s[8:9], exec
	s_or_b64 s[4:5], s[4:5], s[8:9]
	s_or_b64 exec, exec, s[6:7]
	s_and_saveexec_b64 s[6:7], s[4:5]
	s_cbranch_execnz .LBB14_511
	s_branch .LBB14_512
.LBB14_2561:
	s_movk_i32 s4, 0x80
	v_cmp_eq_u16_sdwa s[12:13], v6, s4 src0_sel:BYTE_0 src1_sel:DWORD
	s_mov_b64 s[4:5], -1
                                        ; implicit-def: $sgpr10
	s_and_saveexec_b64 s[8:9], s[12:13]
; %bb.2562:
	s_mov_b32 s10, 0x7f800001
	s_xor_b64 s[4:5], exec, -1
; %bb.2563:
	s_or_b64 exec, exec, s[8:9]
	s_and_b64 s[4:5], s[4:5], exec
	s_or_saveexec_b64 s[6:7], s[6:7]
	v_mov_b32_e32 v12, s10
	s_xor_b64 exec, exec, s[6:7]
	s_cbranch_execz .LBB14_514
.LBB14_2564:
	v_mov_b32_e32 v12, 0
	v_cmp_ne_u16_sdwa s[8:9], v6, v12 src0_sel:BYTE_0 src1_sel:DWORD
	s_andn2_b64 s[4:5], s[4:5], exec
	s_and_b64 s[8:9], s[8:9], exec
	s_or_b64 s[4:5], s[4:5], s[8:9]
	s_or_b64 exec, exec, s[6:7]
	s_and_saveexec_b64 s[6:7], s[4:5]
	s_cbranch_execnz .LBB14_515
	s_branch .LBB14_516
.LBB14_2565:
	s_movk_i32 s4, 0x80
	v_cmp_eq_u16_sdwa s[12:13], v2, s4 src0_sel:BYTE_0 src1_sel:DWORD
	s_mov_b64 s[4:5], -1
                                        ; implicit-def: $sgpr10
	s_and_saveexec_b64 s[8:9], s[12:13]
; %bb.2566:
	s_mov_b32 s10, 0x7f800001
	s_xor_b64 s[4:5], exec, -1
; %bb.2567:
	s_or_b64 exec, exec, s[8:9]
	s_and_b64 s[4:5], s[4:5], exec
	s_or_saveexec_b64 s[6:7], s[6:7]
	v_mov_b32_e32 v13, s10
	s_xor_b64 exec, exec, s[6:7]
	s_cbranch_execz .LBB14_518
.LBB14_2568:
	v_mov_b32_e32 v13, 0
	v_cmp_ne_u16_sdwa s[8:9], v2, v13 src0_sel:BYTE_0 src1_sel:DWORD
	s_andn2_b64 s[4:5], s[4:5], exec
	s_and_b64 s[8:9], s[8:9], exec
	s_or_b64 s[4:5], s[4:5], s[8:9]
	s_or_b64 exec, exec, s[6:7]
	s_and_saveexec_b64 s[6:7], s[4:5]
	s_cbranch_execnz .LBB14_519
	s_branch .LBB14_520
.LBB14_2569:
	s_movk_i32 s4, 0x80
	v_cmp_eq_u16_sdwa s[12:13], v13, s4 src0_sel:BYTE_0 src1_sel:DWORD
	s_mov_b64 s[4:5], -1
                                        ; implicit-def: $sgpr10
	s_and_saveexec_b64 s[8:9], s[12:13]
; %bb.2570:
	s_mov_b32 s10, 0x7f800001
	s_xor_b64 s[4:5], exec, -1
; %bb.2571:
	s_or_b64 exec, exec, s[8:9]
	s_and_b64 s[4:5], s[4:5], exec
	s_or_saveexec_b64 s[6:7], s[6:7]
	v_mov_b32_e32 v12, s10
	s_xor_b64 exec, exec, s[6:7]
	s_cbranch_execz .LBB14_522
.LBB14_2572:
	v_mov_b32_e32 v12, 0
	v_cmp_ne_u16_sdwa s[8:9], v13, v12 src0_sel:BYTE_0 src1_sel:DWORD
	s_andn2_b64 s[4:5], s[4:5], exec
	s_and_b64 s[8:9], s[8:9], exec
	s_or_b64 s[4:5], s[4:5], s[8:9]
	s_or_b64 exec, exec, s[6:7]
	s_and_saveexec_b64 s[6:7], s[4:5]
	s_cbranch_execnz .LBB14_523
	s_branch .LBB14_524
.LBB14_2573:
	s_movk_i32 s4, 0x80
	v_cmp_eq_u16_sdwa s[12:13], v13, s4 src0_sel:BYTE_0 src1_sel:DWORD
	s_mov_b64 s[4:5], -1
                                        ; implicit-def: $sgpr10
	s_and_saveexec_b64 s[8:9], s[12:13]
; %bb.2574:
	s_mov_b32 s10, 0x7f800001
	s_xor_b64 s[4:5], exec, -1
; %bb.2575:
	s_or_b64 exec, exec, s[8:9]
	s_and_b64 s[4:5], s[4:5], exec
	s_or_saveexec_b64 s[6:7], s[6:7]
	v_mov_b32_e32 v14, s10
	s_xor_b64 exec, exec, s[6:7]
	s_cbranch_execz .LBB14_526
.LBB14_2576:
	v_mov_b32_e32 v14, 0
	v_cmp_ne_u16_sdwa s[8:9], v13, v14 src0_sel:BYTE_0 src1_sel:DWORD
	s_andn2_b64 s[4:5], s[4:5], exec
	s_and_b64 s[8:9], s[8:9], exec
	s_or_b64 s[4:5], s[4:5], s[8:9]
	s_or_b64 exec, exec, s[6:7]
	s_and_saveexec_b64 s[6:7], s[4:5]
	s_cbranch_execnz .LBB14_527
	s_branch .LBB14_528
.LBB14_2577:
	s_movk_i32 s4, 0x80
	v_cmp_eq_u16_e32 vcc, s4, v13
	s_mov_b64 s[4:5], -1
                                        ; implicit-def: $sgpr10
	s_and_saveexec_b64 s[8:9], vcc
; %bb.2578:
	s_mov_b32 s10, 0x7f800001
	s_xor_b64 s[4:5], exec, -1
; %bb.2579:
	s_or_b64 exec, exec, s[8:9]
	s_and_b64 s[4:5], s[4:5], exec
                                        ; implicit-def: $vgpr13
	s_or_saveexec_b64 s[6:7], s[6:7]
	v_mov_b32_e32 v12, s10
	s_xor_b64 exec, exec, s[6:7]
	s_cbranch_execz .LBB14_530
.LBB14_2580:
	v_cmp_ne_u16_e32 vcc, 0, v13
	s_andn2_b64 s[4:5], s[4:5], exec
	s_and_b64 s[8:9], vcc, exec
	v_mov_b32_e32 v12, 0
	s_or_b64 s[4:5], s[4:5], s[8:9]
	s_or_b64 exec, exec, s[6:7]
	s_and_saveexec_b64 s[6:7], s[4:5]
	s_cbranch_execnz .LBB14_531
	s_branch .LBB14_532
.LBB14_2581:
	s_movk_i32 s4, 0x80
	v_cmp_eq_u16_e32 vcc, s4, v13
	s_mov_b64 s[4:5], -1
                                        ; implicit-def: $sgpr10
	s_and_saveexec_b64 s[8:9], vcc
; %bb.2582:
	s_mov_b32 s10, 0x7f800001
	s_xor_b64 s[4:5], exec, -1
; %bb.2583:
	s_or_b64 exec, exec, s[8:9]
	s_and_b64 s[4:5], s[4:5], exec
                                        ; implicit-def: $vgpr13
	s_or_saveexec_b64 s[6:7], s[6:7]
	v_mov_b32_e32 v14, s10
	s_xor_b64 exec, exec, s[6:7]
	s_cbranch_execz .LBB14_534
.LBB14_2584:
	v_cmp_ne_u16_e32 vcc, 0, v13
	s_andn2_b64 s[4:5], s[4:5], exec
	s_and_b64 s[8:9], vcc, exec
	v_mov_b32_e32 v14, 0
	s_or_b64 s[4:5], s[4:5], s[8:9]
	s_or_b64 exec, exec, s[6:7]
	s_and_saveexec_b64 s[6:7], s[4:5]
	s_cbranch_execnz .LBB14_535
	s_branch .LBB14_536
.LBB14_2585:
	s_movk_i32 s4, 0x80
	v_cmp_eq_u16_sdwa s[12:13], v6, s4 src0_sel:BYTE_3 src1_sel:DWORD
	s_mov_b64 s[4:5], -1
                                        ; implicit-def: $sgpr10
	s_and_saveexec_b64 s[8:9], s[12:13]
; %bb.2586:
	s_mov_b32 s10, 0x7f800001
	s_xor_b64 s[4:5], exec, -1
; %bb.2587:
	s_or_b64 exec, exec, s[8:9]
	s_and_b64 s[4:5], s[4:5], exec
	s_or_saveexec_b64 s[6:7], s[6:7]
	v_mov_b32_e32 v12, s10
	s_xor_b64 exec, exec, s[6:7]
	s_cbranch_execz .LBB14_538
.LBB14_2588:
	v_mov_b32_e32 v12, 0
	v_cmp_ne_u16_sdwa s[8:9], v6, v12 src0_sel:BYTE_3 src1_sel:DWORD
	s_andn2_b64 s[4:5], s[4:5], exec
	s_and_b64 s[8:9], s[8:9], exec
	s_or_b64 s[4:5], s[4:5], s[8:9]
	s_or_b64 exec, exec, s[6:7]
	s_and_saveexec_b64 s[6:7], s[4:5]
	s_cbranch_execnz .LBB14_539
	s_branch .LBB14_540
.LBB14_2589:
	s_movk_i32 s4, 0x80
	v_cmp_eq_u16_sdwa s[12:13], v2, s4 src0_sel:BYTE_3 src1_sel:DWORD
	s_mov_b64 s[4:5], -1
                                        ; implicit-def: $sgpr10
	s_and_saveexec_b64 s[8:9], s[12:13]
; %bb.2590:
	s_mov_b32 s10, 0x7f800001
	s_xor_b64 s[4:5], exec, -1
; %bb.2591:
	s_or_b64 exec, exec, s[8:9]
	s_and_b64 s[4:5], s[4:5], exec
	s_or_saveexec_b64 s[6:7], s[6:7]
	v_mov_b32_e32 v6, s10
	s_xor_b64 exec, exec, s[6:7]
	s_cbranch_execz .LBB14_542
.LBB14_2592:
	v_mov_b32_e32 v6, 0
	v_cmp_ne_u16_sdwa s[8:9], v2, v6 src0_sel:BYTE_3 src1_sel:DWORD
	s_andn2_b64 s[4:5], s[4:5], exec
	s_and_b64 s[8:9], s[8:9], exec
	s_or_b64 s[4:5], s[4:5], s[8:9]
	s_or_b64 exec, exec, s[6:7]
	s_and_saveexec_b64 s[6:7], s[4:5]
	s_cbranch_execnz .LBB14_543
	s_branch .LBB14_544
.LBB14_2593:
	s_movk_i32 s4, 0x80
	v_cmp_eq_u16_sdwa s[12:13], v7, s4 src0_sel:BYTE_0 src1_sel:DWORD
	s_mov_b64 s[4:5], -1
                                        ; implicit-def: $sgpr10
	s_and_saveexec_b64 s[8:9], s[12:13]
; %bb.2594:
	s_mov_b32 s10, 0x7f800001
	s_xor_b64 s[4:5], exec, -1
; %bb.2595:
	s_or_b64 exec, exec, s[8:9]
	s_and_b64 s[4:5], s[4:5], exec
	s_or_saveexec_b64 s[6:7], s[6:7]
	v_mov_b32_e32 v2, s10
	s_xor_b64 exec, exec, s[6:7]
	s_cbranch_execz .LBB14_546
.LBB14_2596:
	v_mov_b32_e32 v2, 0
	v_cmp_ne_u16_sdwa s[8:9], v7, v2 src0_sel:BYTE_0 src1_sel:DWORD
	s_andn2_b64 s[4:5], s[4:5], exec
	s_and_b64 s[8:9], s[8:9], exec
	s_or_b64 s[4:5], s[4:5], s[8:9]
	s_or_b64 exec, exec, s[6:7]
	s_and_saveexec_b64 s[6:7], s[4:5]
	s_cbranch_execnz .LBB14_547
	s_branch .LBB14_548
.LBB14_2597:
	s_movk_i32 s4, 0x80
	v_cmp_eq_u16_sdwa s[12:13], v3, s4 src0_sel:BYTE_0 src1_sel:DWORD
	s_mov_b64 s[4:5], -1
                                        ; implicit-def: $sgpr10
	s_and_saveexec_b64 s[8:9], s[12:13]
; %bb.2598:
	s_mov_b32 s10, 0x7f800001
	s_xor_b64 s[4:5], exec, -1
; %bb.2599:
	s_or_b64 exec, exec, s[8:9]
	s_and_b64 s[4:5], s[4:5], exec
	s_or_saveexec_b64 s[6:7], s[6:7]
	v_mov_b32_e32 v6, s10
	s_xor_b64 exec, exec, s[6:7]
	s_cbranch_execz .LBB14_550
.LBB14_2600:
	v_mov_b32_e32 v6, 0
	v_cmp_ne_u16_sdwa s[8:9], v3, v6 src0_sel:BYTE_0 src1_sel:DWORD
	s_andn2_b64 s[4:5], s[4:5], exec
	s_and_b64 s[8:9], s[8:9], exec
	s_or_b64 s[4:5], s[4:5], s[8:9]
	s_or_b64 exec, exec, s[6:7]
	s_and_saveexec_b64 s[6:7], s[4:5]
	s_cbranch_execnz .LBB14_551
	s_branch .LBB14_552
.LBB14_2601:
	s_movk_i32 s4, 0x80
	v_cmp_eq_u16_sdwa s[12:13], v6, s4 src0_sel:BYTE_0 src1_sel:DWORD
	s_mov_b64 s[4:5], -1
                                        ; implicit-def: $sgpr10
	s_and_saveexec_b64 s[8:9], s[12:13]
; %bb.2602:
	s_mov_b32 s10, 0x7f800001
	s_xor_b64 s[4:5], exec, -1
; %bb.2603:
	s_or_b64 exec, exec, s[8:9]
	s_and_b64 s[4:5], s[4:5], exec
	s_or_saveexec_b64 s[6:7], s[6:7]
	v_mov_b32_e32 v2, s10
	s_xor_b64 exec, exec, s[6:7]
	s_cbranch_execz .LBB14_554
.LBB14_2604:
	v_mov_b32_e32 v2, 0
	v_cmp_ne_u16_sdwa s[8:9], v6, v2 src0_sel:BYTE_0 src1_sel:DWORD
	s_andn2_b64 s[4:5], s[4:5], exec
	s_and_b64 s[8:9], s[8:9], exec
	s_or_b64 s[4:5], s[4:5], s[8:9]
	s_or_b64 exec, exec, s[6:7]
	s_and_saveexec_b64 s[6:7], s[4:5]
	s_cbranch_execnz .LBB14_555
	s_branch .LBB14_556
.LBB14_2605:
	s_movk_i32 s4, 0x80
	v_cmp_eq_u16_sdwa s[12:13], v6, s4 src0_sel:BYTE_0 src1_sel:DWORD
	s_mov_b64 s[4:5], -1
                                        ; implicit-def: $sgpr10
	s_and_saveexec_b64 s[8:9], s[12:13]
; %bb.2606:
	s_mov_b32 s10, 0x7f800001
	s_xor_b64 s[4:5], exec, -1
; %bb.2607:
	s_or_b64 exec, exec, s[8:9]
	s_and_b64 s[4:5], s[4:5], exec
	s_or_saveexec_b64 s[6:7], s[6:7]
	v_mov_b32_e32 v12, s10
	s_xor_b64 exec, exec, s[6:7]
	s_cbranch_execz .LBB14_558
.LBB14_2608:
	v_mov_b32_e32 v12, 0
	v_cmp_ne_u16_sdwa s[8:9], v6, v12 src0_sel:BYTE_0 src1_sel:DWORD
	s_andn2_b64 s[4:5], s[4:5], exec
	s_and_b64 s[8:9], s[8:9], exec
	s_or_b64 s[4:5], s[4:5], s[8:9]
	s_or_b64 exec, exec, s[6:7]
	s_and_saveexec_b64 s[6:7], s[4:5]
	s_cbranch_execnz .LBB14_559
	s_branch .LBB14_560
.LBB14_2609:
	s_movk_i32 s4, 0x80
	v_cmp_eq_u16_e32 vcc, s4, v6
	s_mov_b64 s[4:5], -1
                                        ; implicit-def: $sgpr10
	s_and_saveexec_b64 s[8:9], vcc
; %bb.2610:
	s_mov_b32 s10, 0x7f800001
	s_xor_b64 s[4:5], exec, -1
; %bb.2611:
	s_or_b64 exec, exec, s[8:9]
	s_and_b64 s[4:5], s[4:5], exec
                                        ; implicit-def: $vgpr6
	s_or_saveexec_b64 s[6:7], s[6:7]
	v_mov_b32_e32 v2, s10
	s_xor_b64 exec, exec, s[6:7]
	s_cbranch_execz .LBB14_562
.LBB14_2612:
	v_cmp_ne_u16_e32 vcc, 0, v6
	s_andn2_b64 s[4:5], s[4:5], exec
	s_and_b64 s[8:9], vcc, exec
	v_mov_b32_e32 v2, 0
	s_or_b64 s[4:5], s[4:5], s[8:9]
	s_or_b64 exec, exec, s[6:7]
	s_and_saveexec_b64 s[6:7], s[4:5]
	s_cbranch_execnz .LBB14_563
	s_branch .LBB14_564
.LBB14_2613:
	s_movk_i32 s4, 0x80
	v_cmp_eq_u16_e32 vcc, s4, v6
	s_mov_b64 s[4:5], -1
                                        ; implicit-def: $sgpr10
	s_and_saveexec_b64 s[8:9], vcc
; %bb.2614:
	s_mov_b32 s10, 0x7f800001
	s_xor_b64 s[4:5], exec, -1
; %bb.2615:
	s_or_b64 exec, exec, s[8:9]
	s_and_b64 s[4:5], s[4:5], exec
                                        ; implicit-def: $vgpr6
	s_or_saveexec_b64 s[6:7], s[6:7]
	v_mov_b32_e32 v12, s10
	s_xor_b64 exec, exec, s[6:7]
	s_cbranch_execz .LBB14_566
.LBB14_2616:
	v_cmp_ne_u16_e32 vcc, 0, v6
	s_andn2_b64 s[4:5], s[4:5], exec
	s_and_b64 s[8:9], vcc, exec
	v_mov_b32_e32 v12, 0
	s_or_b64 s[4:5], s[4:5], s[8:9]
	s_or_b64 exec, exec, s[6:7]
	s_and_saveexec_b64 s[6:7], s[4:5]
	s_cbranch_execnz .LBB14_567
	s_branch .LBB14_568
.LBB14_2617:
	s_movk_i32 s4, 0x80
	v_cmp_eq_u16_sdwa s[12:13], v7, s4 src0_sel:BYTE_3 src1_sel:DWORD
	s_mov_b64 s[4:5], -1
                                        ; implicit-def: $sgpr10
	s_and_saveexec_b64 s[8:9], s[12:13]
; %bb.2618:
	s_mov_b32 s10, 0x7f800001
	s_xor_b64 s[4:5], exec, -1
; %bb.2619:
	s_or_b64 exec, exec, s[8:9]
	s_and_b64 s[4:5], s[4:5], exec
	s_or_saveexec_b64 s[6:7], s[6:7]
	v_mov_b32_e32 v2, s10
	s_xor_b64 exec, exec, s[6:7]
	s_cbranch_execz .LBB14_570
.LBB14_2620:
	v_mov_b32_e32 v2, 0
	v_cmp_ne_u16_sdwa s[8:9], v7, v2 src0_sel:BYTE_3 src1_sel:DWORD
	s_andn2_b64 s[4:5], s[4:5], exec
	s_and_b64 s[8:9], s[8:9], exec
	s_or_b64 s[4:5], s[4:5], s[8:9]
	s_or_b64 exec, exec, s[6:7]
	s_and_saveexec_b64 s[6:7], s[4:5]
	s_cbranch_execnz .LBB14_571
	s_branch .LBB14_572
.LBB14_2621:
	s_movk_i32 s4, 0x80
	v_cmp_eq_u16_sdwa s[12:13], v3, s4 src0_sel:BYTE_3 src1_sel:DWORD
	s_mov_b64 s[4:5], -1
                                        ; implicit-def: $sgpr10
	s_and_saveexec_b64 s[8:9], s[12:13]
; %bb.2622:
	s_mov_b32 s10, 0x7f800001
	s_xor_b64 s[4:5], exec, -1
; %bb.2623:
	s_or_b64 exec, exec, s[8:9]
	s_and_b64 s[4:5], s[4:5], exec
	s_or_saveexec_b64 s[6:7], s[6:7]
	v_mov_b32_e32 v6, s10
	s_xor_b64 exec, exec, s[6:7]
	s_cbranch_execz .LBB14_574
.LBB14_2624:
	v_mov_b32_e32 v6, 0
	v_cmp_ne_u16_sdwa s[8:9], v3, v6 src0_sel:BYTE_3 src1_sel:DWORD
	s_andn2_b64 s[4:5], s[4:5], exec
	s_and_b64 s[8:9], s[8:9], exec
	s_or_b64 s[4:5], s[4:5], s[8:9]
	s_or_b64 exec, exec, s[6:7]
	s_and_saveexec_b64 s[6:7], s[4:5]
	s_cbranch_execnz .LBB14_575
	s_branch .LBB14_576
.LBB14_2625:
	s_movk_i32 s4, 0x80
	v_cmp_eq_u16_sdwa s[12:13], v8, s4 src0_sel:BYTE_0 src1_sel:DWORD
	s_mov_b64 s[4:5], -1
                                        ; implicit-def: $sgpr10
	s_and_saveexec_b64 s[8:9], s[12:13]
; %bb.2626:
	s_mov_b32 s10, 0x7f800001
	s_xor_b64 s[4:5], exec, -1
; %bb.2627:
	s_or_b64 exec, exec, s[8:9]
	s_and_b64 s[4:5], s[4:5], exec
	s_or_saveexec_b64 s[6:7], s[6:7]
	v_mov_b32_e32 v2, s10
	s_xor_b64 exec, exec, s[6:7]
	s_cbranch_execz .LBB14_578
.LBB14_2628:
	v_mov_b32_e32 v2, 0
	v_cmp_ne_u16_sdwa s[8:9], v8, v2 src0_sel:BYTE_0 src1_sel:DWORD
	s_andn2_b64 s[4:5], s[4:5], exec
	s_and_b64 s[8:9], s[8:9], exec
	s_or_b64 s[4:5], s[4:5], s[8:9]
	s_or_b64 exec, exec, s[6:7]
	s_and_saveexec_b64 s[6:7], s[4:5]
	s_cbranch_execnz .LBB14_579
	s_branch .LBB14_580
.LBB14_2629:
	s_movk_i32 s4, 0x80
	v_cmp_eq_u16_sdwa s[12:13], v4, s4 src0_sel:BYTE_0 src1_sel:DWORD
	s_mov_b64 s[4:5], -1
                                        ; implicit-def: $sgpr10
	s_and_saveexec_b64 s[8:9], s[12:13]
; %bb.2630:
	s_mov_b32 s10, 0x7f800001
	s_xor_b64 s[4:5], exec, -1
; %bb.2631:
	s_or_b64 exec, exec, s[8:9]
	s_and_b64 s[4:5], s[4:5], exec
	s_or_saveexec_b64 s[6:7], s[6:7]
	v_mov_b32_e32 v3, s10
	s_xor_b64 exec, exec, s[6:7]
	s_cbranch_execz .LBB14_582
.LBB14_2632:
	v_mov_b32_e32 v3, 0
	v_cmp_ne_u16_sdwa s[8:9], v4, v3 src0_sel:BYTE_0 src1_sel:DWORD
	s_andn2_b64 s[4:5], s[4:5], exec
	s_and_b64 s[8:9], s[8:9], exec
	s_or_b64 s[4:5], s[4:5], s[8:9]
	s_or_b64 exec, exec, s[6:7]
	s_and_saveexec_b64 s[6:7], s[4:5]
	s_cbranch_execnz .LBB14_583
	s_branch .LBB14_584
.LBB14_2633:
	s_movk_i32 s4, 0x80
	v_cmp_eq_u16_sdwa s[12:13], v3, s4 src0_sel:BYTE_0 src1_sel:DWORD
	s_mov_b64 s[4:5], -1
                                        ; implicit-def: $sgpr10
	s_and_saveexec_b64 s[8:9], s[12:13]
; %bb.2634:
	s_mov_b32 s10, 0x7f800001
	s_xor_b64 s[4:5], exec, -1
; %bb.2635:
	s_or_b64 exec, exec, s[8:9]
	s_and_b64 s[4:5], s[4:5], exec
	s_or_saveexec_b64 s[6:7], s[6:7]
	v_mov_b32_e32 v2, s10
	s_xor_b64 exec, exec, s[6:7]
	s_cbranch_execz .LBB14_586
.LBB14_2636:
	v_mov_b32_e32 v2, 0
	v_cmp_ne_u16_sdwa s[8:9], v3, v2 src0_sel:BYTE_0 src1_sel:DWORD
	s_andn2_b64 s[4:5], s[4:5], exec
	s_and_b64 s[8:9], s[8:9], exec
	s_or_b64 s[4:5], s[4:5], s[8:9]
	s_or_b64 exec, exec, s[6:7]
	s_and_saveexec_b64 s[6:7], s[4:5]
	s_cbranch_execnz .LBB14_587
	s_branch .LBB14_588
.LBB14_2637:
	s_movk_i32 s4, 0x80
	v_cmp_eq_u16_sdwa s[12:13], v3, s4 src0_sel:BYTE_0 src1_sel:DWORD
	s_mov_b64 s[4:5], -1
                                        ; implicit-def: $sgpr10
	s_and_saveexec_b64 s[8:9], s[12:13]
; %bb.2638:
	s_mov_b32 s10, 0x7f800001
	s_xor_b64 s[4:5], exec, -1
; %bb.2639:
	s_or_b64 exec, exec, s[8:9]
	s_and_b64 s[4:5], s[4:5], exec
	s_or_saveexec_b64 s[6:7], s[6:7]
	v_mov_b32_e32 v6, s10
	s_xor_b64 exec, exec, s[6:7]
	s_cbranch_execz .LBB14_590
.LBB14_2640:
	v_mov_b32_e32 v6, 0
	v_cmp_ne_u16_sdwa s[8:9], v3, v6 src0_sel:BYTE_0 src1_sel:DWORD
	s_andn2_b64 s[4:5], s[4:5], exec
	s_and_b64 s[8:9], s[8:9], exec
	s_or_b64 s[4:5], s[4:5], s[8:9]
	s_or_b64 exec, exec, s[6:7]
	s_and_saveexec_b64 s[6:7], s[4:5]
	s_cbranch_execnz .LBB14_591
	s_branch .LBB14_592
.LBB14_2641:
	s_movk_i32 s4, 0x80
	v_cmp_eq_u16_e32 vcc, s4, v3
	s_mov_b64 s[4:5], -1
                                        ; implicit-def: $sgpr10
	s_and_saveexec_b64 s[8:9], vcc
; %bb.2642:
	s_mov_b32 s10, 0x7f800001
	s_xor_b64 s[4:5], exec, -1
; %bb.2643:
	s_or_b64 exec, exec, s[8:9]
	s_and_b64 s[4:5], s[4:5], exec
                                        ; implicit-def: $vgpr3
	s_or_saveexec_b64 s[6:7], s[6:7]
	v_mov_b32_e32 v2, s10
	s_xor_b64 exec, exec, s[6:7]
	s_cbranch_execz .LBB14_594
.LBB14_2644:
	v_cmp_ne_u16_e32 vcc, 0, v3
	s_andn2_b64 s[4:5], s[4:5], exec
	s_and_b64 s[8:9], vcc, exec
	v_mov_b32_e32 v2, 0
	s_or_b64 s[4:5], s[4:5], s[8:9]
	s_or_b64 exec, exec, s[6:7]
	s_and_saveexec_b64 s[6:7], s[4:5]
	s_cbranch_execnz .LBB14_595
	s_branch .LBB14_596
.LBB14_2645:
	s_movk_i32 s4, 0x80
	v_cmp_eq_u16_e32 vcc, s4, v3
	s_mov_b64 s[4:5], -1
                                        ; implicit-def: $sgpr10
	s_and_saveexec_b64 s[8:9], vcc
; %bb.2646:
	s_mov_b32 s10, 0x7f800001
	s_xor_b64 s[4:5], exec, -1
; %bb.2647:
	s_or_b64 exec, exec, s[8:9]
	s_and_b64 s[4:5], s[4:5], exec
                                        ; implicit-def: $vgpr3
	s_or_saveexec_b64 s[6:7], s[6:7]
	v_mov_b32_e32 v6, s10
	s_xor_b64 exec, exec, s[6:7]
	s_cbranch_execz .LBB14_598
.LBB14_2648:
	v_cmp_ne_u16_e32 vcc, 0, v3
	s_andn2_b64 s[4:5], s[4:5], exec
	s_and_b64 s[8:9], vcc, exec
	v_mov_b32_e32 v6, 0
	s_or_b64 s[4:5], s[4:5], s[8:9]
	s_or_b64 exec, exec, s[6:7]
	s_and_saveexec_b64 s[6:7], s[4:5]
	s_cbranch_execnz .LBB14_599
	s_branch .LBB14_600
.LBB14_2649:
	s_movk_i32 s4, 0x80
	v_cmp_eq_u16_sdwa s[12:13], v8, s4 src0_sel:BYTE_3 src1_sel:DWORD
	s_mov_b64 s[4:5], -1
                                        ; implicit-def: $sgpr10
	s_and_saveexec_b64 s[8:9], s[12:13]
; %bb.2650:
	s_mov_b32 s10, 0x7f800001
	s_xor_b64 s[4:5], exec, -1
; %bb.2651:
	s_or_b64 exec, exec, s[8:9]
	s_and_b64 s[4:5], s[4:5], exec
	s_or_saveexec_b64 s[6:7], s[6:7]
	v_mov_b32_e32 v2, s10
	s_xor_b64 exec, exec, s[6:7]
	s_cbranch_execz .LBB14_602
.LBB14_2652:
	v_mov_b32_e32 v2, 0
	v_cmp_ne_u16_sdwa s[8:9], v8, v2 src0_sel:BYTE_3 src1_sel:DWORD
	s_andn2_b64 s[4:5], s[4:5], exec
	s_and_b64 s[8:9], s[8:9], exec
	s_or_b64 s[4:5], s[4:5], s[8:9]
	s_or_b64 exec, exec, s[6:7]
	s_and_saveexec_b64 s[6:7], s[4:5]
	s_cbranch_execnz .LBB14_603
	s_branch .LBB14_604
.LBB14_2653:
	s_movk_i32 s4, 0x80
	v_cmp_eq_u16_sdwa s[12:13], v4, s4 src0_sel:BYTE_3 src1_sel:DWORD
	s_mov_b64 s[4:5], -1
                                        ; implicit-def: $sgpr10
	s_and_saveexec_b64 s[8:9], s[12:13]
; %bb.2654:
	s_mov_b32 s10, 0x7f800001
	s_xor_b64 s[4:5], exec, -1
; %bb.2655:
	s_or_b64 exec, exec, s[8:9]
	s_and_b64 s[4:5], s[4:5], exec
	s_or_saveexec_b64 s[6:7], s[6:7]
	v_mov_b32_e32 v3, s10
	s_xor_b64 exec, exec, s[6:7]
	s_cbranch_execz .LBB14_606
.LBB14_2656:
	v_mov_b32_e32 v3, 0
	v_cmp_ne_u16_sdwa s[8:9], v4, v3 src0_sel:BYTE_3 src1_sel:DWORD
	s_andn2_b64 s[4:5], s[4:5], exec
	s_and_b64 s[8:9], s[8:9], exec
	s_or_b64 s[4:5], s[4:5], s[8:9]
	s_or_b64 exec, exec, s[6:7]
	s_and_saveexec_b64 s[6:7], s[4:5]
	s_cbranch_execnz .LBB14_607
	s_branch .LBB14_608
.LBB14_2657:
	s_movk_i32 s4, 0x80
	v_cmp_eq_u16_sdwa s[12:13], v9, s4 src0_sel:BYTE_0 src1_sel:DWORD
	s_mov_b64 s[4:5], -1
                                        ; implicit-def: $sgpr10
	s_and_saveexec_b64 s[8:9], s[12:13]
; %bb.2658:
	s_mov_b32 s10, 0x7f800001
	s_xor_b64 s[4:5], exec, -1
; %bb.2659:
	s_or_b64 exec, exec, s[8:9]
	s_and_b64 s[4:5], s[4:5], exec
	s_or_saveexec_b64 s[6:7], s[6:7]
	v_mov_b32_e32 v2, s10
	s_xor_b64 exec, exec, s[6:7]
	s_cbranch_execz .LBB14_610
.LBB14_2660:
	v_mov_b32_e32 v2, 0
	v_cmp_ne_u16_sdwa s[8:9], v9, v2 src0_sel:BYTE_0 src1_sel:DWORD
	s_andn2_b64 s[4:5], s[4:5], exec
	s_and_b64 s[8:9], s[8:9], exec
	s_or_b64 s[4:5], s[4:5], s[8:9]
	s_or_b64 exec, exec, s[6:7]
	s_and_saveexec_b64 s[6:7], s[4:5]
	s_cbranch_execnz .LBB14_611
	s_branch .LBB14_612
.LBB14_2661:
	s_movk_i32 s4, 0x80
	v_cmp_eq_u16_sdwa s[12:13], v5, s4 src0_sel:BYTE_0 src1_sel:DWORD
	s_mov_b64 s[4:5], -1
                                        ; implicit-def: $sgpr10
	s_and_saveexec_b64 s[8:9], s[12:13]
; %bb.2662:
	s_mov_b32 s10, 0x7f800001
	s_xor_b64 s[4:5], exec, -1
; %bb.2663:
	s_or_b64 exec, exec, s[8:9]
	s_and_b64 s[4:5], s[4:5], exec
	s_or_saveexec_b64 s[6:7], s[6:7]
	v_mov_b32_e32 v3, s10
	s_xor_b64 exec, exec, s[6:7]
	s_cbranch_execz .LBB14_614
.LBB14_2664:
	v_mov_b32_e32 v3, 0
	v_cmp_ne_u16_sdwa s[8:9], v5, v3 src0_sel:BYTE_0 src1_sel:DWORD
	s_andn2_b64 s[4:5], s[4:5], exec
	s_and_b64 s[8:9], s[8:9], exec
	s_or_b64 s[4:5], s[4:5], s[8:9]
	s_or_b64 exec, exec, s[6:7]
	s_and_saveexec_b64 s[6:7], s[4:5]
	s_cbranch_execnz .LBB14_615
	s_branch .LBB14_616
.LBB14_2665:
	s_movk_i32 s4, 0x80
	v_cmp_eq_u16_sdwa s[12:13], v3, s4 src0_sel:BYTE_0 src1_sel:DWORD
	s_mov_b64 s[4:5], -1
                                        ; implicit-def: $sgpr10
	s_and_saveexec_b64 s[8:9], s[12:13]
; %bb.2666:
	s_mov_b32 s10, 0x7f800001
	s_xor_b64 s[4:5], exec, -1
; %bb.2667:
	s_or_b64 exec, exec, s[8:9]
	s_and_b64 s[4:5], s[4:5], exec
	s_or_saveexec_b64 s[6:7], s[6:7]
	v_mov_b32_e32 v2, s10
	s_xor_b64 exec, exec, s[6:7]
	s_cbranch_execz .LBB14_618
.LBB14_2668:
	v_mov_b32_e32 v2, 0
	v_cmp_ne_u16_sdwa s[8:9], v3, v2 src0_sel:BYTE_0 src1_sel:DWORD
	s_andn2_b64 s[4:5], s[4:5], exec
	s_and_b64 s[8:9], s[8:9], exec
	s_or_b64 s[4:5], s[4:5], s[8:9]
	s_or_b64 exec, exec, s[6:7]
	s_and_saveexec_b64 s[6:7], s[4:5]
	s_cbranch_execnz .LBB14_619
	s_branch .LBB14_620
.LBB14_2669:
	s_movk_i32 s4, 0x80
	v_cmp_eq_u16_sdwa s[12:13], v3, s4 src0_sel:BYTE_0 src1_sel:DWORD
	s_mov_b64 s[4:5], -1
                                        ; implicit-def: $sgpr10
	s_and_saveexec_b64 s[8:9], s[12:13]
; %bb.2670:
	s_mov_b32 s10, 0x7f800001
	s_xor_b64 s[4:5], exec, -1
; %bb.2671:
	s_or_b64 exec, exec, s[8:9]
	s_and_b64 s[4:5], s[4:5], exec
	s_or_saveexec_b64 s[6:7], s[6:7]
	v_mov_b32_e32 v4, s10
	s_xor_b64 exec, exec, s[6:7]
	s_cbranch_execz .LBB14_622
.LBB14_2672:
	v_mov_b32_e32 v4, 0
	v_cmp_ne_u16_sdwa s[8:9], v3, v4 src0_sel:BYTE_0 src1_sel:DWORD
	s_andn2_b64 s[4:5], s[4:5], exec
	s_and_b64 s[8:9], s[8:9], exec
	s_or_b64 s[4:5], s[4:5], s[8:9]
	s_or_b64 exec, exec, s[6:7]
	s_and_saveexec_b64 s[6:7], s[4:5]
	s_cbranch_execnz .LBB14_623
	s_branch .LBB14_624
.LBB14_2673:
	s_movk_i32 s4, 0x80
	v_cmp_eq_u16_e32 vcc, s4, v3
	s_mov_b64 s[4:5], -1
                                        ; implicit-def: $sgpr10
	s_and_saveexec_b64 s[8:9], vcc
; %bb.2674:
	s_mov_b32 s10, 0x7f800001
	s_xor_b64 s[4:5], exec, -1
; %bb.2675:
	s_or_b64 exec, exec, s[8:9]
	s_and_b64 s[4:5], s[4:5], exec
                                        ; implicit-def: $vgpr3
	s_or_saveexec_b64 s[6:7], s[6:7]
	v_mov_b32_e32 v2, s10
	s_xor_b64 exec, exec, s[6:7]
	s_cbranch_execz .LBB14_626
.LBB14_2676:
	v_cmp_ne_u16_e32 vcc, 0, v3
	s_andn2_b64 s[4:5], s[4:5], exec
	s_and_b64 s[8:9], vcc, exec
	v_mov_b32_e32 v2, 0
	s_or_b64 s[4:5], s[4:5], s[8:9]
	s_or_b64 exec, exec, s[6:7]
	s_and_saveexec_b64 s[6:7], s[4:5]
	s_cbranch_execnz .LBB14_627
	s_branch .LBB14_628
.LBB14_2677:
	s_movk_i32 s4, 0x80
	v_cmp_eq_u16_e32 vcc, s4, v3
	s_mov_b64 s[4:5], -1
                                        ; implicit-def: $sgpr10
	s_and_saveexec_b64 s[8:9], vcc
; %bb.2678:
	s_mov_b32 s10, 0x7f800001
	s_xor_b64 s[4:5], exec, -1
; %bb.2679:
	s_or_b64 exec, exec, s[8:9]
	s_and_b64 s[4:5], s[4:5], exec
                                        ; implicit-def: $vgpr3
	s_or_saveexec_b64 s[6:7], s[6:7]
	v_mov_b32_e32 v4, s10
	s_xor_b64 exec, exec, s[6:7]
	s_cbranch_execz .LBB14_630
.LBB14_2680:
	v_cmp_ne_u16_e32 vcc, 0, v3
	s_andn2_b64 s[4:5], s[4:5], exec
	s_and_b64 s[8:9], vcc, exec
	v_mov_b32_e32 v4, 0
	s_or_b64 s[4:5], s[4:5], s[8:9]
	s_or_b64 exec, exec, s[6:7]
	s_and_saveexec_b64 s[6:7], s[4:5]
	s_cbranch_execnz .LBB14_631
	s_branch .LBB14_632
.LBB14_2681:
	s_movk_i32 s4, 0x80
	v_cmp_eq_u16_sdwa s[12:13], v9, s4 src0_sel:BYTE_3 src1_sel:DWORD
	s_mov_b64 s[4:5], -1
                                        ; implicit-def: $sgpr10
	s_and_saveexec_b64 s[8:9], s[12:13]
; %bb.2682:
	s_mov_b32 s10, 0x7f800001
	s_xor_b64 s[4:5], exec, -1
; %bb.2683:
	s_or_b64 exec, exec, s[8:9]
	s_and_b64 s[4:5], s[4:5], exec
	s_or_saveexec_b64 s[6:7], s[6:7]
	v_mov_b32_e32 v2, s10
	s_xor_b64 exec, exec, s[6:7]
	s_cbranch_execz .LBB14_634
.LBB14_2684:
	v_mov_b32_e32 v2, 0
	v_cmp_ne_u16_sdwa s[8:9], v9, v2 src0_sel:BYTE_3 src1_sel:DWORD
	s_andn2_b64 s[4:5], s[4:5], exec
	s_and_b64 s[8:9], s[8:9], exec
	s_or_b64 s[4:5], s[4:5], s[8:9]
	s_or_b64 exec, exec, s[6:7]
	s_and_saveexec_b64 s[6:7], s[4:5]
	s_cbranch_execnz .LBB14_635
	s_branch .LBB14_636
.LBB14_2685:
	s_movk_i32 s4, 0x80
	v_cmp_eq_u16_sdwa s[12:13], v5, s4 src0_sel:BYTE_3 src1_sel:DWORD
	s_mov_b64 s[4:5], -1
                                        ; implicit-def: $sgpr10
	s_and_saveexec_b64 s[8:9], s[12:13]
; %bb.2686:
	s_mov_b32 s10, 0x7f800001
	s_xor_b64 s[4:5], exec, -1
; %bb.2687:
	s_or_b64 exec, exec, s[8:9]
	s_and_b64 s[4:5], s[4:5], exec
	s_or_saveexec_b64 s[6:7], s[6:7]
	v_mov_b32_e32 v3, s10
	s_xor_b64 exec, exec, s[6:7]
	s_cbranch_execz .LBB14_638
.LBB14_2688:
	v_mov_b32_e32 v3, 0
	v_cmp_ne_u16_sdwa s[8:9], v5, v3 src0_sel:BYTE_3 src1_sel:DWORD
	s_andn2_b64 s[4:5], s[4:5], exec
	s_and_b64 s[8:9], s[8:9], exec
	s_or_b64 s[4:5], s[4:5], s[8:9]
	s_or_b64 exec, exec, s[6:7]
	s_and_saveexec_b64 s[6:7], s[4:5]
	s_cbranch_execnz .LBB14_639
	s_branch .LBB14_640
.LBB14_2689:
	s_movk_i32 s4, 0x80
	v_cmp_eq_u16_sdwa s[12:13], v6, s4 src0_sel:BYTE_0 src1_sel:DWORD
	s_mov_b64 s[4:5], -1
                                        ; implicit-def: $sgpr10
	s_and_saveexec_b64 s[8:9], s[12:13]
; %bb.2690:
	s_mov_b32 s10, 0x7f800001
	s_xor_b64 s[4:5], exec, -1
; %bb.2691:
	s_or_b64 exec, exec, s[8:9]
	s_and_b64 s[4:5], s[4:5], exec
	s_or_saveexec_b64 s[6:7], s[6:7]
	v_mov_b32_e32 v12, s10
	s_xor_b64 exec, exec, s[6:7]
	s_cbranch_execz .LBB14_642
.LBB14_2692:
	v_mov_b32_e32 v12, 0
	v_cmp_ne_u16_sdwa s[8:9], v6, v12 src0_sel:BYTE_0 src1_sel:DWORD
	s_andn2_b64 s[4:5], s[4:5], exec
	s_and_b64 s[8:9], s[8:9], exec
	s_or_b64 s[4:5], s[4:5], s[8:9]
	s_or_b64 exec, exec, s[6:7]
	s_and_saveexec_b64 s[6:7], s[4:5]
	s_cbranch_execnz .LBB14_643
	s_branch .LBB14_644
.LBB14_2693:
	s_movk_i32 s4, 0x80
	v_cmp_eq_u16_sdwa s[12:13], v2, s4 src0_sel:BYTE_0 src1_sel:DWORD
	s_mov_b64 s[4:5], -1
                                        ; implicit-def: $sgpr10
	s_and_saveexec_b64 s[8:9], s[12:13]
; %bb.2694:
	s_mov_b32 s10, 0x7f800001
	s_xor_b64 s[4:5], exec, -1
; %bb.2695:
	s_or_b64 exec, exec, s[8:9]
	s_and_b64 s[4:5], s[4:5], exec
	s_or_saveexec_b64 s[6:7], s[6:7]
	v_mov_b32_e32 v13, s10
	s_xor_b64 exec, exec, s[6:7]
	s_cbranch_execz .LBB14_646
.LBB14_2696:
	v_mov_b32_e32 v13, 0
	v_cmp_ne_u16_sdwa s[8:9], v2, v13 src0_sel:BYTE_0 src1_sel:DWORD
	s_andn2_b64 s[4:5], s[4:5], exec
	s_and_b64 s[8:9], s[8:9], exec
	s_or_b64 s[4:5], s[4:5], s[8:9]
	s_or_b64 exec, exec, s[6:7]
	s_and_saveexec_b64 s[6:7], s[4:5]
	s_cbranch_execnz .LBB14_647
	s_branch .LBB14_648
.LBB14_2697:
	s_movk_i32 s4, 0x80
	v_cmp_eq_u16_sdwa s[12:13], v13, s4 src0_sel:BYTE_0 src1_sel:DWORD
	s_mov_b64 s[4:5], -1
                                        ; implicit-def: $sgpr10
	s_and_saveexec_b64 s[8:9], s[12:13]
; %bb.2698:
	s_mov_b32 s10, 0x7f800001
	s_xor_b64 s[4:5], exec, -1
; %bb.2699:
	s_or_b64 exec, exec, s[8:9]
	s_and_b64 s[4:5], s[4:5], exec
	s_or_saveexec_b64 s[6:7], s[6:7]
	v_mov_b32_e32 v12, s10
	s_xor_b64 exec, exec, s[6:7]
	s_cbranch_execz .LBB14_650
.LBB14_2700:
	v_mov_b32_e32 v12, 0
	v_cmp_ne_u16_sdwa s[8:9], v13, v12 src0_sel:BYTE_0 src1_sel:DWORD
	s_andn2_b64 s[4:5], s[4:5], exec
	s_and_b64 s[8:9], s[8:9], exec
	s_or_b64 s[4:5], s[4:5], s[8:9]
	s_or_b64 exec, exec, s[6:7]
	s_and_saveexec_b64 s[6:7], s[4:5]
	s_cbranch_execnz .LBB14_651
	s_branch .LBB14_652
.LBB14_2701:
	s_movk_i32 s4, 0x80
	v_cmp_eq_u16_sdwa s[12:13], v13, s4 src0_sel:BYTE_0 src1_sel:DWORD
	s_mov_b64 s[4:5], -1
                                        ; implicit-def: $sgpr10
	s_and_saveexec_b64 s[8:9], s[12:13]
; %bb.2702:
	s_mov_b32 s10, 0x7f800001
	s_xor_b64 s[4:5], exec, -1
; %bb.2703:
	s_or_b64 exec, exec, s[8:9]
	s_and_b64 s[4:5], s[4:5], exec
	s_or_saveexec_b64 s[6:7], s[6:7]
	v_mov_b32_e32 v14, s10
	s_xor_b64 exec, exec, s[6:7]
	s_cbranch_execz .LBB14_654
.LBB14_2704:
	v_mov_b32_e32 v14, 0
	v_cmp_ne_u16_sdwa s[8:9], v13, v14 src0_sel:BYTE_0 src1_sel:DWORD
	s_andn2_b64 s[4:5], s[4:5], exec
	s_and_b64 s[8:9], s[8:9], exec
	s_or_b64 s[4:5], s[4:5], s[8:9]
	s_or_b64 exec, exec, s[6:7]
	s_and_saveexec_b64 s[6:7], s[4:5]
	s_cbranch_execnz .LBB14_655
	s_branch .LBB14_656
.LBB14_2705:
	s_movk_i32 s4, 0x80
	v_cmp_eq_u16_e32 vcc, s4, v13
	s_mov_b64 s[4:5], -1
                                        ; implicit-def: $sgpr10
	s_and_saveexec_b64 s[8:9], vcc
; %bb.2706:
	s_mov_b32 s10, 0x7f800001
	s_xor_b64 s[4:5], exec, -1
; %bb.2707:
	s_or_b64 exec, exec, s[8:9]
	s_and_b64 s[4:5], s[4:5], exec
                                        ; implicit-def: $vgpr13
	s_or_saveexec_b64 s[6:7], s[6:7]
	v_mov_b32_e32 v12, s10
	s_xor_b64 exec, exec, s[6:7]
	s_cbranch_execz .LBB14_658
.LBB14_2708:
	v_cmp_ne_u16_e32 vcc, 0, v13
	s_andn2_b64 s[4:5], s[4:5], exec
	s_and_b64 s[8:9], vcc, exec
	v_mov_b32_e32 v12, 0
	s_or_b64 s[4:5], s[4:5], s[8:9]
	s_or_b64 exec, exec, s[6:7]
	s_and_saveexec_b64 s[6:7], s[4:5]
	s_cbranch_execnz .LBB14_659
	s_branch .LBB14_660
.LBB14_2709:
	s_movk_i32 s4, 0x80
	v_cmp_eq_u16_e32 vcc, s4, v13
	s_mov_b64 s[4:5], -1
                                        ; implicit-def: $sgpr10
	s_and_saveexec_b64 s[8:9], vcc
; %bb.2710:
	s_mov_b32 s10, 0x7f800001
	s_xor_b64 s[4:5], exec, -1
; %bb.2711:
	s_or_b64 exec, exec, s[8:9]
	s_and_b64 s[4:5], s[4:5], exec
                                        ; implicit-def: $vgpr13
	s_or_saveexec_b64 s[6:7], s[6:7]
	v_mov_b32_e32 v14, s10
	s_xor_b64 exec, exec, s[6:7]
	s_cbranch_execz .LBB14_662
.LBB14_2712:
	v_cmp_ne_u16_e32 vcc, 0, v13
	s_andn2_b64 s[4:5], s[4:5], exec
	s_and_b64 s[8:9], vcc, exec
	v_mov_b32_e32 v14, 0
	s_or_b64 s[4:5], s[4:5], s[8:9]
	s_or_b64 exec, exec, s[6:7]
	s_and_saveexec_b64 s[6:7], s[4:5]
	s_cbranch_execnz .LBB14_663
	s_branch .LBB14_664
.LBB14_2713:
	s_movk_i32 s4, 0x80
	v_cmp_eq_u16_sdwa s[12:13], v6, s4 src0_sel:BYTE_3 src1_sel:DWORD
	s_mov_b64 s[4:5], -1
                                        ; implicit-def: $sgpr10
	s_and_saveexec_b64 s[8:9], s[12:13]
; %bb.2714:
	s_mov_b32 s10, 0x7f800001
	s_xor_b64 s[4:5], exec, -1
; %bb.2715:
	s_or_b64 exec, exec, s[8:9]
	s_and_b64 s[4:5], s[4:5], exec
	s_or_saveexec_b64 s[6:7], s[6:7]
	v_mov_b32_e32 v12, s10
	s_xor_b64 exec, exec, s[6:7]
	s_cbranch_execz .LBB14_666
.LBB14_2716:
	v_mov_b32_e32 v12, 0
	v_cmp_ne_u16_sdwa s[8:9], v6, v12 src0_sel:BYTE_3 src1_sel:DWORD
	s_andn2_b64 s[4:5], s[4:5], exec
	s_and_b64 s[8:9], s[8:9], exec
	s_or_b64 s[4:5], s[4:5], s[8:9]
	s_or_b64 exec, exec, s[6:7]
	s_and_saveexec_b64 s[6:7], s[4:5]
	s_cbranch_execnz .LBB14_667
	s_branch .LBB14_668
.LBB14_2717:
	s_movk_i32 s4, 0x80
	v_cmp_eq_u16_sdwa s[12:13], v2, s4 src0_sel:BYTE_3 src1_sel:DWORD
	s_mov_b64 s[4:5], -1
                                        ; implicit-def: $sgpr10
	s_and_saveexec_b64 s[8:9], s[12:13]
; %bb.2718:
	s_mov_b32 s10, 0x7f800001
	s_xor_b64 s[4:5], exec, -1
; %bb.2719:
	s_or_b64 exec, exec, s[8:9]
	s_and_b64 s[4:5], s[4:5], exec
	s_or_saveexec_b64 s[6:7], s[6:7]
	v_mov_b32_e32 v6, s10
	s_xor_b64 exec, exec, s[6:7]
	s_cbranch_execz .LBB14_670
.LBB14_2720:
	v_mov_b32_e32 v6, 0
	v_cmp_ne_u16_sdwa s[8:9], v2, v6 src0_sel:BYTE_3 src1_sel:DWORD
	s_andn2_b64 s[4:5], s[4:5], exec
	s_and_b64 s[8:9], s[8:9], exec
	s_or_b64 s[4:5], s[4:5], s[8:9]
	s_or_b64 exec, exec, s[6:7]
	s_and_saveexec_b64 s[6:7], s[4:5]
	s_cbranch_execnz .LBB14_671
	s_branch .LBB14_672
.LBB14_2721:
	s_movk_i32 s4, 0x80
	v_cmp_eq_u16_sdwa s[12:13], v7, s4 src0_sel:BYTE_0 src1_sel:DWORD
	s_mov_b64 s[4:5], -1
                                        ; implicit-def: $sgpr10
	s_and_saveexec_b64 s[8:9], s[12:13]
; %bb.2722:
	s_mov_b32 s10, 0x7f800001
	s_xor_b64 s[4:5], exec, -1
; %bb.2723:
	s_or_b64 exec, exec, s[8:9]
	s_and_b64 s[4:5], s[4:5], exec
	s_or_saveexec_b64 s[6:7], s[6:7]
	v_mov_b32_e32 v2, s10
	s_xor_b64 exec, exec, s[6:7]
	s_cbranch_execz .LBB14_674
.LBB14_2724:
	v_mov_b32_e32 v2, 0
	v_cmp_ne_u16_sdwa s[8:9], v7, v2 src0_sel:BYTE_0 src1_sel:DWORD
	s_andn2_b64 s[4:5], s[4:5], exec
	s_and_b64 s[8:9], s[8:9], exec
	s_or_b64 s[4:5], s[4:5], s[8:9]
	s_or_b64 exec, exec, s[6:7]
	s_and_saveexec_b64 s[6:7], s[4:5]
	s_cbranch_execnz .LBB14_675
	s_branch .LBB14_676
.LBB14_2725:
	s_movk_i32 s4, 0x80
	v_cmp_eq_u16_sdwa s[12:13], v3, s4 src0_sel:BYTE_0 src1_sel:DWORD
	s_mov_b64 s[4:5], -1
                                        ; implicit-def: $sgpr10
	s_and_saveexec_b64 s[8:9], s[12:13]
; %bb.2726:
	s_mov_b32 s10, 0x7f800001
	s_xor_b64 s[4:5], exec, -1
; %bb.2727:
	s_or_b64 exec, exec, s[8:9]
	s_and_b64 s[4:5], s[4:5], exec
	s_or_saveexec_b64 s[6:7], s[6:7]
	v_mov_b32_e32 v6, s10
	s_xor_b64 exec, exec, s[6:7]
	s_cbranch_execz .LBB14_678
.LBB14_2728:
	v_mov_b32_e32 v6, 0
	v_cmp_ne_u16_sdwa s[8:9], v3, v6 src0_sel:BYTE_0 src1_sel:DWORD
	s_andn2_b64 s[4:5], s[4:5], exec
	s_and_b64 s[8:9], s[8:9], exec
	s_or_b64 s[4:5], s[4:5], s[8:9]
	s_or_b64 exec, exec, s[6:7]
	s_and_saveexec_b64 s[6:7], s[4:5]
	s_cbranch_execnz .LBB14_679
	s_branch .LBB14_680
.LBB14_2729:
	s_movk_i32 s4, 0x80
	v_cmp_eq_u16_sdwa s[12:13], v6, s4 src0_sel:BYTE_0 src1_sel:DWORD
	s_mov_b64 s[4:5], -1
                                        ; implicit-def: $sgpr10
	s_and_saveexec_b64 s[8:9], s[12:13]
; %bb.2730:
	s_mov_b32 s10, 0x7f800001
	s_xor_b64 s[4:5], exec, -1
; %bb.2731:
	s_or_b64 exec, exec, s[8:9]
	s_and_b64 s[4:5], s[4:5], exec
	s_or_saveexec_b64 s[6:7], s[6:7]
	v_mov_b32_e32 v2, s10
	s_xor_b64 exec, exec, s[6:7]
	s_cbranch_execz .LBB14_682
.LBB14_2732:
	v_mov_b32_e32 v2, 0
	v_cmp_ne_u16_sdwa s[8:9], v6, v2 src0_sel:BYTE_0 src1_sel:DWORD
	s_andn2_b64 s[4:5], s[4:5], exec
	s_and_b64 s[8:9], s[8:9], exec
	s_or_b64 s[4:5], s[4:5], s[8:9]
	s_or_b64 exec, exec, s[6:7]
	s_and_saveexec_b64 s[6:7], s[4:5]
	s_cbranch_execnz .LBB14_683
	s_branch .LBB14_684
.LBB14_2733:
	s_movk_i32 s4, 0x80
	v_cmp_eq_u16_sdwa s[12:13], v6, s4 src0_sel:BYTE_0 src1_sel:DWORD
	s_mov_b64 s[4:5], -1
                                        ; implicit-def: $sgpr10
	s_and_saveexec_b64 s[8:9], s[12:13]
; %bb.2734:
	s_mov_b32 s10, 0x7f800001
	s_xor_b64 s[4:5], exec, -1
; %bb.2735:
	s_or_b64 exec, exec, s[8:9]
	s_and_b64 s[4:5], s[4:5], exec
	s_or_saveexec_b64 s[6:7], s[6:7]
	v_mov_b32_e32 v12, s10
	s_xor_b64 exec, exec, s[6:7]
	s_cbranch_execz .LBB14_686
.LBB14_2736:
	v_mov_b32_e32 v12, 0
	v_cmp_ne_u16_sdwa s[8:9], v6, v12 src0_sel:BYTE_0 src1_sel:DWORD
	s_andn2_b64 s[4:5], s[4:5], exec
	s_and_b64 s[8:9], s[8:9], exec
	s_or_b64 s[4:5], s[4:5], s[8:9]
	s_or_b64 exec, exec, s[6:7]
	s_and_saveexec_b64 s[6:7], s[4:5]
	s_cbranch_execnz .LBB14_687
	s_branch .LBB14_688
.LBB14_2737:
	s_movk_i32 s4, 0x80
	v_cmp_eq_u16_e32 vcc, s4, v6
	s_mov_b64 s[4:5], -1
                                        ; implicit-def: $sgpr10
	s_and_saveexec_b64 s[8:9], vcc
; %bb.2738:
	s_mov_b32 s10, 0x7f800001
	s_xor_b64 s[4:5], exec, -1
; %bb.2739:
	s_or_b64 exec, exec, s[8:9]
	s_and_b64 s[4:5], s[4:5], exec
                                        ; implicit-def: $vgpr6
	s_or_saveexec_b64 s[6:7], s[6:7]
	v_mov_b32_e32 v2, s10
	s_xor_b64 exec, exec, s[6:7]
	s_cbranch_execz .LBB14_690
.LBB14_2740:
	v_cmp_ne_u16_e32 vcc, 0, v6
	s_andn2_b64 s[4:5], s[4:5], exec
	s_and_b64 s[8:9], vcc, exec
	v_mov_b32_e32 v2, 0
	s_or_b64 s[4:5], s[4:5], s[8:9]
	s_or_b64 exec, exec, s[6:7]
	s_and_saveexec_b64 s[6:7], s[4:5]
	s_cbranch_execnz .LBB14_691
	s_branch .LBB14_692
.LBB14_2741:
	s_movk_i32 s4, 0x80
	v_cmp_eq_u16_e32 vcc, s4, v6
	s_mov_b64 s[4:5], -1
                                        ; implicit-def: $sgpr10
	s_and_saveexec_b64 s[8:9], vcc
; %bb.2742:
	s_mov_b32 s10, 0x7f800001
	s_xor_b64 s[4:5], exec, -1
; %bb.2743:
	s_or_b64 exec, exec, s[8:9]
	s_and_b64 s[4:5], s[4:5], exec
                                        ; implicit-def: $vgpr6
	s_or_saveexec_b64 s[6:7], s[6:7]
	v_mov_b32_e32 v12, s10
	s_xor_b64 exec, exec, s[6:7]
	s_cbranch_execz .LBB14_694
.LBB14_2744:
	v_cmp_ne_u16_e32 vcc, 0, v6
	s_andn2_b64 s[4:5], s[4:5], exec
	s_and_b64 s[8:9], vcc, exec
	v_mov_b32_e32 v12, 0
	s_or_b64 s[4:5], s[4:5], s[8:9]
	s_or_b64 exec, exec, s[6:7]
	s_and_saveexec_b64 s[6:7], s[4:5]
	s_cbranch_execnz .LBB14_695
	s_branch .LBB14_696
.LBB14_2745:
	s_movk_i32 s4, 0x80
	v_cmp_eq_u16_sdwa s[12:13], v7, s4 src0_sel:BYTE_3 src1_sel:DWORD
	s_mov_b64 s[4:5], -1
                                        ; implicit-def: $sgpr10
	s_and_saveexec_b64 s[8:9], s[12:13]
; %bb.2746:
	s_mov_b32 s10, 0x7f800001
	s_xor_b64 s[4:5], exec, -1
; %bb.2747:
	s_or_b64 exec, exec, s[8:9]
	s_and_b64 s[4:5], s[4:5], exec
	s_or_saveexec_b64 s[6:7], s[6:7]
	v_mov_b32_e32 v2, s10
	s_xor_b64 exec, exec, s[6:7]
	s_cbranch_execz .LBB14_698
.LBB14_2748:
	v_mov_b32_e32 v2, 0
	v_cmp_ne_u16_sdwa s[8:9], v7, v2 src0_sel:BYTE_3 src1_sel:DWORD
	s_andn2_b64 s[4:5], s[4:5], exec
	s_and_b64 s[8:9], s[8:9], exec
	s_or_b64 s[4:5], s[4:5], s[8:9]
	s_or_b64 exec, exec, s[6:7]
	s_and_saveexec_b64 s[6:7], s[4:5]
	s_cbranch_execnz .LBB14_699
	s_branch .LBB14_700
.LBB14_2749:
	s_movk_i32 s4, 0x80
	v_cmp_eq_u16_sdwa s[12:13], v3, s4 src0_sel:BYTE_3 src1_sel:DWORD
	s_mov_b64 s[4:5], -1
                                        ; implicit-def: $sgpr10
	s_and_saveexec_b64 s[8:9], s[12:13]
; %bb.2750:
	s_mov_b32 s10, 0x7f800001
	s_xor_b64 s[4:5], exec, -1
; %bb.2751:
	s_or_b64 exec, exec, s[8:9]
	s_and_b64 s[4:5], s[4:5], exec
	s_or_saveexec_b64 s[6:7], s[6:7]
	v_mov_b32_e32 v6, s10
	s_xor_b64 exec, exec, s[6:7]
	s_cbranch_execz .LBB14_702
.LBB14_2752:
	v_mov_b32_e32 v6, 0
	v_cmp_ne_u16_sdwa s[8:9], v3, v6 src0_sel:BYTE_3 src1_sel:DWORD
	s_andn2_b64 s[4:5], s[4:5], exec
	s_and_b64 s[8:9], s[8:9], exec
	s_or_b64 s[4:5], s[4:5], s[8:9]
	s_or_b64 exec, exec, s[6:7]
	s_and_saveexec_b64 s[6:7], s[4:5]
	s_cbranch_execnz .LBB14_703
	s_branch .LBB14_704
.LBB14_2753:
	s_movk_i32 s4, 0x80
	v_cmp_eq_u16_sdwa s[12:13], v8, s4 src0_sel:BYTE_0 src1_sel:DWORD
	s_mov_b64 s[4:5], -1
                                        ; implicit-def: $sgpr10
	s_and_saveexec_b64 s[8:9], s[12:13]
; %bb.2754:
	s_mov_b32 s10, 0x7f800001
	s_xor_b64 s[4:5], exec, -1
; %bb.2755:
	s_or_b64 exec, exec, s[8:9]
	s_and_b64 s[4:5], s[4:5], exec
	s_or_saveexec_b64 s[6:7], s[6:7]
	v_mov_b32_e32 v2, s10
	s_xor_b64 exec, exec, s[6:7]
	s_cbranch_execz .LBB14_706
.LBB14_2756:
	v_mov_b32_e32 v2, 0
	v_cmp_ne_u16_sdwa s[8:9], v8, v2 src0_sel:BYTE_0 src1_sel:DWORD
	s_andn2_b64 s[4:5], s[4:5], exec
	s_and_b64 s[8:9], s[8:9], exec
	s_or_b64 s[4:5], s[4:5], s[8:9]
	s_or_b64 exec, exec, s[6:7]
	s_and_saveexec_b64 s[6:7], s[4:5]
	s_cbranch_execnz .LBB14_707
	s_branch .LBB14_708
.LBB14_2757:
	s_movk_i32 s4, 0x80
	v_cmp_eq_u16_sdwa s[12:13], v4, s4 src0_sel:BYTE_0 src1_sel:DWORD
	s_mov_b64 s[4:5], -1
                                        ; implicit-def: $sgpr10
	s_and_saveexec_b64 s[8:9], s[12:13]
; %bb.2758:
	s_mov_b32 s10, 0x7f800001
	s_xor_b64 s[4:5], exec, -1
; %bb.2759:
	s_or_b64 exec, exec, s[8:9]
	s_and_b64 s[4:5], s[4:5], exec
	s_or_saveexec_b64 s[6:7], s[6:7]
	v_mov_b32_e32 v3, s10
	s_xor_b64 exec, exec, s[6:7]
	s_cbranch_execz .LBB14_710
.LBB14_2760:
	v_mov_b32_e32 v3, 0
	v_cmp_ne_u16_sdwa s[8:9], v4, v3 src0_sel:BYTE_0 src1_sel:DWORD
	s_andn2_b64 s[4:5], s[4:5], exec
	s_and_b64 s[8:9], s[8:9], exec
	s_or_b64 s[4:5], s[4:5], s[8:9]
	s_or_b64 exec, exec, s[6:7]
	s_and_saveexec_b64 s[6:7], s[4:5]
	s_cbranch_execnz .LBB14_711
	s_branch .LBB14_712
.LBB14_2761:
	s_movk_i32 s4, 0x80
	v_cmp_eq_u16_sdwa s[12:13], v3, s4 src0_sel:BYTE_0 src1_sel:DWORD
	s_mov_b64 s[4:5], -1
                                        ; implicit-def: $sgpr10
	s_and_saveexec_b64 s[8:9], s[12:13]
; %bb.2762:
	s_mov_b32 s10, 0x7f800001
	s_xor_b64 s[4:5], exec, -1
; %bb.2763:
	s_or_b64 exec, exec, s[8:9]
	s_and_b64 s[4:5], s[4:5], exec
	s_or_saveexec_b64 s[6:7], s[6:7]
	v_mov_b32_e32 v2, s10
	s_xor_b64 exec, exec, s[6:7]
	s_cbranch_execz .LBB14_714
.LBB14_2764:
	v_mov_b32_e32 v2, 0
	v_cmp_ne_u16_sdwa s[8:9], v3, v2 src0_sel:BYTE_0 src1_sel:DWORD
	s_andn2_b64 s[4:5], s[4:5], exec
	s_and_b64 s[8:9], s[8:9], exec
	s_or_b64 s[4:5], s[4:5], s[8:9]
	s_or_b64 exec, exec, s[6:7]
	s_and_saveexec_b64 s[6:7], s[4:5]
	s_cbranch_execnz .LBB14_715
	s_branch .LBB14_716
.LBB14_2765:
	s_movk_i32 s4, 0x80
	v_cmp_eq_u16_sdwa s[12:13], v3, s4 src0_sel:BYTE_0 src1_sel:DWORD
	s_mov_b64 s[4:5], -1
                                        ; implicit-def: $sgpr10
	s_and_saveexec_b64 s[8:9], s[12:13]
; %bb.2766:
	s_mov_b32 s10, 0x7f800001
	s_xor_b64 s[4:5], exec, -1
; %bb.2767:
	s_or_b64 exec, exec, s[8:9]
	s_and_b64 s[4:5], s[4:5], exec
	s_or_saveexec_b64 s[6:7], s[6:7]
	v_mov_b32_e32 v6, s10
	s_xor_b64 exec, exec, s[6:7]
	s_cbranch_execz .LBB14_718
.LBB14_2768:
	v_mov_b32_e32 v6, 0
	v_cmp_ne_u16_sdwa s[8:9], v3, v6 src0_sel:BYTE_0 src1_sel:DWORD
	s_andn2_b64 s[4:5], s[4:5], exec
	s_and_b64 s[8:9], s[8:9], exec
	s_or_b64 s[4:5], s[4:5], s[8:9]
	s_or_b64 exec, exec, s[6:7]
	s_and_saveexec_b64 s[6:7], s[4:5]
	s_cbranch_execnz .LBB14_719
	s_branch .LBB14_720
.LBB14_2769:
	s_movk_i32 s4, 0x80
	v_cmp_eq_u16_e32 vcc, s4, v3
	s_mov_b64 s[4:5], -1
                                        ; implicit-def: $sgpr10
	s_and_saveexec_b64 s[8:9], vcc
; %bb.2770:
	s_mov_b32 s10, 0x7f800001
	s_xor_b64 s[4:5], exec, -1
; %bb.2771:
	s_or_b64 exec, exec, s[8:9]
	s_and_b64 s[4:5], s[4:5], exec
                                        ; implicit-def: $vgpr3
	s_or_saveexec_b64 s[6:7], s[6:7]
	v_mov_b32_e32 v2, s10
	s_xor_b64 exec, exec, s[6:7]
	s_cbranch_execz .LBB14_722
.LBB14_2772:
	v_cmp_ne_u16_e32 vcc, 0, v3
	s_andn2_b64 s[4:5], s[4:5], exec
	s_and_b64 s[8:9], vcc, exec
	v_mov_b32_e32 v2, 0
	s_or_b64 s[4:5], s[4:5], s[8:9]
	s_or_b64 exec, exec, s[6:7]
	s_and_saveexec_b64 s[6:7], s[4:5]
	s_cbranch_execnz .LBB14_723
	s_branch .LBB14_724
.LBB14_2773:
	s_movk_i32 s4, 0x80
	v_cmp_eq_u16_e32 vcc, s4, v3
	s_mov_b64 s[4:5], -1
                                        ; implicit-def: $sgpr10
	s_and_saveexec_b64 s[8:9], vcc
; %bb.2774:
	s_mov_b32 s10, 0x7f800001
	s_xor_b64 s[4:5], exec, -1
; %bb.2775:
	s_or_b64 exec, exec, s[8:9]
	s_and_b64 s[4:5], s[4:5], exec
                                        ; implicit-def: $vgpr3
	s_or_saveexec_b64 s[6:7], s[6:7]
	v_mov_b32_e32 v6, s10
	s_xor_b64 exec, exec, s[6:7]
	s_cbranch_execz .LBB14_726
.LBB14_2776:
	v_cmp_ne_u16_e32 vcc, 0, v3
	s_andn2_b64 s[4:5], s[4:5], exec
	s_and_b64 s[8:9], vcc, exec
	v_mov_b32_e32 v6, 0
	s_or_b64 s[4:5], s[4:5], s[8:9]
	s_or_b64 exec, exec, s[6:7]
	s_and_saveexec_b64 s[6:7], s[4:5]
	s_cbranch_execnz .LBB14_727
	s_branch .LBB14_728
.LBB14_2777:
	s_movk_i32 s4, 0x80
	v_cmp_eq_u16_sdwa s[12:13], v8, s4 src0_sel:BYTE_3 src1_sel:DWORD
	s_mov_b64 s[4:5], -1
                                        ; implicit-def: $sgpr10
	s_and_saveexec_b64 s[8:9], s[12:13]
; %bb.2778:
	s_mov_b32 s10, 0x7f800001
	s_xor_b64 s[4:5], exec, -1
; %bb.2779:
	s_or_b64 exec, exec, s[8:9]
	s_and_b64 s[4:5], s[4:5], exec
	s_or_saveexec_b64 s[6:7], s[6:7]
	v_mov_b32_e32 v2, s10
	s_xor_b64 exec, exec, s[6:7]
	s_cbranch_execz .LBB14_730
.LBB14_2780:
	v_mov_b32_e32 v2, 0
	v_cmp_ne_u16_sdwa s[8:9], v8, v2 src0_sel:BYTE_3 src1_sel:DWORD
	s_andn2_b64 s[4:5], s[4:5], exec
	s_and_b64 s[8:9], s[8:9], exec
	s_or_b64 s[4:5], s[4:5], s[8:9]
	s_or_b64 exec, exec, s[6:7]
	s_and_saveexec_b64 s[6:7], s[4:5]
	s_cbranch_execnz .LBB14_731
	s_branch .LBB14_732
.LBB14_2781:
	s_movk_i32 s4, 0x80
	v_cmp_eq_u16_sdwa s[12:13], v4, s4 src0_sel:BYTE_3 src1_sel:DWORD
	s_mov_b64 s[4:5], -1
                                        ; implicit-def: $sgpr10
	s_and_saveexec_b64 s[8:9], s[12:13]
; %bb.2782:
	s_mov_b32 s10, 0x7f800001
	s_xor_b64 s[4:5], exec, -1
; %bb.2783:
	s_or_b64 exec, exec, s[8:9]
	s_and_b64 s[4:5], s[4:5], exec
	s_or_saveexec_b64 s[6:7], s[6:7]
	v_mov_b32_e32 v3, s10
	s_xor_b64 exec, exec, s[6:7]
	s_cbranch_execz .LBB14_734
.LBB14_2784:
	v_mov_b32_e32 v3, 0
	v_cmp_ne_u16_sdwa s[8:9], v4, v3 src0_sel:BYTE_3 src1_sel:DWORD
	s_andn2_b64 s[4:5], s[4:5], exec
	s_and_b64 s[8:9], s[8:9], exec
	s_or_b64 s[4:5], s[4:5], s[8:9]
	s_or_b64 exec, exec, s[6:7]
	s_and_saveexec_b64 s[6:7], s[4:5]
	s_cbranch_execnz .LBB14_735
	s_branch .LBB14_736
.LBB14_2785:
	s_movk_i32 s4, 0x80
	v_cmp_eq_u16_sdwa s[12:13], v9, s4 src0_sel:BYTE_0 src1_sel:DWORD
	s_mov_b64 s[4:5], -1
                                        ; implicit-def: $sgpr10
	s_and_saveexec_b64 s[8:9], s[12:13]
; %bb.2786:
	s_mov_b32 s10, 0x7f800001
	s_xor_b64 s[4:5], exec, -1
; %bb.2787:
	s_or_b64 exec, exec, s[8:9]
	s_and_b64 s[4:5], s[4:5], exec
	s_or_saveexec_b64 s[6:7], s[6:7]
	v_mov_b32_e32 v2, s10
	s_xor_b64 exec, exec, s[6:7]
	s_cbranch_execz .LBB14_738
.LBB14_2788:
	v_mov_b32_e32 v2, 0
	v_cmp_ne_u16_sdwa s[8:9], v9, v2 src0_sel:BYTE_0 src1_sel:DWORD
	s_andn2_b64 s[4:5], s[4:5], exec
	s_and_b64 s[8:9], s[8:9], exec
	s_or_b64 s[4:5], s[4:5], s[8:9]
	s_or_b64 exec, exec, s[6:7]
	s_and_saveexec_b64 s[6:7], s[4:5]
	s_cbranch_execnz .LBB14_739
	s_branch .LBB14_740
.LBB14_2789:
	s_movk_i32 s4, 0x80
	v_cmp_eq_u16_sdwa s[12:13], v5, s4 src0_sel:BYTE_0 src1_sel:DWORD
	s_mov_b64 s[4:5], -1
                                        ; implicit-def: $sgpr10
	s_and_saveexec_b64 s[8:9], s[12:13]
; %bb.2790:
	s_mov_b32 s10, 0x7f800001
	s_xor_b64 s[4:5], exec, -1
; %bb.2791:
	s_or_b64 exec, exec, s[8:9]
	s_and_b64 s[4:5], s[4:5], exec
	s_or_saveexec_b64 s[6:7], s[6:7]
	v_mov_b32_e32 v3, s10
	s_xor_b64 exec, exec, s[6:7]
	s_cbranch_execz .LBB14_742
.LBB14_2792:
	v_mov_b32_e32 v3, 0
	v_cmp_ne_u16_sdwa s[8:9], v5, v3 src0_sel:BYTE_0 src1_sel:DWORD
	s_andn2_b64 s[4:5], s[4:5], exec
	s_and_b64 s[8:9], s[8:9], exec
	s_or_b64 s[4:5], s[4:5], s[8:9]
	s_or_b64 exec, exec, s[6:7]
	s_and_saveexec_b64 s[6:7], s[4:5]
	s_cbranch_execnz .LBB14_743
	s_branch .LBB14_744
.LBB14_2793:
	s_movk_i32 s4, 0x80
	v_cmp_eq_u16_sdwa s[12:13], v3, s4 src0_sel:BYTE_0 src1_sel:DWORD
	s_mov_b64 s[4:5], -1
                                        ; implicit-def: $sgpr10
	s_and_saveexec_b64 s[8:9], s[12:13]
; %bb.2794:
	s_mov_b32 s10, 0x7f800001
	s_xor_b64 s[4:5], exec, -1
; %bb.2795:
	s_or_b64 exec, exec, s[8:9]
	s_and_b64 s[4:5], s[4:5], exec
	s_or_saveexec_b64 s[6:7], s[6:7]
	v_mov_b32_e32 v2, s10
	s_xor_b64 exec, exec, s[6:7]
	s_cbranch_execz .LBB14_746
.LBB14_2796:
	v_mov_b32_e32 v2, 0
	v_cmp_ne_u16_sdwa s[8:9], v3, v2 src0_sel:BYTE_0 src1_sel:DWORD
	s_andn2_b64 s[4:5], s[4:5], exec
	s_and_b64 s[8:9], s[8:9], exec
	s_or_b64 s[4:5], s[4:5], s[8:9]
	s_or_b64 exec, exec, s[6:7]
	s_and_saveexec_b64 s[6:7], s[4:5]
	s_cbranch_execnz .LBB14_747
	s_branch .LBB14_748
.LBB14_2797:
	s_movk_i32 s4, 0x80
	v_cmp_eq_u16_sdwa s[12:13], v3, s4 src0_sel:BYTE_0 src1_sel:DWORD
	s_mov_b64 s[4:5], -1
                                        ; implicit-def: $sgpr10
	s_and_saveexec_b64 s[8:9], s[12:13]
; %bb.2798:
	s_mov_b32 s10, 0x7f800001
	s_xor_b64 s[4:5], exec, -1
; %bb.2799:
	s_or_b64 exec, exec, s[8:9]
	s_and_b64 s[4:5], s[4:5], exec
	s_or_saveexec_b64 s[6:7], s[6:7]
	v_mov_b32_e32 v4, s10
	s_xor_b64 exec, exec, s[6:7]
	s_cbranch_execz .LBB14_750
.LBB14_2800:
	v_mov_b32_e32 v4, 0
	v_cmp_ne_u16_sdwa s[8:9], v3, v4 src0_sel:BYTE_0 src1_sel:DWORD
	s_andn2_b64 s[4:5], s[4:5], exec
	s_and_b64 s[8:9], s[8:9], exec
	s_or_b64 s[4:5], s[4:5], s[8:9]
	s_or_b64 exec, exec, s[6:7]
	s_and_saveexec_b64 s[6:7], s[4:5]
	s_cbranch_execnz .LBB14_751
	s_branch .LBB14_752
.LBB14_2801:
	s_movk_i32 s4, 0x80
	v_cmp_eq_u16_e32 vcc, s4, v3
	s_mov_b64 s[4:5], -1
                                        ; implicit-def: $sgpr10
	s_and_saveexec_b64 s[8:9], vcc
; %bb.2802:
	s_mov_b32 s10, 0x7f800001
	s_xor_b64 s[4:5], exec, -1
; %bb.2803:
	s_or_b64 exec, exec, s[8:9]
	s_and_b64 s[4:5], s[4:5], exec
                                        ; implicit-def: $vgpr3
	s_or_saveexec_b64 s[6:7], s[6:7]
	v_mov_b32_e32 v2, s10
	s_xor_b64 exec, exec, s[6:7]
	s_cbranch_execz .LBB14_754
.LBB14_2804:
	v_cmp_ne_u16_e32 vcc, 0, v3
	s_andn2_b64 s[4:5], s[4:5], exec
	s_and_b64 s[8:9], vcc, exec
	v_mov_b32_e32 v2, 0
	s_or_b64 s[4:5], s[4:5], s[8:9]
	s_or_b64 exec, exec, s[6:7]
	s_and_saveexec_b64 s[6:7], s[4:5]
	s_cbranch_execnz .LBB14_755
	s_branch .LBB14_756
.LBB14_2805:
	s_movk_i32 s4, 0x80
	v_cmp_eq_u16_e32 vcc, s4, v3
	s_mov_b64 s[4:5], -1
                                        ; implicit-def: $sgpr10
	s_and_saveexec_b64 s[8:9], vcc
; %bb.2806:
	s_mov_b32 s10, 0x7f800001
	s_xor_b64 s[4:5], exec, -1
; %bb.2807:
	s_or_b64 exec, exec, s[8:9]
	s_and_b64 s[4:5], s[4:5], exec
                                        ; implicit-def: $vgpr3
	s_or_saveexec_b64 s[6:7], s[6:7]
	v_mov_b32_e32 v4, s10
	s_xor_b64 exec, exec, s[6:7]
	s_cbranch_execz .LBB14_758
.LBB14_2808:
	v_cmp_ne_u16_e32 vcc, 0, v3
	s_andn2_b64 s[4:5], s[4:5], exec
	s_and_b64 s[8:9], vcc, exec
	v_mov_b32_e32 v4, 0
	s_or_b64 s[4:5], s[4:5], s[8:9]
	s_or_b64 exec, exec, s[6:7]
	s_and_saveexec_b64 s[6:7], s[4:5]
	s_cbranch_execnz .LBB14_759
	s_branch .LBB14_760
.LBB14_2809:
	s_movk_i32 s4, 0x80
	v_cmp_eq_u16_sdwa s[12:13], v9, s4 src0_sel:BYTE_3 src1_sel:DWORD
	s_mov_b64 s[4:5], -1
                                        ; implicit-def: $sgpr10
	s_and_saveexec_b64 s[8:9], s[12:13]
; %bb.2810:
	s_mov_b32 s10, 0x7f800001
	s_xor_b64 s[4:5], exec, -1
; %bb.2811:
	s_or_b64 exec, exec, s[8:9]
	s_and_b64 s[4:5], s[4:5], exec
	s_or_saveexec_b64 s[6:7], s[6:7]
	v_mov_b32_e32 v2, s10
	s_xor_b64 exec, exec, s[6:7]
	s_cbranch_execz .LBB14_762
.LBB14_2812:
	v_mov_b32_e32 v2, 0
	v_cmp_ne_u16_sdwa s[8:9], v9, v2 src0_sel:BYTE_3 src1_sel:DWORD
	s_andn2_b64 s[4:5], s[4:5], exec
	s_and_b64 s[8:9], s[8:9], exec
	s_or_b64 s[4:5], s[4:5], s[8:9]
	s_or_b64 exec, exec, s[6:7]
	s_and_saveexec_b64 s[6:7], s[4:5]
	s_cbranch_execnz .LBB14_763
	s_branch .LBB14_764
.LBB14_2813:
	s_movk_i32 s4, 0x80
	v_cmp_eq_u16_sdwa s[12:13], v5, s4 src0_sel:BYTE_3 src1_sel:DWORD
	s_mov_b64 s[4:5], -1
                                        ; implicit-def: $sgpr10
	s_and_saveexec_b64 s[8:9], s[12:13]
; %bb.2814:
	s_mov_b32 s10, 0x7f800001
	s_xor_b64 s[4:5], exec, -1
; %bb.2815:
	s_or_b64 exec, exec, s[8:9]
	s_and_b64 s[4:5], s[4:5], exec
	s_or_saveexec_b64 s[6:7], s[6:7]
	v_mov_b32_e32 v3, s10
	s_xor_b64 exec, exec, s[6:7]
	s_cbranch_execz .LBB14_766
.LBB14_2816:
	v_mov_b32_e32 v3, 0
	v_cmp_ne_u16_sdwa s[8:9], v5, v3 src0_sel:BYTE_3 src1_sel:DWORD
	s_andn2_b64 s[4:5], s[4:5], exec
	s_and_b64 s[8:9], s[8:9], exec
	s_or_b64 s[4:5], s[4:5], s[8:9]
	s_or_b64 exec, exec, s[6:7]
	s_and_saveexec_b64 s[6:7], s[4:5]
	s_cbranch_execnz .LBB14_767
	s_branch .LBB14_768
.LBB14_2817:
	s_movk_i32 s4, 0x80
	v_cmp_eq_u16_sdwa s[12:13], v6, s4 src0_sel:BYTE_0 src1_sel:DWORD
	s_mov_b64 s[4:5], -1
                                        ; implicit-def: $sgpr10
	s_and_saveexec_b64 s[8:9], s[12:13]
; %bb.2818:
	s_mov_b32 s10, 0x7f800001
	s_xor_b64 s[4:5], exec, -1
; %bb.2819:
	s_or_b64 exec, exec, s[8:9]
	s_and_b64 s[4:5], s[4:5], exec
	s_or_saveexec_b64 s[6:7], s[6:7]
	v_mov_b32_e32 v12, s10
	s_xor_b64 exec, exec, s[6:7]
	s_cbranch_execz .LBB14_770
.LBB14_2820:
	v_mov_b32_e32 v12, 0
	v_cmp_ne_u16_sdwa s[8:9], v6, v12 src0_sel:BYTE_0 src1_sel:DWORD
	s_andn2_b64 s[4:5], s[4:5], exec
	s_and_b64 s[8:9], s[8:9], exec
	s_or_b64 s[4:5], s[4:5], s[8:9]
	s_or_b64 exec, exec, s[6:7]
	s_and_saveexec_b64 s[6:7], s[4:5]
	s_cbranch_execnz .LBB14_771
	s_branch .LBB14_772
.LBB14_2821:
	s_movk_i32 s4, 0x80
	v_cmp_eq_u16_sdwa s[12:13], v2, s4 src0_sel:BYTE_0 src1_sel:DWORD
	s_mov_b64 s[4:5], -1
                                        ; implicit-def: $sgpr10
	s_and_saveexec_b64 s[8:9], s[12:13]
; %bb.2822:
	s_mov_b32 s10, 0x7f800001
	s_xor_b64 s[4:5], exec, -1
; %bb.2823:
	s_or_b64 exec, exec, s[8:9]
	s_and_b64 s[4:5], s[4:5], exec
	s_or_saveexec_b64 s[6:7], s[6:7]
	v_mov_b32_e32 v13, s10
	s_xor_b64 exec, exec, s[6:7]
	s_cbranch_execz .LBB14_774
.LBB14_2824:
	v_mov_b32_e32 v13, 0
	v_cmp_ne_u16_sdwa s[8:9], v2, v13 src0_sel:BYTE_0 src1_sel:DWORD
	s_andn2_b64 s[4:5], s[4:5], exec
	s_and_b64 s[8:9], s[8:9], exec
	s_or_b64 s[4:5], s[4:5], s[8:9]
	s_or_b64 exec, exec, s[6:7]
	s_and_saveexec_b64 s[6:7], s[4:5]
	s_cbranch_execnz .LBB14_775
	s_branch .LBB14_776
.LBB14_2825:
	s_movk_i32 s4, 0x80
	v_cmp_eq_u16_sdwa s[12:13], v13, s4 src0_sel:BYTE_0 src1_sel:DWORD
	s_mov_b64 s[4:5], -1
                                        ; implicit-def: $sgpr10
	s_and_saveexec_b64 s[8:9], s[12:13]
; %bb.2826:
	s_mov_b32 s10, 0x7f800001
	s_xor_b64 s[4:5], exec, -1
; %bb.2827:
	s_or_b64 exec, exec, s[8:9]
	s_and_b64 s[4:5], s[4:5], exec
	s_or_saveexec_b64 s[6:7], s[6:7]
	v_mov_b32_e32 v12, s10
	s_xor_b64 exec, exec, s[6:7]
	s_cbranch_execz .LBB14_778
.LBB14_2828:
	v_mov_b32_e32 v12, 0
	v_cmp_ne_u16_sdwa s[8:9], v13, v12 src0_sel:BYTE_0 src1_sel:DWORD
	s_andn2_b64 s[4:5], s[4:5], exec
	s_and_b64 s[8:9], s[8:9], exec
	s_or_b64 s[4:5], s[4:5], s[8:9]
	s_or_b64 exec, exec, s[6:7]
	s_and_saveexec_b64 s[6:7], s[4:5]
	s_cbranch_execnz .LBB14_779
	s_branch .LBB14_780
.LBB14_2829:
	s_movk_i32 s4, 0x80
	v_cmp_eq_u16_sdwa s[12:13], v13, s4 src0_sel:BYTE_0 src1_sel:DWORD
	s_mov_b64 s[4:5], -1
                                        ; implicit-def: $sgpr10
	s_and_saveexec_b64 s[8:9], s[12:13]
; %bb.2830:
	s_mov_b32 s10, 0x7f800001
	s_xor_b64 s[4:5], exec, -1
; %bb.2831:
	s_or_b64 exec, exec, s[8:9]
	s_and_b64 s[4:5], s[4:5], exec
	s_or_saveexec_b64 s[6:7], s[6:7]
	v_mov_b32_e32 v14, s10
	s_xor_b64 exec, exec, s[6:7]
	s_cbranch_execz .LBB14_782
.LBB14_2832:
	v_mov_b32_e32 v14, 0
	v_cmp_ne_u16_sdwa s[8:9], v13, v14 src0_sel:BYTE_0 src1_sel:DWORD
	s_andn2_b64 s[4:5], s[4:5], exec
	s_and_b64 s[8:9], s[8:9], exec
	s_or_b64 s[4:5], s[4:5], s[8:9]
	s_or_b64 exec, exec, s[6:7]
	s_and_saveexec_b64 s[6:7], s[4:5]
	s_cbranch_execnz .LBB14_783
	s_branch .LBB14_784
.LBB14_2833:
	s_movk_i32 s4, 0x80
	v_cmp_eq_u16_e32 vcc, s4, v13
	s_mov_b64 s[4:5], -1
                                        ; implicit-def: $sgpr10
	s_and_saveexec_b64 s[8:9], vcc
; %bb.2834:
	s_mov_b32 s10, 0x7f800001
	s_xor_b64 s[4:5], exec, -1
; %bb.2835:
	s_or_b64 exec, exec, s[8:9]
	s_and_b64 s[4:5], s[4:5], exec
                                        ; implicit-def: $vgpr13
	s_or_saveexec_b64 s[6:7], s[6:7]
	v_mov_b32_e32 v12, s10
	s_xor_b64 exec, exec, s[6:7]
	s_cbranch_execz .LBB14_786
.LBB14_2836:
	v_cmp_ne_u16_e32 vcc, 0, v13
	s_andn2_b64 s[4:5], s[4:5], exec
	s_and_b64 s[8:9], vcc, exec
	v_mov_b32_e32 v12, 0
	s_or_b64 s[4:5], s[4:5], s[8:9]
	s_or_b64 exec, exec, s[6:7]
	s_and_saveexec_b64 s[6:7], s[4:5]
	s_cbranch_execnz .LBB14_787
	s_branch .LBB14_788
.LBB14_2837:
	s_movk_i32 s4, 0x80
	v_cmp_eq_u16_e32 vcc, s4, v13
	s_mov_b64 s[4:5], -1
                                        ; implicit-def: $sgpr10
	s_and_saveexec_b64 s[8:9], vcc
; %bb.2838:
	s_mov_b32 s10, 0x7f800001
	s_xor_b64 s[4:5], exec, -1
; %bb.2839:
	s_or_b64 exec, exec, s[8:9]
	s_and_b64 s[4:5], s[4:5], exec
                                        ; implicit-def: $vgpr13
	s_or_saveexec_b64 s[6:7], s[6:7]
	v_mov_b32_e32 v14, s10
	s_xor_b64 exec, exec, s[6:7]
	s_cbranch_execz .LBB14_790
.LBB14_2840:
	v_cmp_ne_u16_e32 vcc, 0, v13
	s_andn2_b64 s[4:5], s[4:5], exec
	s_and_b64 s[8:9], vcc, exec
	v_mov_b32_e32 v14, 0
	s_or_b64 s[4:5], s[4:5], s[8:9]
	s_or_b64 exec, exec, s[6:7]
	s_and_saveexec_b64 s[6:7], s[4:5]
	s_cbranch_execnz .LBB14_791
	s_branch .LBB14_792
.LBB14_2841:
	s_movk_i32 s4, 0x80
	v_cmp_eq_u16_sdwa s[12:13], v6, s4 src0_sel:BYTE_3 src1_sel:DWORD
	s_mov_b64 s[4:5], -1
                                        ; implicit-def: $sgpr10
	s_and_saveexec_b64 s[8:9], s[12:13]
; %bb.2842:
	s_mov_b32 s10, 0x7f800001
	s_xor_b64 s[4:5], exec, -1
; %bb.2843:
	s_or_b64 exec, exec, s[8:9]
	s_and_b64 s[4:5], s[4:5], exec
	s_or_saveexec_b64 s[6:7], s[6:7]
	v_mov_b32_e32 v12, s10
	s_xor_b64 exec, exec, s[6:7]
	s_cbranch_execz .LBB14_794
.LBB14_2844:
	v_mov_b32_e32 v12, 0
	v_cmp_ne_u16_sdwa s[8:9], v6, v12 src0_sel:BYTE_3 src1_sel:DWORD
	s_andn2_b64 s[4:5], s[4:5], exec
	s_and_b64 s[8:9], s[8:9], exec
	s_or_b64 s[4:5], s[4:5], s[8:9]
	s_or_b64 exec, exec, s[6:7]
	s_and_saveexec_b64 s[6:7], s[4:5]
	s_cbranch_execnz .LBB14_795
	s_branch .LBB14_796
.LBB14_2845:
	s_movk_i32 s4, 0x80
	v_cmp_eq_u16_sdwa s[12:13], v2, s4 src0_sel:BYTE_3 src1_sel:DWORD
	s_mov_b64 s[4:5], -1
                                        ; implicit-def: $sgpr10
	s_and_saveexec_b64 s[8:9], s[12:13]
; %bb.2846:
	s_mov_b32 s10, 0x7f800001
	s_xor_b64 s[4:5], exec, -1
; %bb.2847:
	s_or_b64 exec, exec, s[8:9]
	s_and_b64 s[4:5], s[4:5], exec
	s_or_saveexec_b64 s[6:7], s[6:7]
	v_mov_b32_e32 v6, s10
	s_xor_b64 exec, exec, s[6:7]
	s_cbranch_execz .LBB14_798
.LBB14_2848:
	v_mov_b32_e32 v6, 0
	v_cmp_ne_u16_sdwa s[8:9], v2, v6 src0_sel:BYTE_3 src1_sel:DWORD
	s_andn2_b64 s[4:5], s[4:5], exec
	s_and_b64 s[8:9], s[8:9], exec
	s_or_b64 s[4:5], s[4:5], s[8:9]
	s_or_b64 exec, exec, s[6:7]
	s_and_saveexec_b64 s[6:7], s[4:5]
	s_cbranch_execnz .LBB14_799
	s_branch .LBB14_800
.LBB14_2849:
	s_movk_i32 s4, 0x80
	v_cmp_eq_u16_sdwa s[12:13], v7, s4 src0_sel:BYTE_0 src1_sel:DWORD
	s_mov_b64 s[4:5], -1
                                        ; implicit-def: $sgpr10
	s_and_saveexec_b64 s[8:9], s[12:13]
; %bb.2850:
	s_mov_b32 s10, 0x7f800001
	s_xor_b64 s[4:5], exec, -1
; %bb.2851:
	s_or_b64 exec, exec, s[8:9]
	s_and_b64 s[4:5], s[4:5], exec
	s_or_saveexec_b64 s[6:7], s[6:7]
	v_mov_b32_e32 v2, s10
	s_xor_b64 exec, exec, s[6:7]
	s_cbranch_execz .LBB14_802
.LBB14_2852:
	v_mov_b32_e32 v2, 0
	v_cmp_ne_u16_sdwa s[8:9], v7, v2 src0_sel:BYTE_0 src1_sel:DWORD
	s_andn2_b64 s[4:5], s[4:5], exec
	s_and_b64 s[8:9], s[8:9], exec
	s_or_b64 s[4:5], s[4:5], s[8:9]
	s_or_b64 exec, exec, s[6:7]
	s_and_saveexec_b64 s[6:7], s[4:5]
	s_cbranch_execnz .LBB14_803
	s_branch .LBB14_804
.LBB14_2853:
	s_movk_i32 s4, 0x80
	v_cmp_eq_u16_sdwa s[12:13], v3, s4 src0_sel:BYTE_0 src1_sel:DWORD
	s_mov_b64 s[4:5], -1
                                        ; implicit-def: $sgpr10
	s_and_saveexec_b64 s[8:9], s[12:13]
; %bb.2854:
	s_mov_b32 s10, 0x7f800001
	s_xor_b64 s[4:5], exec, -1
; %bb.2855:
	s_or_b64 exec, exec, s[8:9]
	s_and_b64 s[4:5], s[4:5], exec
	s_or_saveexec_b64 s[6:7], s[6:7]
	v_mov_b32_e32 v6, s10
	s_xor_b64 exec, exec, s[6:7]
	s_cbranch_execz .LBB14_806
.LBB14_2856:
	v_mov_b32_e32 v6, 0
	v_cmp_ne_u16_sdwa s[8:9], v3, v6 src0_sel:BYTE_0 src1_sel:DWORD
	s_andn2_b64 s[4:5], s[4:5], exec
	s_and_b64 s[8:9], s[8:9], exec
	s_or_b64 s[4:5], s[4:5], s[8:9]
	s_or_b64 exec, exec, s[6:7]
	s_and_saveexec_b64 s[6:7], s[4:5]
	s_cbranch_execnz .LBB14_807
	s_branch .LBB14_808
.LBB14_2857:
	s_movk_i32 s4, 0x80
	v_cmp_eq_u16_sdwa s[12:13], v6, s4 src0_sel:BYTE_0 src1_sel:DWORD
	s_mov_b64 s[4:5], -1
                                        ; implicit-def: $sgpr10
	s_and_saveexec_b64 s[8:9], s[12:13]
; %bb.2858:
	s_mov_b32 s10, 0x7f800001
	s_xor_b64 s[4:5], exec, -1
; %bb.2859:
	s_or_b64 exec, exec, s[8:9]
	s_and_b64 s[4:5], s[4:5], exec
	s_or_saveexec_b64 s[6:7], s[6:7]
	v_mov_b32_e32 v2, s10
	s_xor_b64 exec, exec, s[6:7]
	s_cbranch_execz .LBB14_810
.LBB14_2860:
	v_mov_b32_e32 v2, 0
	v_cmp_ne_u16_sdwa s[8:9], v6, v2 src0_sel:BYTE_0 src1_sel:DWORD
	s_andn2_b64 s[4:5], s[4:5], exec
	s_and_b64 s[8:9], s[8:9], exec
	s_or_b64 s[4:5], s[4:5], s[8:9]
	s_or_b64 exec, exec, s[6:7]
	s_and_saveexec_b64 s[6:7], s[4:5]
	s_cbranch_execnz .LBB14_811
	s_branch .LBB14_812
.LBB14_2861:
	s_movk_i32 s4, 0x80
	v_cmp_eq_u16_sdwa s[12:13], v6, s4 src0_sel:BYTE_0 src1_sel:DWORD
	s_mov_b64 s[4:5], -1
                                        ; implicit-def: $sgpr10
	s_and_saveexec_b64 s[8:9], s[12:13]
; %bb.2862:
	s_mov_b32 s10, 0x7f800001
	s_xor_b64 s[4:5], exec, -1
; %bb.2863:
	s_or_b64 exec, exec, s[8:9]
	s_and_b64 s[4:5], s[4:5], exec
	s_or_saveexec_b64 s[6:7], s[6:7]
	v_mov_b32_e32 v12, s10
	s_xor_b64 exec, exec, s[6:7]
	s_cbranch_execz .LBB14_814
.LBB14_2864:
	v_mov_b32_e32 v12, 0
	v_cmp_ne_u16_sdwa s[8:9], v6, v12 src0_sel:BYTE_0 src1_sel:DWORD
	s_andn2_b64 s[4:5], s[4:5], exec
	s_and_b64 s[8:9], s[8:9], exec
	s_or_b64 s[4:5], s[4:5], s[8:9]
	s_or_b64 exec, exec, s[6:7]
	s_and_saveexec_b64 s[6:7], s[4:5]
	s_cbranch_execnz .LBB14_815
	s_branch .LBB14_816
.LBB14_2865:
	s_movk_i32 s4, 0x80
	v_cmp_eq_u16_e32 vcc, s4, v6
	s_mov_b64 s[4:5], -1
                                        ; implicit-def: $sgpr10
	s_and_saveexec_b64 s[8:9], vcc
; %bb.2866:
	s_mov_b32 s10, 0x7f800001
	s_xor_b64 s[4:5], exec, -1
; %bb.2867:
	s_or_b64 exec, exec, s[8:9]
	s_and_b64 s[4:5], s[4:5], exec
                                        ; implicit-def: $vgpr6
	s_or_saveexec_b64 s[6:7], s[6:7]
	v_mov_b32_e32 v2, s10
	s_xor_b64 exec, exec, s[6:7]
	s_cbranch_execz .LBB14_818
.LBB14_2868:
	v_cmp_ne_u16_e32 vcc, 0, v6
	s_andn2_b64 s[4:5], s[4:5], exec
	s_and_b64 s[8:9], vcc, exec
	v_mov_b32_e32 v2, 0
	s_or_b64 s[4:5], s[4:5], s[8:9]
	s_or_b64 exec, exec, s[6:7]
	s_and_saveexec_b64 s[6:7], s[4:5]
	s_cbranch_execnz .LBB14_819
	s_branch .LBB14_820
.LBB14_2869:
	s_movk_i32 s4, 0x80
	v_cmp_eq_u16_e32 vcc, s4, v6
	s_mov_b64 s[4:5], -1
                                        ; implicit-def: $sgpr10
	s_and_saveexec_b64 s[8:9], vcc
; %bb.2870:
	s_mov_b32 s10, 0x7f800001
	s_xor_b64 s[4:5], exec, -1
; %bb.2871:
	s_or_b64 exec, exec, s[8:9]
	s_and_b64 s[4:5], s[4:5], exec
                                        ; implicit-def: $vgpr6
	s_or_saveexec_b64 s[6:7], s[6:7]
	v_mov_b32_e32 v12, s10
	s_xor_b64 exec, exec, s[6:7]
	s_cbranch_execz .LBB14_822
.LBB14_2872:
	v_cmp_ne_u16_e32 vcc, 0, v6
	s_andn2_b64 s[4:5], s[4:5], exec
	s_and_b64 s[8:9], vcc, exec
	v_mov_b32_e32 v12, 0
	s_or_b64 s[4:5], s[4:5], s[8:9]
	s_or_b64 exec, exec, s[6:7]
	s_and_saveexec_b64 s[6:7], s[4:5]
	s_cbranch_execnz .LBB14_823
	s_branch .LBB14_824
.LBB14_2873:
	s_movk_i32 s4, 0x80
	v_cmp_eq_u16_sdwa s[12:13], v7, s4 src0_sel:BYTE_3 src1_sel:DWORD
	s_mov_b64 s[4:5], -1
                                        ; implicit-def: $sgpr10
	s_and_saveexec_b64 s[8:9], s[12:13]
; %bb.2874:
	s_mov_b32 s10, 0x7f800001
	s_xor_b64 s[4:5], exec, -1
; %bb.2875:
	s_or_b64 exec, exec, s[8:9]
	s_and_b64 s[4:5], s[4:5], exec
	s_or_saveexec_b64 s[6:7], s[6:7]
	v_mov_b32_e32 v2, s10
	s_xor_b64 exec, exec, s[6:7]
	s_cbranch_execz .LBB14_826
.LBB14_2876:
	v_mov_b32_e32 v2, 0
	v_cmp_ne_u16_sdwa s[8:9], v7, v2 src0_sel:BYTE_3 src1_sel:DWORD
	s_andn2_b64 s[4:5], s[4:5], exec
	s_and_b64 s[8:9], s[8:9], exec
	s_or_b64 s[4:5], s[4:5], s[8:9]
	s_or_b64 exec, exec, s[6:7]
	s_and_saveexec_b64 s[6:7], s[4:5]
	s_cbranch_execnz .LBB14_827
	s_branch .LBB14_828
.LBB14_2877:
	s_movk_i32 s4, 0x80
	v_cmp_eq_u16_sdwa s[12:13], v3, s4 src0_sel:BYTE_3 src1_sel:DWORD
	s_mov_b64 s[4:5], -1
                                        ; implicit-def: $sgpr10
	s_and_saveexec_b64 s[8:9], s[12:13]
; %bb.2878:
	s_mov_b32 s10, 0x7f800001
	s_xor_b64 s[4:5], exec, -1
; %bb.2879:
	s_or_b64 exec, exec, s[8:9]
	s_and_b64 s[4:5], s[4:5], exec
	s_or_saveexec_b64 s[6:7], s[6:7]
	v_mov_b32_e32 v6, s10
	s_xor_b64 exec, exec, s[6:7]
	s_cbranch_execz .LBB14_830
.LBB14_2880:
	v_mov_b32_e32 v6, 0
	v_cmp_ne_u16_sdwa s[8:9], v3, v6 src0_sel:BYTE_3 src1_sel:DWORD
	s_andn2_b64 s[4:5], s[4:5], exec
	s_and_b64 s[8:9], s[8:9], exec
	s_or_b64 s[4:5], s[4:5], s[8:9]
	s_or_b64 exec, exec, s[6:7]
	s_and_saveexec_b64 s[6:7], s[4:5]
	s_cbranch_execnz .LBB14_831
	s_branch .LBB14_832
.LBB14_2881:
	s_movk_i32 s4, 0x80
	v_cmp_eq_u16_sdwa s[12:13], v8, s4 src0_sel:BYTE_0 src1_sel:DWORD
	s_mov_b64 s[4:5], -1
                                        ; implicit-def: $sgpr10
	s_and_saveexec_b64 s[8:9], s[12:13]
; %bb.2882:
	s_mov_b32 s10, 0x7f800001
	s_xor_b64 s[4:5], exec, -1
; %bb.2883:
	s_or_b64 exec, exec, s[8:9]
	s_and_b64 s[4:5], s[4:5], exec
	s_or_saveexec_b64 s[6:7], s[6:7]
	v_mov_b32_e32 v2, s10
	s_xor_b64 exec, exec, s[6:7]
	s_cbranch_execz .LBB14_834
.LBB14_2884:
	v_mov_b32_e32 v2, 0
	v_cmp_ne_u16_sdwa s[8:9], v8, v2 src0_sel:BYTE_0 src1_sel:DWORD
	s_andn2_b64 s[4:5], s[4:5], exec
	s_and_b64 s[8:9], s[8:9], exec
	s_or_b64 s[4:5], s[4:5], s[8:9]
	s_or_b64 exec, exec, s[6:7]
	s_and_saveexec_b64 s[6:7], s[4:5]
	s_cbranch_execnz .LBB14_835
	s_branch .LBB14_836
.LBB14_2885:
	s_movk_i32 s4, 0x80
	v_cmp_eq_u16_sdwa s[12:13], v4, s4 src0_sel:BYTE_0 src1_sel:DWORD
	s_mov_b64 s[4:5], -1
                                        ; implicit-def: $sgpr10
	s_and_saveexec_b64 s[8:9], s[12:13]
; %bb.2886:
	s_mov_b32 s10, 0x7f800001
	s_xor_b64 s[4:5], exec, -1
; %bb.2887:
	s_or_b64 exec, exec, s[8:9]
	s_and_b64 s[4:5], s[4:5], exec
	s_or_saveexec_b64 s[6:7], s[6:7]
	v_mov_b32_e32 v3, s10
	s_xor_b64 exec, exec, s[6:7]
	s_cbranch_execz .LBB14_838
.LBB14_2888:
	v_mov_b32_e32 v3, 0
	v_cmp_ne_u16_sdwa s[8:9], v4, v3 src0_sel:BYTE_0 src1_sel:DWORD
	s_andn2_b64 s[4:5], s[4:5], exec
	s_and_b64 s[8:9], s[8:9], exec
	s_or_b64 s[4:5], s[4:5], s[8:9]
	s_or_b64 exec, exec, s[6:7]
	s_and_saveexec_b64 s[6:7], s[4:5]
	s_cbranch_execnz .LBB14_839
	s_branch .LBB14_840
.LBB14_2889:
	s_movk_i32 s4, 0x80
	v_cmp_eq_u16_sdwa s[12:13], v3, s4 src0_sel:BYTE_0 src1_sel:DWORD
	s_mov_b64 s[4:5], -1
                                        ; implicit-def: $sgpr10
	s_and_saveexec_b64 s[8:9], s[12:13]
; %bb.2890:
	s_mov_b32 s10, 0x7f800001
	s_xor_b64 s[4:5], exec, -1
; %bb.2891:
	s_or_b64 exec, exec, s[8:9]
	s_and_b64 s[4:5], s[4:5], exec
	s_or_saveexec_b64 s[6:7], s[6:7]
	v_mov_b32_e32 v2, s10
	s_xor_b64 exec, exec, s[6:7]
	s_cbranch_execz .LBB14_842
.LBB14_2892:
	v_mov_b32_e32 v2, 0
	v_cmp_ne_u16_sdwa s[8:9], v3, v2 src0_sel:BYTE_0 src1_sel:DWORD
	s_andn2_b64 s[4:5], s[4:5], exec
	s_and_b64 s[8:9], s[8:9], exec
	s_or_b64 s[4:5], s[4:5], s[8:9]
	s_or_b64 exec, exec, s[6:7]
	s_and_saveexec_b64 s[6:7], s[4:5]
	s_cbranch_execnz .LBB14_843
	s_branch .LBB14_844
.LBB14_2893:
	s_movk_i32 s4, 0x80
	v_cmp_eq_u16_sdwa s[12:13], v3, s4 src0_sel:BYTE_0 src1_sel:DWORD
	s_mov_b64 s[4:5], -1
                                        ; implicit-def: $sgpr10
	s_and_saveexec_b64 s[8:9], s[12:13]
; %bb.2894:
	s_mov_b32 s10, 0x7f800001
	s_xor_b64 s[4:5], exec, -1
; %bb.2895:
	s_or_b64 exec, exec, s[8:9]
	s_and_b64 s[4:5], s[4:5], exec
	s_or_saveexec_b64 s[6:7], s[6:7]
	v_mov_b32_e32 v6, s10
	s_xor_b64 exec, exec, s[6:7]
	s_cbranch_execz .LBB14_846
.LBB14_2896:
	v_mov_b32_e32 v6, 0
	v_cmp_ne_u16_sdwa s[8:9], v3, v6 src0_sel:BYTE_0 src1_sel:DWORD
	s_andn2_b64 s[4:5], s[4:5], exec
	s_and_b64 s[8:9], s[8:9], exec
	s_or_b64 s[4:5], s[4:5], s[8:9]
	s_or_b64 exec, exec, s[6:7]
	s_and_saveexec_b64 s[6:7], s[4:5]
	s_cbranch_execnz .LBB14_847
	s_branch .LBB14_848
.LBB14_2897:
	s_movk_i32 s4, 0x80
	v_cmp_eq_u16_e32 vcc, s4, v3
	s_mov_b64 s[4:5], -1
                                        ; implicit-def: $sgpr10
	s_and_saveexec_b64 s[8:9], vcc
; %bb.2898:
	s_mov_b32 s10, 0x7f800001
	s_xor_b64 s[4:5], exec, -1
; %bb.2899:
	s_or_b64 exec, exec, s[8:9]
	s_and_b64 s[4:5], s[4:5], exec
                                        ; implicit-def: $vgpr3
	s_or_saveexec_b64 s[6:7], s[6:7]
	v_mov_b32_e32 v2, s10
	s_xor_b64 exec, exec, s[6:7]
	s_cbranch_execz .LBB14_850
.LBB14_2900:
	v_cmp_ne_u16_e32 vcc, 0, v3
	s_andn2_b64 s[4:5], s[4:5], exec
	s_and_b64 s[8:9], vcc, exec
	v_mov_b32_e32 v2, 0
	s_or_b64 s[4:5], s[4:5], s[8:9]
	s_or_b64 exec, exec, s[6:7]
	s_and_saveexec_b64 s[6:7], s[4:5]
	s_cbranch_execnz .LBB14_851
	s_branch .LBB14_852
.LBB14_2901:
	s_movk_i32 s4, 0x80
	v_cmp_eq_u16_e32 vcc, s4, v3
	s_mov_b64 s[4:5], -1
                                        ; implicit-def: $sgpr10
	s_and_saveexec_b64 s[8:9], vcc
; %bb.2902:
	s_mov_b32 s10, 0x7f800001
	s_xor_b64 s[4:5], exec, -1
; %bb.2903:
	s_or_b64 exec, exec, s[8:9]
	s_and_b64 s[4:5], s[4:5], exec
                                        ; implicit-def: $vgpr3
	s_or_saveexec_b64 s[6:7], s[6:7]
	v_mov_b32_e32 v6, s10
	s_xor_b64 exec, exec, s[6:7]
	s_cbranch_execz .LBB14_854
.LBB14_2904:
	v_cmp_ne_u16_e32 vcc, 0, v3
	s_andn2_b64 s[4:5], s[4:5], exec
	s_and_b64 s[8:9], vcc, exec
	v_mov_b32_e32 v6, 0
	s_or_b64 s[4:5], s[4:5], s[8:9]
	s_or_b64 exec, exec, s[6:7]
	s_and_saveexec_b64 s[6:7], s[4:5]
	s_cbranch_execnz .LBB14_855
	s_branch .LBB14_856
.LBB14_2905:
	s_movk_i32 s4, 0x80
	v_cmp_eq_u16_sdwa s[12:13], v8, s4 src0_sel:BYTE_3 src1_sel:DWORD
	s_mov_b64 s[4:5], -1
                                        ; implicit-def: $sgpr10
	s_and_saveexec_b64 s[8:9], s[12:13]
; %bb.2906:
	s_mov_b32 s10, 0x7f800001
	s_xor_b64 s[4:5], exec, -1
; %bb.2907:
	s_or_b64 exec, exec, s[8:9]
	s_and_b64 s[4:5], s[4:5], exec
	s_or_saveexec_b64 s[6:7], s[6:7]
	v_mov_b32_e32 v2, s10
	s_xor_b64 exec, exec, s[6:7]
	s_cbranch_execz .LBB14_858
.LBB14_2908:
	v_mov_b32_e32 v2, 0
	v_cmp_ne_u16_sdwa s[8:9], v8, v2 src0_sel:BYTE_3 src1_sel:DWORD
	s_andn2_b64 s[4:5], s[4:5], exec
	s_and_b64 s[8:9], s[8:9], exec
	s_or_b64 s[4:5], s[4:5], s[8:9]
	s_or_b64 exec, exec, s[6:7]
	s_and_saveexec_b64 s[6:7], s[4:5]
	s_cbranch_execnz .LBB14_859
	s_branch .LBB14_860
.LBB14_2909:
	s_movk_i32 s4, 0x80
	v_cmp_eq_u16_sdwa s[12:13], v4, s4 src0_sel:BYTE_3 src1_sel:DWORD
	s_mov_b64 s[4:5], -1
                                        ; implicit-def: $sgpr10
	s_and_saveexec_b64 s[8:9], s[12:13]
; %bb.2910:
	s_mov_b32 s10, 0x7f800001
	s_xor_b64 s[4:5], exec, -1
; %bb.2911:
	s_or_b64 exec, exec, s[8:9]
	s_and_b64 s[4:5], s[4:5], exec
	s_or_saveexec_b64 s[6:7], s[6:7]
	v_mov_b32_e32 v3, s10
	s_xor_b64 exec, exec, s[6:7]
	s_cbranch_execz .LBB14_862
.LBB14_2912:
	v_mov_b32_e32 v3, 0
	v_cmp_ne_u16_sdwa s[8:9], v4, v3 src0_sel:BYTE_3 src1_sel:DWORD
	s_andn2_b64 s[4:5], s[4:5], exec
	s_and_b64 s[8:9], s[8:9], exec
	s_or_b64 s[4:5], s[4:5], s[8:9]
	s_or_b64 exec, exec, s[6:7]
	s_and_saveexec_b64 s[6:7], s[4:5]
	s_cbranch_execnz .LBB14_863
	s_branch .LBB14_864
.LBB14_2913:
	s_movk_i32 s4, 0x80
	v_cmp_eq_u16_sdwa s[12:13], v9, s4 src0_sel:BYTE_0 src1_sel:DWORD
	s_mov_b64 s[4:5], -1
                                        ; implicit-def: $sgpr10
	s_and_saveexec_b64 s[8:9], s[12:13]
; %bb.2914:
	s_mov_b32 s10, 0x7f800001
	s_xor_b64 s[4:5], exec, -1
; %bb.2915:
	s_or_b64 exec, exec, s[8:9]
	s_and_b64 s[4:5], s[4:5], exec
	s_or_saveexec_b64 s[6:7], s[6:7]
	v_mov_b32_e32 v2, s10
	s_xor_b64 exec, exec, s[6:7]
	s_cbranch_execz .LBB14_866
.LBB14_2916:
	v_mov_b32_e32 v2, 0
	v_cmp_ne_u16_sdwa s[8:9], v9, v2 src0_sel:BYTE_0 src1_sel:DWORD
	s_andn2_b64 s[4:5], s[4:5], exec
	s_and_b64 s[8:9], s[8:9], exec
	s_or_b64 s[4:5], s[4:5], s[8:9]
	s_or_b64 exec, exec, s[6:7]
	s_and_saveexec_b64 s[6:7], s[4:5]
	s_cbranch_execnz .LBB14_867
	s_branch .LBB14_868
.LBB14_2917:
	s_movk_i32 s4, 0x80
	v_cmp_eq_u16_sdwa s[12:13], v5, s4 src0_sel:BYTE_0 src1_sel:DWORD
	s_mov_b64 s[4:5], -1
                                        ; implicit-def: $sgpr10
	s_and_saveexec_b64 s[8:9], s[12:13]
; %bb.2918:
	s_mov_b32 s10, 0x7f800001
	s_xor_b64 s[4:5], exec, -1
; %bb.2919:
	s_or_b64 exec, exec, s[8:9]
	s_and_b64 s[4:5], s[4:5], exec
	s_or_saveexec_b64 s[6:7], s[6:7]
	v_mov_b32_e32 v3, s10
	s_xor_b64 exec, exec, s[6:7]
	s_cbranch_execz .LBB14_870
.LBB14_2920:
	v_mov_b32_e32 v3, 0
	v_cmp_ne_u16_sdwa s[8:9], v5, v3 src0_sel:BYTE_0 src1_sel:DWORD
	s_andn2_b64 s[4:5], s[4:5], exec
	s_and_b64 s[8:9], s[8:9], exec
	s_or_b64 s[4:5], s[4:5], s[8:9]
	s_or_b64 exec, exec, s[6:7]
	s_and_saveexec_b64 s[6:7], s[4:5]
	s_cbranch_execnz .LBB14_871
	s_branch .LBB14_872
.LBB14_2921:
	s_movk_i32 s4, 0x80
	v_cmp_eq_u16_sdwa s[12:13], v3, s4 src0_sel:BYTE_0 src1_sel:DWORD
	s_mov_b64 s[4:5], -1
                                        ; implicit-def: $sgpr10
	s_and_saveexec_b64 s[8:9], s[12:13]
; %bb.2922:
	s_mov_b32 s10, 0x7f800001
	s_xor_b64 s[4:5], exec, -1
; %bb.2923:
	s_or_b64 exec, exec, s[8:9]
	s_and_b64 s[4:5], s[4:5], exec
	s_or_saveexec_b64 s[6:7], s[6:7]
	v_mov_b32_e32 v2, s10
	s_xor_b64 exec, exec, s[6:7]
	s_cbranch_execz .LBB14_874
.LBB14_2924:
	v_mov_b32_e32 v2, 0
	v_cmp_ne_u16_sdwa s[8:9], v3, v2 src0_sel:BYTE_0 src1_sel:DWORD
	s_andn2_b64 s[4:5], s[4:5], exec
	s_and_b64 s[8:9], s[8:9], exec
	s_or_b64 s[4:5], s[4:5], s[8:9]
	s_or_b64 exec, exec, s[6:7]
	s_and_saveexec_b64 s[6:7], s[4:5]
	s_cbranch_execnz .LBB14_875
	s_branch .LBB14_876
.LBB14_2925:
	s_movk_i32 s4, 0x80
	v_cmp_eq_u16_sdwa s[12:13], v3, s4 src0_sel:BYTE_0 src1_sel:DWORD
	s_mov_b64 s[4:5], -1
                                        ; implicit-def: $sgpr10
	s_and_saveexec_b64 s[8:9], s[12:13]
; %bb.2926:
	s_mov_b32 s10, 0x7f800001
	s_xor_b64 s[4:5], exec, -1
; %bb.2927:
	s_or_b64 exec, exec, s[8:9]
	s_and_b64 s[4:5], s[4:5], exec
	s_or_saveexec_b64 s[6:7], s[6:7]
	v_mov_b32_e32 v4, s10
	s_xor_b64 exec, exec, s[6:7]
	s_cbranch_execz .LBB14_878
.LBB14_2928:
	v_mov_b32_e32 v4, 0
	v_cmp_ne_u16_sdwa s[8:9], v3, v4 src0_sel:BYTE_0 src1_sel:DWORD
	s_andn2_b64 s[4:5], s[4:5], exec
	s_and_b64 s[8:9], s[8:9], exec
	s_or_b64 s[4:5], s[4:5], s[8:9]
	s_or_b64 exec, exec, s[6:7]
	s_and_saveexec_b64 s[6:7], s[4:5]
	s_cbranch_execnz .LBB14_879
	s_branch .LBB14_880
.LBB14_2929:
	s_movk_i32 s4, 0x80
	v_cmp_eq_u16_e32 vcc, s4, v3
	s_mov_b64 s[4:5], -1
                                        ; implicit-def: $sgpr10
	s_and_saveexec_b64 s[8:9], vcc
; %bb.2930:
	s_mov_b32 s10, 0x7f800001
	s_xor_b64 s[4:5], exec, -1
; %bb.2931:
	s_or_b64 exec, exec, s[8:9]
	s_and_b64 s[4:5], s[4:5], exec
                                        ; implicit-def: $vgpr3
	s_or_saveexec_b64 s[6:7], s[6:7]
	v_mov_b32_e32 v2, s10
	s_xor_b64 exec, exec, s[6:7]
	s_cbranch_execz .LBB14_882
.LBB14_2932:
	v_cmp_ne_u16_e32 vcc, 0, v3
	s_andn2_b64 s[4:5], s[4:5], exec
	s_and_b64 s[8:9], vcc, exec
	v_mov_b32_e32 v2, 0
	s_or_b64 s[4:5], s[4:5], s[8:9]
	s_or_b64 exec, exec, s[6:7]
	s_and_saveexec_b64 s[6:7], s[4:5]
	s_cbranch_execnz .LBB14_883
	s_branch .LBB14_884
.LBB14_2933:
	s_movk_i32 s4, 0x80
	v_cmp_eq_u16_e32 vcc, s4, v3
	s_mov_b64 s[4:5], -1
                                        ; implicit-def: $sgpr10
	s_and_saveexec_b64 s[8:9], vcc
; %bb.2934:
	s_mov_b32 s10, 0x7f800001
	s_xor_b64 s[4:5], exec, -1
; %bb.2935:
	s_or_b64 exec, exec, s[8:9]
	s_and_b64 s[4:5], s[4:5], exec
                                        ; implicit-def: $vgpr3
	s_or_saveexec_b64 s[6:7], s[6:7]
	v_mov_b32_e32 v4, s10
	s_xor_b64 exec, exec, s[6:7]
	s_cbranch_execz .LBB14_886
.LBB14_2936:
	v_cmp_ne_u16_e32 vcc, 0, v3
	s_andn2_b64 s[4:5], s[4:5], exec
	s_and_b64 s[8:9], vcc, exec
	v_mov_b32_e32 v4, 0
	s_or_b64 s[4:5], s[4:5], s[8:9]
	s_or_b64 exec, exec, s[6:7]
	s_and_saveexec_b64 s[6:7], s[4:5]
	s_cbranch_execnz .LBB14_887
	s_branch .LBB14_888
.LBB14_2937:
	s_movk_i32 s4, 0x80
	v_cmp_eq_u16_sdwa s[12:13], v9, s4 src0_sel:BYTE_3 src1_sel:DWORD
	s_mov_b64 s[4:5], -1
                                        ; implicit-def: $sgpr10
	s_and_saveexec_b64 s[8:9], s[12:13]
; %bb.2938:
	s_mov_b32 s10, 0x7f800001
	s_xor_b64 s[4:5], exec, -1
; %bb.2939:
	s_or_b64 exec, exec, s[8:9]
	s_and_b64 s[4:5], s[4:5], exec
	s_or_saveexec_b64 s[6:7], s[6:7]
	v_mov_b32_e32 v2, s10
	s_xor_b64 exec, exec, s[6:7]
	s_cbranch_execz .LBB14_890
.LBB14_2940:
	v_mov_b32_e32 v2, 0
	v_cmp_ne_u16_sdwa s[8:9], v9, v2 src0_sel:BYTE_3 src1_sel:DWORD
	s_andn2_b64 s[4:5], s[4:5], exec
	s_and_b64 s[8:9], s[8:9], exec
	s_or_b64 s[4:5], s[4:5], s[8:9]
	s_or_b64 exec, exec, s[6:7]
	s_and_saveexec_b64 s[6:7], s[4:5]
	s_cbranch_execnz .LBB14_891
	s_branch .LBB14_892
.LBB14_2941:
	s_movk_i32 s4, 0x80
	v_cmp_eq_u16_sdwa s[12:13], v5, s4 src0_sel:BYTE_3 src1_sel:DWORD
	s_mov_b64 s[4:5], -1
                                        ; implicit-def: $sgpr10
	s_and_saveexec_b64 s[8:9], s[12:13]
; %bb.2942:
	s_mov_b32 s10, 0x7f800001
	s_xor_b64 s[4:5], exec, -1
; %bb.2943:
	s_or_b64 exec, exec, s[8:9]
	s_and_b64 s[4:5], s[4:5], exec
	s_or_saveexec_b64 s[6:7], s[6:7]
	v_mov_b32_e32 v3, s10
	s_xor_b64 exec, exec, s[6:7]
	s_cbranch_execz .LBB14_894
.LBB14_2944:
	v_mov_b32_e32 v3, 0
	v_cmp_ne_u16_sdwa s[8:9], v5, v3 src0_sel:BYTE_3 src1_sel:DWORD
	s_andn2_b64 s[4:5], s[4:5], exec
	s_and_b64 s[8:9], s[8:9], exec
	s_or_b64 s[4:5], s[4:5], s[8:9]
	s_or_b64 exec, exec, s[6:7]
	s_and_saveexec_b64 s[6:7], s[4:5]
	s_cbranch_execnz .LBB14_895
	s_branch .LBB14_896
.LBB14_2945:
	s_movk_i32 s4, 0x80
	v_cmp_eq_u16_sdwa s[12:13], v6, s4 src0_sel:BYTE_0 src1_sel:DWORD
	s_mov_b64 s[4:5], -1
                                        ; implicit-def: $sgpr10
	s_and_saveexec_b64 s[8:9], s[12:13]
; %bb.2946:
	s_mov_b32 s10, 0x7f800001
	s_xor_b64 s[4:5], exec, -1
; %bb.2947:
	s_or_b64 exec, exec, s[8:9]
	s_and_b64 s[4:5], s[4:5], exec
	s_or_saveexec_b64 s[6:7], s[6:7]
	v_mov_b32_e32 v12, s10
	s_xor_b64 exec, exec, s[6:7]
	s_cbranch_execz .LBB14_898
.LBB14_2948:
	v_mov_b32_e32 v12, 0
	v_cmp_ne_u16_sdwa s[8:9], v6, v12 src0_sel:BYTE_0 src1_sel:DWORD
	s_andn2_b64 s[4:5], s[4:5], exec
	s_and_b64 s[8:9], s[8:9], exec
	s_or_b64 s[4:5], s[4:5], s[8:9]
	s_or_b64 exec, exec, s[6:7]
	s_and_saveexec_b64 s[6:7], s[4:5]
	s_cbranch_execnz .LBB14_899
	s_branch .LBB14_900
.LBB14_2949:
	s_movk_i32 s4, 0x80
	v_cmp_eq_u16_sdwa s[12:13], v2, s4 src0_sel:BYTE_0 src1_sel:DWORD
	s_mov_b64 s[4:5], -1
                                        ; implicit-def: $sgpr10
	s_and_saveexec_b64 s[8:9], s[12:13]
; %bb.2950:
	s_mov_b32 s10, 0x7f800001
	s_xor_b64 s[4:5], exec, -1
; %bb.2951:
	s_or_b64 exec, exec, s[8:9]
	s_and_b64 s[4:5], s[4:5], exec
	s_or_saveexec_b64 s[6:7], s[6:7]
	v_mov_b32_e32 v13, s10
	s_xor_b64 exec, exec, s[6:7]
	s_cbranch_execz .LBB14_902
.LBB14_2952:
	v_mov_b32_e32 v13, 0
	v_cmp_ne_u16_sdwa s[8:9], v2, v13 src0_sel:BYTE_0 src1_sel:DWORD
	s_andn2_b64 s[4:5], s[4:5], exec
	s_and_b64 s[8:9], s[8:9], exec
	s_or_b64 s[4:5], s[4:5], s[8:9]
	s_or_b64 exec, exec, s[6:7]
	s_and_saveexec_b64 s[6:7], s[4:5]
	s_cbranch_execnz .LBB14_903
	s_branch .LBB14_904
.LBB14_2953:
	s_movk_i32 s4, 0x80
	v_cmp_eq_u16_sdwa s[12:13], v13, s4 src0_sel:BYTE_0 src1_sel:DWORD
	s_mov_b64 s[4:5], -1
                                        ; implicit-def: $sgpr10
	s_and_saveexec_b64 s[8:9], s[12:13]
; %bb.2954:
	s_mov_b32 s10, 0x7f800001
	s_xor_b64 s[4:5], exec, -1
; %bb.2955:
	s_or_b64 exec, exec, s[8:9]
	s_and_b64 s[4:5], s[4:5], exec
	s_or_saveexec_b64 s[6:7], s[6:7]
	v_mov_b32_e32 v12, s10
	s_xor_b64 exec, exec, s[6:7]
	s_cbranch_execz .LBB14_906
.LBB14_2956:
	v_mov_b32_e32 v12, 0
	v_cmp_ne_u16_sdwa s[8:9], v13, v12 src0_sel:BYTE_0 src1_sel:DWORD
	s_andn2_b64 s[4:5], s[4:5], exec
	s_and_b64 s[8:9], s[8:9], exec
	s_or_b64 s[4:5], s[4:5], s[8:9]
	s_or_b64 exec, exec, s[6:7]
	s_and_saveexec_b64 s[6:7], s[4:5]
	s_cbranch_execnz .LBB14_907
	s_branch .LBB14_908
.LBB14_2957:
	s_movk_i32 s4, 0x80
	v_cmp_eq_u16_sdwa s[12:13], v13, s4 src0_sel:BYTE_0 src1_sel:DWORD
	s_mov_b64 s[4:5], -1
                                        ; implicit-def: $sgpr10
	s_and_saveexec_b64 s[8:9], s[12:13]
; %bb.2958:
	s_mov_b32 s10, 0x7f800001
	s_xor_b64 s[4:5], exec, -1
; %bb.2959:
	s_or_b64 exec, exec, s[8:9]
	s_and_b64 s[4:5], s[4:5], exec
	s_or_saveexec_b64 s[6:7], s[6:7]
	v_mov_b32_e32 v14, s10
	s_xor_b64 exec, exec, s[6:7]
	s_cbranch_execz .LBB14_910
.LBB14_2960:
	v_mov_b32_e32 v14, 0
	v_cmp_ne_u16_sdwa s[8:9], v13, v14 src0_sel:BYTE_0 src1_sel:DWORD
	s_andn2_b64 s[4:5], s[4:5], exec
	s_and_b64 s[8:9], s[8:9], exec
	s_or_b64 s[4:5], s[4:5], s[8:9]
	s_or_b64 exec, exec, s[6:7]
	s_and_saveexec_b64 s[6:7], s[4:5]
	s_cbranch_execnz .LBB14_911
	s_branch .LBB14_912
.LBB14_2961:
	s_movk_i32 s4, 0x80
	v_cmp_eq_u16_e32 vcc, s4, v13
	s_mov_b64 s[4:5], -1
                                        ; implicit-def: $sgpr10
	s_and_saveexec_b64 s[8:9], vcc
; %bb.2962:
	s_mov_b32 s10, 0x7f800001
	s_xor_b64 s[4:5], exec, -1
; %bb.2963:
	s_or_b64 exec, exec, s[8:9]
	s_and_b64 s[4:5], s[4:5], exec
                                        ; implicit-def: $vgpr13
	s_or_saveexec_b64 s[6:7], s[6:7]
	v_mov_b32_e32 v12, s10
	s_xor_b64 exec, exec, s[6:7]
	s_cbranch_execz .LBB14_914
.LBB14_2964:
	v_cmp_ne_u16_e32 vcc, 0, v13
	s_andn2_b64 s[4:5], s[4:5], exec
	s_and_b64 s[8:9], vcc, exec
	v_mov_b32_e32 v12, 0
	s_or_b64 s[4:5], s[4:5], s[8:9]
	s_or_b64 exec, exec, s[6:7]
	s_and_saveexec_b64 s[6:7], s[4:5]
	s_cbranch_execnz .LBB14_915
	s_branch .LBB14_916
.LBB14_2965:
	s_movk_i32 s4, 0x80
	v_cmp_eq_u16_e32 vcc, s4, v13
	s_mov_b64 s[4:5], -1
                                        ; implicit-def: $sgpr10
	s_and_saveexec_b64 s[8:9], vcc
; %bb.2966:
	s_mov_b32 s10, 0x7f800001
	s_xor_b64 s[4:5], exec, -1
; %bb.2967:
	s_or_b64 exec, exec, s[8:9]
	s_and_b64 s[4:5], s[4:5], exec
                                        ; implicit-def: $vgpr13
	s_or_saveexec_b64 s[6:7], s[6:7]
	v_mov_b32_e32 v14, s10
	s_xor_b64 exec, exec, s[6:7]
	s_cbranch_execz .LBB14_918
.LBB14_2968:
	v_cmp_ne_u16_e32 vcc, 0, v13
	s_andn2_b64 s[4:5], s[4:5], exec
	s_and_b64 s[8:9], vcc, exec
	v_mov_b32_e32 v14, 0
	s_or_b64 s[4:5], s[4:5], s[8:9]
	s_or_b64 exec, exec, s[6:7]
	s_and_saveexec_b64 s[6:7], s[4:5]
	s_cbranch_execnz .LBB14_919
	s_branch .LBB14_920
.LBB14_2969:
	s_movk_i32 s4, 0x80
	v_cmp_eq_u16_sdwa s[12:13], v6, s4 src0_sel:BYTE_3 src1_sel:DWORD
	s_mov_b64 s[4:5], -1
                                        ; implicit-def: $sgpr10
	s_and_saveexec_b64 s[8:9], s[12:13]
; %bb.2970:
	s_mov_b32 s10, 0x7f800001
	s_xor_b64 s[4:5], exec, -1
; %bb.2971:
	s_or_b64 exec, exec, s[8:9]
	s_and_b64 s[4:5], s[4:5], exec
	s_or_saveexec_b64 s[6:7], s[6:7]
	v_mov_b32_e32 v12, s10
	s_xor_b64 exec, exec, s[6:7]
	s_cbranch_execz .LBB14_922
.LBB14_2972:
	v_mov_b32_e32 v12, 0
	v_cmp_ne_u16_sdwa s[8:9], v6, v12 src0_sel:BYTE_3 src1_sel:DWORD
	s_andn2_b64 s[4:5], s[4:5], exec
	s_and_b64 s[8:9], s[8:9], exec
	s_or_b64 s[4:5], s[4:5], s[8:9]
	s_or_b64 exec, exec, s[6:7]
	s_and_saveexec_b64 s[6:7], s[4:5]
	s_cbranch_execnz .LBB14_923
	s_branch .LBB14_924
.LBB14_2973:
	s_movk_i32 s4, 0x80
	v_cmp_eq_u16_sdwa s[12:13], v2, s4 src0_sel:BYTE_3 src1_sel:DWORD
	s_mov_b64 s[4:5], -1
                                        ; implicit-def: $sgpr10
	s_and_saveexec_b64 s[8:9], s[12:13]
; %bb.2974:
	s_mov_b32 s10, 0x7f800001
	s_xor_b64 s[4:5], exec, -1
; %bb.2975:
	s_or_b64 exec, exec, s[8:9]
	s_and_b64 s[4:5], s[4:5], exec
	s_or_saveexec_b64 s[6:7], s[6:7]
	v_mov_b32_e32 v6, s10
	s_xor_b64 exec, exec, s[6:7]
	s_cbranch_execz .LBB14_926
.LBB14_2976:
	v_mov_b32_e32 v6, 0
	v_cmp_ne_u16_sdwa s[8:9], v2, v6 src0_sel:BYTE_3 src1_sel:DWORD
	s_andn2_b64 s[4:5], s[4:5], exec
	s_and_b64 s[8:9], s[8:9], exec
	s_or_b64 s[4:5], s[4:5], s[8:9]
	s_or_b64 exec, exec, s[6:7]
	s_and_saveexec_b64 s[6:7], s[4:5]
	s_cbranch_execnz .LBB14_927
	s_branch .LBB14_928
.LBB14_2977:
	s_movk_i32 s4, 0x80
	v_cmp_eq_u16_sdwa s[12:13], v7, s4 src0_sel:BYTE_0 src1_sel:DWORD
	s_mov_b64 s[4:5], -1
                                        ; implicit-def: $sgpr10
	s_and_saveexec_b64 s[8:9], s[12:13]
; %bb.2978:
	s_mov_b32 s10, 0x7f800001
	s_xor_b64 s[4:5], exec, -1
; %bb.2979:
	s_or_b64 exec, exec, s[8:9]
	s_and_b64 s[4:5], s[4:5], exec
	s_or_saveexec_b64 s[6:7], s[6:7]
	v_mov_b32_e32 v2, s10
	s_xor_b64 exec, exec, s[6:7]
	s_cbranch_execz .LBB14_930
.LBB14_2980:
	v_mov_b32_e32 v2, 0
	v_cmp_ne_u16_sdwa s[8:9], v7, v2 src0_sel:BYTE_0 src1_sel:DWORD
	s_andn2_b64 s[4:5], s[4:5], exec
	s_and_b64 s[8:9], s[8:9], exec
	s_or_b64 s[4:5], s[4:5], s[8:9]
	s_or_b64 exec, exec, s[6:7]
	s_and_saveexec_b64 s[6:7], s[4:5]
	s_cbranch_execnz .LBB14_931
	s_branch .LBB14_932
.LBB14_2981:
	s_movk_i32 s4, 0x80
	v_cmp_eq_u16_sdwa s[12:13], v3, s4 src0_sel:BYTE_0 src1_sel:DWORD
	s_mov_b64 s[4:5], -1
                                        ; implicit-def: $sgpr10
	s_and_saveexec_b64 s[8:9], s[12:13]
; %bb.2982:
	s_mov_b32 s10, 0x7f800001
	s_xor_b64 s[4:5], exec, -1
; %bb.2983:
	s_or_b64 exec, exec, s[8:9]
	s_and_b64 s[4:5], s[4:5], exec
	s_or_saveexec_b64 s[6:7], s[6:7]
	v_mov_b32_e32 v6, s10
	s_xor_b64 exec, exec, s[6:7]
	s_cbranch_execz .LBB14_934
.LBB14_2984:
	v_mov_b32_e32 v6, 0
	v_cmp_ne_u16_sdwa s[8:9], v3, v6 src0_sel:BYTE_0 src1_sel:DWORD
	s_andn2_b64 s[4:5], s[4:5], exec
	s_and_b64 s[8:9], s[8:9], exec
	s_or_b64 s[4:5], s[4:5], s[8:9]
	s_or_b64 exec, exec, s[6:7]
	s_and_saveexec_b64 s[6:7], s[4:5]
	s_cbranch_execnz .LBB14_935
	s_branch .LBB14_936
.LBB14_2985:
	s_movk_i32 s4, 0x80
	v_cmp_eq_u16_sdwa s[12:13], v6, s4 src0_sel:BYTE_0 src1_sel:DWORD
	s_mov_b64 s[4:5], -1
                                        ; implicit-def: $sgpr10
	s_and_saveexec_b64 s[8:9], s[12:13]
; %bb.2986:
	s_mov_b32 s10, 0x7f800001
	s_xor_b64 s[4:5], exec, -1
; %bb.2987:
	s_or_b64 exec, exec, s[8:9]
	s_and_b64 s[4:5], s[4:5], exec
	s_or_saveexec_b64 s[6:7], s[6:7]
	v_mov_b32_e32 v2, s10
	s_xor_b64 exec, exec, s[6:7]
	s_cbranch_execz .LBB14_938
.LBB14_2988:
	v_mov_b32_e32 v2, 0
	v_cmp_ne_u16_sdwa s[8:9], v6, v2 src0_sel:BYTE_0 src1_sel:DWORD
	s_andn2_b64 s[4:5], s[4:5], exec
	s_and_b64 s[8:9], s[8:9], exec
	s_or_b64 s[4:5], s[4:5], s[8:9]
	s_or_b64 exec, exec, s[6:7]
	s_and_saveexec_b64 s[6:7], s[4:5]
	s_cbranch_execnz .LBB14_939
	s_branch .LBB14_940
.LBB14_2989:
	s_movk_i32 s4, 0x80
	v_cmp_eq_u16_sdwa s[12:13], v6, s4 src0_sel:BYTE_0 src1_sel:DWORD
	s_mov_b64 s[4:5], -1
                                        ; implicit-def: $sgpr10
	s_and_saveexec_b64 s[8:9], s[12:13]
; %bb.2990:
	s_mov_b32 s10, 0x7f800001
	s_xor_b64 s[4:5], exec, -1
; %bb.2991:
	s_or_b64 exec, exec, s[8:9]
	s_and_b64 s[4:5], s[4:5], exec
	s_or_saveexec_b64 s[6:7], s[6:7]
	v_mov_b32_e32 v12, s10
	s_xor_b64 exec, exec, s[6:7]
	s_cbranch_execz .LBB14_942
.LBB14_2992:
	v_mov_b32_e32 v12, 0
	v_cmp_ne_u16_sdwa s[8:9], v6, v12 src0_sel:BYTE_0 src1_sel:DWORD
	s_andn2_b64 s[4:5], s[4:5], exec
	s_and_b64 s[8:9], s[8:9], exec
	s_or_b64 s[4:5], s[4:5], s[8:9]
	s_or_b64 exec, exec, s[6:7]
	s_and_saveexec_b64 s[6:7], s[4:5]
	s_cbranch_execnz .LBB14_943
	s_branch .LBB14_944
.LBB14_2993:
	s_movk_i32 s4, 0x80
	v_cmp_eq_u16_e32 vcc, s4, v6
	s_mov_b64 s[4:5], -1
                                        ; implicit-def: $sgpr10
	s_and_saveexec_b64 s[8:9], vcc
; %bb.2994:
	s_mov_b32 s10, 0x7f800001
	s_xor_b64 s[4:5], exec, -1
; %bb.2995:
	s_or_b64 exec, exec, s[8:9]
	s_and_b64 s[4:5], s[4:5], exec
                                        ; implicit-def: $vgpr6
	s_or_saveexec_b64 s[6:7], s[6:7]
	v_mov_b32_e32 v2, s10
	s_xor_b64 exec, exec, s[6:7]
	s_cbranch_execz .LBB14_946
.LBB14_2996:
	v_cmp_ne_u16_e32 vcc, 0, v6
	s_andn2_b64 s[4:5], s[4:5], exec
	s_and_b64 s[8:9], vcc, exec
	v_mov_b32_e32 v2, 0
	s_or_b64 s[4:5], s[4:5], s[8:9]
	s_or_b64 exec, exec, s[6:7]
	s_and_saveexec_b64 s[6:7], s[4:5]
	s_cbranch_execnz .LBB14_947
	s_branch .LBB14_948
.LBB14_2997:
	s_movk_i32 s4, 0x80
	v_cmp_eq_u16_e32 vcc, s4, v6
	s_mov_b64 s[4:5], -1
                                        ; implicit-def: $sgpr10
	s_and_saveexec_b64 s[8:9], vcc
; %bb.2998:
	s_mov_b32 s10, 0x7f800001
	s_xor_b64 s[4:5], exec, -1
; %bb.2999:
	s_or_b64 exec, exec, s[8:9]
	s_and_b64 s[4:5], s[4:5], exec
                                        ; implicit-def: $vgpr6
	s_or_saveexec_b64 s[6:7], s[6:7]
	v_mov_b32_e32 v12, s10
	s_xor_b64 exec, exec, s[6:7]
	s_cbranch_execz .LBB14_950
.LBB14_3000:
	v_cmp_ne_u16_e32 vcc, 0, v6
	s_andn2_b64 s[4:5], s[4:5], exec
	s_and_b64 s[8:9], vcc, exec
	v_mov_b32_e32 v12, 0
	s_or_b64 s[4:5], s[4:5], s[8:9]
	s_or_b64 exec, exec, s[6:7]
	s_and_saveexec_b64 s[6:7], s[4:5]
	s_cbranch_execnz .LBB14_951
	s_branch .LBB14_952
.LBB14_3001:
	s_movk_i32 s4, 0x80
	v_cmp_eq_u16_sdwa s[12:13], v7, s4 src0_sel:BYTE_3 src1_sel:DWORD
	s_mov_b64 s[4:5], -1
                                        ; implicit-def: $sgpr10
	s_and_saveexec_b64 s[8:9], s[12:13]
; %bb.3002:
	s_mov_b32 s10, 0x7f800001
	s_xor_b64 s[4:5], exec, -1
; %bb.3003:
	s_or_b64 exec, exec, s[8:9]
	s_and_b64 s[4:5], s[4:5], exec
	s_or_saveexec_b64 s[6:7], s[6:7]
	v_mov_b32_e32 v2, s10
	s_xor_b64 exec, exec, s[6:7]
	s_cbranch_execz .LBB14_954
.LBB14_3004:
	v_mov_b32_e32 v2, 0
	v_cmp_ne_u16_sdwa s[8:9], v7, v2 src0_sel:BYTE_3 src1_sel:DWORD
	s_andn2_b64 s[4:5], s[4:5], exec
	s_and_b64 s[8:9], s[8:9], exec
	s_or_b64 s[4:5], s[4:5], s[8:9]
	s_or_b64 exec, exec, s[6:7]
	s_and_saveexec_b64 s[6:7], s[4:5]
	s_cbranch_execnz .LBB14_955
	s_branch .LBB14_956
.LBB14_3005:
	s_movk_i32 s4, 0x80
	v_cmp_eq_u16_sdwa s[12:13], v3, s4 src0_sel:BYTE_3 src1_sel:DWORD
	s_mov_b64 s[4:5], -1
                                        ; implicit-def: $sgpr10
	s_and_saveexec_b64 s[8:9], s[12:13]
; %bb.3006:
	s_mov_b32 s10, 0x7f800001
	s_xor_b64 s[4:5], exec, -1
; %bb.3007:
	s_or_b64 exec, exec, s[8:9]
	s_and_b64 s[4:5], s[4:5], exec
	s_or_saveexec_b64 s[6:7], s[6:7]
	v_mov_b32_e32 v6, s10
	s_xor_b64 exec, exec, s[6:7]
	s_cbranch_execz .LBB14_958
.LBB14_3008:
	v_mov_b32_e32 v6, 0
	v_cmp_ne_u16_sdwa s[8:9], v3, v6 src0_sel:BYTE_3 src1_sel:DWORD
	s_andn2_b64 s[4:5], s[4:5], exec
	s_and_b64 s[8:9], s[8:9], exec
	s_or_b64 s[4:5], s[4:5], s[8:9]
	s_or_b64 exec, exec, s[6:7]
	s_and_saveexec_b64 s[6:7], s[4:5]
	s_cbranch_execnz .LBB14_959
	s_branch .LBB14_960
.LBB14_3009:
	s_movk_i32 s4, 0x80
	v_cmp_eq_u16_sdwa s[12:13], v8, s4 src0_sel:BYTE_0 src1_sel:DWORD
	s_mov_b64 s[4:5], -1
                                        ; implicit-def: $sgpr10
	s_and_saveexec_b64 s[8:9], s[12:13]
; %bb.3010:
	s_mov_b32 s10, 0x7f800001
	s_xor_b64 s[4:5], exec, -1
; %bb.3011:
	s_or_b64 exec, exec, s[8:9]
	s_and_b64 s[4:5], s[4:5], exec
	s_or_saveexec_b64 s[6:7], s[6:7]
	v_mov_b32_e32 v2, s10
	s_xor_b64 exec, exec, s[6:7]
	s_cbranch_execz .LBB14_962
.LBB14_3012:
	v_mov_b32_e32 v2, 0
	v_cmp_ne_u16_sdwa s[8:9], v8, v2 src0_sel:BYTE_0 src1_sel:DWORD
	s_andn2_b64 s[4:5], s[4:5], exec
	s_and_b64 s[8:9], s[8:9], exec
	s_or_b64 s[4:5], s[4:5], s[8:9]
	s_or_b64 exec, exec, s[6:7]
	s_and_saveexec_b64 s[6:7], s[4:5]
	s_cbranch_execnz .LBB14_963
	s_branch .LBB14_964
.LBB14_3013:
	s_movk_i32 s4, 0x80
	v_cmp_eq_u16_sdwa s[12:13], v4, s4 src0_sel:BYTE_0 src1_sel:DWORD
	s_mov_b64 s[4:5], -1
                                        ; implicit-def: $sgpr10
	s_and_saveexec_b64 s[8:9], s[12:13]
; %bb.3014:
	s_mov_b32 s10, 0x7f800001
	s_xor_b64 s[4:5], exec, -1
; %bb.3015:
	s_or_b64 exec, exec, s[8:9]
	s_and_b64 s[4:5], s[4:5], exec
	s_or_saveexec_b64 s[6:7], s[6:7]
	v_mov_b32_e32 v3, s10
	s_xor_b64 exec, exec, s[6:7]
	s_cbranch_execz .LBB14_966
.LBB14_3016:
	v_mov_b32_e32 v3, 0
	v_cmp_ne_u16_sdwa s[8:9], v4, v3 src0_sel:BYTE_0 src1_sel:DWORD
	s_andn2_b64 s[4:5], s[4:5], exec
	s_and_b64 s[8:9], s[8:9], exec
	s_or_b64 s[4:5], s[4:5], s[8:9]
	s_or_b64 exec, exec, s[6:7]
	s_and_saveexec_b64 s[6:7], s[4:5]
	s_cbranch_execnz .LBB14_967
	s_branch .LBB14_968
.LBB14_3017:
	s_movk_i32 s4, 0x80
	v_cmp_eq_u16_sdwa s[12:13], v3, s4 src0_sel:BYTE_0 src1_sel:DWORD
	s_mov_b64 s[4:5], -1
                                        ; implicit-def: $sgpr10
	s_and_saveexec_b64 s[8:9], s[12:13]
; %bb.3018:
	s_mov_b32 s10, 0x7f800001
	s_xor_b64 s[4:5], exec, -1
; %bb.3019:
	s_or_b64 exec, exec, s[8:9]
	s_and_b64 s[4:5], s[4:5], exec
	s_or_saveexec_b64 s[6:7], s[6:7]
	v_mov_b32_e32 v2, s10
	s_xor_b64 exec, exec, s[6:7]
	s_cbranch_execz .LBB14_970
.LBB14_3020:
	v_mov_b32_e32 v2, 0
	v_cmp_ne_u16_sdwa s[8:9], v3, v2 src0_sel:BYTE_0 src1_sel:DWORD
	s_andn2_b64 s[4:5], s[4:5], exec
	s_and_b64 s[8:9], s[8:9], exec
	s_or_b64 s[4:5], s[4:5], s[8:9]
	s_or_b64 exec, exec, s[6:7]
	s_and_saveexec_b64 s[6:7], s[4:5]
	s_cbranch_execnz .LBB14_971
	s_branch .LBB14_972
.LBB14_3021:
	s_movk_i32 s4, 0x80
	v_cmp_eq_u16_sdwa s[12:13], v3, s4 src0_sel:BYTE_0 src1_sel:DWORD
	s_mov_b64 s[4:5], -1
                                        ; implicit-def: $sgpr10
	s_and_saveexec_b64 s[8:9], s[12:13]
; %bb.3022:
	s_mov_b32 s10, 0x7f800001
	s_xor_b64 s[4:5], exec, -1
; %bb.3023:
	s_or_b64 exec, exec, s[8:9]
	s_and_b64 s[4:5], s[4:5], exec
	s_or_saveexec_b64 s[6:7], s[6:7]
	v_mov_b32_e32 v6, s10
	s_xor_b64 exec, exec, s[6:7]
	s_cbranch_execz .LBB14_974
.LBB14_3024:
	v_mov_b32_e32 v6, 0
	v_cmp_ne_u16_sdwa s[8:9], v3, v6 src0_sel:BYTE_0 src1_sel:DWORD
	s_andn2_b64 s[4:5], s[4:5], exec
	s_and_b64 s[8:9], s[8:9], exec
	s_or_b64 s[4:5], s[4:5], s[8:9]
	s_or_b64 exec, exec, s[6:7]
	s_and_saveexec_b64 s[6:7], s[4:5]
	s_cbranch_execnz .LBB14_975
	s_branch .LBB14_976
.LBB14_3025:
	s_movk_i32 s4, 0x80
	v_cmp_eq_u16_e32 vcc, s4, v3
	s_mov_b64 s[4:5], -1
                                        ; implicit-def: $sgpr10
	s_and_saveexec_b64 s[8:9], vcc
; %bb.3026:
	s_mov_b32 s10, 0x7f800001
	s_xor_b64 s[4:5], exec, -1
; %bb.3027:
	s_or_b64 exec, exec, s[8:9]
	s_and_b64 s[4:5], s[4:5], exec
                                        ; implicit-def: $vgpr3
	s_or_saveexec_b64 s[6:7], s[6:7]
	v_mov_b32_e32 v2, s10
	s_xor_b64 exec, exec, s[6:7]
	s_cbranch_execz .LBB14_978
.LBB14_3028:
	v_cmp_ne_u16_e32 vcc, 0, v3
	s_andn2_b64 s[4:5], s[4:5], exec
	s_and_b64 s[8:9], vcc, exec
	v_mov_b32_e32 v2, 0
	s_or_b64 s[4:5], s[4:5], s[8:9]
	s_or_b64 exec, exec, s[6:7]
	s_and_saveexec_b64 s[6:7], s[4:5]
	s_cbranch_execnz .LBB14_979
	s_branch .LBB14_980
.LBB14_3029:
	s_movk_i32 s4, 0x80
	v_cmp_eq_u16_e32 vcc, s4, v3
	s_mov_b64 s[4:5], -1
                                        ; implicit-def: $sgpr10
	s_and_saveexec_b64 s[8:9], vcc
; %bb.3030:
	s_mov_b32 s10, 0x7f800001
	s_xor_b64 s[4:5], exec, -1
; %bb.3031:
	s_or_b64 exec, exec, s[8:9]
	s_and_b64 s[4:5], s[4:5], exec
                                        ; implicit-def: $vgpr3
	s_or_saveexec_b64 s[6:7], s[6:7]
	v_mov_b32_e32 v6, s10
	s_xor_b64 exec, exec, s[6:7]
	s_cbranch_execz .LBB14_982
.LBB14_3032:
	v_cmp_ne_u16_e32 vcc, 0, v3
	s_andn2_b64 s[4:5], s[4:5], exec
	s_and_b64 s[8:9], vcc, exec
	v_mov_b32_e32 v6, 0
	s_or_b64 s[4:5], s[4:5], s[8:9]
	s_or_b64 exec, exec, s[6:7]
	s_and_saveexec_b64 s[6:7], s[4:5]
	s_cbranch_execnz .LBB14_983
	s_branch .LBB14_984
.LBB14_3033:
	s_movk_i32 s4, 0x80
	v_cmp_eq_u16_sdwa s[12:13], v8, s4 src0_sel:BYTE_3 src1_sel:DWORD
	s_mov_b64 s[4:5], -1
                                        ; implicit-def: $sgpr10
	s_and_saveexec_b64 s[8:9], s[12:13]
; %bb.3034:
	s_mov_b32 s10, 0x7f800001
	s_xor_b64 s[4:5], exec, -1
; %bb.3035:
	s_or_b64 exec, exec, s[8:9]
	s_and_b64 s[4:5], s[4:5], exec
	s_or_saveexec_b64 s[6:7], s[6:7]
	v_mov_b32_e32 v2, s10
	s_xor_b64 exec, exec, s[6:7]
	s_cbranch_execz .LBB14_986
.LBB14_3036:
	v_mov_b32_e32 v2, 0
	v_cmp_ne_u16_sdwa s[8:9], v8, v2 src0_sel:BYTE_3 src1_sel:DWORD
	s_andn2_b64 s[4:5], s[4:5], exec
	s_and_b64 s[8:9], s[8:9], exec
	s_or_b64 s[4:5], s[4:5], s[8:9]
	s_or_b64 exec, exec, s[6:7]
	s_and_saveexec_b64 s[6:7], s[4:5]
	s_cbranch_execnz .LBB14_987
	s_branch .LBB14_988
.LBB14_3037:
	s_movk_i32 s4, 0x80
	v_cmp_eq_u16_sdwa s[12:13], v4, s4 src0_sel:BYTE_3 src1_sel:DWORD
	s_mov_b64 s[4:5], -1
                                        ; implicit-def: $sgpr10
	s_and_saveexec_b64 s[8:9], s[12:13]
; %bb.3038:
	s_mov_b32 s10, 0x7f800001
	s_xor_b64 s[4:5], exec, -1
; %bb.3039:
	s_or_b64 exec, exec, s[8:9]
	s_and_b64 s[4:5], s[4:5], exec
	s_or_saveexec_b64 s[6:7], s[6:7]
	v_mov_b32_e32 v3, s10
	s_xor_b64 exec, exec, s[6:7]
	s_cbranch_execz .LBB14_990
.LBB14_3040:
	v_mov_b32_e32 v3, 0
	v_cmp_ne_u16_sdwa s[8:9], v4, v3 src0_sel:BYTE_3 src1_sel:DWORD
	s_andn2_b64 s[4:5], s[4:5], exec
	s_and_b64 s[8:9], s[8:9], exec
	s_or_b64 s[4:5], s[4:5], s[8:9]
	s_or_b64 exec, exec, s[6:7]
	s_and_saveexec_b64 s[6:7], s[4:5]
	s_cbranch_execnz .LBB14_991
	s_branch .LBB14_992
.LBB14_3041:
	s_movk_i32 s4, 0x80
	v_cmp_eq_u16_sdwa s[12:13], v9, s4 src0_sel:BYTE_0 src1_sel:DWORD
	s_mov_b64 s[4:5], -1
                                        ; implicit-def: $sgpr10
	s_and_saveexec_b64 s[8:9], s[12:13]
; %bb.3042:
	s_mov_b32 s10, 0x7f800001
	s_xor_b64 s[4:5], exec, -1
; %bb.3043:
	s_or_b64 exec, exec, s[8:9]
	s_and_b64 s[4:5], s[4:5], exec
	s_or_saveexec_b64 s[6:7], s[6:7]
	v_mov_b32_e32 v2, s10
	s_xor_b64 exec, exec, s[6:7]
	s_cbranch_execz .LBB14_994
.LBB14_3044:
	v_mov_b32_e32 v2, 0
	v_cmp_ne_u16_sdwa s[8:9], v9, v2 src0_sel:BYTE_0 src1_sel:DWORD
	s_andn2_b64 s[4:5], s[4:5], exec
	s_and_b64 s[8:9], s[8:9], exec
	s_or_b64 s[4:5], s[4:5], s[8:9]
	s_or_b64 exec, exec, s[6:7]
	s_and_saveexec_b64 s[6:7], s[4:5]
	s_cbranch_execnz .LBB14_995
	s_branch .LBB14_996
.LBB14_3045:
	s_movk_i32 s4, 0x80
	v_cmp_eq_u16_sdwa s[12:13], v5, s4 src0_sel:BYTE_0 src1_sel:DWORD
	s_mov_b64 s[4:5], -1
                                        ; implicit-def: $sgpr10
	s_and_saveexec_b64 s[8:9], s[12:13]
; %bb.3046:
	s_mov_b32 s10, 0x7f800001
	s_xor_b64 s[4:5], exec, -1
; %bb.3047:
	s_or_b64 exec, exec, s[8:9]
	s_and_b64 s[4:5], s[4:5], exec
	s_or_saveexec_b64 s[6:7], s[6:7]
	v_mov_b32_e32 v3, s10
	s_xor_b64 exec, exec, s[6:7]
	s_cbranch_execz .LBB14_998
.LBB14_3048:
	v_mov_b32_e32 v3, 0
	v_cmp_ne_u16_sdwa s[8:9], v5, v3 src0_sel:BYTE_0 src1_sel:DWORD
	s_andn2_b64 s[4:5], s[4:5], exec
	s_and_b64 s[8:9], s[8:9], exec
	s_or_b64 s[4:5], s[4:5], s[8:9]
	s_or_b64 exec, exec, s[6:7]
	s_and_saveexec_b64 s[6:7], s[4:5]
	s_cbranch_execnz .LBB14_999
	s_branch .LBB14_1000
.LBB14_3049:
	s_movk_i32 s4, 0x80
	v_cmp_eq_u16_sdwa s[12:13], v3, s4 src0_sel:BYTE_0 src1_sel:DWORD
	s_mov_b64 s[4:5], -1
                                        ; implicit-def: $sgpr10
	s_and_saveexec_b64 s[8:9], s[12:13]
; %bb.3050:
	s_mov_b32 s10, 0x7f800001
	s_xor_b64 s[4:5], exec, -1
; %bb.3051:
	s_or_b64 exec, exec, s[8:9]
	s_and_b64 s[4:5], s[4:5], exec
	s_or_saveexec_b64 s[6:7], s[6:7]
	v_mov_b32_e32 v2, s10
	s_xor_b64 exec, exec, s[6:7]
	s_cbranch_execz .LBB14_1002
.LBB14_3052:
	v_mov_b32_e32 v2, 0
	v_cmp_ne_u16_sdwa s[8:9], v3, v2 src0_sel:BYTE_0 src1_sel:DWORD
	s_andn2_b64 s[4:5], s[4:5], exec
	s_and_b64 s[8:9], s[8:9], exec
	s_or_b64 s[4:5], s[4:5], s[8:9]
	s_or_b64 exec, exec, s[6:7]
	s_and_saveexec_b64 s[6:7], s[4:5]
	s_cbranch_execnz .LBB14_1003
	s_branch .LBB14_1004
.LBB14_3053:
	s_movk_i32 s4, 0x80
	v_cmp_eq_u16_sdwa s[12:13], v3, s4 src0_sel:BYTE_0 src1_sel:DWORD
	s_mov_b64 s[4:5], -1
                                        ; implicit-def: $sgpr10
	s_and_saveexec_b64 s[8:9], s[12:13]
; %bb.3054:
	s_mov_b32 s10, 0x7f800001
	s_xor_b64 s[4:5], exec, -1
; %bb.3055:
	s_or_b64 exec, exec, s[8:9]
	s_and_b64 s[4:5], s[4:5], exec
	s_or_saveexec_b64 s[6:7], s[6:7]
	v_mov_b32_e32 v4, s10
	s_xor_b64 exec, exec, s[6:7]
	s_cbranch_execz .LBB14_1006
.LBB14_3056:
	v_mov_b32_e32 v4, 0
	v_cmp_ne_u16_sdwa s[8:9], v3, v4 src0_sel:BYTE_0 src1_sel:DWORD
	s_andn2_b64 s[4:5], s[4:5], exec
	s_and_b64 s[8:9], s[8:9], exec
	s_or_b64 s[4:5], s[4:5], s[8:9]
	s_or_b64 exec, exec, s[6:7]
	s_and_saveexec_b64 s[6:7], s[4:5]
	s_cbranch_execnz .LBB14_1007
	s_branch .LBB14_1008
.LBB14_3057:
	s_movk_i32 s4, 0x80
	v_cmp_eq_u16_e32 vcc, s4, v3
	s_mov_b64 s[4:5], -1
                                        ; implicit-def: $sgpr10
	s_and_saveexec_b64 s[8:9], vcc
; %bb.3058:
	s_mov_b32 s10, 0x7f800001
	s_xor_b64 s[4:5], exec, -1
; %bb.3059:
	s_or_b64 exec, exec, s[8:9]
	s_and_b64 s[4:5], s[4:5], exec
                                        ; implicit-def: $vgpr3
	s_or_saveexec_b64 s[6:7], s[6:7]
	v_mov_b32_e32 v2, s10
	s_xor_b64 exec, exec, s[6:7]
	s_cbranch_execz .LBB14_1010
.LBB14_3060:
	v_cmp_ne_u16_e32 vcc, 0, v3
	s_andn2_b64 s[4:5], s[4:5], exec
	s_and_b64 s[8:9], vcc, exec
	v_mov_b32_e32 v2, 0
	s_or_b64 s[4:5], s[4:5], s[8:9]
	s_or_b64 exec, exec, s[6:7]
	s_and_saveexec_b64 s[6:7], s[4:5]
	s_cbranch_execnz .LBB14_1011
	s_branch .LBB14_1012
.LBB14_3061:
	s_movk_i32 s4, 0x80
	v_cmp_eq_u16_e32 vcc, s4, v3
	s_mov_b64 s[4:5], -1
                                        ; implicit-def: $sgpr10
	s_and_saveexec_b64 s[8:9], vcc
; %bb.3062:
	s_mov_b32 s10, 0x7f800001
	s_xor_b64 s[4:5], exec, -1
; %bb.3063:
	s_or_b64 exec, exec, s[8:9]
	s_and_b64 s[4:5], s[4:5], exec
                                        ; implicit-def: $vgpr3
	s_or_saveexec_b64 s[6:7], s[6:7]
	v_mov_b32_e32 v4, s10
	s_xor_b64 exec, exec, s[6:7]
	s_cbranch_execz .LBB14_1014
.LBB14_3064:
	v_cmp_ne_u16_e32 vcc, 0, v3
	s_andn2_b64 s[4:5], s[4:5], exec
	s_and_b64 s[8:9], vcc, exec
	v_mov_b32_e32 v4, 0
	s_or_b64 s[4:5], s[4:5], s[8:9]
	s_or_b64 exec, exec, s[6:7]
	s_and_saveexec_b64 s[6:7], s[4:5]
	s_cbranch_execnz .LBB14_1015
	s_branch .LBB14_1016
.LBB14_3065:
	s_movk_i32 s4, 0x80
	v_cmp_eq_u16_sdwa s[12:13], v9, s4 src0_sel:BYTE_3 src1_sel:DWORD
	s_mov_b64 s[4:5], -1
                                        ; implicit-def: $sgpr10
	s_and_saveexec_b64 s[8:9], s[12:13]
; %bb.3066:
	s_mov_b32 s10, 0x7f800001
	s_xor_b64 s[4:5], exec, -1
; %bb.3067:
	s_or_b64 exec, exec, s[8:9]
	s_and_b64 s[4:5], s[4:5], exec
	s_or_saveexec_b64 s[6:7], s[6:7]
	v_mov_b32_e32 v2, s10
	s_xor_b64 exec, exec, s[6:7]
	s_cbranch_execz .LBB14_1018
.LBB14_3068:
	v_mov_b32_e32 v2, 0
	v_cmp_ne_u16_sdwa s[8:9], v9, v2 src0_sel:BYTE_3 src1_sel:DWORD
	s_andn2_b64 s[4:5], s[4:5], exec
	s_and_b64 s[8:9], s[8:9], exec
	s_or_b64 s[4:5], s[4:5], s[8:9]
	s_or_b64 exec, exec, s[6:7]
	s_and_saveexec_b64 s[6:7], s[4:5]
	s_cbranch_execnz .LBB14_1019
	s_branch .LBB14_1020
.LBB14_3069:
	s_movk_i32 s4, 0x80
	v_cmp_eq_u16_sdwa s[12:13], v5, s4 src0_sel:BYTE_3 src1_sel:DWORD
	s_mov_b64 s[4:5], -1
                                        ; implicit-def: $sgpr10
	s_and_saveexec_b64 s[8:9], s[12:13]
; %bb.3070:
	s_mov_b32 s10, 0x7f800001
	s_xor_b64 s[4:5], exec, -1
; %bb.3071:
	s_or_b64 exec, exec, s[8:9]
	s_and_b64 s[4:5], s[4:5], exec
	s_or_saveexec_b64 s[6:7], s[6:7]
	v_mov_b32_e32 v3, s10
	s_xor_b64 exec, exec, s[6:7]
	s_cbranch_execz .LBB14_1022
.LBB14_3072:
	v_mov_b32_e32 v3, 0
	v_cmp_ne_u16_sdwa s[8:9], v5, v3 src0_sel:BYTE_3 src1_sel:DWORD
	s_andn2_b64 s[4:5], s[4:5], exec
	s_and_b64 s[8:9], s[8:9], exec
	s_or_b64 s[4:5], s[4:5], s[8:9]
	s_or_b64 exec, exec, s[6:7]
	s_and_saveexec_b64 s[6:7], s[4:5]
	s_cbranch_execnz .LBB14_1023
	s_branch .LBB14_1024
.LBB14_3073:
	s_movk_i32 s4, 0x80
	v_cmp_eq_u16_sdwa s[12:13], v6, s4 src0_sel:BYTE_0 src1_sel:DWORD
	s_mov_b64 s[4:5], -1
                                        ; implicit-def: $sgpr10
	s_and_saveexec_b64 s[8:9], s[12:13]
; %bb.3074:
	s_mov_b32 s10, 0x7f800001
	s_xor_b64 s[4:5], exec, -1
; %bb.3075:
	s_or_b64 exec, exec, s[8:9]
	s_and_b64 s[4:5], s[4:5], exec
	s_or_saveexec_b64 s[6:7], s[6:7]
	v_mov_b32_e32 v12, s10
	s_xor_b64 exec, exec, s[6:7]
	s_cbranch_execz .LBB14_1026
.LBB14_3076:
	v_mov_b32_e32 v12, 0
	v_cmp_ne_u16_sdwa s[8:9], v6, v12 src0_sel:BYTE_0 src1_sel:DWORD
	s_andn2_b64 s[4:5], s[4:5], exec
	s_and_b64 s[8:9], s[8:9], exec
	s_or_b64 s[4:5], s[4:5], s[8:9]
	s_or_b64 exec, exec, s[6:7]
	s_and_saveexec_b64 s[6:7], s[4:5]
	s_cbranch_execnz .LBB14_1027
	s_branch .LBB14_1028
.LBB14_3077:
	s_movk_i32 s4, 0x80
	v_cmp_eq_u16_sdwa s[12:13], v2, s4 src0_sel:BYTE_0 src1_sel:DWORD
	s_mov_b64 s[4:5], -1
                                        ; implicit-def: $sgpr10
	s_and_saveexec_b64 s[8:9], s[12:13]
; %bb.3078:
	s_mov_b32 s10, 0x7f800001
	s_xor_b64 s[4:5], exec, -1
; %bb.3079:
	s_or_b64 exec, exec, s[8:9]
	s_and_b64 s[4:5], s[4:5], exec
	s_or_saveexec_b64 s[6:7], s[6:7]
	v_mov_b32_e32 v13, s10
	s_xor_b64 exec, exec, s[6:7]
	s_cbranch_execz .LBB14_1030
.LBB14_3080:
	v_mov_b32_e32 v13, 0
	v_cmp_ne_u16_sdwa s[8:9], v2, v13 src0_sel:BYTE_0 src1_sel:DWORD
	s_andn2_b64 s[4:5], s[4:5], exec
	s_and_b64 s[8:9], s[8:9], exec
	s_or_b64 s[4:5], s[4:5], s[8:9]
	s_or_b64 exec, exec, s[6:7]
	s_and_saveexec_b64 s[6:7], s[4:5]
	s_cbranch_execnz .LBB14_1031
	s_branch .LBB14_1032
.LBB14_3081:
	s_movk_i32 s4, 0x80
	v_cmp_eq_u16_sdwa s[12:13], v13, s4 src0_sel:BYTE_0 src1_sel:DWORD
	s_mov_b64 s[4:5], -1
                                        ; implicit-def: $sgpr10
	s_and_saveexec_b64 s[8:9], s[12:13]
; %bb.3082:
	s_mov_b32 s10, 0x7f800001
	s_xor_b64 s[4:5], exec, -1
; %bb.3083:
	s_or_b64 exec, exec, s[8:9]
	s_and_b64 s[4:5], s[4:5], exec
	s_or_saveexec_b64 s[6:7], s[6:7]
	v_mov_b32_e32 v12, s10
	s_xor_b64 exec, exec, s[6:7]
	s_cbranch_execz .LBB14_1034
.LBB14_3084:
	v_mov_b32_e32 v12, 0
	v_cmp_ne_u16_sdwa s[8:9], v13, v12 src0_sel:BYTE_0 src1_sel:DWORD
	s_andn2_b64 s[4:5], s[4:5], exec
	s_and_b64 s[8:9], s[8:9], exec
	s_or_b64 s[4:5], s[4:5], s[8:9]
	s_or_b64 exec, exec, s[6:7]
	s_and_saveexec_b64 s[6:7], s[4:5]
	s_cbranch_execnz .LBB14_1035
	s_branch .LBB14_1036
.LBB14_3085:
	s_movk_i32 s4, 0x80
	v_cmp_eq_u16_sdwa s[12:13], v13, s4 src0_sel:BYTE_0 src1_sel:DWORD
	s_mov_b64 s[4:5], -1
                                        ; implicit-def: $sgpr10
	s_and_saveexec_b64 s[8:9], s[12:13]
; %bb.3086:
	s_mov_b32 s10, 0x7f800001
	s_xor_b64 s[4:5], exec, -1
; %bb.3087:
	s_or_b64 exec, exec, s[8:9]
	s_and_b64 s[4:5], s[4:5], exec
	s_or_saveexec_b64 s[6:7], s[6:7]
	v_mov_b32_e32 v14, s10
	s_xor_b64 exec, exec, s[6:7]
	s_cbranch_execz .LBB14_1038
.LBB14_3088:
	v_mov_b32_e32 v14, 0
	v_cmp_ne_u16_sdwa s[8:9], v13, v14 src0_sel:BYTE_0 src1_sel:DWORD
	s_andn2_b64 s[4:5], s[4:5], exec
	s_and_b64 s[8:9], s[8:9], exec
	s_or_b64 s[4:5], s[4:5], s[8:9]
	s_or_b64 exec, exec, s[6:7]
	s_and_saveexec_b64 s[6:7], s[4:5]
	s_cbranch_execnz .LBB14_1039
	s_branch .LBB14_1040
.LBB14_3089:
	s_movk_i32 s4, 0x80
	v_cmp_eq_u16_e32 vcc, s4, v13
	s_mov_b64 s[4:5], -1
                                        ; implicit-def: $sgpr10
	s_and_saveexec_b64 s[8:9], vcc
; %bb.3090:
	s_mov_b32 s10, 0x7f800001
	s_xor_b64 s[4:5], exec, -1
; %bb.3091:
	s_or_b64 exec, exec, s[8:9]
	s_and_b64 s[4:5], s[4:5], exec
                                        ; implicit-def: $vgpr13
	s_or_saveexec_b64 s[6:7], s[6:7]
	v_mov_b32_e32 v12, s10
	s_xor_b64 exec, exec, s[6:7]
	s_cbranch_execz .LBB14_1042
.LBB14_3092:
	v_cmp_ne_u16_e32 vcc, 0, v13
	s_andn2_b64 s[4:5], s[4:5], exec
	s_and_b64 s[8:9], vcc, exec
	v_mov_b32_e32 v12, 0
	s_or_b64 s[4:5], s[4:5], s[8:9]
	s_or_b64 exec, exec, s[6:7]
	s_and_saveexec_b64 s[6:7], s[4:5]
	s_cbranch_execnz .LBB14_1043
	s_branch .LBB14_1044
.LBB14_3093:
	s_movk_i32 s4, 0x80
	v_cmp_eq_u16_e32 vcc, s4, v13
	s_mov_b64 s[4:5], -1
                                        ; implicit-def: $sgpr10
	s_and_saveexec_b64 s[8:9], vcc
; %bb.3094:
	s_mov_b32 s10, 0x7f800001
	s_xor_b64 s[4:5], exec, -1
; %bb.3095:
	s_or_b64 exec, exec, s[8:9]
	s_and_b64 s[4:5], s[4:5], exec
                                        ; implicit-def: $vgpr13
	s_or_saveexec_b64 s[6:7], s[6:7]
	v_mov_b32_e32 v14, s10
	s_xor_b64 exec, exec, s[6:7]
	s_cbranch_execz .LBB14_1046
.LBB14_3096:
	v_cmp_ne_u16_e32 vcc, 0, v13
	s_andn2_b64 s[4:5], s[4:5], exec
	s_and_b64 s[8:9], vcc, exec
	v_mov_b32_e32 v14, 0
	s_or_b64 s[4:5], s[4:5], s[8:9]
	s_or_b64 exec, exec, s[6:7]
	s_and_saveexec_b64 s[6:7], s[4:5]
	s_cbranch_execnz .LBB14_1047
	s_branch .LBB14_1048
.LBB14_3097:
	s_movk_i32 s4, 0x80
	v_cmp_eq_u16_sdwa s[12:13], v6, s4 src0_sel:BYTE_3 src1_sel:DWORD
	s_mov_b64 s[4:5], -1
                                        ; implicit-def: $sgpr10
	s_and_saveexec_b64 s[8:9], s[12:13]
; %bb.3098:
	s_mov_b32 s10, 0x7f800001
	s_xor_b64 s[4:5], exec, -1
; %bb.3099:
	s_or_b64 exec, exec, s[8:9]
	s_and_b64 s[4:5], s[4:5], exec
	s_or_saveexec_b64 s[6:7], s[6:7]
	v_mov_b32_e32 v12, s10
	s_xor_b64 exec, exec, s[6:7]
	s_cbranch_execz .LBB14_1050
.LBB14_3100:
	v_mov_b32_e32 v12, 0
	v_cmp_ne_u16_sdwa s[8:9], v6, v12 src0_sel:BYTE_3 src1_sel:DWORD
	s_andn2_b64 s[4:5], s[4:5], exec
	s_and_b64 s[8:9], s[8:9], exec
	s_or_b64 s[4:5], s[4:5], s[8:9]
	s_or_b64 exec, exec, s[6:7]
	s_and_saveexec_b64 s[6:7], s[4:5]
	s_cbranch_execnz .LBB14_1051
	s_branch .LBB14_1052
.LBB14_3101:
	s_movk_i32 s4, 0x80
	v_cmp_eq_u16_sdwa s[12:13], v2, s4 src0_sel:BYTE_3 src1_sel:DWORD
	s_mov_b64 s[4:5], -1
                                        ; implicit-def: $sgpr10
	s_and_saveexec_b64 s[8:9], s[12:13]
; %bb.3102:
	s_mov_b32 s10, 0x7f800001
	s_xor_b64 s[4:5], exec, -1
; %bb.3103:
	s_or_b64 exec, exec, s[8:9]
	s_and_b64 s[4:5], s[4:5], exec
	s_or_saveexec_b64 s[6:7], s[6:7]
	v_mov_b32_e32 v6, s10
	s_xor_b64 exec, exec, s[6:7]
	s_cbranch_execz .LBB14_1054
.LBB14_3104:
	v_mov_b32_e32 v6, 0
	v_cmp_ne_u16_sdwa s[8:9], v2, v6 src0_sel:BYTE_3 src1_sel:DWORD
	s_andn2_b64 s[4:5], s[4:5], exec
	s_and_b64 s[8:9], s[8:9], exec
	s_or_b64 s[4:5], s[4:5], s[8:9]
	s_or_b64 exec, exec, s[6:7]
	s_and_saveexec_b64 s[6:7], s[4:5]
	s_cbranch_execnz .LBB14_1055
	s_branch .LBB14_1056
.LBB14_3105:
	s_movk_i32 s4, 0x80
	v_cmp_eq_u16_sdwa s[12:13], v7, s4 src0_sel:BYTE_0 src1_sel:DWORD
	s_mov_b64 s[4:5], -1
                                        ; implicit-def: $sgpr10
	s_and_saveexec_b64 s[8:9], s[12:13]
; %bb.3106:
	s_mov_b32 s10, 0x7f800001
	s_xor_b64 s[4:5], exec, -1
; %bb.3107:
	s_or_b64 exec, exec, s[8:9]
	s_and_b64 s[4:5], s[4:5], exec
	s_or_saveexec_b64 s[6:7], s[6:7]
	v_mov_b32_e32 v2, s10
	s_xor_b64 exec, exec, s[6:7]
	s_cbranch_execz .LBB14_1058
.LBB14_3108:
	v_mov_b32_e32 v2, 0
	v_cmp_ne_u16_sdwa s[8:9], v7, v2 src0_sel:BYTE_0 src1_sel:DWORD
	s_andn2_b64 s[4:5], s[4:5], exec
	s_and_b64 s[8:9], s[8:9], exec
	s_or_b64 s[4:5], s[4:5], s[8:9]
	s_or_b64 exec, exec, s[6:7]
	s_and_saveexec_b64 s[6:7], s[4:5]
	s_cbranch_execnz .LBB14_1059
	s_branch .LBB14_1060
.LBB14_3109:
	s_movk_i32 s4, 0x80
	v_cmp_eq_u16_sdwa s[12:13], v3, s4 src0_sel:BYTE_0 src1_sel:DWORD
	s_mov_b64 s[4:5], -1
                                        ; implicit-def: $sgpr10
	s_and_saveexec_b64 s[8:9], s[12:13]
; %bb.3110:
	s_mov_b32 s10, 0x7f800001
	s_xor_b64 s[4:5], exec, -1
; %bb.3111:
	s_or_b64 exec, exec, s[8:9]
	s_and_b64 s[4:5], s[4:5], exec
	s_or_saveexec_b64 s[6:7], s[6:7]
	v_mov_b32_e32 v6, s10
	s_xor_b64 exec, exec, s[6:7]
	s_cbranch_execz .LBB14_1062
.LBB14_3112:
	v_mov_b32_e32 v6, 0
	v_cmp_ne_u16_sdwa s[8:9], v3, v6 src0_sel:BYTE_0 src1_sel:DWORD
	s_andn2_b64 s[4:5], s[4:5], exec
	s_and_b64 s[8:9], s[8:9], exec
	s_or_b64 s[4:5], s[4:5], s[8:9]
	s_or_b64 exec, exec, s[6:7]
	s_and_saveexec_b64 s[6:7], s[4:5]
	s_cbranch_execnz .LBB14_1063
	s_branch .LBB14_1064
.LBB14_3113:
	s_movk_i32 s4, 0x80
	v_cmp_eq_u16_sdwa s[12:13], v6, s4 src0_sel:BYTE_0 src1_sel:DWORD
	s_mov_b64 s[4:5], -1
                                        ; implicit-def: $sgpr10
	s_and_saveexec_b64 s[8:9], s[12:13]
; %bb.3114:
	s_mov_b32 s10, 0x7f800001
	s_xor_b64 s[4:5], exec, -1
; %bb.3115:
	s_or_b64 exec, exec, s[8:9]
	s_and_b64 s[4:5], s[4:5], exec
	s_or_saveexec_b64 s[6:7], s[6:7]
	v_mov_b32_e32 v2, s10
	s_xor_b64 exec, exec, s[6:7]
	s_cbranch_execz .LBB14_1066
.LBB14_3116:
	v_mov_b32_e32 v2, 0
	v_cmp_ne_u16_sdwa s[8:9], v6, v2 src0_sel:BYTE_0 src1_sel:DWORD
	s_andn2_b64 s[4:5], s[4:5], exec
	s_and_b64 s[8:9], s[8:9], exec
	s_or_b64 s[4:5], s[4:5], s[8:9]
	s_or_b64 exec, exec, s[6:7]
	s_and_saveexec_b64 s[6:7], s[4:5]
	s_cbranch_execnz .LBB14_1067
	s_branch .LBB14_1068
.LBB14_3117:
	s_movk_i32 s4, 0x80
	v_cmp_eq_u16_sdwa s[12:13], v6, s4 src0_sel:BYTE_0 src1_sel:DWORD
	s_mov_b64 s[4:5], -1
                                        ; implicit-def: $sgpr10
	s_and_saveexec_b64 s[8:9], s[12:13]
; %bb.3118:
	s_mov_b32 s10, 0x7f800001
	s_xor_b64 s[4:5], exec, -1
; %bb.3119:
	s_or_b64 exec, exec, s[8:9]
	s_and_b64 s[4:5], s[4:5], exec
	s_or_saveexec_b64 s[6:7], s[6:7]
	v_mov_b32_e32 v12, s10
	s_xor_b64 exec, exec, s[6:7]
	s_cbranch_execz .LBB14_1070
.LBB14_3120:
	v_mov_b32_e32 v12, 0
	v_cmp_ne_u16_sdwa s[8:9], v6, v12 src0_sel:BYTE_0 src1_sel:DWORD
	s_andn2_b64 s[4:5], s[4:5], exec
	s_and_b64 s[8:9], s[8:9], exec
	s_or_b64 s[4:5], s[4:5], s[8:9]
	s_or_b64 exec, exec, s[6:7]
	s_and_saveexec_b64 s[6:7], s[4:5]
	s_cbranch_execnz .LBB14_1071
	s_branch .LBB14_1072
.LBB14_3121:
	s_movk_i32 s4, 0x80
	v_cmp_eq_u16_e32 vcc, s4, v6
	s_mov_b64 s[4:5], -1
                                        ; implicit-def: $sgpr10
	s_and_saveexec_b64 s[8:9], vcc
; %bb.3122:
	s_mov_b32 s10, 0x7f800001
	s_xor_b64 s[4:5], exec, -1
; %bb.3123:
	s_or_b64 exec, exec, s[8:9]
	s_and_b64 s[4:5], s[4:5], exec
                                        ; implicit-def: $vgpr6
	s_or_saveexec_b64 s[6:7], s[6:7]
	v_mov_b32_e32 v2, s10
	s_xor_b64 exec, exec, s[6:7]
	s_cbranch_execz .LBB14_1074
.LBB14_3124:
	v_cmp_ne_u16_e32 vcc, 0, v6
	s_andn2_b64 s[4:5], s[4:5], exec
	s_and_b64 s[8:9], vcc, exec
	v_mov_b32_e32 v2, 0
	s_or_b64 s[4:5], s[4:5], s[8:9]
	s_or_b64 exec, exec, s[6:7]
	s_and_saveexec_b64 s[6:7], s[4:5]
	s_cbranch_execnz .LBB14_1075
	s_branch .LBB14_1076
.LBB14_3125:
	s_movk_i32 s4, 0x80
	v_cmp_eq_u16_e32 vcc, s4, v6
	s_mov_b64 s[4:5], -1
                                        ; implicit-def: $sgpr10
	s_and_saveexec_b64 s[8:9], vcc
; %bb.3126:
	s_mov_b32 s10, 0x7f800001
	s_xor_b64 s[4:5], exec, -1
; %bb.3127:
	s_or_b64 exec, exec, s[8:9]
	s_and_b64 s[4:5], s[4:5], exec
                                        ; implicit-def: $vgpr6
	s_or_saveexec_b64 s[6:7], s[6:7]
	v_mov_b32_e32 v12, s10
	s_xor_b64 exec, exec, s[6:7]
	s_cbranch_execz .LBB14_1078
.LBB14_3128:
	v_cmp_ne_u16_e32 vcc, 0, v6
	s_andn2_b64 s[4:5], s[4:5], exec
	s_and_b64 s[8:9], vcc, exec
	v_mov_b32_e32 v12, 0
	s_or_b64 s[4:5], s[4:5], s[8:9]
	s_or_b64 exec, exec, s[6:7]
	s_and_saveexec_b64 s[6:7], s[4:5]
	s_cbranch_execnz .LBB14_1079
	s_branch .LBB14_1080
.LBB14_3129:
	s_movk_i32 s4, 0x80
	v_cmp_eq_u16_sdwa s[12:13], v7, s4 src0_sel:BYTE_3 src1_sel:DWORD
	s_mov_b64 s[4:5], -1
                                        ; implicit-def: $sgpr10
	s_and_saveexec_b64 s[8:9], s[12:13]
; %bb.3130:
	s_mov_b32 s10, 0x7f800001
	s_xor_b64 s[4:5], exec, -1
; %bb.3131:
	s_or_b64 exec, exec, s[8:9]
	s_and_b64 s[4:5], s[4:5], exec
	s_or_saveexec_b64 s[6:7], s[6:7]
	v_mov_b32_e32 v2, s10
	s_xor_b64 exec, exec, s[6:7]
	s_cbranch_execz .LBB14_1082
.LBB14_3132:
	v_mov_b32_e32 v2, 0
	v_cmp_ne_u16_sdwa s[8:9], v7, v2 src0_sel:BYTE_3 src1_sel:DWORD
	s_andn2_b64 s[4:5], s[4:5], exec
	s_and_b64 s[8:9], s[8:9], exec
	s_or_b64 s[4:5], s[4:5], s[8:9]
	s_or_b64 exec, exec, s[6:7]
	s_and_saveexec_b64 s[6:7], s[4:5]
	s_cbranch_execnz .LBB14_1083
	s_branch .LBB14_1084
.LBB14_3133:
	s_movk_i32 s4, 0x80
	v_cmp_eq_u16_sdwa s[12:13], v3, s4 src0_sel:BYTE_3 src1_sel:DWORD
	s_mov_b64 s[4:5], -1
                                        ; implicit-def: $sgpr10
	s_and_saveexec_b64 s[8:9], s[12:13]
; %bb.3134:
	s_mov_b32 s10, 0x7f800001
	s_xor_b64 s[4:5], exec, -1
; %bb.3135:
	s_or_b64 exec, exec, s[8:9]
	s_and_b64 s[4:5], s[4:5], exec
	s_or_saveexec_b64 s[6:7], s[6:7]
	v_mov_b32_e32 v6, s10
	s_xor_b64 exec, exec, s[6:7]
	s_cbranch_execz .LBB14_1086
.LBB14_3136:
	v_mov_b32_e32 v6, 0
	v_cmp_ne_u16_sdwa s[8:9], v3, v6 src0_sel:BYTE_3 src1_sel:DWORD
	s_andn2_b64 s[4:5], s[4:5], exec
	s_and_b64 s[8:9], s[8:9], exec
	s_or_b64 s[4:5], s[4:5], s[8:9]
	s_or_b64 exec, exec, s[6:7]
	s_and_saveexec_b64 s[6:7], s[4:5]
	s_cbranch_execnz .LBB14_1087
	s_branch .LBB14_1088
.LBB14_3137:
	s_movk_i32 s4, 0x80
	v_cmp_eq_u16_sdwa s[12:13], v8, s4 src0_sel:BYTE_0 src1_sel:DWORD
	s_mov_b64 s[4:5], -1
                                        ; implicit-def: $sgpr10
	s_and_saveexec_b64 s[8:9], s[12:13]
; %bb.3138:
	s_mov_b32 s10, 0x7f800001
	s_xor_b64 s[4:5], exec, -1
; %bb.3139:
	s_or_b64 exec, exec, s[8:9]
	s_and_b64 s[4:5], s[4:5], exec
	s_or_saveexec_b64 s[6:7], s[6:7]
	v_mov_b32_e32 v2, s10
	s_xor_b64 exec, exec, s[6:7]
	s_cbranch_execz .LBB14_1090
.LBB14_3140:
	v_mov_b32_e32 v2, 0
	v_cmp_ne_u16_sdwa s[8:9], v8, v2 src0_sel:BYTE_0 src1_sel:DWORD
	s_andn2_b64 s[4:5], s[4:5], exec
	s_and_b64 s[8:9], s[8:9], exec
	s_or_b64 s[4:5], s[4:5], s[8:9]
	s_or_b64 exec, exec, s[6:7]
	s_and_saveexec_b64 s[6:7], s[4:5]
	s_cbranch_execnz .LBB14_1091
	s_branch .LBB14_1092
.LBB14_3141:
	s_movk_i32 s4, 0x80
	v_cmp_eq_u16_sdwa s[12:13], v4, s4 src0_sel:BYTE_0 src1_sel:DWORD
	s_mov_b64 s[4:5], -1
                                        ; implicit-def: $sgpr10
	s_and_saveexec_b64 s[8:9], s[12:13]
; %bb.3142:
	s_mov_b32 s10, 0x7f800001
	s_xor_b64 s[4:5], exec, -1
; %bb.3143:
	s_or_b64 exec, exec, s[8:9]
	s_and_b64 s[4:5], s[4:5], exec
	s_or_saveexec_b64 s[6:7], s[6:7]
	v_mov_b32_e32 v3, s10
	s_xor_b64 exec, exec, s[6:7]
	s_cbranch_execz .LBB14_1094
.LBB14_3144:
	v_mov_b32_e32 v3, 0
	v_cmp_ne_u16_sdwa s[8:9], v4, v3 src0_sel:BYTE_0 src1_sel:DWORD
	s_andn2_b64 s[4:5], s[4:5], exec
	s_and_b64 s[8:9], s[8:9], exec
	s_or_b64 s[4:5], s[4:5], s[8:9]
	s_or_b64 exec, exec, s[6:7]
	s_and_saveexec_b64 s[6:7], s[4:5]
	s_cbranch_execnz .LBB14_1095
	s_branch .LBB14_1096
.LBB14_3145:
	s_movk_i32 s4, 0x80
	v_cmp_eq_u16_sdwa s[12:13], v3, s4 src0_sel:BYTE_0 src1_sel:DWORD
	s_mov_b64 s[4:5], -1
                                        ; implicit-def: $sgpr10
	s_and_saveexec_b64 s[8:9], s[12:13]
; %bb.3146:
	s_mov_b32 s10, 0x7f800001
	s_xor_b64 s[4:5], exec, -1
; %bb.3147:
	s_or_b64 exec, exec, s[8:9]
	s_and_b64 s[4:5], s[4:5], exec
	s_or_saveexec_b64 s[6:7], s[6:7]
	v_mov_b32_e32 v2, s10
	s_xor_b64 exec, exec, s[6:7]
	s_cbranch_execz .LBB14_1098
.LBB14_3148:
	v_mov_b32_e32 v2, 0
	v_cmp_ne_u16_sdwa s[8:9], v3, v2 src0_sel:BYTE_0 src1_sel:DWORD
	s_andn2_b64 s[4:5], s[4:5], exec
	s_and_b64 s[8:9], s[8:9], exec
	s_or_b64 s[4:5], s[4:5], s[8:9]
	s_or_b64 exec, exec, s[6:7]
	s_and_saveexec_b64 s[6:7], s[4:5]
	s_cbranch_execnz .LBB14_1099
	s_branch .LBB14_1100
.LBB14_3149:
	s_movk_i32 s4, 0x80
	v_cmp_eq_u16_sdwa s[12:13], v3, s4 src0_sel:BYTE_0 src1_sel:DWORD
	s_mov_b64 s[4:5], -1
                                        ; implicit-def: $sgpr10
	s_and_saveexec_b64 s[8:9], s[12:13]
; %bb.3150:
	s_mov_b32 s10, 0x7f800001
	s_xor_b64 s[4:5], exec, -1
; %bb.3151:
	s_or_b64 exec, exec, s[8:9]
	s_and_b64 s[4:5], s[4:5], exec
	s_or_saveexec_b64 s[6:7], s[6:7]
	v_mov_b32_e32 v6, s10
	s_xor_b64 exec, exec, s[6:7]
	s_cbranch_execz .LBB14_1102
.LBB14_3152:
	v_mov_b32_e32 v6, 0
	v_cmp_ne_u16_sdwa s[8:9], v3, v6 src0_sel:BYTE_0 src1_sel:DWORD
	s_andn2_b64 s[4:5], s[4:5], exec
	s_and_b64 s[8:9], s[8:9], exec
	s_or_b64 s[4:5], s[4:5], s[8:9]
	s_or_b64 exec, exec, s[6:7]
	s_and_saveexec_b64 s[6:7], s[4:5]
	s_cbranch_execnz .LBB14_1103
	s_branch .LBB14_1104
.LBB14_3153:
	s_movk_i32 s4, 0x80
	v_cmp_eq_u16_e32 vcc, s4, v3
	s_mov_b64 s[4:5], -1
                                        ; implicit-def: $sgpr10
	s_and_saveexec_b64 s[8:9], vcc
; %bb.3154:
	s_mov_b32 s10, 0x7f800001
	s_xor_b64 s[4:5], exec, -1
; %bb.3155:
	s_or_b64 exec, exec, s[8:9]
	s_and_b64 s[4:5], s[4:5], exec
                                        ; implicit-def: $vgpr3
	s_or_saveexec_b64 s[6:7], s[6:7]
	v_mov_b32_e32 v2, s10
	s_xor_b64 exec, exec, s[6:7]
	s_cbranch_execz .LBB14_1106
.LBB14_3156:
	v_cmp_ne_u16_e32 vcc, 0, v3
	s_andn2_b64 s[4:5], s[4:5], exec
	s_and_b64 s[8:9], vcc, exec
	v_mov_b32_e32 v2, 0
	s_or_b64 s[4:5], s[4:5], s[8:9]
	s_or_b64 exec, exec, s[6:7]
	s_and_saveexec_b64 s[6:7], s[4:5]
	s_cbranch_execnz .LBB14_1107
	s_branch .LBB14_1108
.LBB14_3157:
	s_movk_i32 s4, 0x80
	v_cmp_eq_u16_e32 vcc, s4, v3
	s_mov_b64 s[4:5], -1
                                        ; implicit-def: $sgpr10
	s_and_saveexec_b64 s[8:9], vcc
; %bb.3158:
	s_mov_b32 s10, 0x7f800001
	s_xor_b64 s[4:5], exec, -1
; %bb.3159:
	s_or_b64 exec, exec, s[8:9]
	s_and_b64 s[4:5], s[4:5], exec
                                        ; implicit-def: $vgpr3
	s_or_saveexec_b64 s[6:7], s[6:7]
	v_mov_b32_e32 v6, s10
	s_xor_b64 exec, exec, s[6:7]
	s_cbranch_execz .LBB14_1110
.LBB14_3160:
	v_cmp_ne_u16_e32 vcc, 0, v3
	s_andn2_b64 s[4:5], s[4:5], exec
	s_and_b64 s[8:9], vcc, exec
	v_mov_b32_e32 v6, 0
	s_or_b64 s[4:5], s[4:5], s[8:9]
	s_or_b64 exec, exec, s[6:7]
	s_and_saveexec_b64 s[6:7], s[4:5]
	s_cbranch_execnz .LBB14_1111
	s_branch .LBB14_1112
.LBB14_3161:
	s_movk_i32 s4, 0x80
	v_cmp_eq_u16_sdwa s[12:13], v8, s4 src0_sel:BYTE_3 src1_sel:DWORD
	s_mov_b64 s[4:5], -1
                                        ; implicit-def: $sgpr10
	s_and_saveexec_b64 s[8:9], s[12:13]
; %bb.3162:
	s_mov_b32 s10, 0x7f800001
	s_xor_b64 s[4:5], exec, -1
; %bb.3163:
	s_or_b64 exec, exec, s[8:9]
	s_and_b64 s[4:5], s[4:5], exec
	s_or_saveexec_b64 s[6:7], s[6:7]
	v_mov_b32_e32 v2, s10
	s_xor_b64 exec, exec, s[6:7]
	s_cbranch_execz .LBB14_1114
.LBB14_3164:
	v_mov_b32_e32 v2, 0
	v_cmp_ne_u16_sdwa s[8:9], v8, v2 src0_sel:BYTE_3 src1_sel:DWORD
	s_andn2_b64 s[4:5], s[4:5], exec
	s_and_b64 s[8:9], s[8:9], exec
	s_or_b64 s[4:5], s[4:5], s[8:9]
	s_or_b64 exec, exec, s[6:7]
	s_and_saveexec_b64 s[6:7], s[4:5]
	s_cbranch_execnz .LBB14_1115
	s_branch .LBB14_1116
.LBB14_3165:
	s_movk_i32 s4, 0x80
	v_cmp_eq_u16_sdwa s[12:13], v4, s4 src0_sel:BYTE_3 src1_sel:DWORD
	s_mov_b64 s[4:5], -1
                                        ; implicit-def: $sgpr10
	s_and_saveexec_b64 s[8:9], s[12:13]
; %bb.3166:
	s_mov_b32 s10, 0x7f800001
	s_xor_b64 s[4:5], exec, -1
; %bb.3167:
	s_or_b64 exec, exec, s[8:9]
	s_and_b64 s[4:5], s[4:5], exec
	s_or_saveexec_b64 s[6:7], s[6:7]
	v_mov_b32_e32 v3, s10
	s_xor_b64 exec, exec, s[6:7]
	s_cbranch_execz .LBB14_1118
.LBB14_3168:
	v_mov_b32_e32 v3, 0
	v_cmp_ne_u16_sdwa s[8:9], v4, v3 src0_sel:BYTE_3 src1_sel:DWORD
	s_andn2_b64 s[4:5], s[4:5], exec
	s_and_b64 s[8:9], s[8:9], exec
	s_or_b64 s[4:5], s[4:5], s[8:9]
	s_or_b64 exec, exec, s[6:7]
	s_and_saveexec_b64 s[6:7], s[4:5]
	s_cbranch_execnz .LBB14_1119
	s_branch .LBB14_1120
.LBB14_3169:
	s_movk_i32 s4, 0x80
	v_cmp_eq_u16_sdwa s[12:13], v9, s4 src0_sel:BYTE_0 src1_sel:DWORD
	s_mov_b64 s[4:5], -1
                                        ; implicit-def: $sgpr10
	s_and_saveexec_b64 s[8:9], s[12:13]
; %bb.3170:
	s_mov_b32 s10, 0x7f800001
	s_xor_b64 s[4:5], exec, -1
; %bb.3171:
	s_or_b64 exec, exec, s[8:9]
	s_and_b64 s[4:5], s[4:5], exec
	s_or_saveexec_b64 s[6:7], s[6:7]
	v_mov_b32_e32 v2, s10
	s_xor_b64 exec, exec, s[6:7]
	s_cbranch_execz .LBB14_1122
.LBB14_3172:
	v_mov_b32_e32 v2, 0
	v_cmp_ne_u16_sdwa s[8:9], v9, v2 src0_sel:BYTE_0 src1_sel:DWORD
	s_andn2_b64 s[4:5], s[4:5], exec
	s_and_b64 s[8:9], s[8:9], exec
	s_or_b64 s[4:5], s[4:5], s[8:9]
	s_or_b64 exec, exec, s[6:7]
	s_and_saveexec_b64 s[6:7], s[4:5]
	s_cbranch_execnz .LBB14_1123
	s_branch .LBB14_1124
.LBB14_3173:
	s_movk_i32 s4, 0x80
	v_cmp_eq_u16_sdwa s[12:13], v5, s4 src0_sel:BYTE_0 src1_sel:DWORD
	s_mov_b64 s[4:5], -1
                                        ; implicit-def: $sgpr10
	s_and_saveexec_b64 s[8:9], s[12:13]
; %bb.3174:
	s_mov_b32 s10, 0x7f800001
	s_xor_b64 s[4:5], exec, -1
; %bb.3175:
	s_or_b64 exec, exec, s[8:9]
	s_and_b64 s[4:5], s[4:5], exec
	s_or_saveexec_b64 s[6:7], s[6:7]
	v_mov_b32_e32 v3, s10
	s_xor_b64 exec, exec, s[6:7]
	s_cbranch_execz .LBB14_1126
.LBB14_3176:
	v_mov_b32_e32 v3, 0
	v_cmp_ne_u16_sdwa s[8:9], v5, v3 src0_sel:BYTE_0 src1_sel:DWORD
	s_andn2_b64 s[4:5], s[4:5], exec
	s_and_b64 s[8:9], s[8:9], exec
	s_or_b64 s[4:5], s[4:5], s[8:9]
	s_or_b64 exec, exec, s[6:7]
	s_and_saveexec_b64 s[6:7], s[4:5]
	s_cbranch_execnz .LBB14_1127
	s_branch .LBB14_1128
.LBB14_3177:
	s_movk_i32 s4, 0x80
	v_cmp_eq_u16_sdwa s[12:13], v3, s4 src0_sel:BYTE_0 src1_sel:DWORD
	s_mov_b64 s[4:5], -1
                                        ; implicit-def: $sgpr10
	s_and_saveexec_b64 s[8:9], s[12:13]
; %bb.3178:
	s_mov_b32 s10, 0x7f800001
	s_xor_b64 s[4:5], exec, -1
; %bb.3179:
	s_or_b64 exec, exec, s[8:9]
	s_and_b64 s[4:5], s[4:5], exec
	s_or_saveexec_b64 s[6:7], s[6:7]
	v_mov_b32_e32 v2, s10
	s_xor_b64 exec, exec, s[6:7]
	s_cbranch_execz .LBB14_1130
.LBB14_3180:
	v_mov_b32_e32 v2, 0
	v_cmp_ne_u16_sdwa s[8:9], v3, v2 src0_sel:BYTE_0 src1_sel:DWORD
	s_andn2_b64 s[4:5], s[4:5], exec
	s_and_b64 s[8:9], s[8:9], exec
	s_or_b64 s[4:5], s[4:5], s[8:9]
	s_or_b64 exec, exec, s[6:7]
	s_and_saveexec_b64 s[6:7], s[4:5]
	s_cbranch_execnz .LBB14_1131
	s_branch .LBB14_1132
.LBB14_3181:
	s_movk_i32 s4, 0x80
	v_cmp_eq_u16_sdwa s[12:13], v3, s4 src0_sel:BYTE_0 src1_sel:DWORD
	s_mov_b64 s[4:5], -1
                                        ; implicit-def: $sgpr10
	s_and_saveexec_b64 s[8:9], s[12:13]
; %bb.3182:
	s_mov_b32 s10, 0x7f800001
	s_xor_b64 s[4:5], exec, -1
; %bb.3183:
	s_or_b64 exec, exec, s[8:9]
	s_and_b64 s[4:5], s[4:5], exec
	s_or_saveexec_b64 s[6:7], s[6:7]
	v_mov_b32_e32 v4, s10
	s_xor_b64 exec, exec, s[6:7]
	s_cbranch_execz .LBB14_1134
.LBB14_3184:
	v_mov_b32_e32 v4, 0
	v_cmp_ne_u16_sdwa s[8:9], v3, v4 src0_sel:BYTE_0 src1_sel:DWORD
	s_andn2_b64 s[4:5], s[4:5], exec
	s_and_b64 s[8:9], s[8:9], exec
	s_or_b64 s[4:5], s[4:5], s[8:9]
	s_or_b64 exec, exec, s[6:7]
	s_and_saveexec_b64 s[6:7], s[4:5]
	s_cbranch_execnz .LBB14_1135
	s_branch .LBB14_1136
.LBB14_3185:
	s_movk_i32 s4, 0x80
	v_cmp_eq_u16_e32 vcc, s4, v3
	s_mov_b64 s[4:5], -1
                                        ; implicit-def: $sgpr10
	s_and_saveexec_b64 s[8:9], vcc
; %bb.3186:
	s_mov_b32 s10, 0x7f800001
	s_xor_b64 s[4:5], exec, -1
; %bb.3187:
	s_or_b64 exec, exec, s[8:9]
	s_and_b64 s[4:5], s[4:5], exec
                                        ; implicit-def: $vgpr3
	s_or_saveexec_b64 s[6:7], s[6:7]
	v_mov_b32_e32 v2, s10
	s_xor_b64 exec, exec, s[6:7]
	s_cbranch_execz .LBB14_1138
.LBB14_3188:
	v_cmp_ne_u16_e32 vcc, 0, v3
	s_andn2_b64 s[4:5], s[4:5], exec
	s_and_b64 s[8:9], vcc, exec
	v_mov_b32_e32 v2, 0
	s_or_b64 s[4:5], s[4:5], s[8:9]
	s_or_b64 exec, exec, s[6:7]
	s_and_saveexec_b64 s[6:7], s[4:5]
	s_cbranch_execnz .LBB14_1139
	s_branch .LBB14_1140
.LBB14_3189:
	s_movk_i32 s4, 0x80
	v_cmp_eq_u16_e32 vcc, s4, v3
	s_mov_b64 s[4:5], -1
                                        ; implicit-def: $sgpr10
	s_and_saveexec_b64 s[8:9], vcc
; %bb.3190:
	s_mov_b32 s10, 0x7f800001
	s_xor_b64 s[4:5], exec, -1
; %bb.3191:
	s_or_b64 exec, exec, s[8:9]
	s_and_b64 s[4:5], s[4:5], exec
                                        ; implicit-def: $vgpr3
	s_or_saveexec_b64 s[6:7], s[6:7]
	v_mov_b32_e32 v4, s10
	s_xor_b64 exec, exec, s[6:7]
	s_cbranch_execz .LBB14_1142
.LBB14_3192:
	v_cmp_ne_u16_e32 vcc, 0, v3
	s_andn2_b64 s[4:5], s[4:5], exec
	s_and_b64 s[8:9], vcc, exec
	v_mov_b32_e32 v4, 0
	s_or_b64 s[4:5], s[4:5], s[8:9]
	s_or_b64 exec, exec, s[6:7]
	s_and_saveexec_b64 s[6:7], s[4:5]
	s_cbranch_execnz .LBB14_1143
	s_branch .LBB14_1144
.LBB14_3193:
	s_movk_i32 s4, 0x80
	v_cmp_eq_u16_sdwa s[12:13], v9, s4 src0_sel:BYTE_3 src1_sel:DWORD
	s_mov_b64 s[4:5], -1
                                        ; implicit-def: $sgpr10
	s_and_saveexec_b64 s[8:9], s[12:13]
; %bb.3194:
	s_mov_b32 s10, 0x7f800001
	s_xor_b64 s[4:5], exec, -1
; %bb.3195:
	s_or_b64 exec, exec, s[8:9]
	s_and_b64 s[4:5], s[4:5], exec
	s_or_saveexec_b64 s[6:7], s[6:7]
	v_mov_b32_e32 v2, s10
	s_xor_b64 exec, exec, s[6:7]
	s_cbranch_execz .LBB14_1146
.LBB14_3196:
	v_mov_b32_e32 v2, 0
	v_cmp_ne_u16_sdwa s[8:9], v9, v2 src0_sel:BYTE_3 src1_sel:DWORD
	s_andn2_b64 s[4:5], s[4:5], exec
	s_and_b64 s[8:9], s[8:9], exec
	s_or_b64 s[4:5], s[4:5], s[8:9]
	s_or_b64 exec, exec, s[6:7]
	s_and_saveexec_b64 s[6:7], s[4:5]
	s_cbranch_execnz .LBB14_1147
	s_branch .LBB14_1148
.LBB14_3197:
	s_movk_i32 s4, 0x80
	v_cmp_eq_u16_sdwa s[12:13], v5, s4 src0_sel:BYTE_3 src1_sel:DWORD
	s_mov_b64 s[4:5], -1
                                        ; implicit-def: $sgpr10
	s_and_saveexec_b64 s[8:9], s[12:13]
; %bb.3198:
	s_mov_b32 s10, 0x7f800001
	s_xor_b64 s[4:5], exec, -1
; %bb.3199:
	s_or_b64 exec, exec, s[8:9]
	s_and_b64 s[4:5], s[4:5], exec
	s_or_saveexec_b64 s[6:7], s[6:7]
	v_mov_b32_e32 v3, s10
	s_xor_b64 exec, exec, s[6:7]
	s_cbranch_execz .LBB14_1150
.LBB14_3200:
	v_mov_b32_e32 v3, 0
	v_cmp_ne_u16_sdwa s[8:9], v5, v3 src0_sel:BYTE_3 src1_sel:DWORD
	s_andn2_b64 s[4:5], s[4:5], exec
	s_and_b64 s[8:9], s[8:9], exec
	s_or_b64 s[4:5], s[4:5], s[8:9]
	s_or_b64 exec, exec, s[6:7]
	s_and_saveexec_b64 s[6:7], s[4:5]
	s_cbranch_execnz .LBB14_1151
	s_branch .LBB14_1152
.LBB14_3201:
	s_movk_i32 s4, 0x80
	v_cmp_eq_u16_sdwa s[12:13], v6, s4 src0_sel:BYTE_0 src1_sel:DWORD
	s_mov_b64 s[4:5], -1
                                        ; implicit-def: $sgpr10
	s_and_saveexec_b64 s[8:9], s[12:13]
; %bb.3202:
	s_mov_b32 s10, 0x7f800001
	s_xor_b64 s[4:5], exec, -1
; %bb.3203:
	s_or_b64 exec, exec, s[8:9]
	s_and_b64 s[4:5], s[4:5], exec
	s_or_saveexec_b64 s[6:7], s[6:7]
	v_mov_b32_e32 v12, s10
	s_xor_b64 exec, exec, s[6:7]
	s_cbranch_execz .LBB14_1154
.LBB14_3204:
	v_mov_b32_e32 v12, 0
	v_cmp_ne_u16_sdwa s[8:9], v6, v12 src0_sel:BYTE_0 src1_sel:DWORD
	s_andn2_b64 s[4:5], s[4:5], exec
	s_and_b64 s[8:9], s[8:9], exec
	s_or_b64 s[4:5], s[4:5], s[8:9]
	s_or_b64 exec, exec, s[6:7]
	s_and_saveexec_b64 s[6:7], s[4:5]
	s_cbranch_execnz .LBB14_1155
	s_branch .LBB14_1156
.LBB14_3205:
	s_movk_i32 s4, 0x80
	v_cmp_eq_u16_sdwa s[12:13], v2, s4 src0_sel:BYTE_0 src1_sel:DWORD
	s_mov_b64 s[4:5], -1
                                        ; implicit-def: $sgpr10
	s_and_saveexec_b64 s[8:9], s[12:13]
; %bb.3206:
	s_mov_b32 s10, 0x7f800001
	s_xor_b64 s[4:5], exec, -1
; %bb.3207:
	s_or_b64 exec, exec, s[8:9]
	s_and_b64 s[4:5], s[4:5], exec
	s_or_saveexec_b64 s[6:7], s[6:7]
	v_mov_b32_e32 v13, s10
	s_xor_b64 exec, exec, s[6:7]
	s_cbranch_execz .LBB14_1158
.LBB14_3208:
	v_mov_b32_e32 v13, 0
	v_cmp_ne_u16_sdwa s[8:9], v2, v13 src0_sel:BYTE_0 src1_sel:DWORD
	s_andn2_b64 s[4:5], s[4:5], exec
	s_and_b64 s[8:9], s[8:9], exec
	s_or_b64 s[4:5], s[4:5], s[8:9]
	s_or_b64 exec, exec, s[6:7]
	s_and_saveexec_b64 s[6:7], s[4:5]
	s_cbranch_execnz .LBB14_1159
	s_branch .LBB14_1160
.LBB14_3209:
	s_movk_i32 s4, 0x80
	v_cmp_eq_u16_sdwa s[12:13], v13, s4 src0_sel:BYTE_0 src1_sel:DWORD
	s_mov_b64 s[4:5], -1
                                        ; implicit-def: $sgpr10
	s_and_saveexec_b64 s[8:9], s[12:13]
; %bb.3210:
	s_mov_b32 s10, 0x7f800001
	s_xor_b64 s[4:5], exec, -1
; %bb.3211:
	s_or_b64 exec, exec, s[8:9]
	s_and_b64 s[4:5], s[4:5], exec
	s_or_saveexec_b64 s[6:7], s[6:7]
	v_mov_b32_e32 v12, s10
	s_xor_b64 exec, exec, s[6:7]
	s_cbranch_execz .LBB14_1162
.LBB14_3212:
	v_mov_b32_e32 v12, 0
	v_cmp_ne_u16_sdwa s[8:9], v13, v12 src0_sel:BYTE_0 src1_sel:DWORD
	s_andn2_b64 s[4:5], s[4:5], exec
	s_and_b64 s[8:9], s[8:9], exec
	s_or_b64 s[4:5], s[4:5], s[8:9]
	s_or_b64 exec, exec, s[6:7]
	s_and_saveexec_b64 s[6:7], s[4:5]
	s_cbranch_execnz .LBB14_1163
	s_branch .LBB14_1164
.LBB14_3213:
	s_movk_i32 s4, 0x80
	v_cmp_eq_u16_sdwa s[12:13], v13, s4 src0_sel:BYTE_0 src1_sel:DWORD
	s_mov_b64 s[4:5], -1
                                        ; implicit-def: $sgpr10
	s_and_saveexec_b64 s[8:9], s[12:13]
; %bb.3214:
	s_mov_b32 s10, 0x7f800001
	s_xor_b64 s[4:5], exec, -1
; %bb.3215:
	s_or_b64 exec, exec, s[8:9]
	s_and_b64 s[4:5], s[4:5], exec
	s_or_saveexec_b64 s[6:7], s[6:7]
	v_mov_b32_e32 v14, s10
	s_xor_b64 exec, exec, s[6:7]
	s_cbranch_execz .LBB14_1166
.LBB14_3216:
	v_mov_b32_e32 v14, 0
	v_cmp_ne_u16_sdwa s[8:9], v13, v14 src0_sel:BYTE_0 src1_sel:DWORD
	s_andn2_b64 s[4:5], s[4:5], exec
	s_and_b64 s[8:9], s[8:9], exec
	s_or_b64 s[4:5], s[4:5], s[8:9]
	s_or_b64 exec, exec, s[6:7]
	s_and_saveexec_b64 s[6:7], s[4:5]
	s_cbranch_execnz .LBB14_1167
	s_branch .LBB14_1168
.LBB14_3217:
	s_movk_i32 s4, 0x80
	v_cmp_eq_u16_e32 vcc, s4, v13
	s_mov_b64 s[4:5], -1
                                        ; implicit-def: $sgpr10
	s_and_saveexec_b64 s[8:9], vcc
; %bb.3218:
	s_mov_b32 s10, 0x7f800001
	s_xor_b64 s[4:5], exec, -1
; %bb.3219:
	s_or_b64 exec, exec, s[8:9]
	s_and_b64 s[4:5], s[4:5], exec
                                        ; implicit-def: $vgpr13
	s_or_saveexec_b64 s[6:7], s[6:7]
	v_mov_b32_e32 v12, s10
	s_xor_b64 exec, exec, s[6:7]
	s_cbranch_execz .LBB14_1170
.LBB14_3220:
	v_cmp_ne_u16_e32 vcc, 0, v13
	s_andn2_b64 s[4:5], s[4:5], exec
	s_and_b64 s[8:9], vcc, exec
	v_mov_b32_e32 v12, 0
	s_or_b64 s[4:5], s[4:5], s[8:9]
	s_or_b64 exec, exec, s[6:7]
	s_and_saveexec_b64 s[6:7], s[4:5]
	s_cbranch_execnz .LBB14_1171
	s_branch .LBB14_1172
.LBB14_3221:
	s_movk_i32 s4, 0x80
	v_cmp_eq_u16_e32 vcc, s4, v13
	s_mov_b64 s[4:5], -1
                                        ; implicit-def: $sgpr10
	s_and_saveexec_b64 s[8:9], vcc
; %bb.3222:
	s_mov_b32 s10, 0x7f800001
	s_xor_b64 s[4:5], exec, -1
; %bb.3223:
	s_or_b64 exec, exec, s[8:9]
	s_and_b64 s[4:5], s[4:5], exec
                                        ; implicit-def: $vgpr13
	s_or_saveexec_b64 s[6:7], s[6:7]
	v_mov_b32_e32 v14, s10
	s_xor_b64 exec, exec, s[6:7]
	s_cbranch_execz .LBB14_1174
.LBB14_3224:
	v_cmp_ne_u16_e32 vcc, 0, v13
	s_andn2_b64 s[4:5], s[4:5], exec
	s_and_b64 s[8:9], vcc, exec
	v_mov_b32_e32 v14, 0
	s_or_b64 s[4:5], s[4:5], s[8:9]
	s_or_b64 exec, exec, s[6:7]
	s_and_saveexec_b64 s[6:7], s[4:5]
	s_cbranch_execnz .LBB14_1175
	s_branch .LBB14_1176
.LBB14_3225:
	s_movk_i32 s4, 0x80
	v_cmp_eq_u16_sdwa s[12:13], v6, s4 src0_sel:BYTE_3 src1_sel:DWORD
	s_mov_b64 s[4:5], -1
                                        ; implicit-def: $sgpr10
	s_and_saveexec_b64 s[8:9], s[12:13]
; %bb.3226:
	s_mov_b32 s10, 0x7f800001
	s_xor_b64 s[4:5], exec, -1
; %bb.3227:
	s_or_b64 exec, exec, s[8:9]
	s_and_b64 s[4:5], s[4:5], exec
	s_or_saveexec_b64 s[6:7], s[6:7]
	v_mov_b32_e32 v12, s10
	s_xor_b64 exec, exec, s[6:7]
	s_cbranch_execz .LBB14_1178
.LBB14_3228:
	v_mov_b32_e32 v12, 0
	v_cmp_ne_u16_sdwa s[8:9], v6, v12 src0_sel:BYTE_3 src1_sel:DWORD
	s_andn2_b64 s[4:5], s[4:5], exec
	s_and_b64 s[8:9], s[8:9], exec
	s_or_b64 s[4:5], s[4:5], s[8:9]
	s_or_b64 exec, exec, s[6:7]
	s_and_saveexec_b64 s[6:7], s[4:5]
	s_cbranch_execnz .LBB14_1179
	s_branch .LBB14_1180
.LBB14_3229:
	s_movk_i32 s4, 0x80
	v_cmp_eq_u16_sdwa s[12:13], v2, s4 src0_sel:BYTE_3 src1_sel:DWORD
	s_mov_b64 s[4:5], -1
                                        ; implicit-def: $sgpr10
	s_and_saveexec_b64 s[8:9], s[12:13]
; %bb.3230:
	s_mov_b32 s10, 0x7f800001
	s_xor_b64 s[4:5], exec, -1
; %bb.3231:
	s_or_b64 exec, exec, s[8:9]
	s_and_b64 s[4:5], s[4:5], exec
	s_or_saveexec_b64 s[6:7], s[6:7]
	v_mov_b32_e32 v6, s10
	s_xor_b64 exec, exec, s[6:7]
	s_cbranch_execz .LBB14_1182
.LBB14_3232:
	v_mov_b32_e32 v6, 0
	v_cmp_ne_u16_sdwa s[8:9], v2, v6 src0_sel:BYTE_3 src1_sel:DWORD
	s_andn2_b64 s[4:5], s[4:5], exec
	s_and_b64 s[8:9], s[8:9], exec
	s_or_b64 s[4:5], s[4:5], s[8:9]
	s_or_b64 exec, exec, s[6:7]
	s_and_saveexec_b64 s[6:7], s[4:5]
	s_cbranch_execnz .LBB14_1183
	s_branch .LBB14_1184
.LBB14_3233:
	s_movk_i32 s4, 0x80
	v_cmp_eq_u16_sdwa s[12:13], v7, s4 src0_sel:BYTE_0 src1_sel:DWORD
	s_mov_b64 s[4:5], -1
                                        ; implicit-def: $sgpr10
	s_and_saveexec_b64 s[8:9], s[12:13]
; %bb.3234:
	s_mov_b32 s10, 0x7f800001
	s_xor_b64 s[4:5], exec, -1
; %bb.3235:
	s_or_b64 exec, exec, s[8:9]
	s_and_b64 s[4:5], s[4:5], exec
	s_or_saveexec_b64 s[6:7], s[6:7]
	v_mov_b32_e32 v2, s10
	s_xor_b64 exec, exec, s[6:7]
	s_cbranch_execz .LBB14_1186
.LBB14_3236:
	v_mov_b32_e32 v2, 0
	v_cmp_ne_u16_sdwa s[8:9], v7, v2 src0_sel:BYTE_0 src1_sel:DWORD
	s_andn2_b64 s[4:5], s[4:5], exec
	s_and_b64 s[8:9], s[8:9], exec
	s_or_b64 s[4:5], s[4:5], s[8:9]
	s_or_b64 exec, exec, s[6:7]
	s_and_saveexec_b64 s[6:7], s[4:5]
	s_cbranch_execnz .LBB14_1187
	s_branch .LBB14_1188
.LBB14_3237:
	s_movk_i32 s4, 0x80
	v_cmp_eq_u16_sdwa s[12:13], v3, s4 src0_sel:BYTE_0 src1_sel:DWORD
	s_mov_b64 s[4:5], -1
                                        ; implicit-def: $sgpr10
	s_and_saveexec_b64 s[8:9], s[12:13]
; %bb.3238:
	s_mov_b32 s10, 0x7f800001
	s_xor_b64 s[4:5], exec, -1
; %bb.3239:
	s_or_b64 exec, exec, s[8:9]
	s_and_b64 s[4:5], s[4:5], exec
	s_or_saveexec_b64 s[6:7], s[6:7]
	v_mov_b32_e32 v6, s10
	s_xor_b64 exec, exec, s[6:7]
	s_cbranch_execz .LBB14_1190
.LBB14_3240:
	v_mov_b32_e32 v6, 0
	v_cmp_ne_u16_sdwa s[8:9], v3, v6 src0_sel:BYTE_0 src1_sel:DWORD
	s_andn2_b64 s[4:5], s[4:5], exec
	s_and_b64 s[8:9], s[8:9], exec
	s_or_b64 s[4:5], s[4:5], s[8:9]
	s_or_b64 exec, exec, s[6:7]
	s_and_saveexec_b64 s[6:7], s[4:5]
	s_cbranch_execnz .LBB14_1191
	s_branch .LBB14_1192
.LBB14_3241:
	s_movk_i32 s4, 0x80
	v_cmp_eq_u16_sdwa s[12:13], v6, s4 src0_sel:BYTE_0 src1_sel:DWORD
	s_mov_b64 s[4:5], -1
                                        ; implicit-def: $sgpr10
	s_and_saveexec_b64 s[8:9], s[12:13]
; %bb.3242:
	s_mov_b32 s10, 0x7f800001
	s_xor_b64 s[4:5], exec, -1
; %bb.3243:
	s_or_b64 exec, exec, s[8:9]
	s_and_b64 s[4:5], s[4:5], exec
	s_or_saveexec_b64 s[6:7], s[6:7]
	v_mov_b32_e32 v2, s10
	s_xor_b64 exec, exec, s[6:7]
	s_cbranch_execz .LBB14_1194
.LBB14_3244:
	v_mov_b32_e32 v2, 0
	v_cmp_ne_u16_sdwa s[8:9], v6, v2 src0_sel:BYTE_0 src1_sel:DWORD
	s_andn2_b64 s[4:5], s[4:5], exec
	s_and_b64 s[8:9], s[8:9], exec
	s_or_b64 s[4:5], s[4:5], s[8:9]
	s_or_b64 exec, exec, s[6:7]
	s_and_saveexec_b64 s[6:7], s[4:5]
	s_cbranch_execnz .LBB14_1195
	s_branch .LBB14_1196
.LBB14_3245:
	s_movk_i32 s4, 0x80
	v_cmp_eq_u16_sdwa s[12:13], v6, s4 src0_sel:BYTE_0 src1_sel:DWORD
	s_mov_b64 s[4:5], -1
                                        ; implicit-def: $sgpr10
	s_and_saveexec_b64 s[8:9], s[12:13]
; %bb.3246:
	s_mov_b32 s10, 0x7f800001
	s_xor_b64 s[4:5], exec, -1
; %bb.3247:
	s_or_b64 exec, exec, s[8:9]
	s_and_b64 s[4:5], s[4:5], exec
	s_or_saveexec_b64 s[6:7], s[6:7]
	v_mov_b32_e32 v12, s10
	s_xor_b64 exec, exec, s[6:7]
	s_cbranch_execz .LBB14_1198
.LBB14_3248:
	v_mov_b32_e32 v12, 0
	v_cmp_ne_u16_sdwa s[8:9], v6, v12 src0_sel:BYTE_0 src1_sel:DWORD
	s_andn2_b64 s[4:5], s[4:5], exec
	s_and_b64 s[8:9], s[8:9], exec
	s_or_b64 s[4:5], s[4:5], s[8:9]
	s_or_b64 exec, exec, s[6:7]
	s_and_saveexec_b64 s[6:7], s[4:5]
	s_cbranch_execnz .LBB14_1199
	s_branch .LBB14_1200
.LBB14_3249:
	s_movk_i32 s4, 0x80
	v_cmp_eq_u16_e32 vcc, s4, v6
	s_mov_b64 s[4:5], -1
                                        ; implicit-def: $sgpr10
	s_and_saveexec_b64 s[8:9], vcc
; %bb.3250:
	s_mov_b32 s10, 0x7f800001
	s_xor_b64 s[4:5], exec, -1
; %bb.3251:
	s_or_b64 exec, exec, s[8:9]
	s_and_b64 s[4:5], s[4:5], exec
                                        ; implicit-def: $vgpr6
	s_or_saveexec_b64 s[6:7], s[6:7]
	v_mov_b32_e32 v2, s10
	s_xor_b64 exec, exec, s[6:7]
	s_cbranch_execz .LBB14_1202
.LBB14_3252:
	v_cmp_ne_u16_e32 vcc, 0, v6
	s_andn2_b64 s[4:5], s[4:5], exec
	s_and_b64 s[8:9], vcc, exec
	v_mov_b32_e32 v2, 0
	s_or_b64 s[4:5], s[4:5], s[8:9]
	s_or_b64 exec, exec, s[6:7]
	s_and_saveexec_b64 s[6:7], s[4:5]
	s_cbranch_execnz .LBB14_1203
	s_branch .LBB14_1204
.LBB14_3253:
	s_movk_i32 s4, 0x80
	v_cmp_eq_u16_e32 vcc, s4, v6
	s_mov_b64 s[4:5], -1
                                        ; implicit-def: $sgpr10
	s_and_saveexec_b64 s[8:9], vcc
; %bb.3254:
	s_mov_b32 s10, 0x7f800001
	s_xor_b64 s[4:5], exec, -1
; %bb.3255:
	s_or_b64 exec, exec, s[8:9]
	s_and_b64 s[4:5], s[4:5], exec
                                        ; implicit-def: $vgpr6
	s_or_saveexec_b64 s[6:7], s[6:7]
	v_mov_b32_e32 v12, s10
	s_xor_b64 exec, exec, s[6:7]
	s_cbranch_execz .LBB14_1206
.LBB14_3256:
	v_cmp_ne_u16_e32 vcc, 0, v6
	s_andn2_b64 s[4:5], s[4:5], exec
	s_and_b64 s[8:9], vcc, exec
	v_mov_b32_e32 v12, 0
	s_or_b64 s[4:5], s[4:5], s[8:9]
	s_or_b64 exec, exec, s[6:7]
	s_and_saveexec_b64 s[6:7], s[4:5]
	s_cbranch_execnz .LBB14_1207
	s_branch .LBB14_1208
.LBB14_3257:
	s_movk_i32 s4, 0x80
	v_cmp_eq_u16_sdwa s[12:13], v7, s4 src0_sel:BYTE_3 src1_sel:DWORD
	s_mov_b64 s[4:5], -1
                                        ; implicit-def: $sgpr10
	s_and_saveexec_b64 s[8:9], s[12:13]
; %bb.3258:
	s_mov_b32 s10, 0x7f800001
	s_xor_b64 s[4:5], exec, -1
; %bb.3259:
	s_or_b64 exec, exec, s[8:9]
	s_and_b64 s[4:5], s[4:5], exec
	s_or_saveexec_b64 s[6:7], s[6:7]
	v_mov_b32_e32 v2, s10
	s_xor_b64 exec, exec, s[6:7]
	s_cbranch_execz .LBB14_1210
.LBB14_3260:
	v_mov_b32_e32 v2, 0
	v_cmp_ne_u16_sdwa s[8:9], v7, v2 src0_sel:BYTE_3 src1_sel:DWORD
	s_andn2_b64 s[4:5], s[4:5], exec
	s_and_b64 s[8:9], s[8:9], exec
	s_or_b64 s[4:5], s[4:5], s[8:9]
	s_or_b64 exec, exec, s[6:7]
	s_and_saveexec_b64 s[6:7], s[4:5]
	s_cbranch_execnz .LBB14_1211
	s_branch .LBB14_1212
.LBB14_3261:
	s_movk_i32 s4, 0x80
	v_cmp_eq_u16_sdwa s[12:13], v3, s4 src0_sel:BYTE_3 src1_sel:DWORD
	s_mov_b64 s[4:5], -1
                                        ; implicit-def: $sgpr10
	s_and_saveexec_b64 s[8:9], s[12:13]
; %bb.3262:
	s_mov_b32 s10, 0x7f800001
	s_xor_b64 s[4:5], exec, -1
; %bb.3263:
	s_or_b64 exec, exec, s[8:9]
	s_and_b64 s[4:5], s[4:5], exec
	s_or_saveexec_b64 s[6:7], s[6:7]
	v_mov_b32_e32 v6, s10
	s_xor_b64 exec, exec, s[6:7]
	s_cbranch_execz .LBB14_1214
.LBB14_3264:
	v_mov_b32_e32 v6, 0
	v_cmp_ne_u16_sdwa s[8:9], v3, v6 src0_sel:BYTE_3 src1_sel:DWORD
	s_andn2_b64 s[4:5], s[4:5], exec
	s_and_b64 s[8:9], s[8:9], exec
	s_or_b64 s[4:5], s[4:5], s[8:9]
	s_or_b64 exec, exec, s[6:7]
	s_and_saveexec_b64 s[6:7], s[4:5]
	s_cbranch_execnz .LBB14_1215
	s_branch .LBB14_1216
.LBB14_3265:
	s_movk_i32 s4, 0x80
	v_cmp_eq_u16_sdwa s[12:13], v8, s4 src0_sel:BYTE_0 src1_sel:DWORD
	s_mov_b64 s[4:5], -1
                                        ; implicit-def: $sgpr10
	s_and_saveexec_b64 s[8:9], s[12:13]
; %bb.3266:
	s_mov_b32 s10, 0x7f800001
	s_xor_b64 s[4:5], exec, -1
; %bb.3267:
	s_or_b64 exec, exec, s[8:9]
	s_and_b64 s[4:5], s[4:5], exec
	s_or_saveexec_b64 s[6:7], s[6:7]
	v_mov_b32_e32 v2, s10
	s_xor_b64 exec, exec, s[6:7]
	s_cbranch_execz .LBB14_1218
.LBB14_3268:
	v_mov_b32_e32 v2, 0
	v_cmp_ne_u16_sdwa s[8:9], v8, v2 src0_sel:BYTE_0 src1_sel:DWORD
	s_andn2_b64 s[4:5], s[4:5], exec
	s_and_b64 s[8:9], s[8:9], exec
	s_or_b64 s[4:5], s[4:5], s[8:9]
	s_or_b64 exec, exec, s[6:7]
	s_and_saveexec_b64 s[6:7], s[4:5]
	s_cbranch_execnz .LBB14_1219
	s_branch .LBB14_1220
.LBB14_3269:
	s_movk_i32 s4, 0x80
	v_cmp_eq_u16_sdwa s[12:13], v4, s4 src0_sel:BYTE_0 src1_sel:DWORD
	s_mov_b64 s[4:5], -1
                                        ; implicit-def: $sgpr10
	s_and_saveexec_b64 s[8:9], s[12:13]
; %bb.3270:
	s_mov_b32 s10, 0x7f800001
	s_xor_b64 s[4:5], exec, -1
; %bb.3271:
	s_or_b64 exec, exec, s[8:9]
	s_and_b64 s[4:5], s[4:5], exec
	s_or_saveexec_b64 s[6:7], s[6:7]
	v_mov_b32_e32 v3, s10
	s_xor_b64 exec, exec, s[6:7]
	s_cbranch_execz .LBB14_1222
.LBB14_3272:
	v_mov_b32_e32 v3, 0
	v_cmp_ne_u16_sdwa s[8:9], v4, v3 src0_sel:BYTE_0 src1_sel:DWORD
	s_andn2_b64 s[4:5], s[4:5], exec
	s_and_b64 s[8:9], s[8:9], exec
	s_or_b64 s[4:5], s[4:5], s[8:9]
	s_or_b64 exec, exec, s[6:7]
	s_and_saveexec_b64 s[6:7], s[4:5]
	s_cbranch_execnz .LBB14_1223
	s_branch .LBB14_1224
.LBB14_3273:
	s_movk_i32 s4, 0x80
	v_cmp_eq_u16_sdwa s[12:13], v3, s4 src0_sel:BYTE_0 src1_sel:DWORD
	s_mov_b64 s[4:5], -1
                                        ; implicit-def: $sgpr10
	s_and_saveexec_b64 s[8:9], s[12:13]
; %bb.3274:
	s_mov_b32 s10, 0x7f800001
	s_xor_b64 s[4:5], exec, -1
; %bb.3275:
	s_or_b64 exec, exec, s[8:9]
	s_and_b64 s[4:5], s[4:5], exec
	s_or_saveexec_b64 s[6:7], s[6:7]
	v_mov_b32_e32 v2, s10
	s_xor_b64 exec, exec, s[6:7]
	s_cbranch_execz .LBB14_1226
.LBB14_3276:
	v_mov_b32_e32 v2, 0
	v_cmp_ne_u16_sdwa s[8:9], v3, v2 src0_sel:BYTE_0 src1_sel:DWORD
	s_andn2_b64 s[4:5], s[4:5], exec
	s_and_b64 s[8:9], s[8:9], exec
	s_or_b64 s[4:5], s[4:5], s[8:9]
	s_or_b64 exec, exec, s[6:7]
	s_and_saveexec_b64 s[6:7], s[4:5]
	s_cbranch_execnz .LBB14_1227
	s_branch .LBB14_1228
.LBB14_3277:
	s_movk_i32 s4, 0x80
	v_cmp_eq_u16_sdwa s[12:13], v3, s4 src0_sel:BYTE_0 src1_sel:DWORD
	s_mov_b64 s[4:5], -1
                                        ; implicit-def: $sgpr10
	s_and_saveexec_b64 s[8:9], s[12:13]
; %bb.3278:
	s_mov_b32 s10, 0x7f800001
	s_xor_b64 s[4:5], exec, -1
; %bb.3279:
	s_or_b64 exec, exec, s[8:9]
	s_and_b64 s[4:5], s[4:5], exec
	s_or_saveexec_b64 s[6:7], s[6:7]
	v_mov_b32_e32 v6, s10
	s_xor_b64 exec, exec, s[6:7]
	s_cbranch_execz .LBB14_1230
.LBB14_3280:
	v_mov_b32_e32 v6, 0
	v_cmp_ne_u16_sdwa s[8:9], v3, v6 src0_sel:BYTE_0 src1_sel:DWORD
	s_andn2_b64 s[4:5], s[4:5], exec
	s_and_b64 s[8:9], s[8:9], exec
	s_or_b64 s[4:5], s[4:5], s[8:9]
	s_or_b64 exec, exec, s[6:7]
	s_and_saveexec_b64 s[6:7], s[4:5]
	s_cbranch_execnz .LBB14_1231
	s_branch .LBB14_1232
.LBB14_3281:
	s_movk_i32 s4, 0x80
	v_cmp_eq_u16_e32 vcc, s4, v3
	s_mov_b64 s[4:5], -1
                                        ; implicit-def: $sgpr10
	s_and_saveexec_b64 s[8:9], vcc
; %bb.3282:
	s_mov_b32 s10, 0x7f800001
	s_xor_b64 s[4:5], exec, -1
; %bb.3283:
	s_or_b64 exec, exec, s[8:9]
	s_and_b64 s[4:5], s[4:5], exec
                                        ; implicit-def: $vgpr3
	s_or_saveexec_b64 s[6:7], s[6:7]
	v_mov_b32_e32 v2, s10
	s_xor_b64 exec, exec, s[6:7]
	s_cbranch_execz .LBB14_1234
.LBB14_3284:
	v_cmp_ne_u16_e32 vcc, 0, v3
	s_andn2_b64 s[4:5], s[4:5], exec
	s_and_b64 s[8:9], vcc, exec
	v_mov_b32_e32 v2, 0
	s_or_b64 s[4:5], s[4:5], s[8:9]
	s_or_b64 exec, exec, s[6:7]
	s_and_saveexec_b64 s[6:7], s[4:5]
	s_cbranch_execnz .LBB14_1235
	s_branch .LBB14_1236
.LBB14_3285:
	s_movk_i32 s4, 0x80
	v_cmp_eq_u16_e32 vcc, s4, v3
	s_mov_b64 s[4:5], -1
                                        ; implicit-def: $sgpr10
	s_and_saveexec_b64 s[8:9], vcc
; %bb.3286:
	s_mov_b32 s10, 0x7f800001
	s_xor_b64 s[4:5], exec, -1
; %bb.3287:
	s_or_b64 exec, exec, s[8:9]
	s_and_b64 s[4:5], s[4:5], exec
                                        ; implicit-def: $vgpr3
	s_or_saveexec_b64 s[6:7], s[6:7]
	v_mov_b32_e32 v6, s10
	s_xor_b64 exec, exec, s[6:7]
	s_cbranch_execz .LBB14_1238
.LBB14_3288:
	v_cmp_ne_u16_e32 vcc, 0, v3
	s_andn2_b64 s[4:5], s[4:5], exec
	s_and_b64 s[8:9], vcc, exec
	v_mov_b32_e32 v6, 0
	s_or_b64 s[4:5], s[4:5], s[8:9]
	s_or_b64 exec, exec, s[6:7]
	s_and_saveexec_b64 s[6:7], s[4:5]
	s_cbranch_execnz .LBB14_1239
	s_branch .LBB14_1240
.LBB14_3289:
	s_movk_i32 s4, 0x80
	v_cmp_eq_u16_sdwa s[12:13], v8, s4 src0_sel:BYTE_3 src1_sel:DWORD
	s_mov_b64 s[4:5], -1
                                        ; implicit-def: $sgpr10
	s_and_saveexec_b64 s[8:9], s[12:13]
; %bb.3290:
	s_mov_b32 s10, 0x7f800001
	s_xor_b64 s[4:5], exec, -1
; %bb.3291:
	s_or_b64 exec, exec, s[8:9]
	s_and_b64 s[4:5], s[4:5], exec
	s_or_saveexec_b64 s[6:7], s[6:7]
	v_mov_b32_e32 v2, s10
	s_xor_b64 exec, exec, s[6:7]
	s_cbranch_execz .LBB14_1242
.LBB14_3292:
	v_mov_b32_e32 v2, 0
	v_cmp_ne_u16_sdwa s[8:9], v8, v2 src0_sel:BYTE_3 src1_sel:DWORD
	s_andn2_b64 s[4:5], s[4:5], exec
	s_and_b64 s[8:9], s[8:9], exec
	s_or_b64 s[4:5], s[4:5], s[8:9]
	s_or_b64 exec, exec, s[6:7]
	s_and_saveexec_b64 s[6:7], s[4:5]
	s_cbranch_execnz .LBB14_1243
	s_branch .LBB14_1244
.LBB14_3293:
	s_movk_i32 s4, 0x80
	v_cmp_eq_u16_sdwa s[12:13], v4, s4 src0_sel:BYTE_3 src1_sel:DWORD
	s_mov_b64 s[4:5], -1
                                        ; implicit-def: $sgpr10
	s_and_saveexec_b64 s[8:9], s[12:13]
; %bb.3294:
	s_mov_b32 s10, 0x7f800001
	s_xor_b64 s[4:5], exec, -1
; %bb.3295:
	s_or_b64 exec, exec, s[8:9]
	s_and_b64 s[4:5], s[4:5], exec
	s_or_saveexec_b64 s[6:7], s[6:7]
	v_mov_b32_e32 v3, s10
	s_xor_b64 exec, exec, s[6:7]
	s_cbranch_execz .LBB14_1246
.LBB14_3296:
	v_mov_b32_e32 v3, 0
	v_cmp_ne_u16_sdwa s[8:9], v4, v3 src0_sel:BYTE_3 src1_sel:DWORD
	s_andn2_b64 s[4:5], s[4:5], exec
	s_and_b64 s[8:9], s[8:9], exec
	s_or_b64 s[4:5], s[4:5], s[8:9]
	s_or_b64 exec, exec, s[6:7]
	s_and_saveexec_b64 s[6:7], s[4:5]
	s_cbranch_execnz .LBB14_1247
	s_branch .LBB14_1248
.LBB14_3297:
	s_movk_i32 s4, 0x80
	v_cmp_eq_u16_sdwa s[12:13], v9, s4 src0_sel:BYTE_0 src1_sel:DWORD
	s_mov_b64 s[4:5], -1
                                        ; implicit-def: $sgpr10
	s_and_saveexec_b64 s[8:9], s[12:13]
; %bb.3298:
	s_mov_b32 s10, 0x7f800001
	s_xor_b64 s[4:5], exec, -1
; %bb.3299:
	s_or_b64 exec, exec, s[8:9]
	s_and_b64 s[4:5], s[4:5], exec
	s_or_saveexec_b64 s[6:7], s[6:7]
	v_mov_b32_e32 v2, s10
	s_xor_b64 exec, exec, s[6:7]
	s_cbranch_execz .LBB14_1250
.LBB14_3300:
	v_mov_b32_e32 v2, 0
	v_cmp_ne_u16_sdwa s[8:9], v9, v2 src0_sel:BYTE_0 src1_sel:DWORD
	s_andn2_b64 s[4:5], s[4:5], exec
	s_and_b64 s[8:9], s[8:9], exec
	s_or_b64 s[4:5], s[4:5], s[8:9]
	s_or_b64 exec, exec, s[6:7]
	s_and_saveexec_b64 s[6:7], s[4:5]
	s_cbranch_execnz .LBB14_1251
	s_branch .LBB14_1252
.LBB14_3301:
	s_movk_i32 s4, 0x80
	v_cmp_eq_u16_sdwa s[12:13], v5, s4 src0_sel:BYTE_0 src1_sel:DWORD
	s_mov_b64 s[4:5], -1
                                        ; implicit-def: $sgpr10
	s_and_saveexec_b64 s[8:9], s[12:13]
; %bb.3302:
	s_mov_b32 s10, 0x7f800001
	s_xor_b64 s[4:5], exec, -1
; %bb.3303:
	s_or_b64 exec, exec, s[8:9]
	s_and_b64 s[4:5], s[4:5], exec
	s_or_saveexec_b64 s[6:7], s[6:7]
	v_mov_b32_e32 v3, s10
	s_xor_b64 exec, exec, s[6:7]
	s_cbranch_execz .LBB14_1254
.LBB14_3304:
	v_mov_b32_e32 v3, 0
	v_cmp_ne_u16_sdwa s[8:9], v5, v3 src0_sel:BYTE_0 src1_sel:DWORD
	s_andn2_b64 s[4:5], s[4:5], exec
	s_and_b64 s[8:9], s[8:9], exec
	s_or_b64 s[4:5], s[4:5], s[8:9]
	s_or_b64 exec, exec, s[6:7]
	s_and_saveexec_b64 s[6:7], s[4:5]
	s_cbranch_execnz .LBB14_1255
	s_branch .LBB14_1256
.LBB14_3305:
	s_movk_i32 s4, 0x80
	v_cmp_eq_u16_sdwa s[12:13], v3, s4 src0_sel:BYTE_0 src1_sel:DWORD
	s_mov_b64 s[4:5], -1
                                        ; implicit-def: $sgpr10
	s_and_saveexec_b64 s[8:9], s[12:13]
; %bb.3306:
	s_mov_b32 s10, 0x7f800001
	s_xor_b64 s[4:5], exec, -1
; %bb.3307:
	s_or_b64 exec, exec, s[8:9]
	s_and_b64 s[4:5], s[4:5], exec
	s_or_saveexec_b64 s[6:7], s[6:7]
	v_mov_b32_e32 v2, s10
	s_xor_b64 exec, exec, s[6:7]
	s_cbranch_execz .LBB14_1258
.LBB14_3308:
	v_mov_b32_e32 v2, 0
	v_cmp_ne_u16_sdwa s[8:9], v3, v2 src0_sel:BYTE_0 src1_sel:DWORD
	s_andn2_b64 s[4:5], s[4:5], exec
	s_and_b64 s[8:9], s[8:9], exec
	s_or_b64 s[4:5], s[4:5], s[8:9]
	s_or_b64 exec, exec, s[6:7]
	s_and_saveexec_b64 s[6:7], s[4:5]
	s_cbranch_execnz .LBB14_1259
	s_branch .LBB14_1260
.LBB14_3309:
	s_movk_i32 s4, 0x80
	v_cmp_eq_u16_sdwa s[12:13], v3, s4 src0_sel:BYTE_0 src1_sel:DWORD
	s_mov_b64 s[4:5], -1
                                        ; implicit-def: $sgpr10
	s_and_saveexec_b64 s[8:9], s[12:13]
; %bb.3310:
	s_mov_b32 s10, 0x7f800001
	s_xor_b64 s[4:5], exec, -1
; %bb.3311:
	s_or_b64 exec, exec, s[8:9]
	s_and_b64 s[4:5], s[4:5], exec
	s_or_saveexec_b64 s[6:7], s[6:7]
	v_mov_b32_e32 v4, s10
	s_xor_b64 exec, exec, s[6:7]
	s_cbranch_execz .LBB14_1262
.LBB14_3312:
	v_mov_b32_e32 v4, 0
	v_cmp_ne_u16_sdwa s[8:9], v3, v4 src0_sel:BYTE_0 src1_sel:DWORD
	s_andn2_b64 s[4:5], s[4:5], exec
	s_and_b64 s[8:9], s[8:9], exec
	s_or_b64 s[4:5], s[4:5], s[8:9]
	s_or_b64 exec, exec, s[6:7]
	s_and_saveexec_b64 s[6:7], s[4:5]
	s_cbranch_execnz .LBB14_1263
	s_branch .LBB14_1264
.LBB14_3313:
	s_movk_i32 s4, 0x80
	v_cmp_eq_u16_e32 vcc, s4, v3
	s_mov_b64 s[4:5], -1
                                        ; implicit-def: $sgpr10
	s_and_saveexec_b64 s[8:9], vcc
; %bb.3314:
	s_mov_b32 s10, 0x7f800001
	s_xor_b64 s[4:5], exec, -1
; %bb.3315:
	s_or_b64 exec, exec, s[8:9]
	s_and_b64 s[4:5], s[4:5], exec
                                        ; implicit-def: $vgpr3
	s_or_saveexec_b64 s[6:7], s[6:7]
	v_mov_b32_e32 v2, s10
	s_xor_b64 exec, exec, s[6:7]
	s_cbranch_execz .LBB14_1266
.LBB14_3316:
	v_cmp_ne_u16_e32 vcc, 0, v3
	s_andn2_b64 s[4:5], s[4:5], exec
	s_and_b64 s[8:9], vcc, exec
	v_mov_b32_e32 v2, 0
	s_or_b64 s[4:5], s[4:5], s[8:9]
	s_or_b64 exec, exec, s[6:7]
	s_and_saveexec_b64 s[6:7], s[4:5]
	s_cbranch_execnz .LBB14_1267
	s_branch .LBB14_1268
.LBB14_3317:
	s_movk_i32 s4, 0x80
	v_cmp_eq_u16_e32 vcc, s4, v3
	s_mov_b64 s[4:5], -1
                                        ; implicit-def: $sgpr10
	s_and_saveexec_b64 s[8:9], vcc
; %bb.3318:
	s_mov_b32 s10, 0x7f800001
	s_xor_b64 s[4:5], exec, -1
; %bb.3319:
	s_or_b64 exec, exec, s[8:9]
	s_and_b64 s[4:5], s[4:5], exec
                                        ; implicit-def: $vgpr3
	s_or_saveexec_b64 s[6:7], s[6:7]
	v_mov_b32_e32 v4, s10
	s_xor_b64 exec, exec, s[6:7]
	s_cbranch_execz .LBB14_1270
.LBB14_3320:
	v_cmp_ne_u16_e32 vcc, 0, v3
	s_andn2_b64 s[4:5], s[4:5], exec
	s_and_b64 s[8:9], vcc, exec
	v_mov_b32_e32 v4, 0
	s_or_b64 s[4:5], s[4:5], s[8:9]
	s_or_b64 exec, exec, s[6:7]
	s_and_saveexec_b64 s[6:7], s[4:5]
	s_cbranch_execnz .LBB14_1271
	s_branch .LBB14_1272
.LBB14_3321:
	s_movk_i32 s4, 0x80
	v_cmp_eq_u16_sdwa s[12:13], v9, s4 src0_sel:BYTE_3 src1_sel:DWORD
	s_mov_b64 s[4:5], -1
                                        ; implicit-def: $sgpr10
	s_and_saveexec_b64 s[8:9], s[12:13]
; %bb.3322:
	s_mov_b32 s10, 0x7f800001
	s_xor_b64 s[4:5], exec, -1
; %bb.3323:
	s_or_b64 exec, exec, s[8:9]
	s_and_b64 s[4:5], s[4:5], exec
	s_or_saveexec_b64 s[6:7], s[6:7]
	v_mov_b32_e32 v2, s10
	s_xor_b64 exec, exec, s[6:7]
	s_cbranch_execz .LBB14_1274
.LBB14_3324:
	v_mov_b32_e32 v2, 0
	v_cmp_ne_u16_sdwa s[8:9], v9, v2 src0_sel:BYTE_3 src1_sel:DWORD
	s_andn2_b64 s[4:5], s[4:5], exec
	s_and_b64 s[8:9], s[8:9], exec
	s_or_b64 s[4:5], s[4:5], s[8:9]
	s_or_b64 exec, exec, s[6:7]
	s_and_saveexec_b64 s[6:7], s[4:5]
	s_cbranch_execnz .LBB14_1275
	s_branch .LBB14_1276
.LBB14_3325:
	s_movk_i32 s4, 0x80
	v_cmp_eq_u16_sdwa s[12:13], v5, s4 src0_sel:BYTE_3 src1_sel:DWORD
	s_mov_b64 s[4:5], -1
                                        ; implicit-def: $sgpr10
	s_and_saveexec_b64 s[8:9], s[12:13]
; %bb.3326:
	s_mov_b32 s10, 0x7f800001
	s_xor_b64 s[4:5], exec, -1
; %bb.3327:
	s_or_b64 exec, exec, s[8:9]
	s_and_b64 s[4:5], s[4:5], exec
	s_or_saveexec_b64 s[6:7], s[6:7]
	v_mov_b32_e32 v3, s10
	s_xor_b64 exec, exec, s[6:7]
	s_cbranch_execz .LBB14_1278
.LBB14_3328:
	v_mov_b32_e32 v3, 0
	v_cmp_ne_u16_sdwa s[8:9], v5, v3 src0_sel:BYTE_3 src1_sel:DWORD
	s_andn2_b64 s[4:5], s[4:5], exec
	s_and_b64 s[8:9], s[8:9], exec
	s_or_b64 s[4:5], s[4:5], s[8:9]
	s_or_b64 exec, exec, s[6:7]
	s_and_saveexec_b64 s[6:7], s[4:5]
	s_cbranch_execnz .LBB14_1279
	s_branch .LBB14_1280
.LBB14_3329:
	s_movk_i32 s4, 0x80
	v_cmp_eq_u16_sdwa s[12:13], v6, s4 src0_sel:BYTE_0 src1_sel:DWORD
	s_mov_b64 s[4:5], -1
                                        ; implicit-def: $sgpr10
	s_and_saveexec_b64 s[8:9], s[12:13]
; %bb.3330:
	s_mov_b32 s10, 0x7f800001
	s_xor_b64 s[4:5], exec, -1
; %bb.3331:
	s_or_b64 exec, exec, s[8:9]
	s_and_b64 s[4:5], s[4:5], exec
	s_or_saveexec_b64 s[6:7], s[6:7]
	v_mov_b32_e32 v12, s10
	s_xor_b64 exec, exec, s[6:7]
	s_cbranch_execz .LBB14_1282
.LBB14_3332:
	v_mov_b32_e32 v12, 0
	v_cmp_ne_u16_sdwa s[8:9], v6, v12 src0_sel:BYTE_0 src1_sel:DWORD
	s_andn2_b64 s[4:5], s[4:5], exec
	s_and_b64 s[8:9], s[8:9], exec
	s_or_b64 s[4:5], s[4:5], s[8:9]
	s_or_b64 exec, exec, s[6:7]
	s_and_saveexec_b64 s[6:7], s[4:5]
	s_cbranch_execnz .LBB14_1283
	s_branch .LBB14_1284
.LBB14_3333:
	s_movk_i32 s4, 0x80
	v_cmp_eq_u16_sdwa s[12:13], v2, s4 src0_sel:BYTE_0 src1_sel:DWORD
	s_mov_b64 s[4:5], -1
                                        ; implicit-def: $sgpr10
	s_and_saveexec_b64 s[8:9], s[12:13]
; %bb.3334:
	s_mov_b32 s10, 0x7f800001
	s_xor_b64 s[4:5], exec, -1
; %bb.3335:
	s_or_b64 exec, exec, s[8:9]
	s_and_b64 s[4:5], s[4:5], exec
	s_or_saveexec_b64 s[6:7], s[6:7]
	v_mov_b32_e32 v13, s10
	s_xor_b64 exec, exec, s[6:7]
	s_cbranch_execz .LBB14_1286
.LBB14_3336:
	v_mov_b32_e32 v13, 0
	v_cmp_ne_u16_sdwa s[8:9], v2, v13 src0_sel:BYTE_0 src1_sel:DWORD
	s_andn2_b64 s[4:5], s[4:5], exec
	s_and_b64 s[8:9], s[8:9], exec
	s_or_b64 s[4:5], s[4:5], s[8:9]
	s_or_b64 exec, exec, s[6:7]
	s_and_saveexec_b64 s[6:7], s[4:5]
	s_cbranch_execnz .LBB14_1287
	s_branch .LBB14_1288
.LBB14_3337:
	s_movk_i32 s4, 0x80
	v_cmp_eq_u16_sdwa s[12:13], v13, s4 src0_sel:BYTE_0 src1_sel:DWORD
	s_mov_b64 s[4:5], -1
                                        ; implicit-def: $sgpr10
	s_and_saveexec_b64 s[8:9], s[12:13]
; %bb.3338:
	s_mov_b32 s10, 0x7f800001
	s_xor_b64 s[4:5], exec, -1
; %bb.3339:
	s_or_b64 exec, exec, s[8:9]
	s_and_b64 s[4:5], s[4:5], exec
	s_or_saveexec_b64 s[6:7], s[6:7]
	v_mov_b32_e32 v12, s10
	s_xor_b64 exec, exec, s[6:7]
	s_cbranch_execz .LBB14_1290
.LBB14_3340:
	v_mov_b32_e32 v12, 0
	v_cmp_ne_u16_sdwa s[8:9], v13, v12 src0_sel:BYTE_0 src1_sel:DWORD
	s_andn2_b64 s[4:5], s[4:5], exec
	s_and_b64 s[8:9], s[8:9], exec
	s_or_b64 s[4:5], s[4:5], s[8:9]
	s_or_b64 exec, exec, s[6:7]
	s_and_saveexec_b64 s[6:7], s[4:5]
	s_cbranch_execnz .LBB14_1291
	s_branch .LBB14_1292
.LBB14_3341:
	s_movk_i32 s4, 0x80
	v_cmp_eq_u16_sdwa s[12:13], v13, s4 src0_sel:BYTE_0 src1_sel:DWORD
	s_mov_b64 s[4:5], -1
                                        ; implicit-def: $sgpr10
	s_and_saveexec_b64 s[8:9], s[12:13]
; %bb.3342:
	s_mov_b32 s10, 0x7f800001
	s_xor_b64 s[4:5], exec, -1
; %bb.3343:
	s_or_b64 exec, exec, s[8:9]
	s_and_b64 s[4:5], s[4:5], exec
	s_or_saveexec_b64 s[6:7], s[6:7]
	v_mov_b32_e32 v14, s10
	s_xor_b64 exec, exec, s[6:7]
	s_cbranch_execz .LBB14_1294
.LBB14_3344:
	v_mov_b32_e32 v14, 0
	v_cmp_ne_u16_sdwa s[8:9], v13, v14 src0_sel:BYTE_0 src1_sel:DWORD
	s_andn2_b64 s[4:5], s[4:5], exec
	s_and_b64 s[8:9], s[8:9], exec
	s_or_b64 s[4:5], s[4:5], s[8:9]
	s_or_b64 exec, exec, s[6:7]
	s_and_saveexec_b64 s[6:7], s[4:5]
	s_cbranch_execnz .LBB14_1295
	s_branch .LBB14_1296
.LBB14_3345:
	s_movk_i32 s4, 0x80
	v_cmp_eq_u16_e32 vcc, s4, v13
	s_mov_b64 s[4:5], -1
                                        ; implicit-def: $sgpr10
	s_and_saveexec_b64 s[8:9], vcc
; %bb.3346:
	s_mov_b32 s10, 0x7f800001
	s_xor_b64 s[4:5], exec, -1
; %bb.3347:
	s_or_b64 exec, exec, s[8:9]
	s_and_b64 s[4:5], s[4:5], exec
                                        ; implicit-def: $vgpr13
	s_or_saveexec_b64 s[6:7], s[6:7]
	v_mov_b32_e32 v12, s10
	s_xor_b64 exec, exec, s[6:7]
	s_cbranch_execz .LBB14_1298
.LBB14_3348:
	v_cmp_ne_u16_e32 vcc, 0, v13
	s_andn2_b64 s[4:5], s[4:5], exec
	s_and_b64 s[8:9], vcc, exec
	v_mov_b32_e32 v12, 0
	s_or_b64 s[4:5], s[4:5], s[8:9]
	s_or_b64 exec, exec, s[6:7]
	s_and_saveexec_b64 s[6:7], s[4:5]
	s_cbranch_execnz .LBB14_1299
	s_branch .LBB14_1300
.LBB14_3349:
	s_movk_i32 s4, 0x80
	v_cmp_eq_u16_e32 vcc, s4, v13
	s_mov_b64 s[4:5], -1
                                        ; implicit-def: $sgpr10
	s_and_saveexec_b64 s[8:9], vcc
; %bb.3350:
	s_mov_b32 s10, 0x7f800001
	s_xor_b64 s[4:5], exec, -1
; %bb.3351:
	s_or_b64 exec, exec, s[8:9]
	s_and_b64 s[4:5], s[4:5], exec
                                        ; implicit-def: $vgpr13
	s_or_saveexec_b64 s[6:7], s[6:7]
	v_mov_b32_e32 v14, s10
	s_xor_b64 exec, exec, s[6:7]
	s_cbranch_execz .LBB14_1302
.LBB14_3352:
	v_cmp_ne_u16_e32 vcc, 0, v13
	s_andn2_b64 s[4:5], s[4:5], exec
	s_and_b64 s[8:9], vcc, exec
	v_mov_b32_e32 v14, 0
	s_or_b64 s[4:5], s[4:5], s[8:9]
	s_or_b64 exec, exec, s[6:7]
	s_and_saveexec_b64 s[6:7], s[4:5]
	s_cbranch_execnz .LBB14_1303
	s_branch .LBB14_1304
.LBB14_3353:
	s_movk_i32 s4, 0x80
	v_cmp_eq_u16_sdwa s[12:13], v6, s4 src0_sel:BYTE_3 src1_sel:DWORD
	s_mov_b64 s[4:5], -1
                                        ; implicit-def: $sgpr10
	s_and_saveexec_b64 s[8:9], s[12:13]
; %bb.3354:
	s_mov_b32 s10, 0x7f800001
	s_xor_b64 s[4:5], exec, -1
; %bb.3355:
	s_or_b64 exec, exec, s[8:9]
	s_and_b64 s[4:5], s[4:5], exec
	s_or_saveexec_b64 s[6:7], s[6:7]
	v_mov_b32_e32 v12, s10
	s_xor_b64 exec, exec, s[6:7]
	s_cbranch_execz .LBB14_1306
.LBB14_3356:
	v_mov_b32_e32 v12, 0
	v_cmp_ne_u16_sdwa s[8:9], v6, v12 src0_sel:BYTE_3 src1_sel:DWORD
	s_andn2_b64 s[4:5], s[4:5], exec
	s_and_b64 s[8:9], s[8:9], exec
	s_or_b64 s[4:5], s[4:5], s[8:9]
	s_or_b64 exec, exec, s[6:7]
	s_and_saveexec_b64 s[6:7], s[4:5]
	s_cbranch_execnz .LBB14_1307
	s_branch .LBB14_1308
.LBB14_3357:
	s_movk_i32 s4, 0x80
	v_cmp_eq_u16_sdwa s[12:13], v2, s4 src0_sel:BYTE_3 src1_sel:DWORD
	s_mov_b64 s[4:5], -1
                                        ; implicit-def: $sgpr10
	s_and_saveexec_b64 s[8:9], s[12:13]
; %bb.3358:
	s_mov_b32 s10, 0x7f800001
	s_xor_b64 s[4:5], exec, -1
; %bb.3359:
	s_or_b64 exec, exec, s[8:9]
	s_and_b64 s[4:5], s[4:5], exec
	s_or_saveexec_b64 s[6:7], s[6:7]
	v_mov_b32_e32 v6, s10
	s_xor_b64 exec, exec, s[6:7]
	s_cbranch_execz .LBB14_1310
.LBB14_3360:
	v_mov_b32_e32 v6, 0
	v_cmp_ne_u16_sdwa s[8:9], v2, v6 src0_sel:BYTE_3 src1_sel:DWORD
	s_andn2_b64 s[4:5], s[4:5], exec
	s_and_b64 s[8:9], s[8:9], exec
	s_or_b64 s[4:5], s[4:5], s[8:9]
	s_or_b64 exec, exec, s[6:7]
	s_and_saveexec_b64 s[6:7], s[4:5]
	s_cbranch_execnz .LBB14_1311
	s_branch .LBB14_1312
.LBB14_3361:
	s_movk_i32 s4, 0x80
	v_cmp_eq_u16_sdwa s[12:13], v7, s4 src0_sel:BYTE_0 src1_sel:DWORD
	s_mov_b64 s[4:5], -1
                                        ; implicit-def: $sgpr10
	s_and_saveexec_b64 s[8:9], s[12:13]
; %bb.3362:
	s_mov_b32 s10, 0x7f800001
	s_xor_b64 s[4:5], exec, -1
; %bb.3363:
	s_or_b64 exec, exec, s[8:9]
	s_and_b64 s[4:5], s[4:5], exec
	s_or_saveexec_b64 s[6:7], s[6:7]
	v_mov_b32_e32 v2, s10
	s_xor_b64 exec, exec, s[6:7]
	s_cbranch_execz .LBB14_1314
.LBB14_3364:
	v_mov_b32_e32 v2, 0
	v_cmp_ne_u16_sdwa s[8:9], v7, v2 src0_sel:BYTE_0 src1_sel:DWORD
	s_andn2_b64 s[4:5], s[4:5], exec
	s_and_b64 s[8:9], s[8:9], exec
	s_or_b64 s[4:5], s[4:5], s[8:9]
	s_or_b64 exec, exec, s[6:7]
	s_and_saveexec_b64 s[6:7], s[4:5]
	s_cbranch_execnz .LBB14_1315
	s_branch .LBB14_1316
.LBB14_3365:
	s_movk_i32 s4, 0x80
	v_cmp_eq_u16_sdwa s[12:13], v3, s4 src0_sel:BYTE_0 src1_sel:DWORD
	s_mov_b64 s[4:5], -1
                                        ; implicit-def: $sgpr10
	s_and_saveexec_b64 s[8:9], s[12:13]
; %bb.3366:
	s_mov_b32 s10, 0x7f800001
	s_xor_b64 s[4:5], exec, -1
; %bb.3367:
	s_or_b64 exec, exec, s[8:9]
	s_and_b64 s[4:5], s[4:5], exec
	s_or_saveexec_b64 s[6:7], s[6:7]
	v_mov_b32_e32 v6, s10
	s_xor_b64 exec, exec, s[6:7]
	s_cbranch_execz .LBB14_1318
.LBB14_3368:
	v_mov_b32_e32 v6, 0
	v_cmp_ne_u16_sdwa s[8:9], v3, v6 src0_sel:BYTE_0 src1_sel:DWORD
	s_andn2_b64 s[4:5], s[4:5], exec
	s_and_b64 s[8:9], s[8:9], exec
	s_or_b64 s[4:5], s[4:5], s[8:9]
	s_or_b64 exec, exec, s[6:7]
	s_and_saveexec_b64 s[6:7], s[4:5]
	s_cbranch_execnz .LBB14_1319
	s_branch .LBB14_1320
.LBB14_3369:
	s_movk_i32 s4, 0x80
	v_cmp_eq_u16_sdwa s[12:13], v6, s4 src0_sel:BYTE_0 src1_sel:DWORD
	s_mov_b64 s[4:5], -1
                                        ; implicit-def: $sgpr10
	s_and_saveexec_b64 s[8:9], s[12:13]
; %bb.3370:
	s_mov_b32 s10, 0x7f800001
	s_xor_b64 s[4:5], exec, -1
; %bb.3371:
	s_or_b64 exec, exec, s[8:9]
	s_and_b64 s[4:5], s[4:5], exec
	s_or_saveexec_b64 s[6:7], s[6:7]
	v_mov_b32_e32 v2, s10
	s_xor_b64 exec, exec, s[6:7]
	s_cbranch_execz .LBB14_1322
.LBB14_3372:
	v_mov_b32_e32 v2, 0
	v_cmp_ne_u16_sdwa s[8:9], v6, v2 src0_sel:BYTE_0 src1_sel:DWORD
	s_andn2_b64 s[4:5], s[4:5], exec
	s_and_b64 s[8:9], s[8:9], exec
	s_or_b64 s[4:5], s[4:5], s[8:9]
	s_or_b64 exec, exec, s[6:7]
	s_and_saveexec_b64 s[6:7], s[4:5]
	s_cbranch_execnz .LBB14_1323
	s_branch .LBB14_1324
.LBB14_3373:
	s_movk_i32 s4, 0x80
	v_cmp_eq_u16_sdwa s[12:13], v6, s4 src0_sel:BYTE_0 src1_sel:DWORD
	s_mov_b64 s[4:5], -1
                                        ; implicit-def: $sgpr10
	s_and_saveexec_b64 s[8:9], s[12:13]
; %bb.3374:
	s_mov_b32 s10, 0x7f800001
	s_xor_b64 s[4:5], exec, -1
; %bb.3375:
	s_or_b64 exec, exec, s[8:9]
	s_and_b64 s[4:5], s[4:5], exec
	s_or_saveexec_b64 s[6:7], s[6:7]
	v_mov_b32_e32 v12, s10
	s_xor_b64 exec, exec, s[6:7]
	s_cbranch_execz .LBB14_1326
.LBB14_3376:
	v_mov_b32_e32 v12, 0
	v_cmp_ne_u16_sdwa s[8:9], v6, v12 src0_sel:BYTE_0 src1_sel:DWORD
	s_andn2_b64 s[4:5], s[4:5], exec
	s_and_b64 s[8:9], s[8:9], exec
	s_or_b64 s[4:5], s[4:5], s[8:9]
	s_or_b64 exec, exec, s[6:7]
	s_and_saveexec_b64 s[6:7], s[4:5]
	s_cbranch_execnz .LBB14_1327
	s_branch .LBB14_1328
.LBB14_3377:
	s_movk_i32 s4, 0x80
	v_cmp_eq_u16_e32 vcc, s4, v6
	s_mov_b64 s[4:5], -1
                                        ; implicit-def: $sgpr10
	s_and_saveexec_b64 s[8:9], vcc
; %bb.3378:
	s_mov_b32 s10, 0x7f800001
	s_xor_b64 s[4:5], exec, -1
; %bb.3379:
	s_or_b64 exec, exec, s[8:9]
	s_and_b64 s[4:5], s[4:5], exec
                                        ; implicit-def: $vgpr6
	s_or_saveexec_b64 s[6:7], s[6:7]
	v_mov_b32_e32 v2, s10
	s_xor_b64 exec, exec, s[6:7]
	s_cbranch_execz .LBB14_1330
.LBB14_3380:
	v_cmp_ne_u16_e32 vcc, 0, v6
	s_andn2_b64 s[4:5], s[4:5], exec
	s_and_b64 s[8:9], vcc, exec
	v_mov_b32_e32 v2, 0
	s_or_b64 s[4:5], s[4:5], s[8:9]
	s_or_b64 exec, exec, s[6:7]
	s_and_saveexec_b64 s[6:7], s[4:5]
	s_cbranch_execnz .LBB14_1331
	s_branch .LBB14_1332
.LBB14_3381:
	s_movk_i32 s4, 0x80
	v_cmp_eq_u16_e32 vcc, s4, v6
	s_mov_b64 s[4:5], -1
                                        ; implicit-def: $sgpr10
	s_and_saveexec_b64 s[8:9], vcc
; %bb.3382:
	s_mov_b32 s10, 0x7f800001
	s_xor_b64 s[4:5], exec, -1
; %bb.3383:
	s_or_b64 exec, exec, s[8:9]
	s_and_b64 s[4:5], s[4:5], exec
                                        ; implicit-def: $vgpr6
	s_or_saveexec_b64 s[6:7], s[6:7]
	v_mov_b32_e32 v12, s10
	s_xor_b64 exec, exec, s[6:7]
	s_cbranch_execz .LBB14_1334
.LBB14_3384:
	v_cmp_ne_u16_e32 vcc, 0, v6
	s_andn2_b64 s[4:5], s[4:5], exec
	s_and_b64 s[8:9], vcc, exec
	v_mov_b32_e32 v12, 0
	s_or_b64 s[4:5], s[4:5], s[8:9]
	s_or_b64 exec, exec, s[6:7]
	s_and_saveexec_b64 s[6:7], s[4:5]
	s_cbranch_execnz .LBB14_1335
	s_branch .LBB14_1336
.LBB14_3385:
	s_movk_i32 s4, 0x80
	v_cmp_eq_u16_sdwa s[12:13], v7, s4 src0_sel:BYTE_3 src1_sel:DWORD
	s_mov_b64 s[4:5], -1
                                        ; implicit-def: $sgpr10
	s_and_saveexec_b64 s[8:9], s[12:13]
; %bb.3386:
	s_mov_b32 s10, 0x7f800001
	s_xor_b64 s[4:5], exec, -1
; %bb.3387:
	s_or_b64 exec, exec, s[8:9]
	s_and_b64 s[4:5], s[4:5], exec
	s_or_saveexec_b64 s[6:7], s[6:7]
	v_mov_b32_e32 v2, s10
	s_xor_b64 exec, exec, s[6:7]
	s_cbranch_execz .LBB14_1338
.LBB14_3388:
	v_mov_b32_e32 v2, 0
	v_cmp_ne_u16_sdwa s[8:9], v7, v2 src0_sel:BYTE_3 src1_sel:DWORD
	s_andn2_b64 s[4:5], s[4:5], exec
	s_and_b64 s[8:9], s[8:9], exec
	s_or_b64 s[4:5], s[4:5], s[8:9]
	s_or_b64 exec, exec, s[6:7]
	s_and_saveexec_b64 s[6:7], s[4:5]
	s_cbranch_execnz .LBB14_1339
	s_branch .LBB14_1340
.LBB14_3389:
	s_movk_i32 s4, 0x80
	v_cmp_eq_u16_sdwa s[12:13], v3, s4 src0_sel:BYTE_3 src1_sel:DWORD
	s_mov_b64 s[4:5], -1
                                        ; implicit-def: $sgpr10
	s_and_saveexec_b64 s[8:9], s[12:13]
; %bb.3390:
	s_mov_b32 s10, 0x7f800001
	s_xor_b64 s[4:5], exec, -1
; %bb.3391:
	s_or_b64 exec, exec, s[8:9]
	s_and_b64 s[4:5], s[4:5], exec
	s_or_saveexec_b64 s[6:7], s[6:7]
	v_mov_b32_e32 v6, s10
	s_xor_b64 exec, exec, s[6:7]
	s_cbranch_execz .LBB14_1342
.LBB14_3392:
	v_mov_b32_e32 v6, 0
	v_cmp_ne_u16_sdwa s[8:9], v3, v6 src0_sel:BYTE_3 src1_sel:DWORD
	s_andn2_b64 s[4:5], s[4:5], exec
	s_and_b64 s[8:9], s[8:9], exec
	s_or_b64 s[4:5], s[4:5], s[8:9]
	s_or_b64 exec, exec, s[6:7]
	s_and_saveexec_b64 s[6:7], s[4:5]
	s_cbranch_execnz .LBB14_1343
	s_branch .LBB14_1344
.LBB14_3393:
	s_movk_i32 s4, 0x80
	v_cmp_eq_u16_sdwa s[12:13], v8, s4 src0_sel:BYTE_0 src1_sel:DWORD
	s_mov_b64 s[4:5], -1
                                        ; implicit-def: $sgpr10
	s_and_saveexec_b64 s[8:9], s[12:13]
; %bb.3394:
	s_mov_b32 s10, 0x7f800001
	s_xor_b64 s[4:5], exec, -1
; %bb.3395:
	s_or_b64 exec, exec, s[8:9]
	s_and_b64 s[4:5], s[4:5], exec
	s_or_saveexec_b64 s[6:7], s[6:7]
	v_mov_b32_e32 v2, s10
	s_xor_b64 exec, exec, s[6:7]
	s_cbranch_execz .LBB14_1346
.LBB14_3396:
	v_mov_b32_e32 v2, 0
	v_cmp_ne_u16_sdwa s[8:9], v8, v2 src0_sel:BYTE_0 src1_sel:DWORD
	s_andn2_b64 s[4:5], s[4:5], exec
	s_and_b64 s[8:9], s[8:9], exec
	s_or_b64 s[4:5], s[4:5], s[8:9]
	s_or_b64 exec, exec, s[6:7]
	s_and_saveexec_b64 s[6:7], s[4:5]
	s_cbranch_execnz .LBB14_1347
	s_branch .LBB14_1348
.LBB14_3397:
	s_movk_i32 s4, 0x80
	v_cmp_eq_u16_sdwa s[12:13], v4, s4 src0_sel:BYTE_0 src1_sel:DWORD
	s_mov_b64 s[4:5], -1
                                        ; implicit-def: $sgpr10
	s_and_saveexec_b64 s[8:9], s[12:13]
; %bb.3398:
	s_mov_b32 s10, 0x7f800001
	s_xor_b64 s[4:5], exec, -1
; %bb.3399:
	s_or_b64 exec, exec, s[8:9]
	s_and_b64 s[4:5], s[4:5], exec
	s_or_saveexec_b64 s[6:7], s[6:7]
	v_mov_b32_e32 v3, s10
	s_xor_b64 exec, exec, s[6:7]
	s_cbranch_execz .LBB14_1350
.LBB14_3400:
	v_mov_b32_e32 v3, 0
	v_cmp_ne_u16_sdwa s[8:9], v4, v3 src0_sel:BYTE_0 src1_sel:DWORD
	s_andn2_b64 s[4:5], s[4:5], exec
	s_and_b64 s[8:9], s[8:9], exec
	s_or_b64 s[4:5], s[4:5], s[8:9]
	s_or_b64 exec, exec, s[6:7]
	s_and_saveexec_b64 s[6:7], s[4:5]
	s_cbranch_execnz .LBB14_1351
	s_branch .LBB14_1352
.LBB14_3401:
	s_movk_i32 s4, 0x80
	v_cmp_eq_u16_sdwa s[12:13], v3, s4 src0_sel:BYTE_0 src1_sel:DWORD
	s_mov_b64 s[4:5], -1
                                        ; implicit-def: $sgpr10
	s_and_saveexec_b64 s[8:9], s[12:13]
; %bb.3402:
	s_mov_b32 s10, 0x7f800001
	s_xor_b64 s[4:5], exec, -1
; %bb.3403:
	s_or_b64 exec, exec, s[8:9]
	s_and_b64 s[4:5], s[4:5], exec
	s_or_saveexec_b64 s[6:7], s[6:7]
	v_mov_b32_e32 v2, s10
	s_xor_b64 exec, exec, s[6:7]
	s_cbranch_execz .LBB14_1354
.LBB14_3404:
	v_mov_b32_e32 v2, 0
	v_cmp_ne_u16_sdwa s[8:9], v3, v2 src0_sel:BYTE_0 src1_sel:DWORD
	s_andn2_b64 s[4:5], s[4:5], exec
	s_and_b64 s[8:9], s[8:9], exec
	s_or_b64 s[4:5], s[4:5], s[8:9]
	s_or_b64 exec, exec, s[6:7]
	s_and_saveexec_b64 s[6:7], s[4:5]
	s_cbranch_execnz .LBB14_1355
	s_branch .LBB14_1356
.LBB14_3405:
	s_movk_i32 s4, 0x80
	v_cmp_eq_u16_sdwa s[12:13], v3, s4 src0_sel:BYTE_0 src1_sel:DWORD
	s_mov_b64 s[4:5], -1
                                        ; implicit-def: $sgpr10
	s_and_saveexec_b64 s[8:9], s[12:13]
; %bb.3406:
	s_mov_b32 s10, 0x7f800001
	s_xor_b64 s[4:5], exec, -1
; %bb.3407:
	s_or_b64 exec, exec, s[8:9]
	s_and_b64 s[4:5], s[4:5], exec
	s_or_saveexec_b64 s[6:7], s[6:7]
	v_mov_b32_e32 v6, s10
	s_xor_b64 exec, exec, s[6:7]
	s_cbranch_execz .LBB14_1358
.LBB14_3408:
	v_mov_b32_e32 v6, 0
	v_cmp_ne_u16_sdwa s[8:9], v3, v6 src0_sel:BYTE_0 src1_sel:DWORD
	s_andn2_b64 s[4:5], s[4:5], exec
	s_and_b64 s[8:9], s[8:9], exec
	s_or_b64 s[4:5], s[4:5], s[8:9]
	s_or_b64 exec, exec, s[6:7]
	s_and_saveexec_b64 s[6:7], s[4:5]
	s_cbranch_execnz .LBB14_1359
	s_branch .LBB14_1360
.LBB14_3409:
	s_movk_i32 s4, 0x80
	v_cmp_eq_u16_e32 vcc, s4, v3
	s_mov_b64 s[4:5], -1
                                        ; implicit-def: $sgpr10
	s_and_saveexec_b64 s[8:9], vcc
; %bb.3410:
	s_mov_b32 s10, 0x7f800001
	s_xor_b64 s[4:5], exec, -1
; %bb.3411:
	s_or_b64 exec, exec, s[8:9]
	s_and_b64 s[4:5], s[4:5], exec
                                        ; implicit-def: $vgpr3
	s_or_saveexec_b64 s[6:7], s[6:7]
	v_mov_b32_e32 v2, s10
	s_xor_b64 exec, exec, s[6:7]
	s_cbranch_execz .LBB14_1362
.LBB14_3412:
	v_cmp_ne_u16_e32 vcc, 0, v3
	s_andn2_b64 s[4:5], s[4:5], exec
	s_and_b64 s[8:9], vcc, exec
	v_mov_b32_e32 v2, 0
	s_or_b64 s[4:5], s[4:5], s[8:9]
	s_or_b64 exec, exec, s[6:7]
	s_and_saveexec_b64 s[6:7], s[4:5]
	s_cbranch_execnz .LBB14_1363
	s_branch .LBB14_1364
.LBB14_3413:
	s_movk_i32 s4, 0x80
	v_cmp_eq_u16_e32 vcc, s4, v3
	s_mov_b64 s[4:5], -1
                                        ; implicit-def: $sgpr10
	s_and_saveexec_b64 s[8:9], vcc
; %bb.3414:
	s_mov_b32 s10, 0x7f800001
	s_xor_b64 s[4:5], exec, -1
; %bb.3415:
	s_or_b64 exec, exec, s[8:9]
	s_and_b64 s[4:5], s[4:5], exec
                                        ; implicit-def: $vgpr3
	s_or_saveexec_b64 s[6:7], s[6:7]
	v_mov_b32_e32 v6, s10
	s_xor_b64 exec, exec, s[6:7]
	s_cbranch_execz .LBB14_1366
.LBB14_3416:
	v_cmp_ne_u16_e32 vcc, 0, v3
	s_andn2_b64 s[4:5], s[4:5], exec
	s_and_b64 s[8:9], vcc, exec
	v_mov_b32_e32 v6, 0
	s_or_b64 s[4:5], s[4:5], s[8:9]
	s_or_b64 exec, exec, s[6:7]
	s_and_saveexec_b64 s[6:7], s[4:5]
	s_cbranch_execnz .LBB14_1367
	s_branch .LBB14_1368
.LBB14_3417:
	s_movk_i32 s4, 0x80
	v_cmp_eq_u16_sdwa s[12:13], v8, s4 src0_sel:BYTE_3 src1_sel:DWORD
	s_mov_b64 s[4:5], -1
                                        ; implicit-def: $sgpr10
	s_and_saveexec_b64 s[8:9], s[12:13]
; %bb.3418:
	s_mov_b32 s10, 0x7f800001
	s_xor_b64 s[4:5], exec, -1
; %bb.3419:
	s_or_b64 exec, exec, s[8:9]
	s_and_b64 s[4:5], s[4:5], exec
	s_or_saveexec_b64 s[6:7], s[6:7]
	v_mov_b32_e32 v2, s10
	s_xor_b64 exec, exec, s[6:7]
	s_cbranch_execz .LBB14_1370
.LBB14_3420:
	v_mov_b32_e32 v2, 0
	v_cmp_ne_u16_sdwa s[8:9], v8, v2 src0_sel:BYTE_3 src1_sel:DWORD
	s_andn2_b64 s[4:5], s[4:5], exec
	s_and_b64 s[8:9], s[8:9], exec
	s_or_b64 s[4:5], s[4:5], s[8:9]
	s_or_b64 exec, exec, s[6:7]
	s_and_saveexec_b64 s[6:7], s[4:5]
	s_cbranch_execnz .LBB14_1371
	s_branch .LBB14_1372
.LBB14_3421:
	s_movk_i32 s4, 0x80
	v_cmp_eq_u16_sdwa s[12:13], v4, s4 src0_sel:BYTE_3 src1_sel:DWORD
	s_mov_b64 s[4:5], -1
                                        ; implicit-def: $sgpr10
	s_and_saveexec_b64 s[8:9], s[12:13]
; %bb.3422:
	s_mov_b32 s10, 0x7f800001
	s_xor_b64 s[4:5], exec, -1
; %bb.3423:
	s_or_b64 exec, exec, s[8:9]
	s_and_b64 s[4:5], s[4:5], exec
	s_or_saveexec_b64 s[6:7], s[6:7]
	v_mov_b32_e32 v3, s10
	s_xor_b64 exec, exec, s[6:7]
	s_cbranch_execz .LBB14_1374
.LBB14_3424:
	v_mov_b32_e32 v3, 0
	v_cmp_ne_u16_sdwa s[8:9], v4, v3 src0_sel:BYTE_3 src1_sel:DWORD
	s_andn2_b64 s[4:5], s[4:5], exec
	s_and_b64 s[8:9], s[8:9], exec
	s_or_b64 s[4:5], s[4:5], s[8:9]
	s_or_b64 exec, exec, s[6:7]
	s_and_saveexec_b64 s[6:7], s[4:5]
	s_cbranch_execnz .LBB14_1375
	s_branch .LBB14_1376
.LBB14_3425:
	s_movk_i32 s4, 0x80
	v_cmp_eq_u16_sdwa s[12:13], v9, s4 src0_sel:BYTE_0 src1_sel:DWORD
	s_mov_b64 s[4:5], -1
                                        ; implicit-def: $sgpr10
	s_and_saveexec_b64 s[8:9], s[12:13]
; %bb.3426:
	s_mov_b32 s10, 0x7f800001
	s_xor_b64 s[4:5], exec, -1
; %bb.3427:
	s_or_b64 exec, exec, s[8:9]
	s_and_b64 s[4:5], s[4:5], exec
	s_or_saveexec_b64 s[6:7], s[6:7]
	v_mov_b32_e32 v2, s10
	s_xor_b64 exec, exec, s[6:7]
	s_cbranch_execz .LBB14_1378
.LBB14_3428:
	v_mov_b32_e32 v2, 0
	v_cmp_ne_u16_sdwa s[8:9], v9, v2 src0_sel:BYTE_0 src1_sel:DWORD
	s_andn2_b64 s[4:5], s[4:5], exec
	s_and_b64 s[8:9], s[8:9], exec
	s_or_b64 s[4:5], s[4:5], s[8:9]
	s_or_b64 exec, exec, s[6:7]
	s_and_saveexec_b64 s[6:7], s[4:5]
	s_cbranch_execnz .LBB14_1379
	s_branch .LBB14_1380
.LBB14_3429:
	s_movk_i32 s4, 0x80
	v_cmp_eq_u16_sdwa s[12:13], v5, s4 src0_sel:BYTE_0 src1_sel:DWORD
	s_mov_b64 s[4:5], -1
                                        ; implicit-def: $sgpr10
	s_and_saveexec_b64 s[8:9], s[12:13]
; %bb.3430:
	s_mov_b32 s10, 0x7f800001
	s_xor_b64 s[4:5], exec, -1
; %bb.3431:
	s_or_b64 exec, exec, s[8:9]
	s_and_b64 s[4:5], s[4:5], exec
	s_or_saveexec_b64 s[6:7], s[6:7]
	v_mov_b32_e32 v3, s10
	s_xor_b64 exec, exec, s[6:7]
	s_cbranch_execz .LBB14_1382
.LBB14_3432:
	v_mov_b32_e32 v3, 0
	v_cmp_ne_u16_sdwa s[8:9], v5, v3 src0_sel:BYTE_0 src1_sel:DWORD
	s_andn2_b64 s[4:5], s[4:5], exec
	s_and_b64 s[8:9], s[8:9], exec
	s_or_b64 s[4:5], s[4:5], s[8:9]
	s_or_b64 exec, exec, s[6:7]
	s_and_saveexec_b64 s[6:7], s[4:5]
	s_cbranch_execnz .LBB14_1383
	s_branch .LBB14_1384
.LBB14_3433:
	s_movk_i32 s4, 0x80
	v_cmp_eq_u16_sdwa s[12:13], v3, s4 src0_sel:BYTE_0 src1_sel:DWORD
	s_mov_b64 s[4:5], -1
                                        ; implicit-def: $sgpr10
	s_and_saveexec_b64 s[8:9], s[12:13]
; %bb.3434:
	s_mov_b32 s10, 0x7f800001
	s_xor_b64 s[4:5], exec, -1
; %bb.3435:
	s_or_b64 exec, exec, s[8:9]
	s_and_b64 s[4:5], s[4:5], exec
	s_or_saveexec_b64 s[6:7], s[6:7]
	v_mov_b32_e32 v2, s10
	s_xor_b64 exec, exec, s[6:7]
	s_cbranch_execz .LBB14_1386
.LBB14_3436:
	v_mov_b32_e32 v2, 0
	v_cmp_ne_u16_sdwa s[8:9], v3, v2 src0_sel:BYTE_0 src1_sel:DWORD
	s_andn2_b64 s[4:5], s[4:5], exec
	s_and_b64 s[8:9], s[8:9], exec
	s_or_b64 s[4:5], s[4:5], s[8:9]
	s_or_b64 exec, exec, s[6:7]
	s_and_saveexec_b64 s[6:7], s[4:5]
	s_cbranch_execnz .LBB14_1387
	s_branch .LBB14_1388
.LBB14_3437:
	s_movk_i32 s4, 0x80
	v_cmp_eq_u16_sdwa s[12:13], v3, s4 src0_sel:BYTE_0 src1_sel:DWORD
	s_mov_b64 s[4:5], -1
                                        ; implicit-def: $sgpr10
	s_and_saveexec_b64 s[8:9], s[12:13]
; %bb.3438:
	s_mov_b32 s10, 0x7f800001
	s_xor_b64 s[4:5], exec, -1
; %bb.3439:
	s_or_b64 exec, exec, s[8:9]
	s_and_b64 s[4:5], s[4:5], exec
	s_or_saveexec_b64 s[6:7], s[6:7]
	v_mov_b32_e32 v4, s10
	s_xor_b64 exec, exec, s[6:7]
	s_cbranch_execz .LBB14_1390
.LBB14_3440:
	v_mov_b32_e32 v4, 0
	v_cmp_ne_u16_sdwa s[8:9], v3, v4 src0_sel:BYTE_0 src1_sel:DWORD
	s_andn2_b64 s[4:5], s[4:5], exec
	s_and_b64 s[8:9], s[8:9], exec
	s_or_b64 s[4:5], s[4:5], s[8:9]
	s_or_b64 exec, exec, s[6:7]
	s_and_saveexec_b64 s[6:7], s[4:5]
	s_cbranch_execnz .LBB14_1391
	s_branch .LBB14_1392
.LBB14_3441:
	s_movk_i32 s4, 0x80
	v_cmp_eq_u16_e32 vcc, s4, v3
	s_mov_b64 s[4:5], -1
                                        ; implicit-def: $sgpr10
	s_and_saveexec_b64 s[8:9], vcc
; %bb.3442:
	s_mov_b32 s10, 0x7f800001
	s_xor_b64 s[4:5], exec, -1
; %bb.3443:
	s_or_b64 exec, exec, s[8:9]
	s_and_b64 s[4:5], s[4:5], exec
                                        ; implicit-def: $vgpr3
	s_or_saveexec_b64 s[6:7], s[6:7]
	v_mov_b32_e32 v2, s10
	s_xor_b64 exec, exec, s[6:7]
	s_cbranch_execz .LBB14_1394
.LBB14_3444:
	v_cmp_ne_u16_e32 vcc, 0, v3
	s_andn2_b64 s[4:5], s[4:5], exec
	s_and_b64 s[8:9], vcc, exec
	v_mov_b32_e32 v2, 0
	s_or_b64 s[4:5], s[4:5], s[8:9]
	s_or_b64 exec, exec, s[6:7]
	s_and_saveexec_b64 s[6:7], s[4:5]
	s_cbranch_execnz .LBB14_1395
	s_branch .LBB14_1396
.LBB14_3445:
	s_movk_i32 s4, 0x80
	v_cmp_eq_u16_e32 vcc, s4, v3
	s_mov_b64 s[4:5], -1
                                        ; implicit-def: $sgpr10
	s_and_saveexec_b64 s[8:9], vcc
; %bb.3446:
	s_mov_b32 s10, 0x7f800001
	s_xor_b64 s[4:5], exec, -1
; %bb.3447:
	s_or_b64 exec, exec, s[8:9]
	s_and_b64 s[4:5], s[4:5], exec
                                        ; implicit-def: $vgpr3
	s_or_saveexec_b64 s[6:7], s[6:7]
	v_mov_b32_e32 v4, s10
	s_xor_b64 exec, exec, s[6:7]
	s_cbranch_execz .LBB14_1398
.LBB14_3448:
	v_cmp_ne_u16_e32 vcc, 0, v3
	s_andn2_b64 s[4:5], s[4:5], exec
	s_and_b64 s[8:9], vcc, exec
	v_mov_b32_e32 v4, 0
	s_or_b64 s[4:5], s[4:5], s[8:9]
	s_or_b64 exec, exec, s[6:7]
	s_and_saveexec_b64 s[6:7], s[4:5]
	s_cbranch_execnz .LBB14_1399
	s_branch .LBB14_1400
.LBB14_3449:
	s_movk_i32 s4, 0x80
	v_cmp_eq_u16_sdwa s[12:13], v9, s4 src0_sel:BYTE_3 src1_sel:DWORD
	s_mov_b64 s[4:5], -1
                                        ; implicit-def: $sgpr10
	s_and_saveexec_b64 s[8:9], s[12:13]
; %bb.3450:
	s_mov_b32 s10, 0x7f800001
	s_xor_b64 s[4:5], exec, -1
; %bb.3451:
	s_or_b64 exec, exec, s[8:9]
	s_and_b64 s[4:5], s[4:5], exec
	s_or_saveexec_b64 s[6:7], s[6:7]
	v_mov_b32_e32 v2, s10
	s_xor_b64 exec, exec, s[6:7]
	s_cbranch_execz .LBB14_1402
.LBB14_3452:
	v_mov_b32_e32 v2, 0
	v_cmp_ne_u16_sdwa s[8:9], v9, v2 src0_sel:BYTE_3 src1_sel:DWORD
	s_andn2_b64 s[4:5], s[4:5], exec
	s_and_b64 s[8:9], s[8:9], exec
	s_or_b64 s[4:5], s[4:5], s[8:9]
	s_or_b64 exec, exec, s[6:7]
	s_and_saveexec_b64 s[6:7], s[4:5]
	s_cbranch_execnz .LBB14_1403
	s_branch .LBB14_1404
.LBB14_3453:
	s_movk_i32 s4, 0x80
	v_cmp_eq_u16_sdwa s[12:13], v5, s4 src0_sel:BYTE_3 src1_sel:DWORD
	s_mov_b64 s[4:5], -1
                                        ; implicit-def: $sgpr10
	s_and_saveexec_b64 s[8:9], s[12:13]
; %bb.3454:
	s_mov_b32 s10, 0x7f800001
	s_xor_b64 s[4:5], exec, -1
; %bb.3455:
	s_or_b64 exec, exec, s[8:9]
	s_and_b64 s[4:5], s[4:5], exec
	s_or_saveexec_b64 s[6:7], s[6:7]
	v_mov_b32_e32 v3, s10
	s_xor_b64 exec, exec, s[6:7]
	s_cbranch_execz .LBB14_1406
.LBB14_3456:
	v_mov_b32_e32 v3, 0
	v_cmp_ne_u16_sdwa s[8:9], v5, v3 src0_sel:BYTE_3 src1_sel:DWORD
	s_andn2_b64 s[4:5], s[4:5], exec
	s_and_b64 s[8:9], s[8:9], exec
	s_or_b64 s[4:5], s[4:5], s[8:9]
	s_or_b64 exec, exec, s[6:7]
	s_and_saveexec_b64 s[6:7], s[4:5]
	s_cbranch_execnz .LBB14_1407
	s_branch .LBB14_1408
.LBB14_3457:
	s_movk_i32 s4, 0x80
	v_cmp_eq_u16_sdwa s[12:13], v6, s4 src0_sel:BYTE_0 src1_sel:DWORD
	s_mov_b64 s[4:5], -1
                                        ; implicit-def: $sgpr10
	s_and_saveexec_b64 s[8:9], s[12:13]
; %bb.3458:
	s_mov_b32 s10, 0x7f800001
	s_xor_b64 s[4:5], exec, -1
; %bb.3459:
	s_or_b64 exec, exec, s[8:9]
	s_and_b64 s[4:5], s[4:5], exec
	s_or_saveexec_b64 s[6:7], s[6:7]
	v_mov_b32_e32 v12, s10
	s_xor_b64 exec, exec, s[6:7]
	s_cbranch_execz .LBB14_1410
.LBB14_3460:
	v_mov_b32_e32 v12, 0
	v_cmp_ne_u16_sdwa s[8:9], v6, v12 src0_sel:BYTE_0 src1_sel:DWORD
	s_andn2_b64 s[4:5], s[4:5], exec
	s_and_b64 s[8:9], s[8:9], exec
	s_or_b64 s[4:5], s[4:5], s[8:9]
	s_or_b64 exec, exec, s[6:7]
	s_and_saveexec_b64 s[6:7], s[4:5]
	s_cbranch_execnz .LBB14_1411
	s_branch .LBB14_1412
.LBB14_3461:
	s_movk_i32 s4, 0x80
	v_cmp_eq_u16_sdwa s[12:13], v2, s4 src0_sel:BYTE_0 src1_sel:DWORD
	s_mov_b64 s[4:5], -1
                                        ; implicit-def: $sgpr10
	s_and_saveexec_b64 s[8:9], s[12:13]
; %bb.3462:
	s_mov_b32 s10, 0x7f800001
	s_xor_b64 s[4:5], exec, -1
; %bb.3463:
	s_or_b64 exec, exec, s[8:9]
	s_and_b64 s[4:5], s[4:5], exec
	s_or_saveexec_b64 s[6:7], s[6:7]
	v_mov_b32_e32 v13, s10
	s_xor_b64 exec, exec, s[6:7]
	s_cbranch_execz .LBB14_1414
.LBB14_3464:
	v_mov_b32_e32 v13, 0
	v_cmp_ne_u16_sdwa s[8:9], v2, v13 src0_sel:BYTE_0 src1_sel:DWORD
	s_andn2_b64 s[4:5], s[4:5], exec
	s_and_b64 s[8:9], s[8:9], exec
	s_or_b64 s[4:5], s[4:5], s[8:9]
	s_or_b64 exec, exec, s[6:7]
	s_and_saveexec_b64 s[6:7], s[4:5]
	s_cbranch_execnz .LBB14_1415
	s_branch .LBB14_1416
.LBB14_3465:
	s_movk_i32 s4, 0x80
	v_cmp_eq_u16_sdwa s[12:13], v13, s4 src0_sel:BYTE_0 src1_sel:DWORD
	s_mov_b64 s[4:5], -1
                                        ; implicit-def: $sgpr10
	s_and_saveexec_b64 s[8:9], s[12:13]
; %bb.3466:
	s_mov_b32 s10, 0x7f800001
	s_xor_b64 s[4:5], exec, -1
; %bb.3467:
	s_or_b64 exec, exec, s[8:9]
	s_and_b64 s[4:5], s[4:5], exec
	s_or_saveexec_b64 s[6:7], s[6:7]
	v_mov_b32_e32 v12, s10
	s_xor_b64 exec, exec, s[6:7]
	s_cbranch_execz .LBB14_1418
.LBB14_3468:
	v_mov_b32_e32 v12, 0
	v_cmp_ne_u16_sdwa s[8:9], v13, v12 src0_sel:BYTE_0 src1_sel:DWORD
	s_andn2_b64 s[4:5], s[4:5], exec
	s_and_b64 s[8:9], s[8:9], exec
	s_or_b64 s[4:5], s[4:5], s[8:9]
	s_or_b64 exec, exec, s[6:7]
	s_and_saveexec_b64 s[6:7], s[4:5]
	s_cbranch_execnz .LBB14_1419
	s_branch .LBB14_1420
.LBB14_3469:
	s_movk_i32 s4, 0x80
	v_cmp_eq_u16_sdwa s[12:13], v13, s4 src0_sel:BYTE_0 src1_sel:DWORD
	s_mov_b64 s[4:5], -1
                                        ; implicit-def: $sgpr10
	s_and_saveexec_b64 s[8:9], s[12:13]
; %bb.3470:
	s_mov_b32 s10, 0x7f800001
	s_xor_b64 s[4:5], exec, -1
; %bb.3471:
	s_or_b64 exec, exec, s[8:9]
	s_and_b64 s[4:5], s[4:5], exec
	s_or_saveexec_b64 s[6:7], s[6:7]
	v_mov_b32_e32 v14, s10
	s_xor_b64 exec, exec, s[6:7]
	s_cbranch_execz .LBB14_1422
.LBB14_3472:
	v_mov_b32_e32 v14, 0
	v_cmp_ne_u16_sdwa s[8:9], v13, v14 src0_sel:BYTE_0 src1_sel:DWORD
	s_andn2_b64 s[4:5], s[4:5], exec
	s_and_b64 s[8:9], s[8:9], exec
	s_or_b64 s[4:5], s[4:5], s[8:9]
	s_or_b64 exec, exec, s[6:7]
	s_and_saveexec_b64 s[6:7], s[4:5]
	s_cbranch_execnz .LBB14_1423
	s_branch .LBB14_1424
.LBB14_3473:
	s_movk_i32 s4, 0x80
	v_cmp_eq_u16_e32 vcc, s4, v13
	s_mov_b64 s[4:5], -1
                                        ; implicit-def: $sgpr10
	s_and_saveexec_b64 s[8:9], vcc
; %bb.3474:
	s_mov_b32 s10, 0x7f800001
	s_xor_b64 s[4:5], exec, -1
; %bb.3475:
	s_or_b64 exec, exec, s[8:9]
	s_and_b64 s[4:5], s[4:5], exec
                                        ; implicit-def: $vgpr13
	s_or_saveexec_b64 s[6:7], s[6:7]
	v_mov_b32_e32 v12, s10
	s_xor_b64 exec, exec, s[6:7]
	s_cbranch_execz .LBB14_1426
.LBB14_3476:
	v_cmp_ne_u16_e32 vcc, 0, v13
	s_andn2_b64 s[4:5], s[4:5], exec
	s_and_b64 s[8:9], vcc, exec
	v_mov_b32_e32 v12, 0
	s_or_b64 s[4:5], s[4:5], s[8:9]
	s_or_b64 exec, exec, s[6:7]
	s_and_saveexec_b64 s[6:7], s[4:5]
	s_cbranch_execnz .LBB14_1427
	s_branch .LBB14_1428
.LBB14_3477:
	s_movk_i32 s4, 0x80
	v_cmp_eq_u16_e32 vcc, s4, v13
	s_mov_b64 s[4:5], -1
                                        ; implicit-def: $sgpr10
	s_and_saveexec_b64 s[8:9], vcc
; %bb.3478:
	s_mov_b32 s10, 0x7f800001
	s_xor_b64 s[4:5], exec, -1
; %bb.3479:
	s_or_b64 exec, exec, s[8:9]
	s_and_b64 s[4:5], s[4:5], exec
                                        ; implicit-def: $vgpr13
	s_or_saveexec_b64 s[6:7], s[6:7]
	v_mov_b32_e32 v14, s10
	s_xor_b64 exec, exec, s[6:7]
	s_cbranch_execz .LBB14_1430
.LBB14_3480:
	v_cmp_ne_u16_e32 vcc, 0, v13
	s_andn2_b64 s[4:5], s[4:5], exec
	s_and_b64 s[8:9], vcc, exec
	v_mov_b32_e32 v14, 0
	s_or_b64 s[4:5], s[4:5], s[8:9]
	s_or_b64 exec, exec, s[6:7]
	s_and_saveexec_b64 s[6:7], s[4:5]
	s_cbranch_execnz .LBB14_1431
	s_branch .LBB14_1432
.LBB14_3481:
	s_movk_i32 s4, 0x80
	v_cmp_eq_u16_sdwa s[12:13], v6, s4 src0_sel:BYTE_3 src1_sel:DWORD
	s_mov_b64 s[4:5], -1
                                        ; implicit-def: $sgpr10
	s_and_saveexec_b64 s[8:9], s[12:13]
; %bb.3482:
	s_mov_b32 s10, 0x7f800001
	s_xor_b64 s[4:5], exec, -1
; %bb.3483:
	s_or_b64 exec, exec, s[8:9]
	s_and_b64 s[4:5], s[4:5], exec
	s_or_saveexec_b64 s[6:7], s[6:7]
	v_mov_b32_e32 v12, s10
	s_xor_b64 exec, exec, s[6:7]
	s_cbranch_execz .LBB14_1434
.LBB14_3484:
	v_mov_b32_e32 v12, 0
	v_cmp_ne_u16_sdwa s[8:9], v6, v12 src0_sel:BYTE_3 src1_sel:DWORD
	s_andn2_b64 s[4:5], s[4:5], exec
	s_and_b64 s[8:9], s[8:9], exec
	s_or_b64 s[4:5], s[4:5], s[8:9]
	s_or_b64 exec, exec, s[6:7]
	s_and_saveexec_b64 s[6:7], s[4:5]
	s_cbranch_execnz .LBB14_1435
	s_branch .LBB14_1436
.LBB14_3485:
	s_movk_i32 s4, 0x80
	v_cmp_eq_u16_sdwa s[12:13], v2, s4 src0_sel:BYTE_3 src1_sel:DWORD
	s_mov_b64 s[4:5], -1
                                        ; implicit-def: $sgpr10
	s_and_saveexec_b64 s[8:9], s[12:13]
; %bb.3486:
	s_mov_b32 s10, 0x7f800001
	s_xor_b64 s[4:5], exec, -1
; %bb.3487:
	s_or_b64 exec, exec, s[8:9]
	s_and_b64 s[4:5], s[4:5], exec
	s_or_saveexec_b64 s[6:7], s[6:7]
	v_mov_b32_e32 v6, s10
	s_xor_b64 exec, exec, s[6:7]
	s_cbranch_execz .LBB14_1438
.LBB14_3488:
	v_mov_b32_e32 v6, 0
	v_cmp_ne_u16_sdwa s[8:9], v2, v6 src0_sel:BYTE_3 src1_sel:DWORD
	s_andn2_b64 s[4:5], s[4:5], exec
	s_and_b64 s[8:9], s[8:9], exec
	s_or_b64 s[4:5], s[4:5], s[8:9]
	s_or_b64 exec, exec, s[6:7]
	s_and_saveexec_b64 s[6:7], s[4:5]
	s_cbranch_execnz .LBB14_1439
	s_branch .LBB14_1440
.LBB14_3489:
	s_movk_i32 s4, 0x80
	v_cmp_eq_u16_sdwa s[12:13], v7, s4 src0_sel:BYTE_0 src1_sel:DWORD
	s_mov_b64 s[4:5], -1
                                        ; implicit-def: $sgpr10
	s_and_saveexec_b64 s[8:9], s[12:13]
; %bb.3490:
	s_mov_b32 s10, 0x7f800001
	s_xor_b64 s[4:5], exec, -1
; %bb.3491:
	s_or_b64 exec, exec, s[8:9]
	s_and_b64 s[4:5], s[4:5], exec
	s_or_saveexec_b64 s[6:7], s[6:7]
	v_mov_b32_e32 v2, s10
	s_xor_b64 exec, exec, s[6:7]
	s_cbranch_execz .LBB14_1442
.LBB14_3492:
	v_mov_b32_e32 v2, 0
	v_cmp_ne_u16_sdwa s[8:9], v7, v2 src0_sel:BYTE_0 src1_sel:DWORD
	s_andn2_b64 s[4:5], s[4:5], exec
	s_and_b64 s[8:9], s[8:9], exec
	s_or_b64 s[4:5], s[4:5], s[8:9]
	s_or_b64 exec, exec, s[6:7]
	s_and_saveexec_b64 s[6:7], s[4:5]
	s_cbranch_execnz .LBB14_1443
	s_branch .LBB14_1444
.LBB14_3493:
	s_movk_i32 s4, 0x80
	v_cmp_eq_u16_sdwa s[12:13], v3, s4 src0_sel:BYTE_0 src1_sel:DWORD
	s_mov_b64 s[4:5], -1
                                        ; implicit-def: $sgpr10
	s_and_saveexec_b64 s[8:9], s[12:13]
; %bb.3494:
	s_mov_b32 s10, 0x7f800001
	s_xor_b64 s[4:5], exec, -1
; %bb.3495:
	s_or_b64 exec, exec, s[8:9]
	s_and_b64 s[4:5], s[4:5], exec
	s_or_saveexec_b64 s[6:7], s[6:7]
	v_mov_b32_e32 v6, s10
	s_xor_b64 exec, exec, s[6:7]
	s_cbranch_execz .LBB14_1446
.LBB14_3496:
	v_mov_b32_e32 v6, 0
	v_cmp_ne_u16_sdwa s[8:9], v3, v6 src0_sel:BYTE_0 src1_sel:DWORD
	s_andn2_b64 s[4:5], s[4:5], exec
	s_and_b64 s[8:9], s[8:9], exec
	s_or_b64 s[4:5], s[4:5], s[8:9]
	s_or_b64 exec, exec, s[6:7]
	s_and_saveexec_b64 s[6:7], s[4:5]
	s_cbranch_execnz .LBB14_1447
	s_branch .LBB14_1448
.LBB14_3497:
	s_movk_i32 s4, 0x80
	v_cmp_eq_u16_sdwa s[12:13], v6, s4 src0_sel:BYTE_0 src1_sel:DWORD
	s_mov_b64 s[4:5], -1
                                        ; implicit-def: $sgpr10
	s_and_saveexec_b64 s[8:9], s[12:13]
; %bb.3498:
	s_mov_b32 s10, 0x7f800001
	s_xor_b64 s[4:5], exec, -1
; %bb.3499:
	s_or_b64 exec, exec, s[8:9]
	s_and_b64 s[4:5], s[4:5], exec
	s_or_saveexec_b64 s[6:7], s[6:7]
	v_mov_b32_e32 v2, s10
	s_xor_b64 exec, exec, s[6:7]
	s_cbranch_execz .LBB14_1450
.LBB14_3500:
	v_mov_b32_e32 v2, 0
	v_cmp_ne_u16_sdwa s[8:9], v6, v2 src0_sel:BYTE_0 src1_sel:DWORD
	s_andn2_b64 s[4:5], s[4:5], exec
	s_and_b64 s[8:9], s[8:9], exec
	s_or_b64 s[4:5], s[4:5], s[8:9]
	s_or_b64 exec, exec, s[6:7]
	s_and_saveexec_b64 s[6:7], s[4:5]
	s_cbranch_execnz .LBB14_1451
	s_branch .LBB14_1452
.LBB14_3501:
	s_movk_i32 s4, 0x80
	v_cmp_eq_u16_sdwa s[12:13], v6, s4 src0_sel:BYTE_0 src1_sel:DWORD
	s_mov_b64 s[4:5], -1
                                        ; implicit-def: $sgpr10
	s_and_saveexec_b64 s[8:9], s[12:13]
; %bb.3502:
	s_mov_b32 s10, 0x7f800001
	s_xor_b64 s[4:5], exec, -1
; %bb.3503:
	s_or_b64 exec, exec, s[8:9]
	s_and_b64 s[4:5], s[4:5], exec
	s_or_saveexec_b64 s[6:7], s[6:7]
	v_mov_b32_e32 v12, s10
	s_xor_b64 exec, exec, s[6:7]
	s_cbranch_execz .LBB14_1454
.LBB14_3504:
	v_mov_b32_e32 v12, 0
	v_cmp_ne_u16_sdwa s[8:9], v6, v12 src0_sel:BYTE_0 src1_sel:DWORD
	s_andn2_b64 s[4:5], s[4:5], exec
	s_and_b64 s[8:9], s[8:9], exec
	s_or_b64 s[4:5], s[4:5], s[8:9]
	s_or_b64 exec, exec, s[6:7]
	s_and_saveexec_b64 s[6:7], s[4:5]
	s_cbranch_execnz .LBB14_1455
	s_branch .LBB14_1456
.LBB14_3505:
	s_movk_i32 s4, 0x80
	v_cmp_eq_u16_e32 vcc, s4, v6
	s_mov_b64 s[4:5], -1
                                        ; implicit-def: $sgpr10
	s_and_saveexec_b64 s[8:9], vcc
; %bb.3506:
	s_mov_b32 s10, 0x7f800001
	s_xor_b64 s[4:5], exec, -1
; %bb.3507:
	s_or_b64 exec, exec, s[8:9]
	s_and_b64 s[4:5], s[4:5], exec
                                        ; implicit-def: $vgpr6
	s_or_saveexec_b64 s[6:7], s[6:7]
	v_mov_b32_e32 v2, s10
	s_xor_b64 exec, exec, s[6:7]
	s_cbranch_execz .LBB14_1458
.LBB14_3508:
	v_cmp_ne_u16_e32 vcc, 0, v6
	s_andn2_b64 s[4:5], s[4:5], exec
	s_and_b64 s[8:9], vcc, exec
	v_mov_b32_e32 v2, 0
	s_or_b64 s[4:5], s[4:5], s[8:9]
	s_or_b64 exec, exec, s[6:7]
	s_and_saveexec_b64 s[6:7], s[4:5]
	s_cbranch_execnz .LBB14_1459
	s_branch .LBB14_1460
.LBB14_3509:
	s_movk_i32 s4, 0x80
	v_cmp_eq_u16_e32 vcc, s4, v6
	s_mov_b64 s[4:5], -1
                                        ; implicit-def: $sgpr10
	s_and_saveexec_b64 s[8:9], vcc
; %bb.3510:
	s_mov_b32 s10, 0x7f800001
	s_xor_b64 s[4:5], exec, -1
; %bb.3511:
	s_or_b64 exec, exec, s[8:9]
	s_and_b64 s[4:5], s[4:5], exec
                                        ; implicit-def: $vgpr6
	s_or_saveexec_b64 s[6:7], s[6:7]
	v_mov_b32_e32 v12, s10
	s_xor_b64 exec, exec, s[6:7]
	s_cbranch_execz .LBB14_1462
.LBB14_3512:
	v_cmp_ne_u16_e32 vcc, 0, v6
	s_andn2_b64 s[4:5], s[4:5], exec
	s_and_b64 s[8:9], vcc, exec
	v_mov_b32_e32 v12, 0
	s_or_b64 s[4:5], s[4:5], s[8:9]
	s_or_b64 exec, exec, s[6:7]
	s_and_saveexec_b64 s[6:7], s[4:5]
	s_cbranch_execnz .LBB14_1463
	s_branch .LBB14_1464
.LBB14_3513:
	s_movk_i32 s4, 0x80
	v_cmp_eq_u16_sdwa s[12:13], v7, s4 src0_sel:BYTE_3 src1_sel:DWORD
	s_mov_b64 s[4:5], -1
                                        ; implicit-def: $sgpr10
	s_and_saveexec_b64 s[8:9], s[12:13]
; %bb.3514:
	s_mov_b32 s10, 0x7f800001
	s_xor_b64 s[4:5], exec, -1
; %bb.3515:
	s_or_b64 exec, exec, s[8:9]
	s_and_b64 s[4:5], s[4:5], exec
	s_or_saveexec_b64 s[6:7], s[6:7]
	v_mov_b32_e32 v2, s10
	s_xor_b64 exec, exec, s[6:7]
	s_cbranch_execz .LBB14_1466
.LBB14_3516:
	v_mov_b32_e32 v2, 0
	v_cmp_ne_u16_sdwa s[8:9], v7, v2 src0_sel:BYTE_3 src1_sel:DWORD
	s_andn2_b64 s[4:5], s[4:5], exec
	s_and_b64 s[8:9], s[8:9], exec
	s_or_b64 s[4:5], s[4:5], s[8:9]
	s_or_b64 exec, exec, s[6:7]
	s_and_saveexec_b64 s[6:7], s[4:5]
	s_cbranch_execnz .LBB14_1467
	s_branch .LBB14_1468
.LBB14_3517:
	s_movk_i32 s4, 0x80
	v_cmp_eq_u16_sdwa s[12:13], v3, s4 src0_sel:BYTE_3 src1_sel:DWORD
	s_mov_b64 s[4:5], -1
                                        ; implicit-def: $sgpr10
	s_and_saveexec_b64 s[8:9], s[12:13]
; %bb.3518:
	s_mov_b32 s10, 0x7f800001
	s_xor_b64 s[4:5], exec, -1
; %bb.3519:
	s_or_b64 exec, exec, s[8:9]
	s_and_b64 s[4:5], s[4:5], exec
	s_or_saveexec_b64 s[6:7], s[6:7]
	v_mov_b32_e32 v6, s10
	s_xor_b64 exec, exec, s[6:7]
	s_cbranch_execz .LBB14_1470
.LBB14_3520:
	v_mov_b32_e32 v6, 0
	v_cmp_ne_u16_sdwa s[8:9], v3, v6 src0_sel:BYTE_3 src1_sel:DWORD
	s_andn2_b64 s[4:5], s[4:5], exec
	s_and_b64 s[8:9], s[8:9], exec
	s_or_b64 s[4:5], s[4:5], s[8:9]
	s_or_b64 exec, exec, s[6:7]
	s_and_saveexec_b64 s[6:7], s[4:5]
	s_cbranch_execnz .LBB14_1471
	s_branch .LBB14_1472
.LBB14_3521:
	s_movk_i32 s4, 0x80
	v_cmp_eq_u16_sdwa s[12:13], v8, s4 src0_sel:BYTE_0 src1_sel:DWORD
	s_mov_b64 s[4:5], -1
                                        ; implicit-def: $sgpr10
	s_and_saveexec_b64 s[8:9], s[12:13]
; %bb.3522:
	s_mov_b32 s10, 0x7f800001
	s_xor_b64 s[4:5], exec, -1
; %bb.3523:
	s_or_b64 exec, exec, s[8:9]
	s_and_b64 s[4:5], s[4:5], exec
	s_or_saveexec_b64 s[6:7], s[6:7]
	v_mov_b32_e32 v2, s10
	s_xor_b64 exec, exec, s[6:7]
	s_cbranch_execz .LBB14_1474
.LBB14_3524:
	v_mov_b32_e32 v2, 0
	v_cmp_ne_u16_sdwa s[8:9], v8, v2 src0_sel:BYTE_0 src1_sel:DWORD
	s_andn2_b64 s[4:5], s[4:5], exec
	s_and_b64 s[8:9], s[8:9], exec
	s_or_b64 s[4:5], s[4:5], s[8:9]
	s_or_b64 exec, exec, s[6:7]
	s_and_saveexec_b64 s[6:7], s[4:5]
	s_cbranch_execnz .LBB14_1475
	s_branch .LBB14_1476
.LBB14_3525:
	s_movk_i32 s4, 0x80
	v_cmp_eq_u16_sdwa s[12:13], v4, s4 src0_sel:BYTE_0 src1_sel:DWORD
	s_mov_b64 s[4:5], -1
                                        ; implicit-def: $sgpr10
	s_and_saveexec_b64 s[8:9], s[12:13]
; %bb.3526:
	s_mov_b32 s10, 0x7f800001
	s_xor_b64 s[4:5], exec, -1
; %bb.3527:
	s_or_b64 exec, exec, s[8:9]
	s_and_b64 s[4:5], s[4:5], exec
	s_or_saveexec_b64 s[6:7], s[6:7]
	v_mov_b32_e32 v3, s10
	s_xor_b64 exec, exec, s[6:7]
	s_cbranch_execz .LBB14_1478
.LBB14_3528:
	v_mov_b32_e32 v3, 0
	v_cmp_ne_u16_sdwa s[8:9], v4, v3 src0_sel:BYTE_0 src1_sel:DWORD
	s_andn2_b64 s[4:5], s[4:5], exec
	s_and_b64 s[8:9], s[8:9], exec
	s_or_b64 s[4:5], s[4:5], s[8:9]
	s_or_b64 exec, exec, s[6:7]
	s_and_saveexec_b64 s[6:7], s[4:5]
	s_cbranch_execnz .LBB14_1479
	s_branch .LBB14_1480
.LBB14_3529:
	s_movk_i32 s4, 0x80
	v_cmp_eq_u16_sdwa s[12:13], v3, s4 src0_sel:BYTE_0 src1_sel:DWORD
	s_mov_b64 s[4:5], -1
                                        ; implicit-def: $sgpr10
	s_and_saveexec_b64 s[8:9], s[12:13]
; %bb.3530:
	s_mov_b32 s10, 0x7f800001
	s_xor_b64 s[4:5], exec, -1
; %bb.3531:
	s_or_b64 exec, exec, s[8:9]
	s_and_b64 s[4:5], s[4:5], exec
	s_or_saveexec_b64 s[6:7], s[6:7]
	v_mov_b32_e32 v2, s10
	s_xor_b64 exec, exec, s[6:7]
	s_cbranch_execz .LBB14_1482
.LBB14_3532:
	v_mov_b32_e32 v2, 0
	v_cmp_ne_u16_sdwa s[8:9], v3, v2 src0_sel:BYTE_0 src1_sel:DWORD
	s_andn2_b64 s[4:5], s[4:5], exec
	s_and_b64 s[8:9], s[8:9], exec
	s_or_b64 s[4:5], s[4:5], s[8:9]
	s_or_b64 exec, exec, s[6:7]
	s_and_saveexec_b64 s[6:7], s[4:5]
	s_cbranch_execnz .LBB14_1483
	s_branch .LBB14_1484
.LBB14_3533:
	s_movk_i32 s4, 0x80
	v_cmp_eq_u16_sdwa s[12:13], v3, s4 src0_sel:BYTE_0 src1_sel:DWORD
	s_mov_b64 s[4:5], -1
                                        ; implicit-def: $sgpr10
	s_and_saveexec_b64 s[8:9], s[12:13]
; %bb.3534:
	s_mov_b32 s10, 0x7f800001
	s_xor_b64 s[4:5], exec, -1
; %bb.3535:
	s_or_b64 exec, exec, s[8:9]
	s_and_b64 s[4:5], s[4:5], exec
	s_or_saveexec_b64 s[6:7], s[6:7]
	v_mov_b32_e32 v6, s10
	s_xor_b64 exec, exec, s[6:7]
	s_cbranch_execz .LBB14_1486
.LBB14_3536:
	v_mov_b32_e32 v6, 0
	v_cmp_ne_u16_sdwa s[8:9], v3, v6 src0_sel:BYTE_0 src1_sel:DWORD
	s_andn2_b64 s[4:5], s[4:5], exec
	s_and_b64 s[8:9], s[8:9], exec
	s_or_b64 s[4:5], s[4:5], s[8:9]
	s_or_b64 exec, exec, s[6:7]
	s_and_saveexec_b64 s[6:7], s[4:5]
	s_cbranch_execnz .LBB14_1487
	s_branch .LBB14_1488
.LBB14_3537:
	s_movk_i32 s4, 0x80
	v_cmp_eq_u16_e32 vcc, s4, v3
	s_mov_b64 s[4:5], -1
                                        ; implicit-def: $sgpr10
	s_and_saveexec_b64 s[8:9], vcc
; %bb.3538:
	s_mov_b32 s10, 0x7f800001
	s_xor_b64 s[4:5], exec, -1
; %bb.3539:
	s_or_b64 exec, exec, s[8:9]
	s_and_b64 s[4:5], s[4:5], exec
                                        ; implicit-def: $vgpr3
	s_or_saveexec_b64 s[6:7], s[6:7]
	v_mov_b32_e32 v2, s10
	s_xor_b64 exec, exec, s[6:7]
	s_cbranch_execz .LBB14_1490
.LBB14_3540:
	v_cmp_ne_u16_e32 vcc, 0, v3
	s_andn2_b64 s[4:5], s[4:5], exec
	s_and_b64 s[8:9], vcc, exec
	v_mov_b32_e32 v2, 0
	s_or_b64 s[4:5], s[4:5], s[8:9]
	s_or_b64 exec, exec, s[6:7]
	s_and_saveexec_b64 s[6:7], s[4:5]
	s_cbranch_execnz .LBB14_1491
	s_branch .LBB14_1492
.LBB14_3541:
	s_movk_i32 s4, 0x80
	v_cmp_eq_u16_e32 vcc, s4, v3
	s_mov_b64 s[4:5], -1
                                        ; implicit-def: $sgpr10
	s_and_saveexec_b64 s[8:9], vcc
; %bb.3542:
	s_mov_b32 s10, 0x7f800001
	s_xor_b64 s[4:5], exec, -1
; %bb.3543:
	s_or_b64 exec, exec, s[8:9]
	s_and_b64 s[4:5], s[4:5], exec
                                        ; implicit-def: $vgpr3
	s_or_saveexec_b64 s[6:7], s[6:7]
	v_mov_b32_e32 v6, s10
	s_xor_b64 exec, exec, s[6:7]
	s_cbranch_execz .LBB14_1494
.LBB14_3544:
	v_cmp_ne_u16_e32 vcc, 0, v3
	s_andn2_b64 s[4:5], s[4:5], exec
	s_and_b64 s[8:9], vcc, exec
	v_mov_b32_e32 v6, 0
	s_or_b64 s[4:5], s[4:5], s[8:9]
	s_or_b64 exec, exec, s[6:7]
	s_and_saveexec_b64 s[6:7], s[4:5]
	s_cbranch_execnz .LBB14_1495
	s_branch .LBB14_1496
.LBB14_3545:
	s_movk_i32 s4, 0x80
	v_cmp_eq_u16_sdwa s[12:13], v8, s4 src0_sel:BYTE_3 src1_sel:DWORD
	s_mov_b64 s[4:5], -1
                                        ; implicit-def: $sgpr10
	s_and_saveexec_b64 s[8:9], s[12:13]
; %bb.3546:
	s_mov_b32 s10, 0x7f800001
	s_xor_b64 s[4:5], exec, -1
; %bb.3547:
	s_or_b64 exec, exec, s[8:9]
	s_and_b64 s[4:5], s[4:5], exec
	s_or_saveexec_b64 s[6:7], s[6:7]
	v_mov_b32_e32 v2, s10
	s_xor_b64 exec, exec, s[6:7]
	s_cbranch_execz .LBB14_1498
.LBB14_3548:
	v_mov_b32_e32 v2, 0
	v_cmp_ne_u16_sdwa s[8:9], v8, v2 src0_sel:BYTE_3 src1_sel:DWORD
	s_andn2_b64 s[4:5], s[4:5], exec
	s_and_b64 s[8:9], s[8:9], exec
	s_or_b64 s[4:5], s[4:5], s[8:9]
	s_or_b64 exec, exec, s[6:7]
	s_and_saveexec_b64 s[6:7], s[4:5]
	s_cbranch_execnz .LBB14_1499
	s_branch .LBB14_1500
.LBB14_3549:
	s_movk_i32 s4, 0x80
	v_cmp_eq_u16_sdwa s[12:13], v4, s4 src0_sel:BYTE_3 src1_sel:DWORD
	s_mov_b64 s[4:5], -1
                                        ; implicit-def: $sgpr10
	s_and_saveexec_b64 s[8:9], s[12:13]
; %bb.3550:
	s_mov_b32 s10, 0x7f800001
	s_xor_b64 s[4:5], exec, -1
; %bb.3551:
	s_or_b64 exec, exec, s[8:9]
	s_and_b64 s[4:5], s[4:5], exec
	s_or_saveexec_b64 s[6:7], s[6:7]
	v_mov_b32_e32 v3, s10
	s_xor_b64 exec, exec, s[6:7]
	s_cbranch_execz .LBB14_1502
.LBB14_3552:
	v_mov_b32_e32 v3, 0
	v_cmp_ne_u16_sdwa s[8:9], v4, v3 src0_sel:BYTE_3 src1_sel:DWORD
	s_andn2_b64 s[4:5], s[4:5], exec
	s_and_b64 s[8:9], s[8:9], exec
	s_or_b64 s[4:5], s[4:5], s[8:9]
	s_or_b64 exec, exec, s[6:7]
	s_and_saveexec_b64 s[6:7], s[4:5]
	s_cbranch_execnz .LBB14_1503
	s_branch .LBB14_1504
.LBB14_3553:
	s_movk_i32 s4, 0x80
	v_cmp_eq_u16_sdwa s[12:13], v9, s4 src0_sel:BYTE_0 src1_sel:DWORD
	s_mov_b64 s[4:5], -1
                                        ; implicit-def: $sgpr10
	s_and_saveexec_b64 s[8:9], s[12:13]
; %bb.3554:
	s_mov_b32 s10, 0x7f800001
	s_xor_b64 s[4:5], exec, -1
; %bb.3555:
	s_or_b64 exec, exec, s[8:9]
	s_and_b64 s[4:5], s[4:5], exec
	s_or_saveexec_b64 s[6:7], s[6:7]
	v_mov_b32_e32 v2, s10
	s_xor_b64 exec, exec, s[6:7]
	s_cbranch_execz .LBB14_1506
.LBB14_3556:
	v_mov_b32_e32 v2, 0
	v_cmp_ne_u16_sdwa s[8:9], v9, v2 src0_sel:BYTE_0 src1_sel:DWORD
	s_andn2_b64 s[4:5], s[4:5], exec
	s_and_b64 s[8:9], s[8:9], exec
	s_or_b64 s[4:5], s[4:5], s[8:9]
	s_or_b64 exec, exec, s[6:7]
	s_and_saveexec_b64 s[6:7], s[4:5]
	s_cbranch_execnz .LBB14_1507
	s_branch .LBB14_1508
.LBB14_3557:
	s_movk_i32 s4, 0x80
	v_cmp_eq_u16_sdwa s[12:13], v5, s4 src0_sel:BYTE_0 src1_sel:DWORD
	s_mov_b64 s[4:5], -1
                                        ; implicit-def: $sgpr10
	s_and_saveexec_b64 s[8:9], s[12:13]
; %bb.3558:
	s_mov_b32 s10, 0x7f800001
	s_xor_b64 s[4:5], exec, -1
; %bb.3559:
	s_or_b64 exec, exec, s[8:9]
	s_and_b64 s[4:5], s[4:5], exec
	s_or_saveexec_b64 s[6:7], s[6:7]
	v_mov_b32_e32 v3, s10
	s_xor_b64 exec, exec, s[6:7]
	s_cbranch_execz .LBB14_1510
.LBB14_3560:
	v_mov_b32_e32 v3, 0
	v_cmp_ne_u16_sdwa s[8:9], v5, v3 src0_sel:BYTE_0 src1_sel:DWORD
	s_andn2_b64 s[4:5], s[4:5], exec
	s_and_b64 s[8:9], s[8:9], exec
	s_or_b64 s[4:5], s[4:5], s[8:9]
	s_or_b64 exec, exec, s[6:7]
	s_and_saveexec_b64 s[6:7], s[4:5]
	s_cbranch_execnz .LBB14_1511
	s_branch .LBB14_1512
.LBB14_3561:
	s_movk_i32 s4, 0x80
	v_cmp_eq_u16_sdwa s[12:13], v3, s4 src0_sel:BYTE_0 src1_sel:DWORD
	s_mov_b64 s[4:5], -1
                                        ; implicit-def: $sgpr10
	s_and_saveexec_b64 s[8:9], s[12:13]
; %bb.3562:
	s_mov_b32 s10, 0x7f800001
	s_xor_b64 s[4:5], exec, -1
; %bb.3563:
	s_or_b64 exec, exec, s[8:9]
	s_and_b64 s[4:5], s[4:5], exec
	s_or_saveexec_b64 s[6:7], s[6:7]
	v_mov_b32_e32 v2, s10
	s_xor_b64 exec, exec, s[6:7]
	s_cbranch_execz .LBB14_1514
.LBB14_3564:
	v_mov_b32_e32 v2, 0
	v_cmp_ne_u16_sdwa s[8:9], v3, v2 src0_sel:BYTE_0 src1_sel:DWORD
	s_andn2_b64 s[4:5], s[4:5], exec
	s_and_b64 s[8:9], s[8:9], exec
	s_or_b64 s[4:5], s[4:5], s[8:9]
	s_or_b64 exec, exec, s[6:7]
	s_and_saveexec_b64 s[6:7], s[4:5]
	s_cbranch_execnz .LBB14_1515
	s_branch .LBB14_1516
.LBB14_3565:
	s_movk_i32 s4, 0x80
	v_cmp_eq_u16_sdwa s[12:13], v3, s4 src0_sel:BYTE_0 src1_sel:DWORD
	s_mov_b64 s[4:5], -1
                                        ; implicit-def: $sgpr10
	s_and_saveexec_b64 s[8:9], s[12:13]
; %bb.3566:
	s_mov_b32 s10, 0x7f800001
	s_xor_b64 s[4:5], exec, -1
; %bb.3567:
	s_or_b64 exec, exec, s[8:9]
	s_and_b64 s[4:5], s[4:5], exec
	s_or_saveexec_b64 s[6:7], s[6:7]
	v_mov_b32_e32 v4, s10
	s_xor_b64 exec, exec, s[6:7]
	s_cbranch_execz .LBB14_1518
.LBB14_3568:
	v_mov_b32_e32 v4, 0
	v_cmp_ne_u16_sdwa s[8:9], v3, v4 src0_sel:BYTE_0 src1_sel:DWORD
	s_andn2_b64 s[4:5], s[4:5], exec
	s_and_b64 s[8:9], s[8:9], exec
	s_or_b64 s[4:5], s[4:5], s[8:9]
	s_or_b64 exec, exec, s[6:7]
	s_and_saveexec_b64 s[6:7], s[4:5]
	s_cbranch_execnz .LBB14_1519
	s_branch .LBB14_1520
.LBB14_3569:
	s_movk_i32 s4, 0x80
	v_cmp_eq_u16_e32 vcc, s4, v3
	s_mov_b64 s[4:5], -1
                                        ; implicit-def: $sgpr10
	s_and_saveexec_b64 s[8:9], vcc
; %bb.3570:
	s_mov_b32 s10, 0x7f800001
	s_xor_b64 s[4:5], exec, -1
; %bb.3571:
	s_or_b64 exec, exec, s[8:9]
	s_and_b64 s[4:5], s[4:5], exec
                                        ; implicit-def: $vgpr3
	s_or_saveexec_b64 s[6:7], s[6:7]
	v_mov_b32_e32 v2, s10
	s_xor_b64 exec, exec, s[6:7]
	s_cbranch_execz .LBB14_1522
.LBB14_3572:
	v_cmp_ne_u16_e32 vcc, 0, v3
	s_andn2_b64 s[4:5], s[4:5], exec
	s_and_b64 s[8:9], vcc, exec
	v_mov_b32_e32 v2, 0
	s_or_b64 s[4:5], s[4:5], s[8:9]
	s_or_b64 exec, exec, s[6:7]
	s_and_saveexec_b64 s[6:7], s[4:5]
	s_cbranch_execnz .LBB14_1523
	s_branch .LBB14_1524
.LBB14_3573:
	s_movk_i32 s4, 0x80
	v_cmp_eq_u16_e32 vcc, s4, v3
	s_mov_b64 s[4:5], -1
                                        ; implicit-def: $sgpr10
	s_and_saveexec_b64 s[8:9], vcc
; %bb.3574:
	s_mov_b32 s10, 0x7f800001
	s_xor_b64 s[4:5], exec, -1
; %bb.3575:
	s_or_b64 exec, exec, s[8:9]
	s_and_b64 s[4:5], s[4:5], exec
                                        ; implicit-def: $vgpr3
	s_or_saveexec_b64 s[6:7], s[6:7]
	v_mov_b32_e32 v4, s10
	s_xor_b64 exec, exec, s[6:7]
	s_cbranch_execz .LBB14_1526
.LBB14_3576:
	v_cmp_ne_u16_e32 vcc, 0, v3
	s_andn2_b64 s[4:5], s[4:5], exec
	s_and_b64 s[8:9], vcc, exec
	v_mov_b32_e32 v4, 0
	s_or_b64 s[4:5], s[4:5], s[8:9]
	s_or_b64 exec, exec, s[6:7]
	s_and_saveexec_b64 s[6:7], s[4:5]
	s_cbranch_execnz .LBB14_1527
	s_branch .LBB14_1528
.LBB14_3577:
	s_movk_i32 s4, 0x80
	v_cmp_eq_u16_sdwa s[12:13], v9, s4 src0_sel:BYTE_3 src1_sel:DWORD
	s_mov_b64 s[4:5], -1
                                        ; implicit-def: $sgpr10
	s_and_saveexec_b64 s[8:9], s[12:13]
; %bb.3578:
	s_mov_b32 s10, 0x7f800001
	s_xor_b64 s[4:5], exec, -1
; %bb.3579:
	s_or_b64 exec, exec, s[8:9]
	s_and_b64 s[4:5], s[4:5], exec
	s_or_saveexec_b64 s[6:7], s[6:7]
	v_mov_b32_e32 v2, s10
	s_xor_b64 exec, exec, s[6:7]
	s_cbranch_execz .LBB14_1530
.LBB14_3580:
	v_mov_b32_e32 v2, 0
	v_cmp_ne_u16_sdwa s[8:9], v9, v2 src0_sel:BYTE_3 src1_sel:DWORD
	s_andn2_b64 s[4:5], s[4:5], exec
	s_and_b64 s[8:9], s[8:9], exec
	s_or_b64 s[4:5], s[4:5], s[8:9]
	s_or_b64 exec, exec, s[6:7]
	s_and_saveexec_b64 s[6:7], s[4:5]
	s_cbranch_execnz .LBB14_1531
	s_branch .LBB14_1532
.LBB14_3581:
	s_movk_i32 s4, 0x80
	v_cmp_eq_u16_sdwa s[12:13], v5, s4 src0_sel:BYTE_3 src1_sel:DWORD
	s_mov_b64 s[4:5], -1
                                        ; implicit-def: $sgpr10
	s_and_saveexec_b64 s[8:9], s[12:13]
; %bb.3582:
	s_mov_b32 s10, 0x7f800001
	s_xor_b64 s[4:5], exec, -1
; %bb.3583:
	s_or_b64 exec, exec, s[8:9]
	s_and_b64 s[4:5], s[4:5], exec
	s_or_saveexec_b64 s[6:7], s[6:7]
	v_mov_b32_e32 v3, s10
	s_xor_b64 exec, exec, s[6:7]
	s_cbranch_execz .LBB14_1534
.LBB14_3584:
	v_mov_b32_e32 v3, 0
	v_cmp_ne_u16_sdwa s[8:9], v5, v3 src0_sel:BYTE_3 src1_sel:DWORD
	s_andn2_b64 s[4:5], s[4:5], exec
	s_and_b64 s[8:9], s[8:9], exec
	s_or_b64 s[4:5], s[4:5], s[8:9]
	s_or_b64 exec, exec, s[6:7]
	s_and_saveexec_b64 s[6:7], s[4:5]
	s_cbranch_execnz .LBB14_1535
	s_branch .LBB14_1536
.LBB14_3585:
	s_movk_i32 s4, 0x80
	v_cmp_eq_u16_sdwa s[12:13], v6, s4 src0_sel:BYTE_0 src1_sel:DWORD
	s_mov_b64 s[4:5], -1
                                        ; implicit-def: $sgpr10
	s_and_saveexec_b64 s[8:9], s[12:13]
; %bb.3586:
	s_mov_b32 s10, 0x7f800001
	s_xor_b64 s[4:5], exec, -1
; %bb.3587:
	s_or_b64 exec, exec, s[8:9]
	s_and_b64 s[4:5], s[4:5], exec
	s_or_saveexec_b64 s[6:7], s[6:7]
	v_mov_b32_e32 v12, s10
	s_xor_b64 exec, exec, s[6:7]
	s_cbranch_execz .LBB14_1538
.LBB14_3588:
	v_mov_b32_e32 v12, 0
	v_cmp_ne_u16_sdwa s[8:9], v6, v12 src0_sel:BYTE_0 src1_sel:DWORD
	s_andn2_b64 s[4:5], s[4:5], exec
	s_and_b64 s[8:9], s[8:9], exec
	s_or_b64 s[4:5], s[4:5], s[8:9]
	s_or_b64 exec, exec, s[6:7]
	s_and_saveexec_b64 s[6:7], s[4:5]
	s_cbranch_execnz .LBB14_1539
	s_branch .LBB14_1540
.LBB14_3589:
	s_movk_i32 s4, 0x80
	v_cmp_eq_u16_sdwa s[12:13], v2, s4 src0_sel:BYTE_0 src1_sel:DWORD
	s_mov_b64 s[4:5], -1
                                        ; implicit-def: $sgpr10
	s_and_saveexec_b64 s[8:9], s[12:13]
; %bb.3590:
	s_mov_b32 s10, 0x7f800001
	s_xor_b64 s[4:5], exec, -1
; %bb.3591:
	s_or_b64 exec, exec, s[8:9]
	s_and_b64 s[4:5], s[4:5], exec
	s_or_saveexec_b64 s[6:7], s[6:7]
	v_mov_b32_e32 v13, s10
	s_xor_b64 exec, exec, s[6:7]
	s_cbranch_execz .LBB14_1542
.LBB14_3592:
	v_mov_b32_e32 v13, 0
	v_cmp_ne_u16_sdwa s[8:9], v2, v13 src0_sel:BYTE_0 src1_sel:DWORD
	s_andn2_b64 s[4:5], s[4:5], exec
	s_and_b64 s[8:9], s[8:9], exec
	s_or_b64 s[4:5], s[4:5], s[8:9]
	s_or_b64 exec, exec, s[6:7]
	s_and_saveexec_b64 s[6:7], s[4:5]
	s_cbranch_execnz .LBB14_1543
	s_branch .LBB14_1544
.LBB14_3593:
	s_movk_i32 s4, 0x80
	v_cmp_eq_u16_sdwa s[12:13], v13, s4 src0_sel:BYTE_0 src1_sel:DWORD
	s_mov_b64 s[4:5], -1
                                        ; implicit-def: $sgpr10
	s_and_saveexec_b64 s[8:9], s[12:13]
; %bb.3594:
	s_mov_b32 s10, 0x7f800001
	s_xor_b64 s[4:5], exec, -1
; %bb.3595:
	s_or_b64 exec, exec, s[8:9]
	s_and_b64 s[4:5], s[4:5], exec
	s_or_saveexec_b64 s[6:7], s[6:7]
	v_mov_b32_e32 v12, s10
	s_xor_b64 exec, exec, s[6:7]
	s_cbranch_execz .LBB14_1546
.LBB14_3596:
	v_mov_b32_e32 v12, 0
	v_cmp_ne_u16_sdwa s[8:9], v13, v12 src0_sel:BYTE_0 src1_sel:DWORD
	s_andn2_b64 s[4:5], s[4:5], exec
	s_and_b64 s[8:9], s[8:9], exec
	s_or_b64 s[4:5], s[4:5], s[8:9]
	s_or_b64 exec, exec, s[6:7]
	s_and_saveexec_b64 s[6:7], s[4:5]
	s_cbranch_execnz .LBB14_1547
	s_branch .LBB14_1548
.LBB14_3597:
	s_movk_i32 s4, 0x80
	v_cmp_eq_u16_sdwa s[12:13], v13, s4 src0_sel:BYTE_0 src1_sel:DWORD
	s_mov_b64 s[4:5], -1
                                        ; implicit-def: $sgpr10
	s_and_saveexec_b64 s[8:9], s[12:13]
; %bb.3598:
	s_mov_b32 s10, 0x7f800001
	s_xor_b64 s[4:5], exec, -1
; %bb.3599:
	s_or_b64 exec, exec, s[8:9]
	s_and_b64 s[4:5], s[4:5], exec
	s_or_saveexec_b64 s[6:7], s[6:7]
	v_mov_b32_e32 v14, s10
	s_xor_b64 exec, exec, s[6:7]
	s_cbranch_execz .LBB14_1550
.LBB14_3600:
	v_mov_b32_e32 v14, 0
	v_cmp_ne_u16_sdwa s[8:9], v13, v14 src0_sel:BYTE_0 src1_sel:DWORD
	s_andn2_b64 s[4:5], s[4:5], exec
	s_and_b64 s[8:9], s[8:9], exec
	s_or_b64 s[4:5], s[4:5], s[8:9]
	s_or_b64 exec, exec, s[6:7]
	s_and_saveexec_b64 s[6:7], s[4:5]
	s_cbranch_execnz .LBB14_1551
	s_branch .LBB14_1552
.LBB14_3601:
	s_movk_i32 s4, 0x80
	v_cmp_eq_u16_e32 vcc, s4, v13
	s_mov_b64 s[4:5], -1
                                        ; implicit-def: $sgpr10
	s_and_saveexec_b64 s[8:9], vcc
; %bb.3602:
	s_mov_b32 s10, 0x7f800001
	s_xor_b64 s[4:5], exec, -1
; %bb.3603:
	s_or_b64 exec, exec, s[8:9]
	s_and_b64 s[4:5], s[4:5], exec
                                        ; implicit-def: $vgpr13
	s_or_saveexec_b64 s[6:7], s[6:7]
	v_mov_b32_e32 v12, s10
	s_xor_b64 exec, exec, s[6:7]
	s_cbranch_execz .LBB14_1554
.LBB14_3604:
	v_cmp_ne_u16_e32 vcc, 0, v13
	s_andn2_b64 s[4:5], s[4:5], exec
	s_and_b64 s[8:9], vcc, exec
	v_mov_b32_e32 v12, 0
	s_or_b64 s[4:5], s[4:5], s[8:9]
	s_or_b64 exec, exec, s[6:7]
	s_and_saveexec_b64 s[6:7], s[4:5]
	s_cbranch_execnz .LBB14_1555
	s_branch .LBB14_1556
.LBB14_3605:
	s_movk_i32 s4, 0x80
	v_cmp_eq_u16_e32 vcc, s4, v13
	s_mov_b64 s[4:5], -1
                                        ; implicit-def: $sgpr10
	s_and_saveexec_b64 s[8:9], vcc
; %bb.3606:
	s_mov_b32 s10, 0x7f800001
	s_xor_b64 s[4:5], exec, -1
; %bb.3607:
	s_or_b64 exec, exec, s[8:9]
	s_and_b64 s[4:5], s[4:5], exec
                                        ; implicit-def: $vgpr13
	s_or_saveexec_b64 s[6:7], s[6:7]
	v_mov_b32_e32 v14, s10
	s_xor_b64 exec, exec, s[6:7]
	s_cbranch_execz .LBB14_1558
.LBB14_3608:
	v_cmp_ne_u16_e32 vcc, 0, v13
	s_andn2_b64 s[4:5], s[4:5], exec
	s_and_b64 s[8:9], vcc, exec
	v_mov_b32_e32 v14, 0
	s_or_b64 s[4:5], s[4:5], s[8:9]
	s_or_b64 exec, exec, s[6:7]
	s_and_saveexec_b64 s[6:7], s[4:5]
	s_cbranch_execnz .LBB14_1559
	s_branch .LBB14_1560
.LBB14_3609:
	s_movk_i32 s4, 0x80
	v_cmp_eq_u16_sdwa s[12:13], v6, s4 src0_sel:BYTE_3 src1_sel:DWORD
	s_mov_b64 s[4:5], -1
                                        ; implicit-def: $sgpr10
	s_and_saveexec_b64 s[8:9], s[12:13]
; %bb.3610:
	s_mov_b32 s10, 0x7f800001
	s_xor_b64 s[4:5], exec, -1
; %bb.3611:
	s_or_b64 exec, exec, s[8:9]
	s_and_b64 s[4:5], s[4:5], exec
	s_or_saveexec_b64 s[6:7], s[6:7]
	v_mov_b32_e32 v12, s10
	s_xor_b64 exec, exec, s[6:7]
	s_cbranch_execz .LBB14_1562
.LBB14_3612:
	v_mov_b32_e32 v12, 0
	v_cmp_ne_u16_sdwa s[8:9], v6, v12 src0_sel:BYTE_3 src1_sel:DWORD
	s_andn2_b64 s[4:5], s[4:5], exec
	s_and_b64 s[8:9], s[8:9], exec
	s_or_b64 s[4:5], s[4:5], s[8:9]
	s_or_b64 exec, exec, s[6:7]
	s_and_saveexec_b64 s[6:7], s[4:5]
	s_cbranch_execnz .LBB14_1563
	s_branch .LBB14_1564
.LBB14_3613:
	s_movk_i32 s4, 0x80
	v_cmp_eq_u16_sdwa s[12:13], v2, s4 src0_sel:BYTE_3 src1_sel:DWORD
	s_mov_b64 s[4:5], -1
                                        ; implicit-def: $sgpr10
	s_and_saveexec_b64 s[8:9], s[12:13]
; %bb.3614:
	s_mov_b32 s10, 0x7f800001
	s_xor_b64 s[4:5], exec, -1
; %bb.3615:
	s_or_b64 exec, exec, s[8:9]
	s_and_b64 s[4:5], s[4:5], exec
	s_or_saveexec_b64 s[6:7], s[6:7]
	v_mov_b32_e32 v6, s10
	s_xor_b64 exec, exec, s[6:7]
	s_cbranch_execz .LBB14_1566
.LBB14_3616:
	v_mov_b32_e32 v6, 0
	v_cmp_ne_u16_sdwa s[8:9], v2, v6 src0_sel:BYTE_3 src1_sel:DWORD
	s_andn2_b64 s[4:5], s[4:5], exec
	s_and_b64 s[8:9], s[8:9], exec
	s_or_b64 s[4:5], s[4:5], s[8:9]
	s_or_b64 exec, exec, s[6:7]
	s_and_saveexec_b64 s[6:7], s[4:5]
	s_cbranch_execnz .LBB14_1567
	s_branch .LBB14_1568
.LBB14_3617:
	s_movk_i32 s4, 0x80
	v_cmp_eq_u16_sdwa s[12:13], v7, s4 src0_sel:BYTE_0 src1_sel:DWORD
	s_mov_b64 s[4:5], -1
                                        ; implicit-def: $sgpr10
	s_and_saveexec_b64 s[8:9], s[12:13]
; %bb.3618:
	s_mov_b32 s10, 0x7f800001
	s_xor_b64 s[4:5], exec, -1
; %bb.3619:
	s_or_b64 exec, exec, s[8:9]
	s_and_b64 s[4:5], s[4:5], exec
	s_or_saveexec_b64 s[6:7], s[6:7]
	v_mov_b32_e32 v2, s10
	s_xor_b64 exec, exec, s[6:7]
	s_cbranch_execz .LBB14_1570
.LBB14_3620:
	v_mov_b32_e32 v2, 0
	v_cmp_ne_u16_sdwa s[8:9], v7, v2 src0_sel:BYTE_0 src1_sel:DWORD
	s_andn2_b64 s[4:5], s[4:5], exec
	s_and_b64 s[8:9], s[8:9], exec
	s_or_b64 s[4:5], s[4:5], s[8:9]
	s_or_b64 exec, exec, s[6:7]
	s_and_saveexec_b64 s[6:7], s[4:5]
	s_cbranch_execnz .LBB14_1571
	s_branch .LBB14_1572
.LBB14_3621:
	s_movk_i32 s4, 0x80
	v_cmp_eq_u16_sdwa s[12:13], v3, s4 src0_sel:BYTE_0 src1_sel:DWORD
	s_mov_b64 s[4:5], -1
                                        ; implicit-def: $sgpr10
	s_and_saveexec_b64 s[8:9], s[12:13]
; %bb.3622:
	s_mov_b32 s10, 0x7f800001
	s_xor_b64 s[4:5], exec, -1
; %bb.3623:
	s_or_b64 exec, exec, s[8:9]
	s_and_b64 s[4:5], s[4:5], exec
	s_or_saveexec_b64 s[6:7], s[6:7]
	v_mov_b32_e32 v6, s10
	s_xor_b64 exec, exec, s[6:7]
	s_cbranch_execz .LBB14_1574
.LBB14_3624:
	v_mov_b32_e32 v6, 0
	v_cmp_ne_u16_sdwa s[8:9], v3, v6 src0_sel:BYTE_0 src1_sel:DWORD
	s_andn2_b64 s[4:5], s[4:5], exec
	s_and_b64 s[8:9], s[8:9], exec
	s_or_b64 s[4:5], s[4:5], s[8:9]
	s_or_b64 exec, exec, s[6:7]
	s_and_saveexec_b64 s[6:7], s[4:5]
	s_cbranch_execnz .LBB14_1575
	s_branch .LBB14_1576
.LBB14_3625:
	s_movk_i32 s4, 0x80
	v_cmp_eq_u16_sdwa s[12:13], v6, s4 src0_sel:BYTE_0 src1_sel:DWORD
	s_mov_b64 s[4:5], -1
                                        ; implicit-def: $sgpr10
	s_and_saveexec_b64 s[8:9], s[12:13]
; %bb.3626:
	s_mov_b32 s10, 0x7f800001
	s_xor_b64 s[4:5], exec, -1
; %bb.3627:
	s_or_b64 exec, exec, s[8:9]
	s_and_b64 s[4:5], s[4:5], exec
	s_or_saveexec_b64 s[6:7], s[6:7]
	v_mov_b32_e32 v2, s10
	s_xor_b64 exec, exec, s[6:7]
	s_cbranch_execz .LBB14_1578
.LBB14_3628:
	v_mov_b32_e32 v2, 0
	v_cmp_ne_u16_sdwa s[8:9], v6, v2 src0_sel:BYTE_0 src1_sel:DWORD
	s_andn2_b64 s[4:5], s[4:5], exec
	s_and_b64 s[8:9], s[8:9], exec
	s_or_b64 s[4:5], s[4:5], s[8:9]
	s_or_b64 exec, exec, s[6:7]
	s_and_saveexec_b64 s[6:7], s[4:5]
	s_cbranch_execnz .LBB14_1579
	s_branch .LBB14_1580
.LBB14_3629:
	s_movk_i32 s4, 0x80
	v_cmp_eq_u16_sdwa s[12:13], v6, s4 src0_sel:BYTE_0 src1_sel:DWORD
	s_mov_b64 s[4:5], -1
                                        ; implicit-def: $sgpr10
	s_and_saveexec_b64 s[8:9], s[12:13]
; %bb.3630:
	s_mov_b32 s10, 0x7f800001
	s_xor_b64 s[4:5], exec, -1
; %bb.3631:
	s_or_b64 exec, exec, s[8:9]
	s_and_b64 s[4:5], s[4:5], exec
	s_or_saveexec_b64 s[6:7], s[6:7]
	v_mov_b32_e32 v12, s10
	s_xor_b64 exec, exec, s[6:7]
	s_cbranch_execz .LBB14_1582
.LBB14_3632:
	v_mov_b32_e32 v12, 0
	v_cmp_ne_u16_sdwa s[8:9], v6, v12 src0_sel:BYTE_0 src1_sel:DWORD
	s_andn2_b64 s[4:5], s[4:5], exec
	s_and_b64 s[8:9], s[8:9], exec
	s_or_b64 s[4:5], s[4:5], s[8:9]
	s_or_b64 exec, exec, s[6:7]
	s_and_saveexec_b64 s[6:7], s[4:5]
	s_cbranch_execnz .LBB14_1583
	s_branch .LBB14_1584
.LBB14_3633:
	s_movk_i32 s4, 0x80
	v_cmp_eq_u16_e32 vcc, s4, v6
	s_mov_b64 s[4:5], -1
                                        ; implicit-def: $sgpr10
	s_and_saveexec_b64 s[8:9], vcc
; %bb.3634:
	s_mov_b32 s10, 0x7f800001
	s_xor_b64 s[4:5], exec, -1
; %bb.3635:
	s_or_b64 exec, exec, s[8:9]
	s_and_b64 s[4:5], s[4:5], exec
                                        ; implicit-def: $vgpr6
	s_or_saveexec_b64 s[6:7], s[6:7]
	v_mov_b32_e32 v2, s10
	s_xor_b64 exec, exec, s[6:7]
	s_cbranch_execz .LBB14_1586
.LBB14_3636:
	v_cmp_ne_u16_e32 vcc, 0, v6
	s_andn2_b64 s[4:5], s[4:5], exec
	s_and_b64 s[8:9], vcc, exec
	v_mov_b32_e32 v2, 0
	s_or_b64 s[4:5], s[4:5], s[8:9]
	s_or_b64 exec, exec, s[6:7]
	s_and_saveexec_b64 s[6:7], s[4:5]
	s_cbranch_execnz .LBB14_1587
	s_branch .LBB14_1588
.LBB14_3637:
	s_movk_i32 s4, 0x80
	v_cmp_eq_u16_e32 vcc, s4, v6
	s_mov_b64 s[4:5], -1
                                        ; implicit-def: $sgpr10
	s_and_saveexec_b64 s[8:9], vcc
; %bb.3638:
	s_mov_b32 s10, 0x7f800001
	s_xor_b64 s[4:5], exec, -1
; %bb.3639:
	s_or_b64 exec, exec, s[8:9]
	s_and_b64 s[4:5], s[4:5], exec
                                        ; implicit-def: $vgpr6
	s_or_saveexec_b64 s[6:7], s[6:7]
	v_mov_b32_e32 v12, s10
	s_xor_b64 exec, exec, s[6:7]
	s_cbranch_execz .LBB14_1590
.LBB14_3640:
	v_cmp_ne_u16_e32 vcc, 0, v6
	s_andn2_b64 s[4:5], s[4:5], exec
	s_and_b64 s[8:9], vcc, exec
	v_mov_b32_e32 v12, 0
	s_or_b64 s[4:5], s[4:5], s[8:9]
	s_or_b64 exec, exec, s[6:7]
	s_and_saveexec_b64 s[6:7], s[4:5]
	s_cbranch_execnz .LBB14_1591
	s_branch .LBB14_1592
.LBB14_3641:
	s_movk_i32 s4, 0x80
	v_cmp_eq_u16_sdwa s[12:13], v7, s4 src0_sel:BYTE_3 src1_sel:DWORD
	s_mov_b64 s[4:5], -1
                                        ; implicit-def: $sgpr10
	s_and_saveexec_b64 s[8:9], s[12:13]
; %bb.3642:
	s_mov_b32 s10, 0x7f800001
	s_xor_b64 s[4:5], exec, -1
; %bb.3643:
	s_or_b64 exec, exec, s[8:9]
	s_and_b64 s[4:5], s[4:5], exec
	s_or_saveexec_b64 s[6:7], s[6:7]
	v_mov_b32_e32 v2, s10
	s_xor_b64 exec, exec, s[6:7]
	s_cbranch_execz .LBB14_1594
.LBB14_3644:
	v_mov_b32_e32 v2, 0
	v_cmp_ne_u16_sdwa s[8:9], v7, v2 src0_sel:BYTE_3 src1_sel:DWORD
	s_andn2_b64 s[4:5], s[4:5], exec
	s_and_b64 s[8:9], s[8:9], exec
	s_or_b64 s[4:5], s[4:5], s[8:9]
	s_or_b64 exec, exec, s[6:7]
	s_and_saveexec_b64 s[6:7], s[4:5]
	s_cbranch_execnz .LBB14_1595
	s_branch .LBB14_1596
.LBB14_3645:
	s_movk_i32 s4, 0x80
	v_cmp_eq_u16_sdwa s[12:13], v3, s4 src0_sel:BYTE_3 src1_sel:DWORD
	s_mov_b64 s[4:5], -1
                                        ; implicit-def: $sgpr10
	s_and_saveexec_b64 s[8:9], s[12:13]
; %bb.3646:
	s_mov_b32 s10, 0x7f800001
	s_xor_b64 s[4:5], exec, -1
; %bb.3647:
	s_or_b64 exec, exec, s[8:9]
	s_and_b64 s[4:5], s[4:5], exec
	s_or_saveexec_b64 s[6:7], s[6:7]
	v_mov_b32_e32 v6, s10
	s_xor_b64 exec, exec, s[6:7]
	s_cbranch_execz .LBB14_1598
.LBB14_3648:
	v_mov_b32_e32 v6, 0
	v_cmp_ne_u16_sdwa s[8:9], v3, v6 src0_sel:BYTE_3 src1_sel:DWORD
	s_andn2_b64 s[4:5], s[4:5], exec
	s_and_b64 s[8:9], s[8:9], exec
	s_or_b64 s[4:5], s[4:5], s[8:9]
	s_or_b64 exec, exec, s[6:7]
	s_and_saveexec_b64 s[6:7], s[4:5]
	s_cbranch_execnz .LBB14_1599
	s_branch .LBB14_1600
.LBB14_3649:
	s_movk_i32 s4, 0x80
	v_cmp_eq_u16_sdwa s[12:13], v8, s4 src0_sel:BYTE_0 src1_sel:DWORD
	s_mov_b64 s[4:5], -1
                                        ; implicit-def: $sgpr10
	s_and_saveexec_b64 s[8:9], s[12:13]
; %bb.3650:
	s_mov_b32 s10, 0x7f800001
	s_xor_b64 s[4:5], exec, -1
; %bb.3651:
	s_or_b64 exec, exec, s[8:9]
	s_and_b64 s[4:5], s[4:5], exec
	s_or_saveexec_b64 s[6:7], s[6:7]
	v_mov_b32_e32 v2, s10
	s_xor_b64 exec, exec, s[6:7]
	s_cbranch_execz .LBB14_1602
.LBB14_3652:
	v_mov_b32_e32 v2, 0
	v_cmp_ne_u16_sdwa s[8:9], v8, v2 src0_sel:BYTE_0 src1_sel:DWORD
	s_andn2_b64 s[4:5], s[4:5], exec
	s_and_b64 s[8:9], s[8:9], exec
	s_or_b64 s[4:5], s[4:5], s[8:9]
	s_or_b64 exec, exec, s[6:7]
	s_and_saveexec_b64 s[6:7], s[4:5]
	s_cbranch_execnz .LBB14_1603
	s_branch .LBB14_1604
.LBB14_3653:
	s_movk_i32 s4, 0x80
	v_cmp_eq_u16_sdwa s[12:13], v4, s4 src0_sel:BYTE_0 src1_sel:DWORD
	s_mov_b64 s[4:5], -1
                                        ; implicit-def: $sgpr10
	s_and_saveexec_b64 s[8:9], s[12:13]
; %bb.3654:
	s_mov_b32 s10, 0x7f800001
	s_xor_b64 s[4:5], exec, -1
; %bb.3655:
	s_or_b64 exec, exec, s[8:9]
	s_and_b64 s[4:5], s[4:5], exec
	s_or_saveexec_b64 s[6:7], s[6:7]
	v_mov_b32_e32 v3, s10
	s_xor_b64 exec, exec, s[6:7]
	s_cbranch_execz .LBB14_1606
.LBB14_3656:
	v_mov_b32_e32 v3, 0
	v_cmp_ne_u16_sdwa s[8:9], v4, v3 src0_sel:BYTE_0 src1_sel:DWORD
	s_andn2_b64 s[4:5], s[4:5], exec
	s_and_b64 s[8:9], s[8:9], exec
	s_or_b64 s[4:5], s[4:5], s[8:9]
	s_or_b64 exec, exec, s[6:7]
	s_and_saveexec_b64 s[6:7], s[4:5]
	s_cbranch_execnz .LBB14_1607
	s_branch .LBB14_1608
.LBB14_3657:
	s_movk_i32 s4, 0x80
	v_cmp_eq_u16_sdwa s[12:13], v3, s4 src0_sel:BYTE_0 src1_sel:DWORD
	s_mov_b64 s[4:5], -1
                                        ; implicit-def: $sgpr10
	s_and_saveexec_b64 s[8:9], s[12:13]
; %bb.3658:
	s_mov_b32 s10, 0x7f800001
	s_xor_b64 s[4:5], exec, -1
; %bb.3659:
	s_or_b64 exec, exec, s[8:9]
	s_and_b64 s[4:5], s[4:5], exec
	s_or_saveexec_b64 s[6:7], s[6:7]
	v_mov_b32_e32 v2, s10
	s_xor_b64 exec, exec, s[6:7]
	s_cbranch_execz .LBB14_1610
.LBB14_3660:
	v_mov_b32_e32 v2, 0
	v_cmp_ne_u16_sdwa s[8:9], v3, v2 src0_sel:BYTE_0 src1_sel:DWORD
	s_andn2_b64 s[4:5], s[4:5], exec
	s_and_b64 s[8:9], s[8:9], exec
	s_or_b64 s[4:5], s[4:5], s[8:9]
	s_or_b64 exec, exec, s[6:7]
	s_and_saveexec_b64 s[6:7], s[4:5]
	s_cbranch_execnz .LBB14_1611
	s_branch .LBB14_1612
.LBB14_3661:
	s_movk_i32 s4, 0x80
	v_cmp_eq_u16_sdwa s[12:13], v3, s4 src0_sel:BYTE_0 src1_sel:DWORD
	s_mov_b64 s[4:5], -1
                                        ; implicit-def: $sgpr10
	s_and_saveexec_b64 s[8:9], s[12:13]
; %bb.3662:
	s_mov_b32 s10, 0x7f800001
	s_xor_b64 s[4:5], exec, -1
; %bb.3663:
	s_or_b64 exec, exec, s[8:9]
	s_and_b64 s[4:5], s[4:5], exec
	s_or_saveexec_b64 s[6:7], s[6:7]
	v_mov_b32_e32 v6, s10
	s_xor_b64 exec, exec, s[6:7]
	s_cbranch_execz .LBB14_1614
.LBB14_3664:
	v_mov_b32_e32 v6, 0
	v_cmp_ne_u16_sdwa s[8:9], v3, v6 src0_sel:BYTE_0 src1_sel:DWORD
	s_andn2_b64 s[4:5], s[4:5], exec
	s_and_b64 s[8:9], s[8:9], exec
	s_or_b64 s[4:5], s[4:5], s[8:9]
	s_or_b64 exec, exec, s[6:7]
	s_and_saveexec_b64 s[6:7], s[4:5]
	s_cbranch_execnz .LBB14_1615
	s_branch .LBB14_1616
.LBB14_3665:
	s_movk_i32 s4, 0x80
	v_cmp_eq_u16_e32 vcc, s4, v3
	s_mov_b64 s[4:5], -1
                                        ; implicit-def: $sgpr10
	s_and_saveexec_b64 s[8:9], vcc
; %bb.3666:
	s_mov_b32 s10, 0x7f800001
	s_xor_b64 s[4:5], exec, -1
; %bb.3667:
	s_or_b64 exec, exec, s[8:9]
	s_and_b64 s[4:5], s[4:5], exec
                                        ; implicit-def: $vgpr3
	s_or_saveexec_b64 s[6:7], s[6:7]
	v_mov_b32_e32 v2, s10
	s_xor_b64 exec, exec, s[6:7]
	s_cbranch_execz .LBB14_1618
.LBB14_3668:
	v_cmp_ne_u16_e32 vcc, 0, v3
	s_andn2_b64 s[4:5], s[4:5], exec
	s_and_b64 s[8:9], vcc, exec
	v_mov_b32_e32 v2, 0
	s_or_b64 s[4:5], s[4:5], s[8:9]
	s_or_b64 exec, exec, s[6:7]
	s_and_saveexec_b64 s[6:7], s[4:5]
	s_cbranch_execnz .LBB14_1619
	s_branch .LBB14_1620
.LBB14_3669:
	s_movk_i32 s4, 0x80
	v_cmp_eq_u16_e32 vcc, s4, v3
	s_mov_b64 s[4:5], -1
                                        ; implicit-def: $sgpr10
	s_and_saveexec_b64 s[8:9], vcc
; %bb.3670:
	s_mov_b32 s10, 0x7f800001
	s_xor_b64 s[4:5], exec, -1
; %bb.3671:
	s_or_b64 exec, exec, s[8:9]
	s_and_b64 s[4:5], s[4:5], exec
                                        ; implicit-def: $vgpr3
	s_or_saveexec_b64 s[6:7], s[6:7]
	v_mov_b32_e32 v6, s10
	s_xor_b64 exec, exec, s[6:7]
	s_cbranch_execz .LBB14_1622
.LBB14_3672:
	v_cmp_ne_u16_e32 vcc, 0, v3
	s_andn2_b64 s[4:5], s[4:5], exec
	s_and_b64 s[8:9], vcc, exec
	v_mov_b32_e32 v6, 0
	s_or_b64 s[4:5], s[4:5], s[8:9]
	s_or_b64 exec, exec, s[6:7]
	s_and_saveexec_b64 s[6:7], s[4:5]
	s_cbranch_execnz .LBB14_1623
	s_branch .LBB14_1624
.LBB14_3673:
	s_movk_i32 s4, 0x80
	v_cmp_eq_u16_sdwa s[12:13], v8, s4 src0_sel:BYTE_3 src1_sel:DWORD
	s_mov_b64 s[4:5], -1
                                        ; implicit-def: $sgpr10
	s_and_saveexec_b64 s[8:9], s[12:13]
; %bb.3674:
	s_mov_b32 s10, 0x7f800001
	s_xor_b64 s[4:5], exec, -1
; %bb.3675:
	s_or_b64 exec, exec, s[8:9]
	s_and_b64 s[4:5], s[4:5], exec
	s_or_saveexec_b64 s[6:7], s[6:7]
	v_mov_b32_e32 v2, s10
	s_xor_b64 exec, exec, s[6:7]
	s_cbranch_execz .LBB14_1626
.LBB14_3676:
	v_mov_b32_e32 v2, 0
	v_cmp_ne_u16_sdwa s[8:9], v8, v2 src0_sel:BYTE_3 src1_sel:DWORD
	s_andn2_b64 s[4:5], s[4:5], exec
	s_and_b64 s[8:9], s[8:9], exec
	s_or_b64 s[4:5], s[4:5], s[8:9]
	s_or_b64 exec, exec, s[6:7]
	s_and_saveexec_b64 s[6:7], s[4:5]
	s_cbranch_execnz .LBB14_1627
	s_branch .LBB14_1628
.LBB14_3677:
	s_movk_i32 s4, 0x80
	v_cmp_eq_u16_sdwa s[12:13], v4, s4 src0_sel:BYTE_3 src1_sel:DWORD
	s_mov_b64 s[4:5], -1
                                        ; implicit-def: $sgpr10
	s_and_saveexec_b64 s[8:9], s[12:13]
; %bb.3678:
	s_mov_b32 s10, 0x7f800001
	s_xor_b64 s[4:5], exec, -1
; %bb.3679:
	s_or_b64 exec, exec, s[8:9]
	s_and_b64 s[4:5], s[4:5], exec
	s_or_saveexec_b64 s[6:7], s[6:7]
	v_mov_b32_e32 v3, s10
	s_xor_b64 exec, exec, s[6:7]
	s_cbranch_execz .LBB14_1630
.LBB14_3680:
	v_mov_b32_e32 v3, 0
	v_cmp_ne_u16_sdwa s[8:9], v4, v3 src0_sel:BYTE_3 src1_sel:DWORD
	s_andn2_b64 s[4:5], s[4:5], exec
	s_and_b64 s[8:9], s[8:9], exec
	s_or_b64 s[4:5], s[4:5], s[8:9]
	s_or_b64 exec, exec, s[6:7]
	s_and_saveexec_b64 s[6:7], s[4:5]
	s_cbranch_execnz .LBB14_1631
	s_branch .LBB14_1632
.LBB14_3681:
	s_movk_i32 s4, 0x80
	v_cmp_eq_u16_sdwa s[12:13], v9, s4 src0_sel:BYTE_0 src1_sel:DWORD
	s_mov_b64 s[4:5], -1
                                        ; implicit-def: $sgpr10
	s_and_saveexec_b64 s[8:9], s[12:13]
; %bb.3682:
	s_mov_b32 s10, 0x7f800001
	s_xor_b64 s[4:5], exec, -1
; %bb.3683:
	s_or_b64 exec, exec, s[8:9]
	s_and_b64 s[4:5], s[4:5], exec
	s_or_saveexec_b64 s[6:7], s[6:7]
	v_mov_b32_e32 v2, s10
	s_xor_b64 exec, exec, s[6:7]
	s_cbranch_execz .LBB14_1634
.LBB14_3684:
	v_mov_b32_e32 v2, 0
	v_cmp_ne_u16_sdwa s[8:9], v9, v2 src0_sel:BYTE_0 src1_sel:DWORD
	s_andn2_b64 s[4:5], s[4:5], exec
	s_and_b64 s[8:9], s[8:9], exec
	s_or_b64 s[4:5], s[4:5], s[8:9]
	s_or_b64 exec, exec, s[6:7]
	s_and_saveexec_b64 s[6:7], s[4:5]
	s_cbranch_execnz .LBB14_1635
	s_branch .LBB14_1636
.LBB14_3685:
	s_movk_i32 s4, 0x80
	v_cmp_eq_u16_sdwa s[12:13], v5, s4 src0_sel:BYTE_0 src1_sel:DWORD
	s_mov_b64 s[4:5], -1
                                        ; implicit-def: $sgpr10
	s_and_saveexec_b64 s[8:9], s[12:13]
; %bb.3686:
	s_mov_b32 s10, 0x7f800001
	s_xor_b64 s[4:5], exec, -1
; %bb.3687:
	s_or_b64 exec, exec, s[8:9]
	s_and_b64 s[4:5], s[4:5], exec
	s_or_saveexec_b64 s[6:7], s[6:7]
	v_mov_b32_e32 v3, s10
	s_xor_b64 exec, exec, s[6:7]
	s_cbranch_execz .LBB14_1638
.LBB14_3688:
	v_mov_b32_e32 v3, 0
	v_cmp_ne_u16_sdwa s[8:9], v5, v3 src0_sel:BYTE_0 src1_sel:DWORD
	s_andn2_b64 s[4:5], s[4:5], exec
	s_and_b64 s[8:9], s[8:9], exec
	s_or_b64 s[4:5], s[4:5], s[8:9]
	s_or_b64 exec, exec, s[6:7]
	s_and_saveexec_b64 s[6:7], s[4:5]
	s_cbranch_execnz .LBB14_1639
	s_branch .LBB14_1640
.LBB14_3689:
	s_movk_i32 s4, 0x80
	v_cmp_eq_u16_sdwa s[12:13], v3, s4 src0_sel:BYTE_0 src1_sel:DWORD
	s_mov_b64 s[4:5], -1
                                        ; implicit-def: $sgpr10
	s_and_saveexec_b64 s[8:9], s[12:13]
; %bb.3690:
	s_mov_b32 s10, 0x7f800001
	s_xor_b64 s[4:5], exec, -1
; %bb.3691:
	s_or_b64 exec, exec, s[8:9]
	s_and_b64 s[4:5], s[4:5], exec
	s_or_saveexec_b64 s[6:7], s[6:7]
	v_mov_b32_e32 v2, s10
	s_xor_b64 exec, exec, s[6:7]
	s_cbranch_execz .LBB14_1642
.LBB14_3692:
	v_mov_b32_e32 v2, 0
	v_cmp_ne_u16_sdwa s[8:9], v3, v2 src0_sel:BYTE_0 src1_sel:DWORD
	s_andn2_b64 s[4:5], s[4:5], exec
	s_and_b64 s[8:9], s[8:9], exec
	s_or_b64 s[4:5], s[4:5], s[8:9]
	s_or_b64 exec, exec, s[6:7]
	s_and_saveexec_b64 s[6:7], s[4:5]
	s_cbranch_execnz .LBB14_1643
	s_branch .LBB14_1644
.LBB14_3693:
	s_movk_i32 s4, 0x80
	v_cmp_eq_u16_sdwa s[12:13], v3, s4 src0_sel:BYTE_0 src1_sel:DWORD
	s_mov_b64 s[4:5], -1
                                        ; implicit-def: $sgpr10
	s_and_saveexec_b64 s[8:9], s[12:13]
; %bb.3694:
	s_mov_b32 s10, 0x7f800001
	s_xor_b64 s[4:5], exec, -1
; %bb.3695:
	s_or_b64 exec, exec, s[8:9]
	s_and_b64 s[4:5], s[4:5], exec
	s_or_saveexec_b64 s[6:7], s[6:7]
	v_mov_b32_e32 v4, s10
	s_xor_b64 exec, exec, s[6:7]
	s_cbranch_execz .LBB14_1646
.LBB14_3696:
	v_mov_b32_e32 v4, 0
	v_cmp_ne_u16_sdwa s[8:9], v3, v4 src0_sel:BYTE_0 src1_sel:DWORD
	s_andn2_b64 s[4:5], s[4:5], exec
	s_and_b64 s[8:9], s[8:9], exec
	s_or_b64 s[4:5], s[4:5], s[8:9]
	s_or_b64 exec, exec, s[6:7]
	s_and_saveexec_b64 s[6:7], s[4:5]
	s_cbranch_execnz .LBB14_1647
	s_branch .LBB14_1648
.LBB14_3697:
	s_movk_i32 s4, 0x80
	v_cmp_eq_u16_e32 vcc, s4, v3
	s_mov_b64 s[4:5], -1
                                        ; implicit-def: $sgpr10
	s_and_saveexec_b64 s[8:9], vcc
; %bb.3698:
	s_mov_b32 s10, 0x7f800001
	s_xor_b64 s[4:5], exec, -1
; %bb.3699:
	s_or_b64 exec, exec, s[8:9]
	s_and_b64 s[4:5], s[4:5], exec
                                        ; implicit-def: $vgpr3
	s_or_saveexec_b64 s[6:7], s[6:7]
	v_mov_b32_e32 v2, s10
	s_xor_b64 exec, exec, s[6:7]
	s_cbranch_execz .LBB14_1650
.LBB14_3700:
	v_cmp_ne_u16_e32 vcc, 0, v3
	s_andn2_b64 s[4:5], s[4:5], exec
	s_and_b64 s[8:9], vcc, exec
	v_mov_b32_e32 v2, 0
	s_or_b64 s[4:5], s[4:5], s[8:9]
	s_or_b64 exec, exec, s[6:7]
	s_and_saveexec_b64 s[6:7], s[4:5]
	s_cbranch_execnz .LBB14_1651
	s_branch .LBB14_1652
.LBB14_3701:
	s_movk_i32 s4, 0x80
	v_cmp_eq_u16_e32 vcc, s4, v3
	s_mov_b64 s[4:5], -1
                                        ; implicit-def: $sgpr10
	s_and_saveexec_b64 s[8:9], vcc
; %bb.3702:
	s_mov_b32 s10, 0x7f800001
	s_xor_b64 s[4:5], exec, -1
; %bb.3703:
	s_or_b64 exec, exec, s[8:9]
	s_and_b64 s[4:5], s[4:5], exec
                                        ; implicit-def: $vgpr3
	s_or_saveexec_b64 s[6:7], s[6:7]
	v_mov_b32_e32 v4, s10
	s_xor_b64 exec, exec, s[6:7]
	s_cbranch_execz .LBB14_1654
.LBB14_3704:
	v_cmp_ne_u16_e32 vcc, 0, v3
	s_andn2_b64 s[4:5], s[4:5], exec
	s_and_b64 s[8:9], vcc, exec
	v_mov_b32_e32 v4, 0
	s_or_b64 s[4:5], s[4:5], s[8:9]
	s_or_b64 exec, exec, s[6:7]
	s_and_saveexec_b64 s[6:7], s[4:5]
	s_cbranch_execnz .LBB14_1655
	s_branch .LBB14_1656
.LBB14_3705:
	s_movk_i32 s4, 0x80
	v_cmp_eq_u16_sdwa s[12:13], v9, s4 src0_sel:BYTE_3 src1_sel:DWORD
	s_mov_b64 s[4:5], -1
                                        ; implicit-def: $sgpr10
	s_and_saveexec_b64 s[8:9], s[12:13]
; %bb.3706:
	s_mov_b32 s10, 0x7f800001
	s_xor_b64 s[4:5], exec, -1
; %bb.3707:
	s_or_b64 exec, exec, s[8:9]
	s_and_b64 s[4:5], s[4:5], exec
	s_or_saveexec_b64 s[6:7], s[6:7]
	v_mov_b32_e32 v2, s10
	s_xor_b64 exec, exec, s[6:7]
	s_cbranch_execz .LBB14_1658
.LBB14_3708:
	v_mov_b32_e32 v2, 0
	v_cmp_ne_u16_sdwa s[8:9], v9, v2 src0_sel:BYTE_3 src1_sel:DWORD
	s_andn2_b64 s[4:5], s[4:5], exec
	s_and_b64 s[8:9], s[8:9], exec
	s_or_b64 s[4:5], s[4:5], s[8:9]
	s_or_b64 exec, exec, s[6:7]
	s_and_saveexec_b64 s[6:7], s[4:5]
	s_cbranch_execnz .LBB14_1659
	s_branch .LBB14_1660
.LBB14_3709:
	s_movk_i32 s4, 0x80
	v_cmp_eq_u16_sdwa s[12:13], v5, s4 src0_sel:BYTE_3 src1_sel:DWORD
	s_mov_b64 s[4:5], -1
                                        ; implicit-def: $sgpr10
	s_and_saveexec_b64 s[8:9], s[12:13]
; %bb.3710:
	s_mov_b32 s10, 0x7f800001
	s_xor_b64 s[4:5], exec, -1
; %bb.3711:
	s_or_b64 exec, exec, s[8:9]
	s_and_b64 s[4:5], s[4:5], exec
	s_or_saveexec_b64 s[6:7], s[6:7]
	v_mov_b32_e32 v3, s10
	s_xor_b64 exec, exec, s[6:7]
	s_cbranch_execz .LBB14_1662
.LBB14_3712:
	v_mov_b32_e32 v3, 0
	v_cmp_ne_u16_sdwa s[8:9], v5, v3 src0_sel:BYTE_3 src1_sel:DWORD
	s_andn2_b64 s[4:5], s[4:5], exec
	s_and_b64 s[8:9], s[8:9], exec
	s_or_b64 s[4:5], s[4:5], s[8:9]
	s_or_b64 exec, exec, s[6:7]
	s_and_saveexec_b64 s[6:7], s[4:5]
	s_cbranch_execnz .LBB14_1663
	s_branch .LBB14_1664
.LBB14_3713:
	s_movk_i32 s4, 0x80
	v_cmp_eq_u16_sdwa s[12:13], v6, s4 src0_sel:BYTE_0 src1_sel:DWORD
	s_mov_b64 s[4:5], -1
                                        ; implicit-def: $sgpr10
	s_and_saveexec_b64 s[8:9], s[12:13]
; %bb.3714:
	s_mov_b32 s10, 0x7f800001
	s_xor_b64 s[4:5], exec, -1
; %bb.3715:
	s_or_b64 exec, exec, s[8:9]
	s_and_b64 s[4:5], s[4:5], exec
	s_or_saveexec_b64 s[6:7], s[6:7]
	v_mov_b32_e32 v12, s10
	s_xor_b64 exec, exec, s[6:7]
	s_cbranch_execz .LBB14_1666
.LBB14_3716:
	v_mov_b32_e32 v12, 0
	v_cmp_ne_u16_sdwa s[8:9], v6, v12 src0_sel:BYTE_0 src1_sel:DWORD
	s_andn2_b64 s[4:5], s[4:5], exec
	s_and_b64 s[8:9], s[8:9], exec
	s_or_b64 s[4:5], s[4:5], s[8:9]
	s_or_b64 exec, exec, s[6:7]
	s_and_saveexec_b64 s[6:7], s[4:5]
	s_cbranch_execnz .LBB14_1667
	s_branch .LBB14_1668
.LBB14_3717:
	s_movk_i32 s4, 0x80
	v_cmp_eq_u16_sdwa s[12:13], v2, s4 src0_sel:BYTE_0 src1_sel:DWORD
	s_mov_b64 s[4:5], -1
                                        ; implicit-def: $sgpr10
	s_and_saveexec_b64 s[8:9], s[12:13]
; %bb.3718:
	s_mov_b32 s10, 0x7f800001
	s_xor_b64 s[4:5], exec, -1
; %bb.3719:
	s_or_b64 exec, exec, s[8:9]
	s_and_b64 s[4:5], s[4:5], exec
	s_or_saveexec_b64 s[6:7], s[6:7]
	v_mov_b32_e32 v13, s10
	s_xor_b64 exec, exec, s[6:7]
	s_cbranch_execz .LBB14_1670
.LBB14_3720:
	v_mov_b32_e32 v13, 0
	v_cmp_ne_u16_sdwa s[8:9], v2, v13 src0_sel:BYTE_0 src1_sel:DWORD
	s_andn2_b64 s[4:5], s[4:5], exec
	s_and_b64 s[8:9], s[8:9], exec
	s_or_b64 s[4:5], s[4:5], s[8:9]
	s_or_b64 exec, exec, s[6:7]
	s_and_saveexec_b64 s[6:7], s[4:5]
	s_cbranch_execnz .LBB14_1671
	s_branch .LBB14_1672
.LBB14_3721:
	s_movk_i32 s4, 0x80
	v_cmp_eq_u16_sdwa s[12:13], v13, s4 src0_sel:BYTE_0 src1_sel:DWORD
	s_mov_b64 s[4:5], -1
                                        ; implicit-def: $sgpr10
	s_and_saveexec_b64 s[8:9], s[12:13]
; %bb.3722:
	s_mov_b32 s10, 0x7f800001
	s_xor_b64 s[4:5], exec, -1
; %bb.3723:
	s_or_b64 exec, exec, s[8:9]
	s_and_b64 s[4:5], s[4:5], exec
	s_or_saveexec_b64 s[6:7], s[6:7]
	v_mov_b32_e32 v12, s10
	s_xor_b64 exec, exec, s[6:7]
	s_cbranch_execz .LBB14_1674
.LBB14_3724:
	v_mov_b32_e32 v12, 0
	v_cmp_ne_u16_sdwa s[8:9], v13, v12 src0_sel:BYTE_0 src1_sel:DWORD
	s_andn2_b64 s[4:5], s[4:5], exec
	s_and_b64 s[8:9], s[8:9], exec
	s_or_b64 s[4:5], s[4:5], s[8:9]
	s_or_b64 exec, exec, s[6:7]
	s_and_saveexec_b64 s[6:7], s[4:5]
	s_cbranch_execnz .LBB14_1675
	s_branch .LBB14_1676
.LBB14_3725:
	s_movk_i32 s4, 0x80
	v_cmp_eq_u16_sdwa s[12:13], v13, s4 src0_sel:BYTE_0 src1_sel:DWORD
	s_mov_b64 s[4:5], -1
                                        ; implicit-def: $sgpr10
	s_and_saveexec_b64 s[8:9], s[12:13]
; %bb.3726:
	s_mov_b32 s10, 0x7f800001
	s_xor_b64 s[4:5], exec, -1
; %bb.3727:
	s_or_b64 exec, exec, s[8:9]
	s_and_b64 s[4:5], s[4:5], exec
	s_or_saveexec_b64 s[6:7], s[6:7]
	v_mov_b32_e32 v14, s10
	s_xor_b64 exec, exec, s[6:7]
	s_cbranch_execz .LBB14_1678
.LBB14_3728:
	v_mov_b32_e32 v14, 0
	v_cmp_ne_u16_sdwa s[8:9], v13, v14 src0_sel:BYTE_0 src1_sel:DWORD
	s_andn2_b64 s[4:5], s[4:5], exec
	s_and_b64 s[8:9], s[8:9], exec
	s_or_b64 s[4:5], s[4:5], s[8:9]
	s_or_b64 exec, exec, s[6:7]
	s_and_saveexec_b64 s[6:7], s[4:5]
	s_cbranch_execnz .LBB14_1679
	s_branch .LBB14_1680
.LBB14_3729:
	s_movk_i32 s4, 0x80
	v_cmp_eq_u16_e32 vcc, s4, v13
	s_mov_b64 s[4:5], -1
                                        ; implicit-def: $sgpr10
	s_and_saveexec_b64 s[8:9], vcc
; %bb.3730:
	s_mov_b32 s10, 0x7f800001
	s_xor_b64 s[4:5], exec, -1
; %bb.3731:
	s_or_b64 exec, exec, s[8:9]
	s_and_b64 s[4:5], s[4:5], exec
                                        ; implicit-def: $vgpr13
	s_or_saveexec_b64 s[6:7], s[6:7]
	v_mov_b32_e32 v12, s10
	s_xor_b64 exec, exec, s[6:7]
	s_cbranch_execz .LBB14_1682
.LBB14_3732:
	v_cmp_ne_u16_e32 vcc, 0, v13
	s_andn2_b64 s[4:5], s[4:5], exec
	s_and_b64 s[8:9], vcc, exec
	v_mov_b32_e32 v12, 0
	s_or_b64 s[4:5], s[4:5], s[8:9]
	s_or_b64 exec, exec, s[6:7]
	s_and_saveexec_b64 s[6:7], s[4:5]
	s_cbranch_execnz .LBB14_1683
	s_branch .LBB14_1684
.LBB14_3733:
	s_movk_i32 s4, 0x80
	v_cmp_eq_u16_e32 vcc, s4, v13
	s_mov_b64 s[4:5], -1
                                        ; implicit-def: $sgpr10
	s_and_saveexec_b64 s[8:9], vcc
; %bb.3734:
	s_mov_b32 s10, 0x7f800001
	s_xor_b64 s[4:5], exec, -1
; %bb.3735:
	s_or_b64 exec, exec, s[8:9]
	s_and_b64 s[4:5], s[4:5], exec
                                        ; implicit-def: $vgpr13
	s_or_saveexec_b64 s[6:7], s[6:7]
	v_mov_b32_e32 v14, s10
	s_xor_b64 exec, exec, s[6:7]
	s_cbranch_execz .LBB14_1686
.LBB14_3736:
	v_cmp_ne_u16_e32 vcc, 0, v13
	s_andn2_b64 s[4:5], s[4:5], exec
	s_and_b64 s[8:9], vcc, exec
	v_mov_b32_e32 v14, 0
	s_or_b64 s[4:5], s[4:5], s[8:9]
	s_or_b64 exec, exec, s[6:7]
	s_and_saveexec_b64 s[6:7], s[4:5]
	s_cbranch_execnz .LBB14_1687
	s_branch .LBB14_1688
.LBB14_3737:
	s_movk_i32 s4, 0x80
	v_cmp_eq_u16_sdwa s[12:13], v6, s4 src0_sel:BYTE_3 src1_sel:DWORD
	s_mov_b64 s[4:5], -1
                                        ; implicit-def: $sgpr10
	s_and_saveexec_b64 s[8:9], s[12:13]
; %bb.3738:
	s_mov_b32 s10, 0x7f800001
	s_xor_b64 s[4:5], exec, -1
; %bb.3739:
	s_or_b64 exec, exec, s[8:9]
	s_and_b64 s[4:5], s[4:5], exec
	s_or_saveexec_b64 s[6:7], s[6:7]
	v_mov_b32_e32 v12, s10
	s_xor_b64 exec, exec, s[6:7]
	s_cbranch_execz .LBB14_1690
.LBB14_3740:
	v_mov_b32_e32 v12, 0
	v_cmp_ne_u16_sdwa s[8:9], v6, v12 src0_sel:BYTE_3 src1_sel:DWORD
	s_andn2_b64 s[4:5], s[4:5], exec
	s_and_b64 s[8:9], s[8:9], exec
	s_or_b64 s[4:5], s[4:5], s[8:9]
	s_or_b64 exec, exec, s[6:7]
	s_and_saveexec_b64 s[6:7], s[4:5]
	s_cbranch_execnz .LBB14_1691
	s_branch .LBB14_1692
.LBB14_3741:
	s_movk_i32 s4, 0x80
	v_cmp_eq_u16_sdwa s[12:13], v2, s4 src0_sel:BYTE_3 src1_sel:DWORD
	s_mov_b64 s[4:5], -1
                                        ; implicit-def: $sgpr10
	s_and_saveexec_b64 s[8:9], s[12:13]
; %bb.3742:
	s_mov_b32 s10, 0x7f800001
	s_xor_b64 s[4:5], exec, -1
; %bb.3743:
	s_or_b64 exec, exec, s[8:9]
	s_and_b64 s[4:5], s[4:5], exec
	s_or_saveexec_b64 s[6:7], s[6:7]
	v_mov_b32_e32 v6, s10
	s_xor_b64 exec, exec, s[6:7]
	s_cbranch_execz .LBB14_1694
.LBB14_3744:
	v_mov_b32_e32 v6, 0
	v_cmp_ne_u16_sdwa s[8:9], v2, v6 src0_sel:BYTE_3 src1_sel:DWORD
	s_andn2_b64 s[4:5], s[4:5], exec
	s_and_b64 s[8:9], s[8:9], exec
	s_or_b64 s[4:5], s[4:5], s[8:9]
	s_or_b64 exec, exec, s[6:7]
	s_and_saveexec_b64 s[6:7], s[4:5]
	s_cbranch_execnz .LBB14_1695
	s_branch .LBB14_1696
.LBB14_3745:
	s_movk_i32 s4, 0x80
	v_cmp_eq_u16_sdwa s[12:13], v7, s4 src0_sel:BYTE_0 src1_sel:DWORD
	s_mov_b64 s[4:5], -1
                                        ; implicit-def: $sgpr10
	s_and_saveexec_b64 s[8:9], s[12:13]
; %bb.3746:
	s_mov_b32 s10, 0x7f800001
	s_xor_b64 s[4:5], exec, -1
; %bb.3747:
	s_or_b64 exec, exec, s[8:9]
	s_and_b64 s[4:5], s[4:5], exec
	s_or_saveexec_b64 s[6:7], s[6:7]
	v_mov_b32_e32 v2, s10
	s_xor_b64 exec, exec, s[6:7]
	s_cbranch_execz .LBB14_1698
.LBB14_3748:
	v_mov_b32_e32 v2, 0
	v_cmp_ne_u16_sdwa s[8:9], v7, v2 src0_sel:BYTE_0 src1_sel:DWORD
	s_andn2_b64 s[4:5], s[4:5], exec
	s_and_b64 s[8:9], s[8:9], exec
	s_or_b64 s[4:5], s[4:5], s[8:9]
	s_or_b64 exec, exec, s[6:7]
	s_and_saveexec_b64 s[6:7], s[4:5]
	s_cbranch_execnz .LBB14_1699
	s_branch .LBB14_1700
.LBB14_3749:
	s_movk_i32 s4, 0x80
	v_cmp_eq_u16_sdwa s[12:13], v3, s4 src0_sel:BYTE_0 src1_sel:DWORD
	s_mov_b64 s[4:5], -1
                                        ; implicit-def: $sgpr10
	s_and_saveexec_b64 s[8:9], s[12:13]
; %bb.3750:
	s_mov_b32 s10, 0x7f800001
	s_xor_b64 s[4:5], exec, -1
; %bb.3751:
	s_or_b64 exec, exec, s[8:9]
	s_and_b64 s[4:5], s[4:5], exec
	s_or_saveexec_b64 s[6:7], s[6:7]
	v_mov_b32_e32 v6, s10
	s_xor_b64 exec, exec, s[6:7]
	s_cbranch_execz .LBB14_1702
.LBB14_3752:
	v_mov_b32_e32 v6, 0
	v_cmp_ne_u16_sdwa s[8:9], v3, v6 src0_sel:BYTE_0 src1_sel:DWORD
	s_andn2_b64 s[4:5], s[4:5], exec
	s_and_b64 s[8:9], s[8:9], exec
	s_or_b64 s[4:5], s[4:5], s[8:9]
	s_or_b64 exec, exec, s[6:7]
	s_and_saveexec_b64 s[6:7], s[4:5]
	s_cbranch_execnz .LBB14_1703
	s_branch .LBB14_1704
.LBB14_3753:
	s_movk_i32 s4, 0x80
	v_cmp_eq_u16_sdwa s[12:13], v6, s4 src0_sel:BYTE_0 src1_sel:DWORD
	s_mov_b64 s[4:5], -1
                                        ; implicit-def: $sgpr10
	s_and_saveexec_b64 s[8:9], s[12:13]
; %bb.3754:
	s_mov_b32 s10, 0x7f800001
	s_xor_b64 s[4:5], exec, -1
; %bb.3755:
	s_or_b64 exec, exec, s[8:9]
	s_and_b64 s[4:5], s[4:5], exec
	s_or_saveexec_b64 s[6:7], s[6:7]
	v_mov_b32_e32 v2, s10
	s_xor_b64 exec, exec, s[6:7]
	s_cbranch_execz .LBB14_1706
.LBB14_3756:
	v_mov_b32_e32 v2, 0
	v_cmp_ne_u16_sdwa s[8:9], v6, v2 src0_sel:BYTE_0 src1_sel:DWORD
	s_andn2_b64 s[4:5], s[4:5], exec
	s_and_b64 s[8:9], s[8:9], exec
	s_or_b64 s[4:5], s[4:5], s[8:9]
	s_or_b64 exec, exec, s[6:7]
	s_and_saveexec_b64 s[6:7], s[4:5]
	s_cbranch_execnz .LBB14_1707
	s_branch .LBB14_1708
.LBB14_3757:
	s_movk_i32 s4, 0x80
	v_cmp_eq_u16_sdwa s[12:13], v6, s4 src0_sel:BYTE_0 src1_sel:DWORD
	s_mov_b64 s[4:5], -1
                                        ; implicit-def: $sgpr10
	s_and_saveexec_b64 s[8:9], s[12:13]
; %bb.3758:
	s_mov_b32 s10, 0x7f800001
	s_xor_b64 s[4:5], exec, -1
; %bb.3759:
	s_or_b64 exec, exec, s[8:9]
	s_and_b64 s[4:5], s[4:5], exec
	s_or_saveexec_b64 s[6:7], s[6:7]
	v_mov_b32_e32 v12, s10
	s_xor_b64 exec, exec, s[6:7]
	s_cbranch_execz .LBB14_1710
.LBB14_3760:
	v_mov_b32_e32 v12, 0
	v_cmp_ne_u16_sdwa s[8:9], v6, v12 src0_sel:BYTE_0 src1_sel:DWORD
	s_andn2_b64 s[4:5], s[4:5], exec
	s_and_b64 s[8:9], s[8:9], exec
	s_or_b64 s[4:5], s[4:5], s[8:9]
	s_or_b64 exec, exec, s[6:7]
	s_and_saveexec_b64 s[6:7], s[4:5]
	s_cbranch_execnz .LBB14_1711
	s_branch .LBB14_1712
.LBB14_3761:
	s_movk_i32 s4, 0x80
	v_cmp_eq_u16_e32 vcc, s4, v6
	s_mov_b64 s[4:5], -1
                                        ; implicit-def: $sgpr10
	s_and_saveexec_b64 s[8:9], vcc
; %bb.3762:
	s_mov_b32 s10, 0x7f800001
	s_xor_b64 s[4:5], exec, -1
; %bb.3763:
	s_or_b64 exec, exec, s[8:9]
	s_and_b64 s[4:5], s[4:5], exec
                                        ; implicit-def: $vgpr6
	s_or_saveexec_b64 s[6:7], s[6:7]
	v_mov_b32_e32 v2, s10
	s_xor_b64 exec, exec, s[6:7]
	s_cbranch_execz .LBB14_1714
.LBB14_3764:
	v_cmp_ne_u16_e32 vcc, 0, v6
	s_andn2_b64 s[4:5], s[4:5], exec
	s_and_b64 s[8:9], vcc, exec
	v_mov_b32_e32 v2, 0
	s_or_b64 s[4:5], s[4:5], s[8:9]
	s_or_b64 exec, exec, s[6:7]
	s_and_saveexec_b64 s[6:7], s[4:5]
	s_cbranch_execnz .LBB14_1715
	s_branch .LBB14_1716
.LBB14_3765:
	s_movk_i32 s4, 0x80
	v_cmp_eq_u16_e32 vcc, s4, v6
	s_mov_b64 s[4:5], -1
                                        ; implicit-def: $sgpr10
	s_and_saveexec_b64 s[8:9], vcc
; %bb.3766:
	s_mov_b32 s10, 0x7f800001
	s_xor_b64 s[4:5], exec, -1
; %bb.3767:
	s_or_b64 exec, exec, s[8:9]
	s_and_b64 s[4:5], s[4:5], exec
                                        ; implicit-def: $vgpr6
	s_or_saveexec_b64 s[6:7], s[6:7]
	v_mov_b32_e32 v12, s10
	s_xor_b64 exec, exec, s[6:7]
	s_cbranch_execz .LBB14_1718
.LBB14_3768:
	v_cmp_ne_u16_e32 vcc, 0, v6
	s_andn2_b64 s[4:5], s[4:5], exec
	s_and_b64 s[8:9], vcc, exec
	v_mov_b32_e32 v12, 0
	s_or_b64 s[4:5], s[4:5], s[8:9]
	s_or_b64 exec, exec, s[6:7]
	s_and_saveexec_b64 s[6:7], s[4:5]
	s_cbranch_execnz .LBB14_1719
	s_branch .LBB14_1720
.LBB14_3769:
	s_movk_i32 s4, 0x80
	v_cmp_eq_u16_sdwa s[12:13], v7, s4 src0_sel:BYTE_3 src1_sel:DWORD
	s_mov_b64 s[4:5], -1
                                        ; implicit-def: $sgpr10
	s_and_saveexec_b64 s[8:9], s[12:13]
; %bb.3770:
	s_mov_b32 s10, 0x7f800001
	s_xor_b64 s[4:5], exec, -1
; %bb.3771:
	s_or_b64 exec, exec, s[8:9]
	s_and_b64 s[4:5], s[4:5], exec
	s_or_saveexec_b64 s[6:7], s[6:7]
	v_mov_b32_e32 v2, s10
	s_xor_b64 exec, exec, s[6:7]
	s_cbranch_execz .LBB14_1722
.LBB14_3772:
	v_mov_b32_e32 v2, 0
	v_cmp_ne_u16_sdwa s[8:9], v7, v2 src0_sel:BYTE_3 src1_sel:DWORD
	s_andn2_b64 s[4:5], s[4:5], exec
	s_and_b64 s[8:9], s[8:9], exec
	s_or_b64 s[4:5], s[4:5], s[8:9]
	s_or_b64 exec, exec, s[6:7]
	s_and_saveexec_b64 s[6:7], s[4:5]
	s_cbranch_execnz .LBB14_1723
	s_branch .LBB14_1724
.LBB14_3773:
	s_movk_i32 s4, 0x80
	v_cmp_eq_u16_sdwa s[12:13], v3, s4 src0_sel:BYTE_3 src1_sel:DWORD
	s_mov_b64 s[4:5], -1
                                        ; implicit-def: $sgpr10
	s_and_saveexec_b64 s[8:9], s[12:13]
; %bb.3774:
	s_mov_b32 s10, 0x7f800001
	s_xor_b64 s[4:5], exec, -1
; %bb.3775:
	s_or_b64 exec, exec, s[8:9]
	s_and_b64 s[4:5], s[4:5], exec
	s_or_saveexec_b64 s[6:7], s[6:7]
	v_mov_b32_e32 v6, s10
	s_xor_b64 exec, exec, s[6:7]
	s_cbranch_execz .LBB14_1726
.LBB14_3776:
	v_mov_b32_e32 v6, 0
	v_cmp_ne_u16_sdwa s[8:9], v3, v6 src0_sel:BYTE_3 src1_sel:DWORD
	s_andn2_b64 s[4:5], s[4:5], exec
	s_and_b64 s[8:9], s[8:9], exec
	s_or_b64 s[4:5], s[4:5], s[8:9]
	s_or_b64 exec, exec, s[6:7]
	s_and_saveexec_b64 s[6:7], s[4:5]
	s_cbranch_execnz .LBB14_1727
	s_branch .LBB14_1728
.LBB14_3777:
	s_movk_i32 s4, 0x80
	v_cmp_eq_u16_sdwa s[12:13], v8, s4 src0_sel:BYTE_0 src1_sel:DWORD
	s_mov_b64 s[4:5], -1
                                        ; implicit-def: $sgpr10
	s_and_saveexec_b64 s[8:9], s[12:13]
; %bb.3778:
	s_mov_b32 s10, 0x7f800001
	s_xor_b64 s[4:5], exec, -1
; %bb.3779:
	s_or_b64 exec, exec, s[8:9]
	s_and_b64 s[4:5], s[4:5], exec
	s_or_saveexec_b64 s[6:7], s[6:7]
	v_mov_b32_e32 v2, s10
	s_xor_b64 exec, exec, s[6:7]
	s_cbranch_execz .LBB14_1730
.LBB14_3780:
	v_mov_b32_e32 v2, 0
	v_cmp_ne_u16_sdwa s[8:9], v8, v2 src0_sel:BYTE_0 src1_sel:DWORD
	s_andn2_b64 s[4:5], s[4:5], exec
	s_and_b64 s[8:9], s[8:9], exec
	s_or_b64 s[4:5], s[4:5], s[8:9]
	s_or_b64 exec, exec, s[6:7]
	s_and_saveexec_b64 s[6:7], s[4:5]
	s_cbranch_execnz .LBB14_1731
	s_branch .LBB14_1732
.LBB14_3781:
	s_movk_i32 s4, 0x80
	v_cmp_eq_u16_sdwa s[12:13], v4, s4 src0_sel:BYTE_0 src1_sel:DWORD
	s_mov_b64 s[4:5], -1
                                        ; implicit-def: $sgpr10
	s_and_saveexec_b64 s[8:9], s[12:13]
; %bb.3782:
	s_mov_b32 s10, 0x7f800001
	s_xor_b64 s[4:5], exec, -1
; %bb.3783:
	s_or_b64 exec, exec, s[8:9]
	s_and_b64 s[4:5], s[4:5], exec
	s_or_saveexec_b64 s[6:7], s[6:7]
	v_mov_b32_e32 v3, s10
	s_xor_b64 exec, exec, s[6:7]
	s_cbranch_execz .LBB14_1734
.LBB14_3784:
	v_mov_b32_e32 v3, 0
	v_cmp_ne_u16_sdwa s[8:9], v4, v3 src0_sel:BYTE_0 src1_sel:DWORD
	s_andn2_b64 s[4:5], s[4:5], exec
	s_and_b64 s[8:9], s[8:9], exec
	s_or_b64 s[4:5], s[4:5], s[8:9]
	s_or_b64 exec, exec, s[6:7]
	s_and_saveexec_b64 s[6:7], s[4:5]
	s_cbranch_execnz .LBB14_1735
	s_branch .LBB14_1736
.LBB14_3785:
	s_movk_i32 s4, 0x80
	v_cmp_eq_u16_sdwa s[12:13], v3, s4 src0_sel:BYTE_0 src1_sel:DWORD
	s_mov_b64 s[4:5], -1
                                        ; implicit-def: $sgpr10
	s_and_saveexec_b64 s[8:9], s[12:13]
; %bb.3786:
	s_mov_b32 s10, 0x7f800001
	s_xor_b64 s[4:5], exec, -1
; %bb.3787:
	s_or_b64 exec, exec, s[8:9]
	s_and_b64 s[4:5], s[4:5], exec
	s_or_saveexec_b64 s[6:7], s[6:7]
	v_mov_b32_e32 v2, s10
	s_xor_b64 exec, exec, s[6:7]
	s_cbranch_execz .LBB14_1738
.LBB14_3788:
	v_mov_b32_e32 v2, 0
	v_cmp_ne_u16_sdwa s[8:9], v3, v2 src0_sel:BYTE_0 src1_sel:DWORD
	s_andn2_b64 s[4:5], s[4:5], exec
	s_and_b64 s[8:9], s[8:9], exec
	s_or_b64 s[4:5], s[4:5], s[8:9]
	s_or_b64 exec, exec, s[6:7]
	s_and_saveexec_b64 s[6:7], s[4:5]
	s_cbranch_execnz .LBB14_1739
	s_branch .LBB14_1740
.LBB14_3789:
	s_movk_i32 s4, 0x80
	v_cmp_eq_u16_sdwa s[12:13], v3, s4 src0_sel:BYTE_0 src1_sel:DWORD
	s_mov_b64 s[4:5], -1
                                        ; implicit-def: $sgpr10
	s_and_saveexec_b64 s[8:9], s[12:13]
; %bb.3790:
	s_mov_b32 s10, 0x7f800001
	s_xor_b64 s[4:5], exec, -1
; %bb.3791:
	s_or_b64 exec, exec, s[8:9]
	s_and_b64 s[4:5], s[4:5], exec
	s_or_saveexec_b64 s[6:7], s[6:7]
	v_mov_b32_e32 v6, s10
	s_xor_b64 exec, exec, s[6:7]
	s_cbranch_execz .LBB14_1742
.LBB14_3792:
	v_mov_b32_e32 v6, 0
	v_cmp_ne_u16_sdwa s[8:9], v3, v6 src0_sel:BYTE_0 src1_sel:DWORD
	s_andn2_b64 s[4:5], s[4:5], exec
	s_and_b64 s[8:9], s[8:9], exec
	s_or_b64 s[4:5], s[4:5], s[8:9]
	s_or_b64 exec, exec, s[6:7]
	s_and_saveexec_b64 s[6:7], s[4:5]
	s_cbranch_execnz .LBB14_1743
	s_branch .LBB14_1744
.LBB14_3793:
	s_movk_i32 s4, 0x80
	v_cmp_eq_u16_e32 vcc, s4, v3
	s_mov_b64 s[4:5], -1
                                        ; implicit-def: $sgpr10
	s_and_saveexec_b64 s[8:9], vcc
; %bb.3794:
	s_mov_b32 s10, 0x7f800001
	s_xor_b64 s[4:5], exec, -1
; %bb.3795:
	s_or_b64 exec, exec, s[8:9]
	s_and_b64 s[4:5], s[4:5], exec
                                        ; implicit-def: $vgpr3
	s_or_saveexec_b64 s[6:7], s[6:7]
	v_mov_b32_e32 v2, s10
	s_xor_b64 exec, exec, s[6:7]
	s_cbranch_execz .LBB14_1746
.LBB14_3796:
	v_cmp_ne_u16_e32 vcc, 0, v3
	s_andn2_b64 s[4:5], s[4:5], exec
	s_and_b64 s[8:9], vcc, exec
	v_mov_b32_e32 v2, 0
	s_or_b64 s[4:5], s[4:5], s[8:9]
	s_or_b64 exec, exec, s[6:7]
	s_and_saveexec_b64 s[6:7], s[4:5]
	s_cbranch_execnz .LBB14_1747
	s_branch .LBB14_1748
.LBB14_3797:
	s_movk_i32 s4, 0x80
	v_cmp_eq_u16_e32 vcc, s4, v3
	s_mov_b64 s[4:5], -1
                                        ; implicit-def: $sgpr10
	s_and_saveexec_b64 s[8:9], vcc
; %bb.3798:
	s_mov_b32 s10, 0x7f800001
	s_xor_b64 s[4:5], exec, -1
; %bb.3799:
	s_or_b64 exec, exec, s[8:9]
	s_and_b64 s[4:5], s[4:5], exec
                                        ; implicit-def: $vgpr3
	s_or_saveexec_b64 s[6:7], s[6:7]
	v_mov_b32_e32 v6, s10
	s_xor_b64 exec, exec, s[6:7]
	s_cbranch_execz .LBB14_1750
.LBB14_3800:
	v_cmp_ne_u16_e32 vcc, 0, v3
	s_andn2_b64 s[4:5], s[4:5], exec
	s_and_b64 s[8:9], vcc, exec
	v_mov_b32_e32 v6, 0
	s_or_b64 s[4:5], s[4:5], s[8:9]
	s_or_b64 exec, exec, s[6:7]
	s_and_saveexec_b64 s[6:7], s[4:5]
	s_cbranch_execnz .LBB14_1751
	s_branch .LBB14_1752
.LBB14_3801:
	s_movk_i32 s4, 0x80
	v_cmp_eq_u16_sdwa s[12:13], v8, s4 src0_sel:BYTE_3 src1_sel:DWORD
	s_mov_b64 s[4:5], -1
                                        ; implicit-def: $sgpr10
	s_and_saveexec_b64 s[8:9], s[12:13]
; %bb.3802:
	s_mov_b32 s10, 0x7f800001
	s_xor_b64 s[4:5], exec, -1
; %bb.3803:
	s_or_b64 exec, exec, s[8:9]
	s_and_b64 s[4:5], s[4:5], exec
	s_or_saveexec_b64 s[6:7], s[6:7]
	v_mov_b32_e32 v2, s10
	s_xor_b64 exec, exec, s[6:7]
	s_cbranch_execz .LBB14_1754
.LBB14_3804:
	v_mov_b32_e32 v2, 0
	v_cmp_ne_u16_sdwa s[8:9], v8, v2 src0_sel:BYTE_3 src1_sel:DWORD
	s_andn2_b64 s[4:5], s[4:5], exec
	s_and_b64 s[8:9], s[8:9], exec
	s_or_b64 s[4:5], s[4:5], s[8:9]
	s_or_b64 exec, exec, s[6:7]
	s_and_saveexec_b64 s[6:7], s[4:5]
	s_cbranch_execnz .LBB14_1755
	s_branch .LBB14_1756
.LBB14_3805:
	s_movk_i32 s4, 0x80
	v_cmp_eq_u16_sdwa s[12:13], v4, s4 src0_sel:BYTE_3 src1_sel:DWORD
	s_mov_b64 s[4:5], -1
                                        ; implicit-def: $sgpr10
	s_and_saveexec_b64 s[8:9], s[12:13]
; %bb.3806:
	s_mov_b32 s10, 0x7f800001
	s_xor_b64 s[4:5], exec, -1
; %bb.3807:
	s_or_b64 exec, exec, s[8:9]
	s_and_b64 s[4:5], s[4:5], exec
	s_or_saveexec_b64 s[6:7], s[6:7]
	v_mov_b32_e32 v3, s10
	s_xor_b64 exec, exec, s[6:7]
	s_cbranch_execz .LBB14_1758
.LBB14_3808:
	v_mov_b32_e32 v3, 0
	v_cmp_ne_u16_sdwa s[8:9], v4, v3 src0_sel:BYTE_3 src1_sel:DWORD
	s_andn2_b64 s[4:5], s[4:5], exec
	s_and_b64 s[8:9], s[8:9], exec
	s_or_b64 s[4:5], s[4:5], s[8:9]
	s_or_b64 exec, exec, s[6:7]
	s_and_saveexec_b64 s[6:7], s[4:5]
	s_cbranch_execnz .LBB14_1759
	s_branch .LBB14_1760
.LBB14_3809:
	s_movk_i32 s4, 0x80
	v_cmp_eq_u16_sdwa s[12:13], v9, s4 src0_sel:BYTE_0 src1_sel:DWORD
	s_mov_b64 s[4:5], -1
                                        ; implicit-def: $sgpr10
	s_and_saveexec_b64 s[8:9], s[12:13]
; %bb.3810:
	s_mov_b32 s10, 0x7f800001
	s_xor_b64 s[4:5], exec, -1
; %bb.3811:
	s_or_b64 exec, exec, s[8:9]
	s_and_b64 s[4:5], s[4:5], exec
	s_or_saveexec_b64 s[6:7], s[6:7]
	v_mov_b32_e32 v2, s10
	s_xor_b64 exec, exec, s[6:7]
	s_cbranch_execz .LBB14_1762
.LBB14_3812:
	v_mov_b32_e32 v2, 0
	v_cmp_ne_u16_sdwa s[8:9], v9, v2 src0_sel:BYTE_0 src1_sel:DWORD
	s_andn2_b64 s[4:5], s[4:5], exec
	s_and_b64 s[8:9], s[8:9], exec
	s_or_b64 s[4:5], s[4:5], s[8:9]
	s_or_b64 exec, exec, s[6:7]
	s_and_saveexec_b64 s[6:7], s[4:5]
	s_cbranch_execnz .LBB14_1763
	s_branch .LBB14_1764
.LBB14_3813:
	s_movk_i32 s4, 0x80
	v_cmp_eq_u16_sdwa s[12:13], v5, s4 src0_sel:BYTE_0 src1_sel:DWORD
	s_mov_b64 s[4:5], -1
                                        ; implicit-def: $sgpr10
	s_and_saveexec_b64 s[8:9], s[12:13]
; %bb.3814:
	s_mov_b32 s10, 0x7f800001
	s_xor_b64 s[4:5], exec, -1
; %bb.3815:
	s_or_b64 exec, exec, s[8:9]
	s_and_b64 s[4:5], s[4:5], exec
	s_or_saveexec_b64 s[6:7], s[6:7]
	v_mov_b32_e32 v3, s10
	s_xor_b64 exec, exec, s[6:7]
	s_cbranch_execz .LBB14_1766
.LBB14_3816:
	v_mov_b32_e32 v3, 0
	v_cmp_ne_u16_sdwa s[8:9], v5, v3 src0_sel:BYTE_0 src1_sel:DWORD
	s_andn2_b64 s[4:5], s[4:5], exec
	s_and_b64 s[8:9], s[8:9], exec
	s_or_b64 s[4:5], s[4:5], s[8:9]
	s_or_b64 exec, exec, s[6:7]
	s_and_saveexec_b64 s[6:7], s[4:5]
	s_cbranch_execnz .LBB14_1767
	s_branch .LBB14_1768
.LBB14_3817:
	s_movk_i32 s4, 0x80
	v_cmp_eq_u16_sdwa s[12:13], v3, s4 src0_sel:BYTE_0 src1_sel:DWORD
	s_mov_b64 s[4:5], -1
                                        ; implicit-def: $sgpr10
	s_and_saveexec_b64 s[8:9], s[12:13]
; %bb.3818:
	s_mov_b32 s10, 0x7f800001
	s_xor_b64 s[4:5], exec, -1
; %bb.3819:
	s_or_b64 exec, exec, s[8:9]
	s_and_b64 s[4:5], s[4:5], exec
	s_or_saveexec_b64 s[6:7], s[6:7]
	v_mov_b32_e32 v2, s10
	s_xor_b64 exec, exec, s[6:7]
	s_cbranch_execz .LBB14_1770
.LBB14_3820:
	v_mov_b32_e32 v2, 0
	v_cmp_ne_u16_sdwa s[8:9], v3, v2 src0_sel:BYTE_0 src1_sel:DWORD
	s_andn2_b64 s[4:5], s[4:5], exec
	s_and_b64 s[8:9], s[8:9], exec
	s_or_b64 s[4:5], s[4:5], s[8:9]
	s_or_b64 exec, exec, s[6:7]
	s_and_saveexec_b64 s[6:7], s[4:5]
	s_cbranch_execnz .LBB14_1771
	s_branch .LBB14_1772
.LBB14_3821:
	s_movk_i32 s4, 0x80
	v_cmp_eq_u16_sdwa s[12:13], v3, s4 src0_sel:BYTE_0 src1_sel:DWORD
	s_mov_b64 s[4:5], -1
                                        ; implicit-def: $sgpr10
	s_and_saveexec_b64 s[8:9], s[12:13]
; %bb.3822:
	s_mov_b32 s10, 0x7f800001
	s_xor_b64 s[4:5], exec, -1
; %bb.3823:
	s_or_b64 exec, exec, s[8:9]
	s_and_b64 s[4:5], s[4:5], exec
	s_or_saveexec_b64 s[6:7], s[6:7]
	v_mov_b32_e32 v4, s10
	s_xor_b64 exec, exec, s[6:7]
	s_cbranch_execz .LBB14_1774
.LBB14_3824:
	v_mov_b32_e32 v4, 0
	v_cmp_ne_u16_sdwa s[8:9], v3, v4 src0_sel:BYTE_0 src1_sel:DWORD
	s_andn2_b64 s[4:5], s[4:5], exec
	s_and_b64 s[8:9], s[8:9], exec
	s_or_b64 s[4:5], s[4:5], s[8:9]
	s_or_b64 exec, exec, s[6:7]
	s_and_saveexec_b64 s[6:7], s[4:5]
	s_cbranch_execnz .LBB14_1775
	s_branch .LBB14_1776
.LBB14_3825:
	s_movk_i32 s4, 0x80
	v_cmp_eq_u16_e32 vcc, s4, v3
	s_mov_b64 s[4:5], -1
                                        ; implicit-def: $sgpr10
	s_and_saveexec_b64 s[8:9], vcc
; %bb.3826:
	s_mov_b32 s10, 0x7f800001
	s_xor_b64 s[4:5], exec, -1
; %bb.3827:
	s_or_b64 exec, exec, s[8:9]
	s_and_b64 s[4:5], s[4:5], exec
                                        ; implicit-def: $vgpr3
	s_or_saveexec_b64 s[6:7], s[6:7]
	v_mov_b32_e32 v2, s10
	s_xor_b64 exec, exec, s[6:7]
	s_cbranch_execz .LBB14_1778
.LBB14_3828:
	v_cmp_ne_u16_e32 vcc, 0, v3
	s_andn2_b64 s[4:5], s[4:5], exec
	s_and_b64 s[8:9], vcc, exec
	v_mov_b32_e32 v2, 0
	s_or_b64 s[4:5], s[4:5], s[8:9]
	s_or_b64 exec, exec, s[6:7]
	s_and_saveexec_b64 s[6:7], s[4:5]
	s_cbranch_execnz .LBB14_1779
	s_branch .LBB14_1780
.LBB14_3829:
	s_movk_i32 s4, 0x80
	v_cmp_eq_u16_e32 vcc, s4, v3
	s_mov_b64 s[4:5], -1
                                        ; implicit-def: $sgpr10
	s_and_saveexec_b64 s[8:9], vcc
; %bb.3830:
	s_mov_b32 s10, 0x7f800001
	s_xor_b64 s[4:5], exec, -1
; %bb.3831:
	s_or_b64 exec, exec, s[8:9]
	s_and_b64 s[4:5], s[4:5], exec
                                        ; implicit-def: $vgpr3
	s_or_saveexec_b64 s[6:7], s[6:7]
	v_mov_b32_e32 v4, s10
	s_xor_b64 exec, exec, s[6:7]
	s_cbranch_execz .LBB14_1782
.LBB14_3832:
	v_cmp_ne_u16_e32 vcc, 0, v3
	s_andn2_b64 s[4:5], s[4:5], exec
	s_and_b64 s[8:9], vcc, exec
	v_mov_b32_e32 v4, 0
	s_or_b64 s[4:5], s[4:5], s[8:9]
	s_or_b64 exec, exec, s[6:7]
	s_and_saveexec_b64 s[6:7], s[4:5]
	s_cbranch_execnz .LBB14_1783
	s_branch .LBB14_1784
.LBB14_3833:
	s_movk_i32 s4, 0x80
	v_cmp_eq_u16_sdwa s[12:13], v9, s4 src0_sel:BYTE_3 src1_sel:DWORD
	s_mov_b64 s[4:5], -1
                                        ; implicit-def: $sgpr10
	s_and_saveexec_b64 s[8:9], s[12:13]
; %bb.3834:
	s_mov_b32 s10, 0x7f800001
	s_xor_b64 s[4:5], exec, -1
; %bb.3835:
	s_or_b64 exec, exec, s[8:9]
	s_and_b64 s[4:5], s[4:5], exec
	s_or_saveexec_b64 s[6:7], s[6:7]
	v_mov_b32_e32 v2, s10
	s_xor_b64 exec, exec, s[6:7]
	s_cbranch_execz .LBB14_1786
.LBB14_3836:
	v_mov_b32_e32 v2, 0
	v_cmp_ne_u16_sdwa s[8:9], v9, v2 src0_sel:BYTE_3 src1_sel:DWORD
	s_andn2_b64 s[4:5], s[4:5], exec
	s_and_b64 s[8:9], s[8:9], exec
	s_or_b64 s[4:5], s[4:5], s[8:9]
	s_or_b64 exec, exec, s[6:7]
	s_and_saveexec_b64 s[6:7], s[4:5]
	s_cbranch_execnz .LBB14_1787
	s_branch .LBB14_1788
.LBB14_3837:
	s_movk_i32 s4, 0x80
	v_cmp_eq_u16_sdwa s[12:13], v5, s4 src0_sel:BYTE_3 src1_sel:DWORD
	s_mov_b64 s[4:5], -1
                                        ; implicit-def: $sgpr10
	s_and_saveexec_b64 s[8:9], s[12:13]
; %bb.3838:
	s_mov_b32 s10, 0x7f800001
	s_xor_b64 s[4:5], exec, -1
; %bb.3839:
	s_or_b64 exec, exec, s[8:9]
	s_and_b64 s[4:5], s[4:5], exec
	s_or_saveexec_b64 s[6:7], s[6:7]
	v_mov_b32_e32 v3, s10
	s_xor_b64 exec, exec, s[6:7]
	s_cbranch_execz .LBB14_1790
.LBB14_3840:
	v_mov_b32_e32 v3, 0
	v_cmp_ne_u16_sdwa s[8:9], v5, v3 src0_sel:BYTE_3 src1_sel:DWORD
	s_andn2_b64 s[4:5], s[4:5], exec
	s_and_b64 s[8:9], s[8:9], exec
	s_or_b64 s[4:5], s[4:5], s[8:9]
	s_or_b64 exec, exec, s[6:7]
	s_and_saveexec_b64 s[6:7], s[4:5]
	s_cbranch_execnz .LBB14_1791
	s_branch .LBB14_1792
.LBB14_3841:
	s_movk_i32 s4, 0x80
	v_cmp_eq_u16_sdwa s[12:13], v6, s4 src0_sel:BYTE_0 src1_sel:DWORD
	s_mov_b64 s[4:5], -1
                                        ; implicit-def: $sgpr10
	s_and_saveexec_b64 s[8:9], s[12:13]
; %bb.3842:
	s_mov_b32 s10, 0x7f800001
	s_xor_b64 s[4:5], exec, -1
; %bb.3843:
	s_or_b64 exec, exec, s[8:9]
	s_and_b64 s[4:5], s[4:5], exec
	s_or_saveexec_b64 s[6:7], s[6:7]
	v_mov_b32_e32 v12, s10
	s_xor_b64 exec, exec, s[6:7]
	s_cbranch_execz .LBB14_1794
.LBB14_3844:
	v_mov_b32_e32 v12, 0
	v_cmp_ne_u16_sdwa s[8:9], v6, v12 src0_sel:BYTE_0 src1_sel:DWORD
	s_andn2_b64 s[4:5], s[4:5], exec
	s_and_b64 s[8:9], s[8:9], exec
	s_or_b64 s[4:5], s[4:5], s[8:9]
	s_or_b64 exec, exec, s[6:7]
	s_and_saveexec_b64 s[6:7], s[4:5]
	s_cbranch_execnz .LBB14_1795
	s_branch .LBB14_1796
.LBB14_3845:
	s_movk_i32 s4, 0x80
	v_cmp_eq_u16_sdwa s[12:13], v2, s4 src0_sel:BYTE_0 src1_sel:DWORD
	s_mov_b64 s[4:5], -1
                                        ; implicit-def: $sgpr10
	s_and_saveexec_b64 s[8:9], s[12:13]
; %bb.3846:
	s_mov_b32 s10, 0x7f800001
	s_xor_b64 s[4:5], exec, -1
; %bb.3847:
	s_or_b64 exec, exec, s[8:9]
	s_and_b64 s[4:5], s[4:5], exec
	s_or_saveexec_b64 s[6:7], s[6:7]
	v_mov_b32_e32 v13, s10
	s_xor_b64 exec, exec, s[6:7]
	s_cbranch_execz .LBB14_1798
.LBB14_3848:
	v_mov_b32_e32 v13, 0
	v_cmp_ne_u16_sdwa s[8:9], v2, v13 src0_sel:BYTE_0 src1_sel:DWORD
	s_andn2_b64 s[4:5], s[4:5], exec
	s_and_b64 s[8:9], s[8:9], exec
	s_or_b64 s[4:5], s[4:5], s[8:9]
	s_or_b64 exec, exec, s[6:7]
	s_and_saveexec_b64 s[6:7], s[4:5]
	s_cbranch_execnz .LBB14_1799
	s_branch .LBB14_1800
.LBB14_3849:
	s_movk_i32 s4, 0x80
	v_cmp_eq_u16_sdwa s[12:13], v13, s4 src0_sel:BYTE_0 src1_sel:DWORD
	s_mov_b64 s[4:5], -1
                                        ; implicit-def: $sgpr10
	s_and_saveexec_b64 s[8:9], s[12:13]
; %bb.3850:
	s_mov_b32 s10, 0x7f800001
	s_xor_b64 s[4:5], exec, -1
; %bb.3851:
	s_or_b64 exec, exec, s[8:9]
	s_and_b64 s[4:5], s[4:5], exec
	s_or_saveexec_b64 s[6:7], s[6:7]
	v_mov_b32_e32 v12, s10
	s_xor_b64 exec, exec, s[6:7]
	s_cbranch_execz .LBB14_1802
.LBB14_3852:
	v_mov_b32_e32 v12, 0
	v_cmp_ne_u16_sdwa s[8:9], v13, v12 src0_sel:BYTE_0 src1_sel:DWORD
	s_andn2_b64 s[4:5], s[4:5], exec
	s_and_b64 s[8:9], s[8:9], exec
	s_or_b64 s[4:5], s[4:5], s[8:9]
	s_or_b64 exec, exec, s[6:7]
	s_and_saveexec_b64 s[6:7], s[4:5]
	s_cbranch_execnz .LBB14_1803
	s_branch .LBB14_1804
.LBB14_3853:
	s_movk_i32 s4, 0x80
	v_cmp_eq_u16_sdwa s[12:13], v13, s4 src0_sel:BYTE_0 src1_sel:DWORD
	s_mov_b64 s[4:5], -1
                                        ; implicit-def: $sgpr10
	s_and_saveexec_b64 s[8:9], s[12:13]
; %bb.3854:
	s_mov_b32 s10, 0x7f800001
	s_xor_b64 s[4:5], exec, -1
; %bb.3855:
	s_or_b64 exec, exec, s[8:9]
	s_and_b64 s[4:5], s[4:5], exec
	s_or_saveexec_b64 s[6:7], s[6:7]
	v_mov_b32_e32 v14, s10
	s_xor_b64 exec, exec, s[6:7]
	s_cbranch_execz .LBB14_1806
.LBB14_3856:
	v_mov_b32_e32 v14, 0
	v_cmp_ne_u16_sdwa s[8:9], v13, v14 src0_sel:BYTE_0 src1_sel:DWORD
	s_andn2_b64 s[4:5], s[4:5], exec
	s_and_b64 s[8:9], s[8:9], exec
	s_or_b64 s[4:5], s[4:5], s[8:9]
	s_or_b64 exec, exec, s[6:7]
	s_and_saveexec_b64 s[6:7], s[4:5]
	s_cbranch_execnz .LBB14_1807
	s_branch .LBB14_1808
.LBB14_3857:
	s_movk_i32 s4, 0x80
	v_cmp_eq_u16_e32 vcc, s4, v13
	s_mov_b64 s[4:5], -1
                                        ; implicit-def: $sgpr10
	s_and_saveexec_b64 s[8:9], vcc
; %bb.3858:
	s_mov_b32 s10, 0x7f800001
	s_xor_b64 s[4:5], exec, -1
; %bb.3859:
	s_or_b64 exec, exec, s[8:9]
	s_and_b64 s[4:5], s[4:5], exec
                                        ; implicit-def: $vgpr13
	s_or_saveexec_b64 s[6:7], s[6:7]
	v_mov_b32_e32 v12, s10
	s_xor_b64 exec, exec, s[6:7]
	s_cbranch_execz .LBB14_1810
.LBB14_3860:
	v_cmp_ne_u16_e32 vcc, 0, v13
	s_andn2_b64 s[4:5], s[4:5], exec
	s_and_b64 s[8:9], vcc, exec
	v_mov_b32_e32 v12, 0
	s_or_b64 s[4:5], s[4:5], s[8:9]
	s_or_b64 exec, exec, s[6:7]
	s_and_saveexec_b64 s[6:7], s[4:5]
	s_cbranch_execnz .LBB14_1811
	s_branch .LBB14_1812
.LBB14_3861:
	s_movk_i32 s4, 0x80
	v_cmp_eq_u16_e32 vcc, s4, v13
	s_mov_b64 s[4:5], -1
                                        ; implicit-def: $sgpr10
	s_and_saveexec_b64 s[8:9], vcc
; %bb.3862:
	s_mov_b32 s10, 0x7f800001
	s_xor_b64 s[4:5], exec, -1
; %bb.3863:
	s_or_b64 exec, exec, s[8:9]
	s_and_b64 s[4:5], s[4:5], exec
                                        ; implicit-def: $vgpr13
	s_or_saveexec_b64 s[6:7], s[6:7]
	v_mov_b32_e32 v14, s10
	s_xor_b64 exec, exec, s[6:7]
	s_cbranch_execz .LBB14_1814
.LBB14_3864:
	v_cmp_ne_u16_e32 vcc, 0, v13
	s_andn2_b64 s[4:5], s[4:5], exec
	s_and_b64 s[8:9], vcc, exec
	v_mov_b32_e32 v14, 0
	s_or_b64 s[4:5], s[4:5], s[8:9]
	s_or_b64 exec, exec, s[6:7]
	s_and_saveexec_b64 s[6:7], s[4:5]
	s_cbranch_execnz .LBB14_1815
	s_branch .LBB14_1816
.LBB14_3865:
	s_movk_i32 s4, 0x80
	v_cmp_eq_u16_sdwa s[12:13], v6, s4 src0_sel:BYTE_3 src1_sel:DWORD
	s_mov_b64 s[4:5], -1
                                        ; implicit-def: $sgpr10
	s_and_saveexec_b64 s[8:9], s[12:13]
; %bb.3866:
	s_mov_b32 s10, 0x7f800001
	s_xor_b64 s[4:5], exec, -1
; %bb.3867:
	s_or_b64 exec, exec, s[8:9]
	s_and_b64 s[4:5], s[4:5], exec
	s_or_saveexec_b64 s[6:7], s[6:7]
	v_mov_b32_e32 v12, s10
	s_xor_b64 exec, exec, s[6:7]
	s_cbranch_execz .LBB14_1818
.LBB14_3868:
	v_mov_b32_e32 v12, 0
	v_cmp_ne_u16_sdwa s[8:9], v6, v12 src0_sel:BYTE_3 src1_sel:DWORD
	s_andn2_b64 s[4:5], s[4:5], exec
	s_and_b64 s[8:9], s[8:9], exec
	s_or_b64 s[4:5], s[4:5], s[8:9]
	s_or_b64 exec, exec, s[6:7]
	s_and_saveexec_b64 s[6:7], s[4:5]
	s_cbranch_execnz .LBB14_1819
	s_branch .LBB14_1820
.LBB14_3869:
	s_movk_i32 s4, 0x80
	v_cmp_eq_u16_sdwa s[12:13], v2, s4 src0_sel:BYTE_3 src1_sel:DWORD
	s_mov_b64 s[4:5], -1
                                        ; implicit-def: $sgpr10
	s_and_saveexec_b64 s[8:9], s[12:13]
; %bb.3870:
	s_mov_b32 s10, 0x7f800001
	s_xor_b64 s[4:5], exec, -1
; %bb.3871:
	s_or_b64 exec, exec, s[8:9]
	s_and_b64 s[4:5], s[4:5], exec
	s_or_saveexec_b64 s[6:7], s[6:7]
	v_mov_b32_e32 v6, s10
	s_xor_b64 exec, exec, s[6:7]
	s_cbranch_execz .LBB14_1822
.LBB14_3872:
	v_mov_b32_e32 v6, 0
	v_cmp_ne_u16_sdwa s[8:9], v2, v6 src0_sel:BYTE_3 src1_sel:DWORD
	s_andn2_b64 s[4:5], s[4:5], exec
	s_and_b64 s[8:9], s[8:9], exec
	s_or_b64 s[4:5], s[4:5], s[8:9]
	s_or_b64 exec, exec, s[6:7]
	s_and_saveexec_b64 s[6:7], s[4:5]
	s_cbranch_execnz .LBB14_1823
	s_branch .LBB14_1824
.LBB14_3873:
	s_movk_i32 s4, 0x80
	v_cmp_eq_u16_sdwa s[12:13], v7, s4 src0_sel:BYTE_0 src1_sel:DWORD
	s_mov_b64 s[4:5], -1
                                        ; implicit-def: $sgpr10
	s_and_saveexec_b64 s[8:9], s[12:13]
; %bb.3874:
	s_mov_b32 s10, 0x7f800001
	s_xor_b64 s[4:5], exec, -1
; %bb.3875:
	s_or_b64 exec, exec, s[8:9]
	s_and_b64 s[4:5], s[4:5], exec
	s_or_saveexec_b64 s[6:7], s[6:7]
	v_mov_b32_e32 v2, s10
	s_xor_b64 exec, exec, s[6:7]
	s_cbranch_execz .LBB14_1826
.LBB14_3876:
	v_mov_b32_e32 v2, 0
	v_cmp_ne_u16_sdwa s[8:9], v7, v2 src0_sel:BYTE_0 src1_sel:DWORD
	s_andn2_b64 s[4:5], s[4:5], exec
	s_and_b64 s[8:9], s[8:9], exec
	s_or_b64 s[4:5], s[4:5], s[8:9]
	s_or_b64 exec, exec, s[6:7]
	s_and_saveexec_b64 s[6:7], s[4:5]
	s_cbranch_execnz .LBB14_1827
	s_branch .LBB14_1828
.LBB14_3877:
	s_movk_i32 s4, 0x80
	v_cmp_eq_u16_sdwa s[12:13], v3, s4 src0_sel:BYTE_0 src1_sel:DWORD
	s_mov_b64 s[4:5], -1
                                        ; implicit-def: $sgpr10
	s_and_saveexec_b64 s[8:9], s[12:13]
; %bb.3878:
	s_mov_b32 s10, 0x7f800001
	s_xor_b64 s[4:5], exec, -1
; %bb.3879:
	s_or_b64 exec, exec, s[8:9]
	s_and_b64 s[4:5], s[4:5], exec
	s_or_saveexec_b64 s[6:7], s[6:7]
	v_mov_b32_e32 v6, s10
	s_xor_b64 exec, exec, s[6:7]
	s_cbranch_execz .LBB14_1830
.LBB14_3880:
	v_mov_b32_e32 v6, 0
	v_cmp_ne_u16_sdwa s[8:9], v3, v6 src0_sel:BYTE_0 src1_sel:DWORD
	s_andn2_b64 s[4:5], s[4:5], exec
	s_and_b64 s[8:9], s[8:9], exec
	s_or_b64 s[4:5], s[4:5], s[8:9]
	s_or_b64 exec, exec, s[6:7]
	s_and_saveexec_b64 s[6:7], s[4:5]
	s_cbranch_execnz .LBB14_1831
	s_branch .LBB14_1832
.LBB14_3881:
	s_movk_i32 s4, 0x80
	v_cmp_eq_u16_sdwa s[12:13], v6, s4 src0_sel:BYTE_0 src1_sel:DWORD
	s_mov_b64 s[4:5], -1
                                        ; implicit-def: $sgpr10
	s_and_saveexec_b64 s[8:9], s[12:13]
; %bb.3882:
	s_mov_b32 s10, 0x7f800001
	s_xor_b64 s[4:5], exec, -1
; %bb.3883:
	s_or_b64 exec, exec, s[8:9]
	s_and_b64 s[4:5], s[4:5], exec
	s_or_saveexec_b64 s[6:7], s[6:7]
	v_mov_b32_e32 v2, s10
	s_xor_b64 exec, exec, s[6:7]
	s_cbranch_execz .LBB14_1834
.LBB14_3884:
	v_mov_b32_e32 v2, 0
	v_cmp_ne_u16_sdwa s[8:9], v6, v2 src0_sel:BYTE_0 src1_sel:DWORD
	s_andn2_b64 s[4:5], s[4:5], exec
	s_and_b64 s[8:9], s[8:9], exec
	s_or_b64 s[4:5], s[4:5], s[8:9]
	s_or_b64 exec, exec, s[6:7]
	s_and_saveexec_b64 s[6:7], s[4:5]
	s_cbranch_execnz .LBB14_1835
	s_branch .LBB14_1836
.LBB14_3885:
	s_movk_i32 s4, 0x80
	v_cmp_eq_u16_sdwa s[12:13], v6, s4 src0_sel:BYTE_0 src1_sel:DWORD
	s_mov_b64 s[4:5], -1
                                        ; implicit-def: $sgpr10
	s_and_saveexec_b64 s[8:9], s[12:13]
; %bb.3886:
	s_mov_b32 s10, 0x7f800001
	s_xor_b64 s[4:5], exec, -1
; %bb.3887:
	s_or_b64 exec, exec, s[8:9]
	s_and_b64 s[4:5], s[4:5], exec
	s_or_saveexec_b64 s[6:7], s[6:7]
	v_mov_b32_e32 v12, s10
	s_xor_b64 exec, exec, s[6:7]
	s_cbranch_execz .LBB14_1838
.LBB14_3888:
	v_mov_b32_e32 v12, 0
	v_cmp_ne_u16_sdwa s[8:9], v6, v12 src0_sel:BYTE_0 src1_sel:DWORD
	s_andn2_b64 s[4:5], s[4:5], exec
	s_and_b64 s[8:9], s[8:9], exec
	s_or_b64 s[4:5], s[4:5], s[8:9]
	s_or_b64 exec, exec, s[6:7]
	s_and_saveexec_b64 s[6:7], s[4:5]
	s_cbranch_execnz .LBB14_1839
	s_branch .LBB14_1840
.LBB14_3889:
	s_movk_i32 s4, 0x80
	v_cmp_eq_u16_e32 vcc, s4, v6
	s_mov_b64 s[4:5], -1
                                        ; implicit-def: $sgpr10
	s_and_saveexec_b64 s[8:9], vcc
; %bb.3890:
	s_mov_b32 s10, 0x7f800001
	s_xor_b64 s[4:5], exec, -1
; %bb.3891:
	s_or_b64 exec, exec, s[8:9]
	s_and_b64 s[4:5], s[4:5], exec
                                        ; implicit-def: $vgpr6
	s_or_saveexec_b64 s[6:7], s[6:7]
	v_mov_b32_e32 v2, s10
	s_xor_b64 exec, exec, s[6:7]
	s_cbranch_execz .LBB14_1842
.LBB14_3892:
	v_cmp_ne_u16_e32 vcc, 0, v6
	s_andn2_b64 s[4:5], s[4:5], exec
	s_and_b64 s[8:9], vcc, exec
	v_mov_b32_e32 v2, 0
	s_or_b64 s[4:5], s[4:5], s[8:9]
	s_or_b64 exec, exec, s[6:7]
	s_and_saveexec_b64 s[6:7], s[4:5]
	s_cbranch_execnz .LBB14_1843
	s_branch .LBB14_1844
.LBB14_3893:
	s_movk_i32 s4, 0x80
	v_cmp_eq_u16_e32 vcc, s4, v6
	s_mov_b64 s[4:5], -1
                                        ; implicit-def: $sgpr10
	s_and_saveexec_b64 s[8:9], vcc
; %bb.3894:
	s_mov_b32 s10, 0x7f800001
	s_xor_b64 s[4:5], exec, -1
; %bb.3895:
	s_or_b64 exec, exec, s[8:9]
	s_and_b64 s[4:5], s[4:5], exec
                                        ; implicit-def: $vgpr6
	s_or_saveexec_b64 s[6:7], s[6:7]
	v_mov_b32_e32 v12, s10
	s_xor_b64 exec, exec, s[6:7]
	s_cbranch_execz .LBB14_1846
.LBB14_3896:
	v_cmp_ne_u16_e32 vcc, 0, v6
	s_andn2_b64 s[4:5], s[4:5], exec
	s_and_b64 s[8:9], vcc, exec
	v_mov_b32_e32 v12, 0
	s_or_b64 s[4:5], s[4:5], s[8:9]
	s_or_b64 exec, exec, s[6:7]
	s_and_saveexec_b64 s[6:7], s[4:5]
	s_cbranch_execnz .LBB14_1847
	s_branch .LBB14_1848
.LBB14_3897:
	s_movk_i32 s4, 0x80
	v_cmp_eq_u16_sdwa s[12:13], v7, s4 src0_sel:BYTE_3 src1_sel:DWORD
	s_mov_b64 s[4:5], -1
                                        ; implicit-def: $sgpr10
	s_and_saveexec_b64 s[8:9], s[12:13]
; %bb.3898:
	s_mov_b32 s10, 0x7f800001
	s_xor_b64 s[4:5], exec, -1
; %bb.3899:
	s_or_b64 exec, exec, s[8:9]
	s_and_b64 s[4:5], s[4:5], exec
	s_or_saveexec_b64 s[6:7], s[6:7]
	v_mov_b32_e32 v2, s10
	s_xor_b64 exec, exec, s[6:7]
	s_cbranch_execz .LBB14_1850
.LBB14_3900:
	v_mov_b32_e32 v2, 0
	v_cmp_ne_u16_sdwa s[8:9], v7, v2 src0_sel:BYTE_3 src1_sel:DWORD
	s_andn2_b64 s[4:5], s[4:5], exec
	s_and_b64 s[8:9], s[8:9], exec
	s_or_b64 s[4:5], s[4:5], s[8:9]
	s_or_b64 exec, exec, s[6:7]
	s_and_saveexec_b64 s[6:7], s[4:5]
	s_cbranch_execnz .LBB14_1851
	s_branch .LBB14_1852
.LBB14_3901:
	s_movk_i32 s4, 0x80
	v_cmp_eq_u16_sdwa s[12:13], v3, s4 src0_sel:BYTE_3 src1_sel:DWORD
	s_mov_b64 s[4:5], -1
                                        ; implicit-def: $sgpr10
	s_and_saveexec_b64 s[8:9], s[12:13]
; %bb.3902:
	s_mov_b32 s10, 0x7f800001
	s_xor_b64 s[4:5], exec, -1
; %bb.3903:
	s_or_b64 exec, exec, s[8:9]
	s_and_b64 s[4:5], s[4:5], exec
	s_or_saveexec_b64 s[6:7], s[6:7]
	v_mov_b32_e32 v6, s10
	s_xor_b64 exec, exec, s[6:7]
	s_cbranch_execz .LBB14_1854
.LBB14_3904:
	v_mov_b32_e32 v6, 0
	v_cmp_ne_u16_sdwa s[8:9], v3, v6 src0_sel:BYTE_3 src1_sel:DWORD
	s_andn2_b64 s[4:5], s[4:5], exec
	s_and_b64 s[8:9], s[8:9], exec
	s_or_b64 s[4:5], s[4:5], s[8:9]
	s_or_b64 exec, exec, s[6:7]
	s_and_saveexec_b64 s[6:7], s[4:5]
	s_cbranch_execnz .LBB14_1855
	s_branch .LBB14_1856
.LBB14_3905:
	s_movk_i32 s4, 0x80
	v_cmp_eq_u16_sdwa s[12:13], v8, s4 src0_sel:BYTE_0 src1_sel:DWORD
	s_mov_b64 s[4:5], -1
                                        ; implicit-def: $sgpr10
	s_and_saveexec_b64 s[8:9], s[12:13]
; %bb.3906:
	s_mov_b32 s10, 0x7f800001
	s_xor_b64 s[4:5], exec, -1
; %bb.3907:
	s_or_b64 exec, exec, s[8:9]
	s_and_b64 s[4:5], s[4:5], exec
	s_or_saveexec_b64 s[6:7], s[6:7]
	v_mov_b32_e32 v2, s10
	s_xor_b64 exec, exec, s[6:7]
	s_cbranch_execz .LBB14_1858
.LBB14_3908:
	v_mov_b32_e32 v2, 0
	v_cmp_ne_u16_sdwa s[8:9], v8, v2 src0_sel:BYTE_0 src1_sel:DWORD
	s_andn2_b64 s[4:5], s[4:5], exec
	s_and_b64 s[8:9], s[8:9], exec
	s_or_b64 s[4:5], s[4:5], s[8:9]
	s_or_b64 exec, exec, s[6:7]
	s_and_saveexec_b64 s[6:7], s[4:5]
	s_cbranch_execnz .LBB14_1859
	s_branch .LBB14_1860
.LBB14_3909:
	s_movk_i32 s4, 0x80
	v_cmp_eq_u16_sdwa s[12:13], v4, s4 src0_sel:BYTE_0 src1_sel:DWORD
	s_mov_b64 s[4:5], -1
                                        ; implicit-def: $sgpr10
	s_and_saveexec_b64 s[8:9], s[12:13]
; %bb.3910:
	s_mov_b32 s10, 0x7f800001
	s_xor_b64 s[4:5], exec, -1
; %bb.3911:
	s_or_b64 exec, exec, s[8:9]
	s_and_b64 s[4:5], s[4:5], exec
	s_or_saveexec_b64 s[6:7], s[6:7]
	v_mov_b32_e32 v3, s10
	s_xor_b64 exec, exec, s[6:7]
	s_cbranch_execz .LBB14_1862
.LBB14_3912:
	v_mov_b32_e32 v3, 0
	v_cmp_ne_u16_sdwa s[8:9], v4, v3 src0_sel:BYTE_0 src1_sel:DWORD
	s_andn2_b64 s[4:5], s[4:5], exec
	s_and_b64 s[8:9], s[8:9], exec
	s_or_b64 s[4:5], s[4:5], s[8:9]
	s_or_b64 exec, exec, s[6:7]
	s_and_saveexec_b64 s[6:7], s[4:5]
	s_cbranch_execnz .LBB14_1863
	s_branch .LBB14_1864
.LBB14_3913:
	s_movk_i32 s4, 0x80
	v_cmp_eq_u16_sdwa s[12:13], v3, s4 src0_sel:BYTE_0 src1_sel:DWORD
	s_mov_b64 s[4:5], -1
                                        ; implicit-def: $sgpr10
	s_and_saveexec_b64 s[8:9], s[12:13]
; %bb.3914:
	s_mov_b32 s10, 0x7f800001
	s_xor_b64 s[4:5], exec, -1
; %bb.3915:
	s_or_b64 exec, exec, s[8:9]
	s_and_b64 s[4:5], s[4:5], exec
	s_or_saveexec_b64 s[6:7], s[6:7]
	v_mov_b32_e32 v2, s10
	s_xor_b64 exec, exec, s[6:7]
	s_cbranch_execz .LBB14_1866
.LBB14_3916:
	v_mov_b32_e32 v2, 0
	v_cmp_ne_u16_sdwa s[8:9], v3, v2 src0_sel:BYTE_0 src1_sel:DWORD
	s_andn2_b64 s[4:5], s[4:5], exec
	s_and_b64 s[8:9], s[8:9], exec
	s_or_b64 s[4:5], s[4:5], s[8:9]
	s_or_b64 exec, exec, s[6:7]
	s_and_saveexec_b64 s[6:7], s[4:5]
	s_cbranch_execnz .LBB14_1867
	s_branch .LBB14_1868
.LBB14_3917:
	s_movk_i32 s4, 0x80
	v_cmp_eq_u16_sdwa s[12:13], v3, s4 src0_sel:BYTE_0 src1_sel:DWORD
	s_mov_b64 s[4:5], -1
                                        ; implicit-def: $sgpr10
	s_and_saveexec_b64 s[8:9], s[12:13]
; %bb.3918:
	s_mov_b32 s10, 0x7f800001
	s_xor_b64 s[4:5], exec, -1
; %bb.3919:
	s_or_b64 exec, exec, s[8:9]
	s_and_b64 s[4:5], s[4:5], exec
	s_or_saveexec_b64 s[6:7], s[6:7]
	v_mov_b32_e32 v6, s10
	s_xor_b64 exec, exec, s[6:7]
	s_cbranch_execz .LBB14_1870
.LBB14_3920:
	v_mov_b32_e32 v6, 0
	v_cmp_ne_u16_sdwa s[8:9], v3, v6 src0_sel:BYTE_0 src1_sel:DWORD
	s_andn2_b64 s[4:5], s[4:5], exec
	s_and_b64 s[8:9], s[8:9], exec
	s_or_b64 s[4:5], s[4:5], s[8:9]
	s_or_b64 exec, exec, s[6:7]
	s_and_saveexec_b64 s[6:7], s[4:5]
	s_cbranch_execnz .LBB14_1871
	s_branch .LBB14_1872
.LBB14_3921:
	s_movk_i32 s4, 0x80
	v_cmp_eq_u16_e32 vcc, s4, v3
	s_mov_b64 s[4:5], -1
                                        ; implicit-def: $sgpr10
	s_and_saveexec_b64 s[8:9], vcc
; %bb.3922:
	s_mov_b32 s10, 0x7f800001
	s_xor_b64 s[4:5], exec, -1
; %bb.3923:
	s_or_b64 exec, exec, s[8:9]
	s_and_b64 s[4:5], s[4:5], exec
                                        ; implicit-def: $vgpr3
	s_or_saveexec_b64 s[6:7], s[6:7]
	v_mov_b32_e32 v2, s10
	s_xor_b64 exec, exec, s[6:7]
	s_cbranch_execz .LBB14_1874
.LBB14_3924:
	v_cmp_ne_u16_e32 vcc, 0, v3
	s_andn2_b64 s[4:5], s[4:5], exec
	s_and_b64 s[8:9], vcc, exec
	v_mov_b32_e32 v2, 0
	s_or_b64 s[4:5], s[4:5], s[8:9]
	s_or_b64 exec, exec, s[6:7]
	s_and_saveexec_b64 s[6:7], s[4:5]
	s_cbranch_execnz .LBB14_1875
	s_branch .LBB14_1876
.LBB14_3925:
	s_movk_i32 s4, 0x80
	v_cmp_eq_u16_e32 vcc, s4, v3
	s_mov_b64 s[4:5], -1
                                        ; implicit-def: $sgpr10
	s_and_saveexec_b64 s[8:9], vcc
; %bb.3926:
	s_mov_b32 s10, 0x7f800001
	s_xor_b64 s[4:5], exec, -1
; %bb.3927:
	s_or_b64 exec, exec, s[8:9]
	s_and_b64 s[4:5], s[4:5], exec
                                        ; implicit-def: $vgpr3
	s_or_saveexec_b64 s[6:7], s[6:7]
	v_mov_b32_e32 v6, s10
	s_xor_b64 exec, exec, s[6:7]
	s_cbranch_execz .LBB14_1878
.LBB14_3928:
	v_cmp_ne_u16_e32 vcc, 0, v3
	s_andn2_b64 s[4:5], s[4:5], exec
	s_and_b64 s[8:9], vcc, exec
	v_mov_b32_e32 v6, 0
	s_or_b64 s[4:5], s[4:5], s[8:9]
	s_or_b64 exec, exec, s[6:7]
	s_and_saveexec_b64 s[6:7], s[4:5]
	s_cbranch_execnz .LBB14_1879
	s_branch .LBB14_1880
.LBB14_3929:
	s_movk_i32 s4, 0x80
	v_cmp_eq_u16_sdwa s[12:13], v8, s4 src0_sel:BYTE_3 src1_sel:DWORD
	s_mov_b64 s[4:5], -1
                                        ; implicit-def: $sgpr10
	s_and_saveexec_b64 s[8:9], s[12:13]
; %bb.3930:
	s_mov_b32 s10, 0x7f800001
	s_xor_b64 s[4:5], exec, -1
; %bb.3931:
	s_or_b64 exec, exec, s[8:9]
	s_and_b64 s[4:5], s[4:5], exec
	s_or_saveexec_b64 s[6:7], s[6:7]
	v_mov_b32_e32 v2, s10
	s_xor_b64 exec, exec, s[6:7]
	s_cbranch_execz .LBB14_1882
.LBB14_3932:
	v_mov_b32_e32 v2, 0
	v_cmp_ne_u16_sdwa s[8:9], v8, v2 src0_sel:BYTE_3 src1_sel:DWORD
	s_andn2_b64 s[4:5], s[4:5], exec
	s_and_b64 s[8:9], s[8:9], exec
	s_or_b64 s[4:5], s[4:5], s[8:9]
	s_or_b64 exec, exec, s[6:7]
	s_and_saveexec_b64 s[6:7], s[4:5]
	s_cbranch_execnz .LBB14_1883
	s_branch .LBB14_1884
.LBB14_3933:
	s_movk_i32 s4, 0x80
	v_cmp_eq_u16_sdwa s[12:13], v4, s4 src0_sel:BYTE_3 src1_sel:DWORD
	s_mov_b64 s[4:5], -1
                                        ; implicit-def: $sgpr10
	s_and_saveexec_b64 s[8:9], s[12:13]
; %bb.3934:
	s_mov_b32 s10, 0x7f800001
	s_xor_b64 s[4:5], exec, -1
; %bb.3935:
	s_or_b64 exec, exec, s[8:9]
	s_and_b64 s[4:5], s[4:5], exec
	s_or_saveexec_b64 s[6:7], s[6:7]
	v_mov_b32_e32 v3, s10
	s_xor_b64 exec, exec, s[6:7]
	s_cbranch_execz .LBB14_1886
.LBB14_3936:
	v_mov_b32_e32 v3, 0
	v_cmp_ne_u16_sdwa s[8:9], v4, v3 src0_sel:BYTE_3 src1_sel:DWORD
	s_andn2_b64 s[4:5], s[4:5], exec
	s_and_b64 s[8:9], s[8:9], exec
	s_or_b64 s[4:5], s[4:5], s[8:9]
	s_or_b64 exec, exec, s[6:7]
	s_and_saveexec_b64 s[6:7], s[4:5]
	s_cbranch_execnz .LBB14_1887
	s_branch .LBB14_1888
.LBB14_3937:
	s_movk_i32 s4, 0x80
	v_cmp_eq_u16_sdwa s[12:13], v9, s4 src0_sel:BYTE_0 src1_sel:DWORD
	s_mov_b64 s[4:5], -1
                                        ; implicit-def: $sgpr10
	s_and_saveexec_b64 s[8:9], s[12:13]
; %bb.3938:
	s_mov_b32 s10, 0x7f800001
	s_xor_b64 s[4:5], exec, -1
; %bb.3939:
	s_or_b64 exec, exec, s[8:9]
	s_and_b64 s[4:5], s[4:5], exec
	s_or_saveexec_b64 s[6:7], s[6:7]
	v_mov_b32_e32 v2, s10
	s_xor_b64 exec, exec, s[6:7]
	s_cbranch_execz .LBB14_1890
.LBB14_3940:
	v_mov_b32_e32 v2, 0
	v_cmp_ne_u16_sdwa s[8:9], v9, v2 src0_sel:BYTE_0 src1_sel:DWORD
	s_andn2_b64 s[4:5], s[4:5], exec
	s_and_b64 s[8:9], s[8:9], exec
	s_or_b64 s[4:5], s[4:5], s[8:9]
	s_or_b64 exec, exec, s[6:7]
	s_and_saveexec_b64 s[6:7], s[4:5]
	s_cbranch_execnz .LBB14_1891
	s_branch .LBB14_1892
.LBB14_3941:
	s_movk_i32 s4, 0x80
	v_cmp_eq_u16_sdwa s[12:13], v5, s4 src0_sel:BYTE_0 src1_sel:DWORD
	s_mov_b64 s[4:5], -1
                                        ; implicit-def: $sgpr10
	s_and_saveexec_b64 s[8:9], s[12:13]
; %bb.3942:
	s_mov_b32 s10, 0x7f800001
	s_xor_b64 s[4:5], exec, -1
; %bb.3943:
	s_or_b64 exec, exec, s[8:9]
	s_and_b64 s[4:5], s[4:5], exec
	s_or_saveexec_b64 s[6:7], s[6:7]
	v_mov_b32_e32 v3, s10
	s_xor_b64 exec, exec, s[6:7]
	s_cbranch_execz .LBB14_1894
.LBB14_3944:
	v_mov_b32_e32 v3, 0
	v_cmp_ne_u16_sdwa s[8:9], v5, v3 src0_sel:BYTE_0 src1_sel:DWORD
	s_andn2_b64 s[4:5], s[4:5], exec
	s_and_b64 s[8:9], s[8:9], exec
	s_or_b64 s[4:5], s[4:5], s[8:9]
	s_or_b64 exec, exec, s[6:7]
	s_and_saveexec_b64 s[6:7], s[4:5]
	s_cbranch_execnz .LBB14_1895
	s_branch .LBB14_1896
.LBB14_3945:
	s_movk_i32 s4, 0x80
	v_cmp_eq_u16_sdwa s[12:13], v3, s4 src0_sel:BYTE_0 src1_sel:DWORD
	s_mov_b64 s[4:5], -1
                                        ; implicit-def: $sgpr10
	s_and_saveexec_b64 s[8:9], s[12:13]
; %bb.3946:
	s_mov_b32 s10, 0x7f800001
	s_xor_b64 s[4:5], exec, -1
; %bb.3947:
	s_or_b64 exec, exec, s[8:9]
	s_and_b64 s[4:5], s[4:5], exec
	s_or_saveexec_b64 s[6:7], s[6:7]
	v_mov_b32_e32 v2, s10
	s_xor_b64 exec, exec, s[6:7]
	s_cbranch_execz .LBB14_1898
.LBB14_3948:
	v_mov_b32_e32 v2, 0
	v_cmp_ne_u16_sdwa s[8:9], v3, v2 src0_sel:BYTE_0 src1_sel:DWORD
	s_andn2_b64 s[4:5], s[4:5], exec
	s_and_b64 s[8:9], s[8:9], exec
	s_or_b64 s[4:5], s[4:5], s[8:9]
	s_or_b64 exec, exec, s[6:7]
	s_and_saveexec_b64 s[6:7], s[4:5]
	s_cbranch_execnz .LBB14_1899
	s_branch .LBB14_1900
.LBB14_3949:
	s_movk_i32 s4, 0x80
	v_cmp_eq_u16_sdwa s[12:13], v3, s4 src0_sel:BYTE_0 src1_sel:DWORD
	s_mov_b64 s[4:5], -1
                                        ; implicit-def: $sgpr10
	s_and_saveexec_b64 s[8:9], s[12:13]
; %bb.3950:
	s_mov_b32 s10, 0x7f800001
	s_xor_b64 s[4:5], exec, -1
; %bb.3951:
	s_or_b64 exec, exec, s[8:9]
	s_and_b64 s[4:5], s[4:5], exec
	s_or_saveexec_b64 s[6:7], s[6:7]
	v_mov_b32_e32 v4, s10
	s_xor_b64 exec, exec, s[6:7]
	s_cbranch_execz .LBB14_1902
.LBB14_3952:
	v_mov_b32_e32 v4, 0
	v_cmp_ne_u16_sdwa s[8:9], v3, v4 src0_sel:BYTE_0 src1_sel:DWORD
	s_andn2_b64 s[4:5], s[4:5], exec
	s_and_b64 s[8:9], s[8:9], exec
	s_or_b64 s[4:5], s[4:5], s[8:9]
	s_or_b64 exec, exec, s[6:7]
	s_and_saveexec_b64 s[6:7], s[4:5]
	s_cbranch_execnz .LBB14_1903
	s_branch .LBB14_1904
.LBB14_3953:
	s_movk_i32 s4, 0x80
	v_cmp_eq_u16_e32 vcc, s4, v3
	s_mov_b64 s[4:5], -1
                                        ; implicit-def: $sgpr10
	s_and_saveexec_b64 s[8:9], vcc
; %bb.3954:
	s_mov_b32 s10, 0x7f800001
	s_xor_b64 s[4:5], exec, -1
; %bb.3955:
	s_or_b64 exec, exec, s[8:9]
	s_and_b64 s[4:5], s[4:5], exec
                                        ; implicit-def: $vgpr3
	s_or_saveexec_b64 s[6:7], s[6:7]
	v_mov_b32_e32 v2, s10
	s_xor_b64 exec, exec, s[6:7]
	s_cbranch_execz .LBB14_1906
.LBB14_3956:
	v_cmp_ne_u16_e32 vcc, 0, v3
	s_andn2_b64 s[4:5], s[4:5], exec
	s_and_b64 s[8:9], vcc, exec
	v_mov_b32_e32 v2, 0
	s_or_b64 s[4:5], s[4:5], s[8:9]
	s_or_b64 exec, exec, s[6:7]
	s_and_saveexec_b64 s[6:7], s[4:5]
	s_cbranch_execnz .LBB14_1907
	s_branch .LBB14_1908
.LBB14_3957:
	s_movk_i32 s4, 0x80
	v_cmp_eq_u16_e32 vcc, s4, v3
	s_mov_b64 s[4:5], -1
                                        ; implicit-def: $sgpr10
	s_and_saveexec_b64 s[8:9], vcc
; %bb.3958:
	s_mov_b32 s10, 0x7f800001
	s_xor_b64 s[4:5], exec, -1
; %bb.3959:
	s_or_b64 exec, exec, s[8:9]
	s_and_b64 s[4:5], s[4:5], exec
                                        ; implicit-def: $vgpr3
	s_or_saveexec_b64 s[6:7], s[6:7]
	v_mov_b32_e32 v4, s10
	s_xor_b64 exec, exec, s[6:7]
	s_cbranch_execz .LBB14_1910
.LBB14_3960:
	v_cmp_ne_u16_e32 vcc, 0, v3
	s_andn2_b64 s[4:5], s[4:5], exec
	s_and_b64 s[8:9], vcc, exec
	v_mov_b32_e32 v4, 0
	s_or_b64 s[4:5], s[4:5], s[8:9]
	s_or_b64 exec, exec, s[6:7]
	s_and_saveexec_b64 s[6:7], s[4:5]
	s_cbranch_execnz .LBB14_1911
	s_branch .LBB14_1912
.LBB14_3961:
	s_movk_i32 s4, 0x80
	v_cmp_eq_u16_sdwa s[12:13], v9, s4 src0_sel:BYTE_3 src1_sel:DWORD
	s_mov_b64 s[4:5], -1
                                        ; implicit-def: $sgpr10
	s_and_saveexec_b64 s[8:9], s[12:13]
; %bb.3962:
	s_mov_b32 s10, 0x7f800001
	s_xor_b64 s[4:5], exec, -1
; %bb.3963:
	s_or_b64 exec, exec, s[8:9]
	s_and_b64 s[4:5], s[4:5], exec
	s_or_saveexec_b64 s[6:7], s[6:7]
	v_mov_b32_e32 v2, s10
	s_xor_b64 exec, exec, s[6:7]
	s_cbranch_execz .LBB14_1914
.LBB14_3964:
	v_mov_b32_e32 v2, 0
	v_cmp_ne_u16_sdwa s[8:9], v9, v2 src0_sel:BYTE_3 src1_sel:DWORD
	s_andn2_b64 s[4:5], s[4:5], exec
	s_and_b64 s[8:9], s[8:9], exec
	s_or_b64 s[4:5], s[4:5], s[8:9]
	s_or_b64 exec, exec, s[6:7]
	s_and_saveexec_b64 s[6:7], s[4:5]
	s_cbranch_execnz .LBB14_1915
	s_branch .LBB14_1916
.LBB14_3965:
	s_movk_i32 s4, 0x80
	v_cmp_eq_u16_sdwa s[12:13], v5, s4 src0_sel:BYTE_3 src1_sel:DWORD
	s_mov_b64 s[4:5], -1
                                        ; implicit-def: $sgpr10
	s_and_saveexec_b64 s[8:9], s[12:13]
; %bb.3966:
	s_mov_b32 s10, 0x7f800001
	s_xor_b64 s[4:5], exec, -1
; %bb.3967:
	s_or_b64 exec, exec, s[8:9]
	s_and_b64 s[4:5], s[4:5], exec
	s_or_saveexec_b64 s[6:7], s[6:7]
	v_mov_b32_e32 v3, s10
	s_xor_b64 exec, exec, s[6:7]
	s_cbranch_execz .LBB14_1918
.LBB14_3968:
	v_mov_b32_e32 v3, 0
	v_cmp_ne_u16_sdwa s[8:9], v5, v3 src0_sel:BYTE_3 src1_sel:DWORD
	s_andn2_b64 s[4:5], s[4:5], exec
	s_and_b64 s[8:9], s[8:9], exec
	s_or_b64 s[4:5], s[4:5], s[8:9]
	s_or_b64 exec, exec, s[6:7]
	s_and_saveexec_b64 s[6:7], s[4:5]
	s_cbranch_execnz .LBB14_1919
	s_branch .LBB14_1920
.LBB14_3969:
	s_movk_i32 s4, 0x80
	v_cmp_eq_u16_sdwa s[12:13], v4, s4 src0_sel:BYTE_0 src1_sel:DWORD
	s_mov_b64 s[4:5], -1
                                        ; implicit-def: $sgpr10
	s_and_saveexec_b64 s[8:9], s[12:13]
; %bb.3970:
	s_mov_b32 s10, 0x7f800001
	s_xor_b64 s[4:5], exec, -1
; %bb.3971:
	s_or_b64 exec, exec, s[8:9]
	s_and_b64 s[4:5], s[4:5], exec
	s_or_saveexec_b64 s[6:7], s[6:7]
	v_mov_b32_e32 v10, s10
	s_xor_b64 exec, exec, s[6:7]
	s_cbranch_execz .LBB14_1922
.LBB14_3972:
	v_mov_b32_e32 v10, 0
	v_cmp_ne_u16_sdwa s[8:9], v4, v10 src0_sel:BYTE_0 src1_sel:DWORD
	s_andn2_b64 s[4:5], s[4:5], exec
	s_and_b64 s[8:9], s[8:9], exec
	s_or_b64 s[4:5], s[4:5], s[8:9]
	s_or_b64 exec, exec, s[6:7]
	s_and_saveexec_b64 s[6:7], s[4:5]
	s_cbranch_execnz .LBB14_1923
	s_branch .LBB14_1924
.LBB14_3973:
	s_movk_i32 s4, 0x80
	v_cmp_eq_u16_sdwa s[12:13], v0, s4 src0_sel:BYTE_0 src1_sel:DWORD
	s_mov_b64 s[4:5], -1
                                        ; implicit-def: $sgpr10
	s_and_saveexec_b64 s[8:9], s[12:13]
; %bb.3974:
	s_mov_b32 s10, 0x7f800001
	s_xor_b64 s[4:5], exec, -1
; %bb.3975:
	s_or_b64 exec, exec, s[8:9]
	s_and_b64 s[4:5], s[4:5], exec
	s_or_saveexec_b64 s[6:7], s[6:7]
	v_mov_b32_e32 v11, s10
	s_xor_b64 exec, exec, s[6:7]
	s_cbranch_execz .LBB14_1926
.LBB14_3976:
	v_mov_b32_e32 v11, 0
	v_cmp_ne_u16_sdwa s[8:9], v0, v11 src0_sel:BYTE_0 src1_sel:DWORD
	s_andn2_b64 s[4:5], s[4:5], exec
	s_and_b64 s[8:9], s[8:9], exec
	s_or_b64 s[4:5], s[4:5], s[8:9]
	s_or_b64 exec, exec, s[6:7]
	s_and_saveexec_b64 s[6:7], s[4:5]
	s_cbranch_execnz .LBB14_1927
	s_branch .LBB14_1928
.LBB14_3977:
	s_movk_i32 s4, 0x80
	v_cmp_eq_u16_sdwa s[12:13], v11, s4 src0_sel:BYTE_0 src1_sel:DWORD
	s_mov_b64 s[4:5], -1
                                        ; implicit-def: $sgpr10
	s_and_saveexec_b64 s[8:9], s[12:13]
; %bb.3978:
	s_mov_b32 s10, 0x7f800001
	s_xor_b64 s[4:5], exec, -1
; %bb.3979:
	s_or_b64 exec, exec, s[8:9]
	s_and_b64 s[4:5], s[4:5], exec
	s_or_saveexec_b64 s[6:7], s[6:7]
	v_mov_b32_e32 v10, s10
	s_xor_b64 exec, exec, s[6:7]
	s_cbranch_execz .LBB14_1930
.LBB14_3980:
	v_mov_b32_e32 v10, 0
	v_cmp_ne_u16_sdwa s[8:9], v11, v10 src0_sel:BYTE_0 src1_sel:DWORD
	s_andn2_b64 s[4:5], s[4:5], exec
	s_and_b64 s[8:9], s[8:9], exec
	s_or_b64 s[4:5], s[4:5], s[8:9]
	s_or_b64 exec, exec, s[6:7]
	s_and_saveexec_b64 s[6:7], s[4:5]
	s_cbranch_execnz .LBB14_1931
	s_branch .LBB14_1932
.LBB14_3981:
	s_movk_i32 s4, 0x80
	v_cmp_eq_u16_sdwa s[12:13], v11, s4 src0_sel:BYTE_0 src1_sel:DWORD
	s_mov_b64 s[4:5], -1
                                        ; implicit-def: $sgpr10
	s_and_saveexec_b64 s[8:9], s[12:13]
; %bb.3982:
	s_mov_b32 s10, 0x7f800001
	s_xor_b64 s[4:5], exec, -1
; %bb.3983:
	s_or_b64 exec, exec, s[8:9]
	s_and_b64 s[4:5], s[4:5], exec
	s_or_saveexec_b64 s[6:7], s[6:7]
	v_mov_b32_e32 v12, s10
	s_xor_b64 exec, exec, s[6:7]
	s_cbranch_execz .LBB14_1934
.LBB14_3984:
	v_mov_b32_e32 v12, 0
	v_cmp_ne_u16_sdwa s[8:9], v11, v12 src0_sel:BYTE_0 src1_sel:DWORD
	s_andn2_b64 s[4:5], s[4:5], exec
	s_and_b64 s[8:9], s[8:9], exec
	s_or_b64 s[4:5], s[4:5], s[8:9]
	s_or_b64 exec, exec, s[6:7]
	s_and_saveexec_b64 s[6:7], s[4:5]
	s_cbranch_execnz .LBB14_1935
	s_branch .LBB14_1936
.LBB14_3985:
	s_movk_i32 s4, 0x80
	v_cmp_eq_u16_e32 vcc, s4, v11
	s_mov_b64 s[4:5], -1
                                        ; implicit-def: $sgpr10
	s_and_saveexec_b64 s[8:9], vcc
; %bb.3986:
	s_mov_b32 s10, 0x7f800001
	s_xor_b64 s[4:5], exec, -1
; %bb.3987:
	s_or_b64 exec, exec, s[8:9]
	s_and_b64 s[4:5], s[4:5], exec
                                        ; implicit-def: $vgpr11
	s_or_saveexec_b64 s[6:7], s[6:7]
	v_mov_b32_e32 v10, s10
	s_xor_b64 exec, exec, s[6:7]
	s_cbranch_execz .LBB14_1938
.LBB14_3988:
	v_cmp_ne_u16_e32 vcc, 0, v11
	s_andn2_b64 s[4:5], s[4:5], exec
	s_and_b64 s[8:9], vcc, exec
	v_mov_b32_e32 v10, 0
	s_or_b64 s[4:5], s[4:5], s[8:9]
	s_or_b64 exec, exec, s[6:7]
	s_and_saveexec_b64 s[6:7], s[4:5]
	s_cbranch_execnz .LBB14_1939
	s_branch .LBB14_1940
.LBB14_3989:
	s_movk_i32 s4, 0x80
	v_cmp_eq_u16_e32 vcc, s4, v11
	s_mov_b64 s[4:5], -1
                                        ; implicit-def: $sgpr10
	s_and_saveexec_b64 s[8:9], vcc
; %bb.3990:
	s_mov_b32 s10, 0x7f800001
	s_xor_b64 s[4:5], exec, -1
; %bb.3991:
	s_or_b64 exec, exec, s[8:9]
	s_and_b64 s[4:5], s[4:5], exec
                                        ; implicit-def: $vgpr11
	s_or_saveexec_b64 s[6:7], s[6:7]
	v_mov_b32_e32 v12, s10
	s_xor_b64 exec, exec, s[6:7]
	s_cbranch_execz .LBB14_1942
.LBB14_3992:
	v_cmp_ne_u16_e32 vcc, 0, v11
	s_andn2_b64 s[4:5], s[4:5], exec
	s_and_b64 s[8:9], vcc, exec
	v_mov_b32_e32 v12, 0
	s_or_b64 s[4:5], s[4:5], s[8:9]
	s_or_b64 exec, exec, s[6:7]
	s_and_saveexec_b64 s[6:7], s[4:5]
	s_cbranch_execnz .LBB14_1943
	s_branch .LBB14_1944
.LBB14_3993:
	s_movk_i32 s4, 0x80
	v_cmp_eq_u16_sdwa s[12:13], v4, s4 src0_sel:BYTE_3 src1_sel:DWORD
	s_mov_b64 s[4:5], -1
                                        ; implicit-def: $sgpr10
	s_and_saveexec_b64 s[8:9], s[12:13]
; %bb.3994:
	s_mov_b32 s10, 0x7f800001
	s_xor_b64 s[4:5], exec, -1
; %bb.3995:
	s_or_b64 exec, exec, s[8:9]
	s_and_b64 s[4:5], s[4:5], exec
	s_or_saveexec_b64 s[6:7], s[6:7]
	v_mov_b32_e32 v10, s10
	s_xor_b64 exec, exec, s[6:7]
	s_cbranch_execz .LBB14_1946
.LBB14_3996:
	v_mov_b32_e32 v10, 0
	v_cmp_ne_u16_sdwa s[8:9], v4, v10 src0_sel:BYTE_3 src1_sel:DWORD
	s_andn2_b64 s[4:5], s[4:5], exec
	s_and_b64 s[8:9], s[8:9], exec
	s_or_b64 s[4:5], s[4:5], s[8:9]
	s_or_b64 exec, exec, s[6:7]
	s_and_saveexec_b64 s[6:7], s[4:5]
	s_cbranch_execnz .LBB14_1947
	s_branch .LBB14_1948
.LBB14_3997:
	s_movk_i32 s4, 0x80
	v_cmp_eq_u16_sdwa s[12:13], v0, s4 src0_sel:BYTE_3 src1_sel:DWORD
	s_mov_b64 s[4:5], -1
                                        ; implicit-def: $sgpr10
	s_and_saveexec_b64 s[8:9], s[12:13]
; %bb.3998:
	s_mov_b32 s10, 0x7f800001
	s_xor_b64 s[4:5], exec, -1
; %bb.3999:
	s_or_b64 exec, exec, s[8:9]
	s_and_b64 s[4:5], s[4:5], exec
	s_or_saveexec_b64 s[6:7], s[6:7]
	v_mov_b32_e32 v4, s10
	s_xor_b64 exec, exec, s[6:7]
	s_cbranch_execz .LBB14_1950
.LBB14_4000:
	v_mov_b32_e32 v4, 0
	v_cmp_ne_u16_sdwa s[8:9], v0, v4 src0_sel:BYTE_3 src1_sel:DWORD
	s_andn2_b64 s[4:5], s[4:5], exec
	s_and_b64 s[8:9], s[8:9], exec
	s_or_b64 s[4:5], s[4:5], s[8:9]
	s_or_b64 exec, exec, s[6:7]
	s_and_saveexec_b64 s[6:7], s[4:5]
	s_cbranch_execnz .LBB14_1951
	s_branch .LBB14_1952
.LBB14_4001:
	s_movk_i32 s4, 0x80
	v_cmp_eq_u16_sdwa s[12:13], v5, s4 src0_sel:BYTE_0 src1_sel:DWORD
	s_mov_b64 s[4:5], -1
                                        ; implicit-def: $sgpr10
	s_and_saveexec_b64 s[8:9], s[12:13]
; %bb.4002:
	s_mov_b32 s10, 0x7f800001
	s_xor_b64 s[4:5], exec, -1
; %bb.4003:
	s_or_b64 exec, exec, s[8:9]
	s_and_b64 s[4:5], s[4:5], exec
	s_or_saveexec_b64 s[6:7], s[6:7]
	v_mov_b32_e32 v0, s10
	s_xor_b64 exec, exec, s[6:7]
	s_cbranch_execz .LBB14_1954
.LBB14_4004:
	v_mov_b32_e32 v0, 0
	v_cmp_ne_u16_sdwa s[8:9], v5, v0 src0_sel:BYTE_0 src1_sel:DWORD
	s_andn2_b64 s[4:5], s[4:5], exec
	s_and_b64 s[8:9], s[8:9], exec
	s_or_b64 s[4:5], s[4:5], s[8:9]
	s_or_b64 exec, exec, s[6:7]
	s_and_saveexec_b64 s[6:7], s[4:5]
	s_cbranch_execnz .LBB14_1955
	s_branch .LBB14_1956
.LBB14_4005:
	s_movk_i32 s4, 0x80
	v_cmp_eq_u16_sdwa s[12:13], v1, s4 src0_sel:BYTE_0 src1_sel:DWORD
	s_mov_b64 s[4:5], -1
                                        ; implicit-def: $sgpr10
	s_and_saveexec_b64 s[8:9], s[12:13]
; %bb.4006:
	s_mov_b32 s10, 0x7f800001
	s_xor_b64 s[4:5], exec, -1
; %bb.4007:
	s_or_b64 exec, exec, s[8:9]
	s_and_b64 s[4:5], s[4:5], exec
	s_or_saveexec_b64 s[6:7], s[6:7]
	v_mov_b32_e32 v4, s10
	s_xor_b64 exec, exec, s[6:7]
	s_cbranch_execz .LBB14_1958
.LBB14_4008:
	v_mov_b32_e32 v4, 0
	v_cmp_ne_u16_sdwa s[8:9], v1, v4 src0_sel:BYTE_0 src1_sel:DWORD
	s_andn2_b64 s[4:5], s[4:5], exec
	s_and_b64 s[8:9], s[8:9], exec
	s_or_b64 s[4:5], s[4:5], s[8:9]
	s_or_b64 exec, exec, s[6:7]
	s_and_saveexec_b64 s[6:7], s[4:5]
	s_cbranch_execnz .LBB14_1959
	s_branch .LBB14_1960
.LBB14_4009:
	s_movk_i32 s4, 0x80
	v_cmp_eq_u16_sdwa s[12:13], v4, s4 src0_sel:BYTE_0 src1_sel:DWORD
	s_mov_b64 s[4:5], -1
                                        ; implicit-def: $sgpr10
	s_and_saveexec_b64 s[8:9], s[12:13]
; %bb.4010:
	s_mov_b32 s10, 0x7f800001
	s_xor_b64 s[4:5], exec, -1
; %bb.4011:
	s_or_b64 exec, exec, s[8:9]
	s_and_b64 s[4:5], s[4:5], exec
	s_or_saveexec_b64 s[6:7], s[6:7]
	v_mov_b32_e32 v0, s10
	s_xor_b64 exec, exec, s[6:7]
	s_cbranch_execz .LBB14_1962
.LBB14_4012:
	v_mov_b32_e32 v0, 0
	v_cmp_ne_u16_sdwa s[8:9], v4, v0 src0_sel:BYTE_0 src1_sel:DWORD
	s_andn2_b64 s[4:5], s[4:5], exec
	s_and_b64 s[8:9], s[8:9], exec
	s_or_b64 s[4:5], s[4:5], s[8:9]
	s_or_b64 exec, exec, s[6:7]
	s_and_saveexec_b64 s[6:7], s[4:5]
	s_cbranch_execnz .LBB14_1963
	s_branch .LBB14_1964
.LBB14_4013:
	s_movk_i32 s4, 0x80
	v_cmp_eq_u16_sdwa s[12:13], v4, s4 src0_sel:BYTE_0 src1_sel:DWORD
	s_mov_b64 s[4:5], -1
                                        ; implicit-def: $sgpr10
	s_and_saveexec_b64 s[8:9], s[12:13]
; %bb.4014:
	s_mov_b32 s10, 0x7f800001
	s_xor_b64 s[4:5], exec, -1
; %bb.4015:
	s_or_b64 exec, exec, s[8:9]
	s_and_b64 s[4:5], s[4:5], exec
	s_or_saveexec_b64 s[6:7], s[6:7]
	v_mov_b32_e32 v10, s10
	s_xor_b64 exec, exec, s[6:7]
	s_cbranch_execz .LBB14_1966
.LBB14_4016:
	v_mov_b32_e32 v10, 0
	v_cmp_ne_u16_sdwa s[8:9], v4, v10 src0_sel:BYTE_0 src1_sel:DWORD
	s_andn2_b64 s[4:5], s[4:5], exec
	s_and_b64 s[8:9], s[8:9], exec
	s_or_b64 s[4:5], s[4:5], s[8:9]
	s_or_b64 exec, exec, s[6:7]
	s_and_saveexec_b64 s[6:7], s[4:5]
	s_cbranch_execnz .LBB14_1967
	s_branch .LBB14_1968
.LBB14_4017:
	s_movk_i32 s4, 0x80
	v_cmp_eq_u16_e32 vcc, s4, v4
	s_mov_b64 s[4:5], -1
                                        ; implicit-def: $sgpr10
	s_and_saveexec_b64 s[8:9], vcc
; %bb.4018:
	s_mov_b32 s10, 0x7f800001
	s_xor_b64 s[4:5], exec, -1
; %bb.4019:
	s_or_b64 exec, exec, s[8:9]
	s_and_b64 s[4:5], s[4:5], exec
                                        ; implicit-def: $vgpr4
	s_or_saveexec_b64 s[6:7], s[6:7]
	v_mov_b32_e32 v0, s10
	s_xor_b64 exec, exec, s[6:7]
	s_cbranch_execz .LBB14_1970
.LBB14_4020:
	v_cmp_ne_u16_e32 vcc, 0, v4
	s_andn2_b64 s[4:5], s[4:5], exec
	s_and_b64 s[8:9], vcc, exec
	v_mov_b32_e32 v0, 0
	s_or_b64 s[4:5], s[4:5], s[8:9]
	s_or_b64 exec, exec, s[6:7]
	s_and_saveexec_b64 s[6:7], s[4:5]
	s_cbranch_execnz .LBB14_1971
	s_branch .LBB14_1972
.LBB14_4021:
	s_movk_i32 s4, 0x80
	v_cmp_eq_u16_e32 vcc, s4, v4
	s_mov_b64 s[4:5], -1
                                        ; implicit-def: $sgpr10
	s_and_saveexec_b64 s[8:9], vcc
; %bb.4022:
	s_mov_b32 s10, 0x7f800001
	s_xor_b64 s[4:5], exec, -1
; %bb.4023:
	s_or_b64 exec, exec, s[8:9]
	s_and_b64 s[4:5], s[4:5], exec
                                        ; implicit-def: $vgpr4
	s_or_saveexec_b64 s[6:7], s[6:7]
	v_mov_b32_e32 v10, s10
	s_xor_b64 exec, exec, s[6:7]
	s_cbranch_execz .LBB14_1974
.LBB14_4024:
	v_cmp_ne_u16_e32 vcc, 0, v4
	s_andn2_b64 s[4:5], s[4:5], exec
	s_and_b64 s[8:9], vcc, exec
	v_mov_b32_e32 v10, 0
	s_or_b64 s[4:5], s[4:5], s[8:9]
	s_or_b64 exec, exec, s[6:7]
	s_and_saveexec_b64 s[6:7], s[4:5]
	s_cbranch_execnz .LBB14_1975
	s_branch .LBB14_1976
.LBB14_4025:
	s_movk_i32 s4, 0x80
	v_cmp_eq_u16_sdwa s[12:13], v5, s4 src0_sel:BYTE_3 src1_sel:DWORD
	s_mov_b64 s[4:5], -1
                                        ; implicit-def: $sgpr10
	s_and_saveexec_b64 s[8:9], s[12:13]
; %bb.4026:
	s_mov_b32 s10, 0x7f800001
	s_xor_b64 s[4:5], exec, -1
; %bb.4027:
	s_or_b64 exec, exec, s[8:9]
	s_and_b64 s[4:5], s[4:5], exec
	s_or_saveexec_b64 s[6:7], s[6:7]
	v_mov_b32_e32 v0, s10
	s_xor_b64 exec, exec, s[6:7]
	s_cbranch_execz .LBB14_1978
.LBB14_4028:
	v_mov_b32_e32 v0, 0
	v_cmp_ne_u16_sdwa s[8:9], v5, v0 src0_sel:BYTE_3 src1_sel:DWORD
	s_andn2_b64 s[4:5], s[4:5], exec
	s_and_b64 s[8:9], s[8:9], exec
	s_or_b64 s[4:5], s[4:5], s[8:9]
	s_or_b64 exec, exec, s[6:7]
	s_and_saveexec_b64 s[6:7], s[4:5]
	s_cbranch_execnz .LBB14_1979
	s_branch .LBB14_1980
.LBB14_4029:
	s_movk_i32 s4, 0x80
	v_cmp_eq_u16_sdwa s[12:13], v1, s4 src0_sel:BYTE_3 src1_sel:DWORD
	s_mov_b64 s[4:5], -1
                                        ; implicit-def: $sgpr10
	s_and_saveexec_b64 s[8:9], s[12:13]
; %bb.4030:
	s_mov_b32 s10, 0x7f800001
	s_xor_b64 s[4:5], exec, -1
; %bb.4031:
	s_or_b64 exec, exec, s[8:9]
	s_and_b64 s[4:5], s[4:5], exec
	s_or_saveexec_b64 s[6:7], s[6:7]
	v_mov_b32_e32 v4, s10
	s_xor_b64 exec, exec, s[6:7]
	s_cbranch_execz .LBB14_1982
.LBB14_4032:
	v_mov_b32_e32 v4, 0
	v_cmp_ne_u16_sdwa s[8:9], v1, v4 src0_sel:BYTE_3 src1_sel:DWORD
	s_andn2_b64 s[4:5], s[4:5], exec
	s_and_b64 s[8:9], s[8:9], exec
	s_or_b64 s[4:5], s[4:5], s[8:9]
	s_or_b64 exec, exec, s[6:7]
	s_and_saveexec_b64 s[6:7], s[4:5]
	s_cbranch_execnz .LBB14_1983
	s_branch .LBB14_1984
.LBB14_4033:
	s_movk_i32 s4, 0x80
	v_cmp_eq_u16_sdwa s[12:13], v6, s4 src0_sel:BYTE_0 src1_sel:DWORD
	s_mov_b64 s[4:5], -1
                                        ; implicit-def: $sgpr10
	s_and_saveexec_b64 s[8:9], s[12:13]
; %bb.4034:
	s_mov_b32 s10, 0x7f800001
	s_xor_b64 s[4:5], exec, -1
; %bb.4035:
	s_or_b64 exec, exec, s[8:9]
	s_and_b64 s[4:5], s[4:5], exec
	s_or_saveexec_b64 s[6:7], s[6:7]
	v_mov_b32_e32 v0, s10
	s_xor_b64 exec, exec, s[6:7]
	s_cbranch_execz .LBB14_1986
.LBB14_4036:
	v_mov_b32_e32 v0, 0
	v_cmp_ne_u16_sdwa s[8:9], v6, v0 src0_sel:BYTE_0 src1_sel:DWORD
	s_andn2_b64 s[4:5], s[4:5], exec
	s_and_b64 s[8:9], s[8:9], exec
	s_or_b64 s[4:5], s[4:5], s[8:9]
	s_or_b64 exec, exec, s[6:7]
	s_and_saveexec_b64 s[6:7], s[4:5]
	s_cbranch_execnz .LBB14_1987
	s_branch .LBB14_1988
.LBB14_4037:
	s_movk_i32 s4, 0x80
	v_cmp_eq_u16_sdwa s[12:13], v2, s4 src0_sel:BYTE_0 src1_sel:DWORD
	s_mov_b64 s[4:5], -1
                                        ; implicit-def: $sgpr10
	s_and_saveexec_b64 s[8:9], s[12:13]
; %bb.4038:
	s_mov_b32 s10, 0x7f800001
	s_xor_b64 s[4:5], exec, -1
; %bb.4039:
	s_or_b64 exec, exec, s[8:9]
	s_and_b64 s[4:5], s[4:5], exec
	s_or_saveexec_b64 s[6:7], s[6:7]
	v_mov_b32_e32 v1, s10
	s_xor_b64 exec, exec, s[6:7]
	s_cbranch_execz .LBB14_1990
.LBB14_4040:
	v_mov_b32_e32 v1, 0
	v_cmp_ne_u16_sdwa s[8:9], v2, v1 src0_sel:BYTE_0 src1_sel:DWORD
	s_andn2_b64 s[4:5], s[4:5], exec
	s_and_b64 s[8:9], s[8:9], exec
	s_or_b64 s[4:5], s[4:5], s[8:9]
	s_or_b64 exec, exec, s[6:7]
	s_and_saveexec_b64 s[6:7], s[4:5]
	s_cbranch_execnz .LBB14_1991
	s_branch .LBB14_1992
.LBB14_4041:
	s_movk_i32 s4, 0x80
	v_cmp_eq_u16_sdwa s[12:13], v1, s4 src0_sel:BYTE_0 src1_sel:DWORD
	s_mov_b64 s[4:5], -1
                                        ; implicit-def: $sgpr10
	s_and_saveexec_b64 s[8:9], s[12:13]
; %bb.4042:
	s_mov_b32 s10, 0x7f800001
	s_xor_b64 s[4:5], exec, -1
; %bb.4043:
	s_or_b64 exec, exec, s[8:9]
	s_and_b64 s[4:5], s[4:5], exec
	s_or_saveexec_b64 s[6:7], s[6:7]
	v_mov_b32_e32 v0, s10
	s_xor_b64 exec, exec, s[6:7]
	s_cbranch_execz .LBB14_1994
.LBB14_4044:
	v_mov_b32_e32 v0, 0
	v_cmp_ne_u16_sdwa s[8:9], v1, v0 src0_sel:BYTE_0 src1_sel:DWORD
	s_andn2_b64 s[4:5], s[4:5], exec
	s_and_b64 s[8:9], s[8:9], exec
	s_or_b64 s[4:5], s[4:5], s[8:9]
	s_or_b64 exec, exec, s[6:7]
	s_and_saveexec_b64 s[6:7], s[4:5]
	s_cbranch_execnz .LBB14_1995
	s_branch .LBB14_1996
.LBB14_4045:
	s_movk_i32 s4, 0x80
	v_cmp_eq_u16_sdwa s[12:13], v1, s4 src0_sel:BYTE_0 src1_sel:DWORD
	s_mov_b64 s[4:5], -1
                                        ; implicit-def: $sgpr10
	s_and_saveexec_b64 s[8:9], s[12:13]
; %bb.4046:
	s_mov_b32 s10, 0x7f800001
	s_xor_b64 s[4:5], exec, -1
; %bb.4047:
	s_or_b64 exec, exec, s[8:9]
	s_and_b64 s[4:5], s[4:5], exec
	s_or_saveexec_b64 s[6:7], s[6:7]
	v_mov_b32_e32 v4, s10
	s_xor_b64 exec, exec, s[6:7]
	s_cbranch_execz .LBB14_1998
.LBB14_4048:
	v_mov_b32_e32 v4, 0
	v_cmp_ne_u16_sdwa s[8:9], v1, v4 src0_sel:BYTE_0 src1_sel:DWORD
	s_andn2_b64 s[4:5], s[4:5], exec
	s_and_b64 s[8:9], s[8:9], exec
	s_or_b64 s[4:5], s[4:5], s[8:9]
	s_or_b64 exec, exec, s[6:7]
	s_and_saveexec_b64 s[6:7], s[4:5]
	s_cbranch_execnz .LBB14_1999
	s_branch .LBB14_2000
.LBB14_4049:
	s_movk_i32 s4, 0x80
	v_cmp_eq_u16_e32 vcc, s4, v1
	s_mov_b64 s[4:5], -1
                                        ; implicit-def: $sgpr10
	s_and_saveexec_b64 s[8:9], vcc
; %bb.4050:
	s_mov_b32 s10, 0x7f800001
	s_xor_b64 s[4:5], exec, -1
; %bb.4051:
	s_or_b64 exec, exec, s[8:9]
	s_and_b64 s[4:5], s[4:5], exec
                                        ; implicit-def: $vgpr1
	s_or_saveexec_b64 s[6:7], s[6:7]
	v_mov_b32_e32 v0, s10
	s_xor_b64 exec, exec, s[6:7]
	s_cbranch_execz .LBB14_2002
.LBB14_4052:
	v_cmp_ne_u16_e32 vcc, 0, v1
	s_andn2_b64 s[4:5], s[4:5], exec
	s_and_b64 s[8:9], vcc, exec
	v_mov_b32_e32 v0, 0
	s_or_b64 s[4:5], s[4:5], s[8:9]
	s_or_b64 exec, exec, s[6:7]
	s_and_saveexec_b64 s[6:7], s[4:5]
	s_cbranch_execnz .LBB14_2003
	s_branch .LBB14_2004
.LBB14_4053:
	s_movk_i32 s4, 0x80
	v_cmp_eq_u16_e32 vcc, s4, v1
	s_mov_b64 s[4:5], -1
                                        ; implicit-def: $sgpr10
	s_and_saveexec_b64 s[8:9], vcc
; %bb.4054:
	s_mov_b32 s10, 0x7f800001
	s_xor_b64 s[4:5], exec, -1
; %bb.4055:
	s_or_b64 exec, exec, s[8:9]
	s_and_b64 s[4:5], s[4:5], exec
                                        ; implicit-def: $vgpr1
	s_or_saveexec_b64 s[6:7], s[6:7]
	v_mov_b32_e32 v4, s10
	s_xor_b64 exec, exec, s[6:7]
	s_cbranch_execz .LBB14_2006
.LBB14_4056:
	v_cmp_ne_u16_e32 vcc, 0, v1
	s_andn2_b64 s[4:5], s[4:5], exec
	s_and_b64 s[8:9], vcc, exec
	v_mov_b32_e32 v4, 0
	s_or_b64 s[4:5], s[4:5], s[8:9]
	s_or_b64 exec, exec, s[6:7]
	s_and_saveexec_b64 s[6:7], s[4:5]
	s_cbranch_execnz .LBB14_2007
	s_branch .LBB14_2008
.LBB14_4057:
	s_movk_i32 s4, 0x80
	v_cmp_eq_u16_sdwa s[12:13], v6, s4 src0_sel:BYTE_3 src1_sel:DWORD
	s_mov_b64 s[4:5], -1
                                        ; implicit-def: $sgpr10
	s_and_saveexec_b64 s[8:9], s[12:13]
; %bb.4058:
	s_mov_b32 s10, 0x7f800001
	s_xor_b64 s[4:5], exec, -1
; %bb.4059:
	s_or_b64 exec, exec, s[8:9]
	s_and_b64 s[4:5], s[4:5], exec
	s_or_saveexec_b64 s[6:7], s[6:7]
	v_mov_b32_e32 v0, s10
	s_xor_b64 exec, exec, s[6:7]
	s_cbranch_execz .LBB14_2010
.LBB14_4060:
	v_mov_b32_e32 v0, 0
	v_cmp_ne_u16_sdwa s[8:9], v6, v0 src0_sel:BYTE_3 src1_sel:DWORD
	s_andn2_b64 s[4:5], s[4:5], exec
	s_and_b64 s[8:9], s[8:9], exec
	s_or_b64 s[4:5], s[4:5], s[8:9]
	s_or_b64 exec, exec, s[6:7]
	s_and_saveexec_b64 s[6:7], s[4:5]
	s_cbranch_execnz .LBB14_2011
	s_branch .LBB14_2012
.LBB14_4061:
	s_movk_i32 s4, 0x80
	v_cmp_eq_u16_sdwa s[12:13], v2, s4 src0_sel:BYTE_3 src1_sel:DWORD
	s_mov_b64 s[4:5], -1
                                        ; implicit-def: $sgpr10
	s_and_saveexec_b64 s[8:9], s[12:13]
; %bb.4062:
	s_mov_b32 s10, 0x7f800001
	s_xor_b64 s[4:5], exec, -1
; %bb.4063:
	s_or_b64 exec, exec, s[8:9]
	s_and_b64 s[4:5], s[4:5], exec
	s_or_saveexec_b64 s[6:7], s[6:7]
	v_mov_b32_e32 v1, s10
	s_xor_b64 exec, exec, s[6:7]
	s_cbranch_execz .LBB14_2014
.LBB14_4064:
	v_mov_b32_e32 v1, 0
	v_cmp_ne_u16_sdwa s[8:9], v2, v1 src0_sel:BYTE_3 src1_sel:DWORD
	s_andn2_b64 s[4:5], s[4:5], exec
	s_and_b64 s[8:9], s[8:9], exec
	s_or_b64 s[4:5], s[4:5], s[8:9]
	s_or_b64 exec, exec, s[6:7]
	s_and_saveexec_b64 s[6:7], s[4:5]
	s_cbranch_execnz .LBB14_2015
	s_branch .LBB14_2016
.LBB14_4065:
	s_movk_i32 s4, 0x80
	v_cmp_eq_u16_sdwa s[12:13], v7, s4 src0_sel:BYTE_0 src1_sel:DWORD
	s_mov_b64 s[4:5], -1
                                        ; implicit-def: $sgpr10
	s_and_saveexec_b64 s[8:9], s[12:13]
; %bb.4066:
	s_mov_b32 s10, 0x7f800001
	s_xor_b64 s[4:5], exec, -1
; %bb.4067:
	s_or_b64 exec, exec, s[8:9]
	s_and_b64 s[4:5], s[4:5], exec
	s_or_saveexec_b64 s[6:7], s[6:7]
	v_mov_b32_e32 v0, s10
	s_xor_b64 exec, exec, s[6:7]
	s_cbranch_execz .LBB14_2018
.LBB14_4068:
	v_mov_b32_e32 v0, 0
	v_cmp_ne_u16_sdwa s[8:9], v7, v0 src0_sel:BYTE_0 src1_sel:DWORD
	s_andn2_b64 s[4:5], s[4:5], exec
	s_and_b64 s[8:9], s[8:9], exec
	s_or_b64 s[4:5], s[4:5], s[8:9]
	s_or_b64 exec, exec, s[6:7]
	s_and_saveexec_b64 s[6:7], s[4:5]
	s_cbranch_execnz .LBB14_2019
	s_branch .LBB14_2020
.LBB14_4069:
	s_movk_i32 s4, 0x80
	v_cmp_eq_u16_sdwa s[12:13], v3, s4 src0_sel:BYTE_0 src1_sel:DWORD
	s_mov_b64 s[4:5], -1
                                        ; implicit-def: $sgpr10
	s_and_saveexec_b64 s[8:9], s[12:13]
; %bb.4070:
	s_mov_b32 s10, 0x7f800001
	s_xor_b64 s[4:5], exec, -1
; %bb.4071:
	s_or_b64 exec, exec, s[8:9]
	s_and_b64 s[4:5], s[4:5], exec
	s_or_saveexec_b64 s[6:7], s[6:7]
	v_mov_b32_e32 v1, s10
	s_xor_b64 exec, exec, s[6:7]
	s_cbranch_execz .LBB14_2022
.LBB14_4072:
	v_mov_b32_e32 v1, 0
	v_cmp_ne_u16_sdwa s[8:9], v3, v1 src0_sel:BYTE_0 src1_sel:DWORD
	s_andn2_b64 s[4:5], s[4:5], exec
	s_and_b64 s[8:9], s[8:9], exec
	s_or_b64 s[4:5], s[4:5], s[8:9]
	s_or_b64 exec, exec, s[6:7]
	s_and_saveexec_b64 s[6:7], s[4:5]
	s_cbranch_execnz .LBB14_2023
	s_branch .LBB14_2024
.LBB14_4073:
	s_movk_i32 s4, 0x80
	v_cmp_eq_u16_sdwa s[12:13], v1, s4 src0_sel:BYTE_0 src1_sel:DWORD
	s_mov_b64 s[4:5], -1
                                        ; implicit-def: $sgpr10
	s_and_saveexec_b64 s[8:9], s[12:13]
; %bb.4074:
	s_mov_b32 s10, 0x7f800001
	s_xor_b64 s[4:5], exec, -1
; %bb.4075:
	s_or_b64 exec, exec, s[8:9]
	s_and_b64 s[4:5], s[4:5], exec
	s_or_saveexec_b64 s[6:7], s[6:7]
	v_mov_b32_e32 v0, s10
	s_xor_b64 exec, exec, s[6:7]
	s_cbranch_execz .LBB14_2026
.LBB14_4076:
	v_mov_b32_e32 v0, 0
	v_cmp_ne_u16_sdwa s[8:9], v1, v0 src0_sel:BYTE_0 src1_sel:DWORD
	s_andn2_b64 s[4:5], s[4:5], exec
	s_and_b64 s[8:9], s[8:9], exec
	s_or_b64 s[4:5], s[4:5], s[8:9]
	s_or_b64 exec, exec, s[6:7]
	s_and_saveexec_b64 s[6:7], s[4:5]
	s_cbranch_execnz .LBB14_2027
	s_branch .LBB14_2028
.LBB14_4077:
	s_movk_i32 s4, 0x80
	v_cmp_eq_u16_sdwa s[12:13], v1, s4 src0_sel:BYTE_0 src1_sel:DWORD
	s_mov_b64 s[4:5], -1
                                        ; implicit-def: $sgpr10
	s_and_saveexec_b64 s[8:9], s[12:13]
; %bb.4078:
	s_mov_b32 s10, 0x7f800001
	s_xor_b64 s[4:5], exec, -1
; %bb.4079:
	s_or_b64 exec, exec, s[8:9]
	s_and_b64 s[4:5], s[4:5], exec
	s_or_saveexec_b64 s[6:7], s[6:7]
	v_mov_b32_e32 v2, s10
	s_xor_b64 exec, exec, s[6:7]
	s_cbranch_execz .LBB14_2030
.LBB14_4080:
	v_mov_b32_e32 v2, 0
	v_cmp_ne_u16_sdwa s[8:9], v1, v2 src0_sel:BYTE_0 src1_sel:DWORD
	s_andn2_b64 s[4:5], s[4:5], exec
	s_and_b64 s[8:9], s[8:9], exec
	s_or_b64 s[4:5], s[4:5], s[8:9]
	s_or_b64 exec, exec, s[6:7]
	s_and_saveexec_b64 s[6:7], s[4:5]
	s_cbranch_execnz .LBB14_2031
	s_branch .LBB14_2032
.LBB14_4081:
	s_movk_i32 s4, 0x80
	v_cmp_eq_u16_e32 vcc, s4, v1
	s_mov_b64 s[4:5], -1
                                        ; implicit-def: $sgpr10
	s_and_saveexec_b64 s[8:9], vcc
; %bb.4082:
	s_mov_b32 s10, 0x7f800001
	s_xor_b64 s[4:5], exec, -1
; %bb.4083:
	s_or_b64 exec, exec, s[8:9]
	s_and_b64 s[4:5], s[4:5], exec
                                        ; implicit-def: $vgpr1
	s_or_saveexec_b64 s[6:7], s[6:7]
	v_mov_b32_e32 v0, s10
	s_xor_b64 exec, exec, s[6:7]
	s_cbranch_execz .LBB14_2034
.LBB14_4084:
	v_cmp_ne_u16_e32 vcc, 0, v1
	s_andn2_b64 s[4:5], s[4:5], exec
	s_and_b64 s[8:9], vcc, exec
	v_mov_b32_e32 v0, 0
	s_or_b64 s[4:5], s[4:5], s[8:9]
	s_or_b64 exec, exec, s[6:7]
	s_and_saveexec_b64 s[6:7], s[4:5]
	s_cbranch_execnz .LBB14_2035
	s_branch .LBB14_2036
.LBB14_4085:
	s_movk_i32 s4, 0x80
	v_cmp_eq_u16_e32 vcc, s4, v1
	s_mov_b64 s[4:5], -1
                                        ; implicit-def: $sgpr10
	s_and_saveexec_b64 s[8:9], vcc
; %bb.4086:
	s_mov_b32 s10, 0x7f800001
	s_xor_b64 s[4:5], exec, -1
; %bb.4087:
	s_or_b64 exec, exec, s[8:9]
	s_and_b64 s[4:5], s[4:5], exec
                                        ; implicit-def: $vgpr1
	s_or_saveexec_b64 s[6:7], s[6:7]
	v_mov_b32_e32 v2, s10
	s_xor_b64 exec, exec, s[6:7]
	s_cbranch_execz .LBB14_2038
.LBB14_4088:
	v_cmp_ne_u16_e32 vcc, 0, v1
	s_andn2_b64 s[4:5], s[4:5], exec
	s_and_b64 s[8:9], vcc, exec
	v_mov_b32_e32 v2, 0
	s_or_b64 s[4:5], s[4:5], s[8:9]
	s_or_b64 exec, exec, s[6:7]
	s_and_saveexec_b64 s[6:7], s[4:5]
	s_cbranch_execnz .LBB14_2039
	s_branch .LBB14_2040
.LBB14_4089:
	s_movk_i32 s4, 0x80
	v_cmp_eq_u16_sdwa s[12:13], v7, s4 src0_sel:BYTE_3 src1_sel:DWORD
	s_mov_b64 s[4:5], -1
                                        ; implicit-def: $sgpr10
	s_and_saveexec_b64 s[8:9], s[12:13]
; %bb.4090:
	s_mov_b32 s10, 0x7f800001
	s_xor_b64 s[4:5], exec, -1
; %bb.4091:
	s_or_b64 exec, exec, s[8:9]
	s_and_b64 s[4:5], s[4:5], exec
	s_or_saveexec_b64 s[6:7], s[6:7]
	v_mov_b32_e32 v0, s10
	s_xor_b64 exec, exec, s[6:7]
	s_cbranch_execz .LBB14_2042
.LBB14_4092:
	v_mov_b32_e32 v0, 0
	v_cmp_ne_u16_sdwa s[8:9], v7, v0 src0_sel:BYTE_3 src1_sel:DWORD
	s_andn2_b64 s[4:5], s[4:5], exec
	s_and_b64 s[8:9], s[8:9], exec
	s_or_b64 s[4:5], s[4:5], s[8:9]
	s_or_b64 exec, exec, s[6:7]
	s_and_saveexec_b64 s[6:7], s[4:5]
	s_cbranch_execnz .LBB14_2043
	s_branch .LBB14_2044
.LBB14_4093:
	s_movk_i32 s4, 0x80
	v_cmp_eq_u16_sdwa s[12:13], v3, s4 src0_sel:BYTE_3 src1_sel:DWORD
	s_mov_b64 s[4:5], -1
                                        ; implicit-def: $sgpr10
	s_and_saveexec_b64 s[8:9], s[12:13]
; %bb.4094:
	s_mov_b32 s10, 0x7f800001
	s_xor_b64 s[4:5], exec, -1
; %bb.4095:
	s_or_b64 exec, exec, s[8:9]
	s_and_b64 s[4:5], s[4:5], exec
	s_or_saveexec_b64 s[6:7], s[6:7]
	v_mov_b32_e32 v1, s10
	s_xor_b64 exec, exec, s[6:7]
	s_cbranch_execz .LBB14_2046
.LBB14_4096:
	v_mov_b32_e32 v1, 0
	v_cmp_ne_u16_sdwa s[8:9], v3, v1 src0_sel:BYTE_3 src1_sel:DWORD
	s_andn2_b64 s[4:5], s[4:5], exec
	s_and_b64 s[8:9], s[8:9], exec
	s_or_b64 s[4:5], s[4:5], s[8:9]
	s_or_b64 exec, exec, s[6:7]
	s_and_saveexec_b64 s[6:7], s[4:5]
	s_cbranch_execnz .LBB14_2047
	s_branch .LBB14_2048
.Lfunc_end14:
	.size	_ZNK2ck6detail7applierIiJLi0ELi1ELi2ELi3ELi4ELi5ELi6ELi7ELi8ELi9ELi10ELi11ELi12ELi13ELi14ELi15EEEclIZNKS_11static_fordINS_8SequenceIJLi4ELi4EEEENS5_IJLi0ELi1EEEEEclIZZZZNKS_31BlockwiseGemmXdlops_pipeline_v2ILNS_26BlockGemmPipelineSchedulerE1ELi256ENS_9f8_fnuz_tENS_7pk_i4_tESC_fNS_16TensorDescriptorINS_5TupleIJNS_5EmbedINSF_IJNS_17integral_constantIiLi8EEENSH_IiLi128EEENSH_IiLi16EEEEEENSF_IJSK_SJ_NSH_IiLi1EEEEEELb0EEENS_3XorINSF_IJSJ_SI_EEELb1EEENS_11PassThroughISK_EENS_7UnMergeINSF_IJSI_SM_EEELb0EEENSS_ISJ_EEST_NSS_ISI_EENS_21Merge_v3_division_modINSF_IJSJ_SM_EEEEEST_EEENSF_IJNS5_IJLi0EEEENS5_IJLi2ELi1EEEENS5_IJLi3EEEENS5_IJLi5EEEENS5_IJLi4EEEENS5_IJLi6EEEENS5_IJLi7EEEENS5_IJLi9ELi8EEEENS5_IJLi10EEEEEEENSF_IJNS5_IJLi1ELi2ELi3EEEENS5_IJLi4ELi5EEEES18_NS5_IJLi7ELi8EEEENS5_IJLi9EEEES1B_NS5_IJLi11EEEENS5_IJLi12EEEENS5_IJLi13EEEEEEENS5_IJLi11ELi12ELi13EEEENSH_IlLl16384EEEEENSE_INSF_IJNSG_INSF_IJSK_NSH_IiLi64EEESK_EEENSF_IJSK_NSH_IiLi256EEESM_EEELb0EEENSP_INSF_IJS1O_SK_EEELb1EEEST_NSU_INSF_IJSI_NSH_IiLi2EEEEEELb0EEENSS_IS1O_EEST_SY_NSZ_INSF_IJS1O_S1V_EEEEEST_EEES1C_S1K_S1L_S1M_EENSE_INSF_IJSO_SR_ST_SW_SX_ST_SY_S11_ST_NSZ_INSF_IJSI_SK_EEEEENSU_INSF_IJNSH_IiLi4EEES1V_SK_EEELb0EEEEEENSF_IJS13_S14_S15_S16_S17_S18_S19_S1A_S1B_NS5_IJLi11ELi13EEEES1I_EEENSF_IJS1D_S1E_S18_S1F_S1G_S1B_S1H_S1I_S1J_NS5_IJLi14EEEENS5_IJLi15ELi16ELi17EEEEEEENS5_IJLi15ELi16ELi17ELi14EEEES1M_EENSE_INSF_IJS1S_S1U_ST_S1X_S1Y_ST_SY_S20_ST_S24_S27_EEES2A_S2D_S2E_S1M_EELi16ELi16ELi128ELi128ELi128ELi16ELi16ELi4ELi4ELi16ELb0EE3RunILb1ELNS_10TailNumberE10ENSE_INSF_IJNSG_INSF_IJiiEEENSF_IJiSM_EEELb0EEENSU_IS2L_Lb0EEENSS_IiEEEEENSF_IJS13_NS5_IJLi2EEEENS5_IJLi1EEEEEEENSF_IJNS5_IJLi1ELi2EEEENS5_IJLi3ELi4EEEES16_EEENS5_IJLi3ELi5ELi4EEEElEES1N_NS_35ThreadGroupTensorSliceTransfer_v4r1INS_15ThisThreadBlockILi256EEENS_16tensor_operation12element_wise11PassThroughES34_LNS_25InMemoryDataOperationEnumE0ENS5_IJLi8ELi128ELi16EEEENS5_IJLi8ELi32ELi1EEEENS5_IJLi1ELi0ELi2EEEESC_SC_RKS2Y_KS1N_S38_NS5_IJLi0ELi1ELi2EEEELi2ELi2ELi16ELi16ELi1ELi1ELb0ELb1ELi2EiEENS_13DynamicBufferILNS_16AddressSpaceEnumE1EKSC_lLb1ELNS_22AmdBufferCoherenceEnumE0EiEENS3E_ILS3F_2ESC_S1M_Lb1ELS3H_0EiEENSF_IJiiiEEENSE_INSF_IJNSU_INSF_IJiiiiEEELb0EEENS_23Merge_v2_magic_divisionIS2L_EENSS_INSF_IJiEEEEES2P_EEENSF_IJS13_NS5_IJLi1ELi3EEEES2R_S17_EEENSF_IJNS5_IJLi1ELi2ELi3ELi4EEEES16_S18_S19_EEENS5_IJLi5ELi6ELi7EEEElEES22_NS2Z_IS31_S34_S34_LS35_0ES36_NS5_IJLi4ELi64ELi1EEEES38_SD_SD_RKS3X_KS22_S38_S3C_Li2ELi2ELi16ELi16ELi1ELi1ELb0ELb1ELi2EiEENS3E_ILS3F_1EKSD_lLb1ELS3H_0EiEENS3E_ILS3F_2ESD_S1M_Lb1ELS3H_0EiEES3K_NS_25StaticBufferTupleOfVectorILS3F_4EfLi16ELi4ELb1ELb0EEEEEvRKT1_RKT2_RT3_RKT4_RT5_RKT6_RKT7_RKT8_RT9_RKT10_RT11_RKT12_RT13_iENKUlT_E1_clIS1V_EEDaS56_ENKUlS56_E0_clINSH_IiLi0EEEEEDaS56_ENKUlS56_E1_clIS5B_EEDaS56_EUlS56_E_EEvS56_EUlS56_E_EEvS56_, .Lfunc_end14-_ZNK2ck6detail7applierIiJLi0ELi1ELi2ELi3ELi4ELi5ELi6ELi7ELi8ELi9ELi10ELi11ELi12ELi13ELi14ELi15EEEclIZNKS_11static_fordINS_8SequenceIJLi4ELi4EEEENS5_IJLi0ELi1EEEEEclIZZZZNKS_31BlockwiseGemmXdlops_pipeline_v2ILNS_26BlockGemmPipelineSchedulerE1ELi256ENS_9f8_fnuz_tENS_7pk_i4_tESC_fNS_16TensorDescriptorINS_5TupleIJNS_5EmbedINSF_IJNS_17integral_constantIiLi8EEENSH_IiLi128EEENSH_IiLi16EEEEEENSF_IJSK_SJ_NSH_IiLi1EEEEEELb0EEENS_3XorINSF_IJSJ_SI_EEELb1EEENS_11PassThroughISK_EENS_7UnMergeINSF_IJSI_SM_EEELb0EEENSS_ISJ_EEST_NSS_ISI_EENS_21Merge_v3_division_modINSF_IJSJ_SM_EEEEEST_EEENSF_IJNS5_IJLi0EEEENS5_IJLi2ELi1EEEENS5_IJLi3EEEENS5_IJLi5EEEENS5_IJLi4EEEENS5_IJLi6EEEENS5_IJLi7EEEENS5_IJLi9ELi8EEEENS5_IJLi10EEEEEEENSF_IJNS5_IJLi1ELi2ELi3EEEENS5_IJLi4ELi5EEEES18_NS5_IJLi7ELi8EEEENS5_IJLi9EEEES1B_NS5_IJLi11EEEENS5_IJLi12EEEENS5_IJLi13EEEEEEENS5_IJLi11ELi12ELi13EEEENSH_IlLl16384EEEEENSE_INSF_IJNSG_INSF_IJSK_NSH_IiLi64EEESK_EEENSF_IJSK_NSH_IiLi256EEESM_EEELb0EEENSP_INSF_IJS1O_SK_EEELb1EEEST_NSU_INSF_IJSI_NSH_IiLi2EEEEEELb0EEENSS_IS1O_EEST_SY_NSZ_INSF_IJS1O_S1V_EEEEEST_EEES1C_S1K_S1L_S1M_EENSE_INSF_IJSO_SR_ST_SW_SX_ST_SY_S11_ST_NSZ_INSF_IJSI_SK_EEEEENSU_INSF_IJNSH_IiLi4EEES1V_SK_EEELb0EEEEEENSF_IJS13_S14_S15_S16_S17_S18_S19_S1A_S1B_NS5_IJLi11ELi13EEEES1I_EEENSF_IJS1D_S1E_S18_S1F_S1G_S1B_S1H_S1I_S1J_NS5_IJLi14EEEENS5_IJLi15ELi16ELi17EEEEEEENS5_IJLi15ELi16ELi17ELi14EEEES1M_EENSE_INSF_IJS1S_S1U_ST_S1X_S1Y_ST_SY_S20_ST_S24_S27_EEES2A_S2D_S2E_S1M_EELi16ELi16ELi128ELi128ELi128ELi16ELi16ELi4ELi4ELi16ELb0EE3RunILb1ELNS_10TailNumberE10ENSE_INSF_IJNSG_INSF_IJiiEEENSF_IJiSM_EEELb0EEENSU_IS2L_Lb0EEENSS_IiEEEEENSF_IJS13_NS5_IJLi2EEEENS5_IJLi1EEEEEEENSF_IJNS5_IJLi1ELi2EEEENS5_IJLi3ELi4EEEES16_EEENS5_IJLi3ELi5ELi4EEEElEES1N_NS_35ThreadGroupTensorSliceTransfer_v4r1INS_15ThisThreadBlockILi256EEENS_16tensor_operation12element_wise11PassThroughES34_LNS_25InMemoryDataOperationEnumE0ENS5_IJLi8ELi128ELi16EEEENS5_IJLi8ELi32ELi1EEEENS5_IJLi1ELi0ELi2EEEESC_SC_RKS2Y_KS1N_S38_NS5_IJLi0ELi1ELi2EEEELi2ELi2ELi16ELi16ELi1ELi1ELb0ELb1ELi2EiEENS_13DynamicBufferILNS_16AddressSpaceEnumE1EKSC_lLb1ELNS_22AmdBufferCoherenceEnumE0EiEENS3E_ILS3F_2ESC_S1M_Lb1ELS3H_0EiEENSF_IJiiiEEENSE_INSF_IJNSU_INSF_IJiiiiEEELb0EEENS_23Merge_v2_magic_divisionIS2L_EENSS_INSF_IJiEEEEES2P_EEENSF_IJS13_NS5_IJLi1ELi3EEEES2R_S17_EEENSF_IJNS5_IJLi1ELi2ELi3ELi4EEEES16_S18_S19_EEENS5_IJLi5ELi6ELi7EEEElEES22_NS2Z_IS31_S34_S34_LS35_0ES36_NS5_IJLi4ELi64ELi1EEEES38_SD_SD_RKS3X_KS22_S38_S3C_Li2ELi2ELi16ELi16ELi1ELi1ELb0ELb1ELi2EiEENS3E_ILS3F_1EKSD_lLb1ELS3H_0EiEENS3E_ILS3F_2ESD_S1M_Lb1ELS3H_0EiEES3K_NS_25StaticBufferTupleOfVectorILS3F_4EfLi16ELi4ELb1ELb0EEEEEvRKT1_RKT2_RT3_RKT4_RT5_RKT6_RKT7_RKT8_RT9_RKT10_RT11_RKT12_RT13_iENKUlT_E1_clIS1V_EEDaS56_ENKUlS56_E0_clINSH_IiLi0EEEEEDaS56_ENKUlS56_E1_clIS5B_EEDaS56_EUlS56_E_EEvS56_EUlS56_E_EEvS56_
                                        ; -- End function
	.section	.AMDGPU.csdata,"",@progbits
; Function info:
; codeLenInByte = 134344
; NumSgprs: 36
; NumVgprs: 18
; NumAgprs: 4
; TotalNumVgprs: 24
; ScratchSize: 0
; MemoryBound: 1
	.text
	.p2align	2                               ; -- Begin function _ZNK2ck6detail7applierIiJLi0ELi1ELi2ELi3ELi4ELi5ELi6ELi7ELi8ELi9ELi10ELi11ELi12ELi13ELi14ELi15EEEclIZNKS_11static_fordINS_8SequenceIJLi4ELi4EEEENS5_IJLi0ELi1EEEEEclIZZZZNKS_31BlockwiseGemmXdlops_pipeline_v2ILNS_26BlockGemmPipelineSchedulerE1ELi256ENS_9f8_fnuz_tENS_7pk_i4_tESC_fNS_16TensorDescriptorINS_5TupleIJNS_5EmbedINSF_IJNS_17integral_constantIiLi8EEENSH_IiLi128EEENSH_IiLi16EEEEEENSF_IJSK_SJ_NSH_IiLi1EEEEEELb0EEENS_3XorINSF_IJSJ_SI_EEELb1EEENS_11PassThroughISK_EENS_7UnMergeINSF_IJSI_SM_EEELb0EEENSS_ISJ_EEST_NSS_ISI_EENS_21Merge_v3_division_modINSF_IJSJ_SM_EEEEEST_EEENSF_IJNS5_IJLi0EEEENS5_IJLi2ELi1EEEENS5_IJLi3EEEENS5_IJLi5EEEENS5_IJLi4EEEENS5_IJLi6EEEENS5_IJLi7EEEENS5_IJLi9ELi8EEEENS5_IJLi10EEEEEEENSF_IJNS5_IJLi1ELi2ELi3EEEENS5_IJLi4ELi5EEEES18_NS5_IJLi7ELi8EEEENS5_IJLi9EEEES1B_NS5_IJLi11EEEENS5_IJLi12EEEENS5_IJLi13EEEEEEENS5_IJLi11ELi12ELi13EEEENSH_IlLl16384EEEEENSE_INSF_IJNSG_INSF_IJSK_NSH_IiLi64EEESK_EEENSF_IJSK_NSH_IiLi256EEESM_EEELb0EEENSP_INSF_IJS1O_SK_EEELb1EEEST_NSU_INSF_IJSI_NSH_IiLi2EEEEEELb0EEENSS_IS1O_EEST_SY_NSZ_INSF_IJS1O_S1V_EEEEEST_EEES1C_S1K_S1L_S1M_EENSE_INSF_IJSO_SR_ST_SW_SX_ST_SY_S11_ST_NSZ_INSF_IJSI_SK_EEEEENSU_INSF_IJNSH_IiLi4EEES1V_SK_EEELb0EEEEEENSF_IJS13_S14_S15_S16_S17_S18_S19_S1A_S1B_NS5_IJLi11ELi13EEEES1I_EEENSF_IJS1D_S1E_S18_S1F_S1G_S1B_S1H_S1I_S1J_NS5_IJLi14EEEENS5_IJLi15ELi16ELi17EEEEEEENS5_IJLi15ELi16ELi17ELi14EEEES1M_EENSE_INSF_IJS1S_S1U_ST_S1X_S1Y_ST_SY_S20_ST_S24_S27_EEES2A_S2D_S2E_S1M_EELi16ELi16ELi128ELi128ELi128ELi16ELi16ELi4ELi4ELi16ELb0EE3RunILb1ELNS_10TailNumberE10ENSE_INSF_IJNSG_INSF_IJiiEEENSF_IJiSM_EEELb0EEENSU_IS2L_Lb0EEENSS_IiEEEEENSF_IJS13_NS5_IJLi2EEEENS5_IJLi1EEEEEEENSF_IJNS5_IJLi1ELi2EEEENS5_IJLi3ELi4EEEES16_EEENS5_IJLi3ELi5ELi4EEEElEES1N_NS_35ThreadGroupTensorSliceTransfer_v4r1INS_15ThisThreadBlockILi256EEENS_16tensor_operation12element_wise11PassThroughES34_LNS_25InMemoryDataOperationEnumE0ENS5_IJLi8ELi128ELi16EEEENS5_IJLi8ELi32ELi1EEEENS5_IJLi1ELi0ELi2EEEESC_SC_RKS2Y_KS1N_S38_NS5_IJLi0ELi1ELi2EEEELi2ELi2ELi16ELi16ELi1ELi1ELb0ELb1ELi2EiEENS_13DynamicBufferILNS_16AddressSpaceEnumE1EKSC_lLb1ELNS_22AmdBufferCoherenceEnumE0EiEENS3E_ILS3F_2ESC_S1M_Lb1ELS3H_0EiEENSF_IJiiiEEENSE_INSF_IJNSU_INSF_IJiiiiEEELb0EEENS_23Merge_v2_magic_divisionIS2L_EENSS_INSF_IJiEEEEES2P_EEENSF_IJS13_NS5_IJLi1ELi3EEEES2R_S17_EEENSF_IJNS5_IJLi1ELi2ELi3ELi4EEEES16_S18_S19_EEENS5_IJLi5ELi6ELi7EEEElEES22_NS2Z_IS31_S34_S34_LS35_0ES36_NS5_IJLi4ELi64ELi1EEEES38_SD_SD_RKS3X_KS22_S38_S3C_Li2ELi2ELi16ELi16ELi1ELi1ELb0ELb1ELi2EiEENS3E_ILS3F_1EKSD_lLb1ELS3H_0EiEENS3E_ILS3F_2ESD_S1M_Lb1ELS3H_0EiEES3K_NS_25StaticBufferTupleOfVectorILS3F_4EfLi16ELi4ELb1ELb0EEEEEvRKT1_RKT2_RT3_RKT4_RT5_RKT6_RKT7_RKT8_RT9_RKT10_RT11_RKT12_RT13_iENKUlT_E1_clIS1V_EEDaS56_ENKUlS56_E0_clINSH_IiLi0EEEEEDaS56_ENKUlS56_E1_clISK_EEDaS56_EUlS56_E_EEvS56_EUlS56_E_EEvS56_
	.type	_ZNK2ck6detail7applierIiJLi0ELi1ELi2ELi3ELi4ELi5ELi6ELi7ELi8ELi9ELi10ELi11ELi12ELi13ELi14ELi15EEEclIZNKS_11static_fordINS_8SequenceIJLi4ELi4EEEENS5_IJLi0ELi1EEEEEclIZZZZNKS_31BlockwiseGemmXdlops_pipeline_v2ILNS_26BlockGemmPipelineSchedulerE1ELi256ENS_9f8_fnuz_tENS_7pk_i4_tESC_fNS_16TensorDescriptorINS_5TupleIJNS_5EmbedINSF_IJNS_17integral_constantIiLi8EEENSH_IiLi128EEENSH_IiLi16EEEEEENSF_IJSK_SJ_NSH_IiLi1EEEEEELb0EEENS_3XorINSF_IJSJ_SI_EEELb1EEENS_11PassThroughISK_EENS_7UnMergeINSF_IJSI_SM_EEELb0EEENSS_ISJ_EEST_NSS_ISI_EENS_21Merge_v3_division_modINSF_IJSJ_SM_EEEEEST_EEENSF_IJNS5_IJLi0EEEENS5_IJLi2ELi1EEEENS5_IJLi3EEEENS5_IJLi5EEEENS5_IJLi4EEEENS5_IJLi6EEEENS5_IJLi7EEEENS5_IJLi9ELi8EEEENS5_IJLi10EEEEEEENSF_IJNS5_IJLi1ELi2ELi3EEEENS5_IJLi4ELi5EEEES18_NS5_IJLi7ELi8EEEENS5_IJLi9EEEES1B_NS5_IJLi11EEEENS5_IJLi12EEEENS5_IJLi13EEEEEEENS5_IJLi11ELi12ELi13EEEENSH_IlLl16384EEEEENSE_INSF_IJNSG_INSF_IJSK_NSH_IiLi64EEESK_EEENSF_IJSK_NSH_IiLi256EEESM_EEELb0EEENSP_INSF_IJS1O_SK_EEELb1EEEST_NSU_INSF_IJSI_NSH_IiLi2EEEEEELb0EEENSS_IS1O_EEST_SY_NSZ_INSF_IJS1O_S1V_EEEEEST_EEES1C_S1K_S1L_S1M_EENSE_INSF_IJSO_SR_ST_SW_SX_ST_SY_S11_ST_NSZ_INSF_IJSI_SK_EEEEENSU_INSF_IJNSH_IiLi4EEES1V_SK_EEELb0EEEEEENSF_IJS13_S14_S15_S16_S17_S18_S19_S1A_S1B_NS5_IJLi11ELi13EEEES1I_EEENSF_IJS1D_S1E_S18_S1F_S1G_S1B_S1H_S1I_S1J_NS5_IJLi14EEEENS5_IJLi15ELi16ELi17EEEEEEENS5_IJLi15ELi16ELi17ELi14EEEES1M_EENSE_INSF_IJS1S_S1U_ST_S1X_S1Y_ST_SY_S20_ST_S24_S27_EEES2A_S2D_S2E_S1M_EELi16ELi16ELi128ELi128ELi128ELi16ELi16ELi4ELi4ELi16ELb0EE3RunILb1ELNS_10TailNumberE10ENSE_INSF_IJNSG_INSF_IJiiEEENSF_IJiSM_EEELb0EEENSU_IS2L_Lb0EEENSS_IiEEEEENSF_IJS13_NS5_IJLi2EEEENS5_IJLi1EEEEEEENSF_IJNS5_IJLi1ELi2EEEENS5_IJLi3ELi4EEEES16_EEENS5_IJLi3ELi5ELi4EEEElEES1N_NS_35ThreadGroupTensorSliceTransfer_v4r1INS_15ThisThreadBlockILi256EEENS_16tensor_operation12element_wise11PassThroughES34_LNS_25InMemoryDataOperationEnumE0ENS5_IJLi8ELi128ELi16EEEENS5_IJLi8ELi32ELi1EEEENS5_IJLi1ELi0ELi2EEEESC_SC_RKS2Y_KS1N_S38_NS5_IJLi0ELi1ELi2EEEELi2ELi2ELi16ELi16ELi1ELi1ELb0ELb1ELi2EiEENS_13DynamicBufferILNS_16AddressSpaceEnumE1EKSC_lLb1ELNS_22AmdBufferCoherenceEnumE0EiEENS3E_ILS3F_2ESC_S1M_Lb1ELS3H_0EiEENSF_IJiiiEEENSE_INSF_IJNSU_INSF_IJiiiiEEELb0EEENS_23Merge_v2_magic_divisionIS2L_EENSS_INSF_IJiEEEEES2P_EEENSF_IJS13_NS5_IJLi1ELi3EEEES2R_S17_EEENSF_IJNS5_IJLi1ELi2ELi3ELi4EEEES16_S18_S19_EEENS5_IJLi5ELi6ELi7EEEElEES22_NS2Z_IS31_S34_S34_LS35_0ES36_NS5_IJLi4ELi64ELi1EEEES38_SD_SD_RKS3X_KS22_S38_S3C_Li2ELi2ELi16ELi16ELi1ELi1ELb0ELb1ELi2EiEENS3E_ILS3F_1EKSD_lLb1ELS3H_0EiEENS3E_ILS3F_2ESD_S1M_Lb1ELS3H_0EiEES3K_NS_25StaticBufferTupleOfVectorILS3F_4EfLi16ELi4ELb1ELb0EEEEEvRKT1_RKT2_RT3_RKT4_RT5_RKT6_RKT7_RKT8_RT9_RKT10_RT11_RKT12_RT13_iENKUlT_E1_clIS1V_EEDaS56_ENKUlS56_E0_clINSH_IiLi0EEEEEDaS56_ENKUlS56_E1_clISK_EEDaS56_EUlS56_E_EEvS56_EUlS56_E_EEvS56_,@function
_ZNK2ck6detail7applierIiJLi0ELi1ELi2ELi3ELi4ELi5ELi6ELi7ELi8ELi9ELi10ELi11ELi12ELi13ELi14ELi15EEEclIZNKS_11static_fordINS_8SequenceIJLi4ELi4EEEENS5_IJLi0ELi1EEEEEclIZZZZNKS_31BlockwiseGemmXdlops_pipeline_v2ILNS_26BlockGemmPipelineSchedulerE1ELi256ENS_9f8_fnuz_tENS_7pk_i4_tESC_fNS_16TensorDescriptorINS_5TupleIJNS_5EmbedINSF_IJNS_17integral_constantIiLi8EEENSH_IiLi128EEENSH_IiLi16EEEEEENSF_IJSK_SJ_NSH_IiLi1EEEEEELb0EEENS_3XorINSF_IJSJ_SI_EEELb1EEENS_11PassThroughISK_EENS_7UnMergeINSF_IJSI_SM_EEELb0EEENSS_ISJ_EEST_NSS_ISI_EENS_21Merge_v3_division_modINSF_IJSJ_SM_EEEEEST_EEENSF_IJNS5_IJLi0EEEENS5_IJLi2ELi1EEEENS5_IJLi3EEEENS5_IJLi5EEEENS5_IJLi4EEEENS5_IJLi6EEEENS5_IJLi7EEEENS5_IJLi9ELi8EEEENS5_IJLi10EEEEEEENSF_IJNS5_IJLi1ELi2ELi3EEEENS5_IJLi4ELi5EEEES18_NS5_IJLi7ELi8EEEENS5_IJLi9EEEES1B_NS5_IJLi11EEEENS5_IJLi12EEEENS5_IJLi13EEEEEEENS5_IJLi11ELi12ELi13EEEENSH_IlLl16384EEEEENSE_INSF_IJNSG_INSF_IJSK_NSH_IiLi64EEESK_EEENSF_IJSK_NSH_IiLi256EEESM_EEELb0EEENSP_INSF_IJS1O_SK_EEELb1EEEST_NSU_INSF_IJSI_NSH_IiLi2EEEEEELb0EEENSS_IS1O_EEST_SY_NSZ_INSF_IJS1O_S1V_EEEEEST_EEES1C_S1K_S1L_S1M_EENSE_INSF_IJSO_SR_ST_SW_SX_ST_SY_S11_ST_NSZ_INSF_IJSI_SK_EEEEENSU_INSF_IJNSH_IiLi4EEES1V_SK_EEELb0EEEEEENSF_IJS13_S14_S15_S16_S17_S18_S19_S1A_S1B_NS5_IJLi11ELi13EEEES1I_EEENSF_IJS1D_S1E_S18_S1F_S1G_S1B_S1H_S1I_S1J_NS5_IJLi14EEEENS5_IJLi15ELi16ELi17EEEEEEENS5_IJLi15ELi16ELi17ELi14EEEES1M_EENSE_INSF_IJS1S_S1U_ST_S1X_S1Y_ST_SY_S20_ST_S24_S27_EEES2A_S2D_S2E_S1M_EELi16ELi16ELi128ELi128ELi128ELi16ELi16ELi4ELi4ELi16ELb0EE3RunILb1ELNS_10TailNumberE10ENSE_INSF_IJNSG_INSF_IJiiEEENSF_IJiSM_EEELb0EEENSU_IS2L_Lb0EEENSS_IiEEEEENSF_IJS13_NS5_IJLi2EEEENS5_IJLi1EEEEEEENSF_IJNS5_IJLi1ELi2EEEENS5_IJLi3ELi4EEEES16_EEENS5_IJLi3ELi5ELi4EEEElEES1N_NS_35ThreadGroupTensorSliceTransfer_v4r1INS_15ThisThreadBlockILi256EEENS_16tensor_operation12element_wise11PassThroughES34_LNS_25InMemoryDataOperationEnumE0ENS5_IJLi8ELi128ELi16EEEENS5_IJLi8ELi32ELi1EEEENS5_IJLi1ELi0ELi2EEEESC_SC_RKS2Y_KS1N_S38_NS5_IJLi0ELi1ELi2EEEELi2ELi2ELi16ELi16ELi1ELi1ELb0ELb1ELi2EiEENS_13DynamicBufferILNS_16AddressSpaceEnumE1EKSC_lLb1ELNS_22AmdBufferCoherenceEnumE0EiEENS3E_ILS3F_2ESC_S1M_Lb1ELS3H_0EiEENSF_IJiiiEEENSE_INSF_IJNSU_INSF_IJiiiiEEELb0EEENS_23Merge_v2_magic_divisionIS2L_EENSS_INSF_IJiEEEEES2P_EEENSF_IJS13_NS5_IJLi1ELi3EEEES2R_S17_EEENSF_IJNS5_IJLi1ELi2ELi3ELi4EEEES16_S18_S19_EEENS5_IJLi5ELi6ELi7EEEElEES22_NS2Z_IS31_S34_S34_LS35_0ES36_NS5_IJLi4ELi64ELi1EEEES38_SD_SD_RKS3X_KS22_S38_S3C_Li2ELi2ELi16ELi16ELi1ELi1ELb0ELb1ELi2EiEENS3E_ILS3F_1EKSD_lLb1ELS3H_0EiEENS3E_ILS3F_2ESD_S1M_Lb1ELS3H_0EiEES3K_NS_25StaticBufferTupleOfVectorILS3F_4EfLi16ELi4ELb1ELb0EEEEEvRKT1_RKT2_RT3_RKT4_RT5_RKT6_RKT7_RKT8_RT9_RKT10_RT11_RKT12_RT13_iENKUlT_E1_clIS1V_EEDaS56_ENKUlS56_E0_clINSH_IiLi0EEEEEDaS56_ENKUlS56_E1_clISK_EEDaS56_EUlS56_E_EEvS56_EUlS56_E_EEvS56_: ; @_ZNK2ck6detail7applierIiJLi0ELi1ELi2ELi3ELi4ELi5ELi6ELi7ELi8ELi9ELi10ELi11ELi12ELi13ELi14ELi15EEEclIZNKS_11static_fordINS_8SequenceIJLi4ELi4EEEENS5_IJLi0ELi1EEEEEclIZZZZNKS_31BlockwiseGemmXdlops_pipeline_v2ILNS_26BlockGemmPipelineSchedulerE1ELi256ENS_9f8_fnuz_tENS_7pk_i4_tESC_fNS_16TensorDescriptorINS_5TupleIJNS_5EmbedINSF_IJNS_17integral_constantIiLi8EEENSH_IiLi128EEENSH_IiLi16EEEEEENSF_IJSK_SJ_NSH_IiLi1EEEEEELb0EEENS_3XorINSF_IJSJ_SI_EEELb1EEENS_11PassThroughISK_EENS_7UnMergeINSF_IJSI_SM_EEELb0EEENSS_ISJ_EEST_NSS_ISI_EENS_21Merge_v3_division_modINSF_IJSJ_SM_EEEEEST_EEENSF_IJNS5_IJLi0EEEENS5_IJLi2ELi1EEEENS5_IJLi3EEEENS5_IJLi5EEEENS5_IJLi4EEEENS5_IJLi6EEEENS5_IJLi7EEEENS5_IJLi9ELi8EEEENS5_IJLi10EEEEEEENSF_IJNS5_IJLi1ELi2ELi3EEEENS5_IJLi4ELi5EEEES18_NS5_IJLi7ELi8EEEENS5_IJLi9EEEES1B_NS5_IJLi11EEEENS5_IJLi12EEEENS5_IJLi13EEEEEEENS5_IJLi11ELi12ELi13EEEENSH_IlLl16384EEEEENSE_INSF_IJNSG_INSF_IJSK_NSH_IiLi64EEESK_EEENSF_IJSK_NSH_IiLi256EEESM_EEELb0EEENSP_INSF_IJS1O_SK_EEELb1EEEST_NSU_INSF_IJSI_NSH_IiLi2EEEEEELb0EEENSS_IS1O_EEST_SY_NSZ_INSF_IJS1O_S1V_EEEEEST_EEES1C_S1K_S1L_S1M_EENSE_INSF_IJSO_SR_ST_SW_SX_ST_SY_S11_ST_NSZ_INSF_IJSI_SK_EEEEENSU_INSF_IJNSH_IiLi4EEES1V_SK_EEELb0EEEEEENSF_IJS13_S14_S15_S16_S17_S18_S19_S1A_S1B_NS5_IJLi11ELi13EEEES1I_EEENSF_IJS1D_S1E_S18_S1F_S1G_S1B_S1H_S1I_S1J_NS5_IJLi14EEEENS5_IJLi15ELi16ELi17EEEEEEENS5_IJLi15ELi16ELi17ELi14EEEES1M_EENSE_INSF_IJS1S_S1U_ST_S1X_S1Y_ST_SY_S20_ST_S24_S27_EEES2A_S2D_S2E_S1M_EELi16ELi16ELi128ELi128ELi128ELi16ELi16ELi4ELi4ELi16ELb0EE3RunILb1ELNS_10TailNumberE10ENSE_INSF_IJNSG_INSF_IJiiEEENSF_IJiSM_EEELb0EEENSU_IS2L_Lb0EEENSS_IiEEEEENSF_IJS13_NS5_IJLi2EEEENS5_IJLi1EEEEEEENSF_IJNS5_IJLi1ELi2EEEENS5_IJLi3ELi4EEEES16_EEENS5_IJLi3ELi5ELi4EEEElEES1N_NS_35ThreadGroupTensorSliceTransfer_v4r1INS_15ThisThreadBlockILi256EEENS_16tensor_operation12element_wise11PassThroughES34_LNS_25InMemoryDataOperationEnumE0ENS5_IJLi8ELi128ELi16EEEENS5_IJLi8ELi32ELi1EEEENS5_IJLi1ELi0ELi2EEEESC_SC_RKS2Y_KS1N_S38_NS5_IJLi0ELi1ELi2EEEELi2ELi2ELi16ELi16ELi1ELi1ELb0ELb1ELi2EiEENS_13DynamicBufferILNS_16AddressSpaceEnumE1EKSC_lLb1ELNS_22AmdBufferCoherenceEnumE0EiEENS3E_ILS3F_2ESC_S1M_Lb1ELS3H_0EiEENSF_IJiiiEEENSE_INSF_IJNSU_INSF_IJiiiiEEELb0EEENS_23Merge_v2_magic_divisionIS2L_EENSS_INSF_IJiEEEEES2P_EEENSF_IJS13_NS5_IJLi1ELi3EEEES2R_S17_EEENSF_IJNS5_IJLi1ELi2ELi3ELi4EEEES16_S18_S19_EEENS5_IJLi5ELi6ELi7EEEElEES22_NS2Z_IS31_S34_S34_LS35_0ES36_NS5_IJLi4ELi64ELi1EEEES38_SD_SD_RKS3X_KS22_S38_S3C_Li2ELi2ELi16ELi16ELi1ELi1ELb0ELb1ELi2EiEENS3E_ILS3F_1EKSD_lLb1ELS3H_0EiEENS3E_ILS3F_2ESD_S1M_Lb1ELS3H_0EiEES3K_NS_25StaticBufferTupleOfVectorILS3F_4EfLi16ELi4ELb1ELb0EEEEEvRKT1_RKT2_RT3_RKT4_RT5_RKT6_RKT7_RKT8_RT9_RKT10_RT11_RKT12_RT13_iENKUlT_E1_clIS1V_EEDaS56_ENKUlS56_E0_clINSH_IiLi0EEEEEDaS56_ENKUlS56_E1_clISK_EEDaS56_EUlS56_E_EEvS56_EUlS56_E_EEvS56_
; %bb.0:
	s_waitcnt vmcnt(0) expcnt(0) lgkmcnt(0)
	flat_load_dwordx4 v[12:15], v[0:1] offset:8
	flat_load_dwordx2 v[10:11], v[0:1] offset:32
	s_movk_i32 s4, 0x7f
                                        ; implicit-def: $sgpr10
	s_waitcnt vmcnt(0) lgkmcnt(0)
	flat_load_dwordx4 v[6:9], v[12:13] offset:16
	flat_load_dwordx4 v[2:5], v[14:15] offset:16
	s_waitcnt vmcnt(0) lgkmcnt(0)
	v_cmp_gt_i16_sdwa s[6:7], v6, s4 src0_sel:BYTE_0 src1_sel:DWORD
	s_mov_b64 s[4:5], 0
	s_and_saveexec_b64 s[8:9], s[6:7]
	s_xor_b64 s[6:7], exec, s[8:9]
	s_cbranch_execnz .LBB15_2049
; %bb.1:
	s_or_saveexec_b64 s[6:7], s[6:7]
	v_mov_b32_e32 v12, s10
	s_xor_b64 exec, exec, s[6:7]
	s_cbranch_execnz .LBB15_2052
.LBB15_2:
	s_or_b64 exec, exec, s[6:7]
	s_and_saveexec_b64 s[6:7], s[4:5]
	s_cbranch_execz .LBB15_4
.LBB15_3:
	v_and_b32_e32 v12, 7, v6
	v_ffbh_u32_e32 v14, v12
	v_min_u32_e32 v14, 32, v14
	v_lshrrev_b16_e32 v13, 3, v6
	v_subrev_u32_e32 v15, 28, v14
	v_and_b32_e32 v13, 15, v13
	v_lshlrev_b32_e32 v15, v15, v6
	v_sub_u32_e32 v14, 29, v14
	v_and_b32_e32 v15, 7, v15
	v_cmp_eq_u16_e32 vcc, 0, v13
	v_cndmask_b32_e32 v12, v12, v15, vcc
	v_cndmask_b32_e32 v13, v13, v14, vcc
	v_lshlrev_b32_e32 v14, 24, v6
	v_mov_b32_e32 v15, 0x3b800000
	v_lshlrev_b32_e32 v12, 20, v12
	v_and_b32_e32 v14, 0x80000000, v14
	v_lshl_add_u32 v13, v13, 23, v15
	v_or3_b32 v12, v14, v13, v12
.LBB15_4:
	s_or_b64 exec, exec, s[6:7]
	s_movk_i32 s4, 0x7f
	v_cmp_gt_i16_sdwa s[6:7], v2, s4 src0_sel:BYTE_0 src1_sel:DWORD
	s_mov_b64 s[4:5], 0
                                        ; implicit-def: $sgpr10
	s_and_saveexec_b64 s[8:9], s[6:7]
	s_xor_b64 s[6:7], exec, s[8:9]
	s_cbranch_execnz .LBB15_2053
; %bb.5:
	s_or_saveexec_b64 s[6:7], s[6:7]
	v_mov_b32_e32 v13, s10
	s_xor_b64 exec, exec, s[6:7]
	s_cbranch_execnz .LBB15_2056
.LBB15_6:
	s_or_b64 exec, exec, s[6:7]
	s_and_saveexec_b64 s[6:7], s[4:5]
	s_cbranch_execz .LBB15_8
.LBB15_7:
	v_and_b32_e32 v13, 7, v2
	v_ffbh_u32_e32 v15, v13
	v_min_u32_e32 v15, 32, v15
	v_lshrrev_b16_e32 v14, 3, v2
	v_subrev_u32_e32 v16, 28, v15
	v_and_b32_e32 v14, 15, v14
	v_lshlrev_b32_e32 v16, v16, v2
	v_sub_u32_e32 v15, 29, v15
	v_and_b32_e32 v16, 7, v16
	v_cmp_eq_u16_e32 vcc, 0, v14
	v_cndmask_b32_e32 v13, v13, v16, vcc
	v_cndmask_b32_e32 v14, v14, v15, vcc
	v_lshlrev_b32_e32 v15, 24, v2
	v_mov_b32_e32 v16, 0x3b800000
	v_lshlrev_b32_e32 v13, 20, v13
	v_and_b32_e32 v15, 0x80000000, v15
	v_lshl_add_u32 v14, v14, 23, v16
	v_or3_b32 v13, v15, v14, v13
.LBB15_8:
	s_or_b64 exec, exec, s[6:7]
	flat_load_dwordx4 a[0:3], v[10:11]
	s_movk_i32 s4, 0x7f
                                        ; implicit-def: $sgpr10
	s_waitcnt vmcnt(0) lgkmcnt(0)
	v_mfma_f32_16x16x4f32 a[0:3], v12, v13, a[0:3]
	v_lshrrev_b32_e32 v13, 8, v6
	v_cmp_gt_i16_sdwa s[6:7], v13, s4 src0_sel:BYTE_0 src1_sel:DWORD
	s_mov_b64 s[4:5], 0
	s_and_saveexec_b64 s[8:9], s[6:7]
	s_xor_b64 s[6:7], exec, s[8:9]
	s_cbranch_execnz .LBB15_2057
; %bb.9:
	s_or_saveexec_b64 s[6:7], s[6:7]
	v_mov_b32_e32 v12, s10
	s_xor_b64 exec, exec, s[6:7]
	s_cbranch_execnz .LBB15_2060
.LBB15_10:
	s_or_b64 exec, exec, s[6:7]
	s_and_saveexec_b64 s[6:7], s[4:5]
	s_cbranch_execz .LBB15_12
.LBB15_11:
	v_bfe_u32 v12, v6, 8, 3
	v_ffbh_u32_e32 v15, v12
	v_min_u32_e32 v15, 32, v15
	v_lshrrev_b16_e32 v14, 3, v13
	v_subrev_u32_e32 v16, 28, v15
	v_and_b32_e32 v14, 15, v14
	v_lshlrev_b32_e32 v13, v16, v13
	v_sub_u32_e32 v15, 29, v15
	v_and_b32_e32 v13, 7, v13
	v_cmp_eq_u16_e32 vcc, 0, v14
	v_cndmask_b32_e32 v12, v12, v13, vcc
	v_cndmask_b32_e32 v13, v14, v15, vcc
	v_lshlrev_b32_e32 v14, 16, v6
	v_mov_b32_e32 v15, 0x3b800000
	v_lshlrev_b32_e32 v12, 20, v12
	v_and_b32_e32 v14, 0x80000000, v14
	v_lshl_add_u32 v13, v13, 23, v15
	v_or3_b32 v12, v14, v13, v12
.LBB15_12:
	s_or_b64 exec, exec, s[6:7]
	v_lshrrev_b32_e32 v13, 8, v2
	s_movk_i32 s4, 0x7f
	v_cmp_gt_i16_sdwa s[6:7], v13, s4 src0_sel:BYTE_0 src1_sel:DWORD
	s_mov_b64 s[4:5], 0
                                        ; implicit-def: $sgpr10
	s_and_saveexec_b64 s[8:9], s[6:7]
	s_xor_b64 s[6:7], exec, s[8:9]
	s_cbranch_execnz .LBB15_2061
; %bb.13:
	s_or_saveexec_b64 s[6:7], s[6:7]
	v_mov_b32_e32 v14, s10
	s_xor_b64 exec, exec, s[6:7]
	s_cbranch_execnz .LBB15_2064
.LBB15_14:
	s_or_b64 exec, exec, s[6:7]
	s_and_saveexec_b64 s[6:7], s[4:5]
	s_cbranch_execz .LBB15_16
.LBB15_15:
	v_bfe_u32 v14, v2, 8, 3
	v_ffbh_u32_e32 v16, v14
	v_min_u32_e32 v16, 32, v16
	v_lshrrev_b16_e32 v15, 3, v13
	v_subrev_u32_e32 v17, 28, v16
	v_and_b32_e32 v15, 15, v15
	v_lshlrev_b32_e32 v13, v17, v13
	v_sub_u32_e32 v16, 29, v16
	v_and_b32_e32 v13, 7, v13
	v_cmp_eq_u16_e32 vcc, 0, v15
	v_cndmask_b32_e32 v13, v14, v13, vcc
	v_cndmask_b32_e32 v14, v15, v16, vcc
	v_lshlrev_b32_e32 v15, 16, v2
	v_mov_b32_e32 v16, 0x3b800000
	v_lshlrev_b32_e32 v13, 20, v13
	v_and_b32_e32 v15, 0x80000000, v15
	v_lshl_add_u32 v14, v14, 23, v16
	v_or3_b32 v14, v15, v14, v13
.LBB15_16:
	s_or_b64 exec, exec, s[6:7]
	s_nop 0
	v_mfma_f32_16x16x4f32 a[0:3], v12, v14, a[0:3]
	s_movk_i32 s4, 0xff
	v_and_b32_sdwa v13, v6, s4 dst_sel:DWORD dst_unused:UNUSED_PAD src0_sel:WORD_1 src1_sel:DWORD
	s_movk_i32 s4, 0x7f
	v_cmp_lt_i16_e32 vcc, s4, v13
	s_mov_b64 s[4:5], 0
                                        ; implicit-def: $sgpr10
	s_and_saveexec_b64 s[6:7], vcc
	s_xor_b64 s[6:7], exec, s[6:7]
	s_cbranch_execnz .LBB15_2065
; %bb.17:
	s_or_saveexec_b64 s[6:7], s[6:7]
	v_mov_b32_e32 v12, s10
	s_xor_b64 exec, exec, s[6:7]
	s_cbranch_execnz .LBB15_2068
.LBB15_18:
	s_or_b64 exec, exec, s[6:7]
	s_and_saveexec_b64 s[6:7], s[4:5]
	s_cbranch_execz .LBB15_20
.LBB15_19:
	v_bfe_u32 v12, v6, 16, 3
	v_ffbh_u32_e32 v15, v12
	v_min_u32_e32 v15, 32, v15
	v_lshrrev_b32_e32 v13, 19, v6
	v_subrev_u32_e32 v16, 28, v15
	v_and_b32_e32 v13, 15, v13
	v_lshlrev_b32_sdwa v16, v16, v6 dst_sel:DWORD dst_unused:UNUSED_PAD src0_sel:DWORD src1_sel:WORD_1
	v_bfe_u32 v14, v6, 19, 4
	v_sub_u32_e32 v15, 29, v15
	v_and_b32_e32 v16, 7, v16
	v_cmp_eq_u16_e32 vcc, 0, v13
	v_cndmask_b32_e32 v12, v12, v16, vcc
	v_cndmask_b32_e32 v13, v14, v15, vcc
	v_lshlrev_b32_e32 v14, 8, v6
	v_mov_b32_e32 v15, 0x3b800000
	v_lshlrev_b32_e32 v12, 20, v12
	v_and_b32_e32 v14, 0x80000000, v14
	v_lshl_add_u32 v13, v13, 23, v15
	v_or3_b32 v12, v14, v13, v12
.LBB15_20:
	s_or_b64 exec, exec, s[6:7]
	s_movk_i32 s4, 0xff
	v_and_b32_sdwa v13, v2, s4 dst_sel:DWORD dst_unused:UNUSED_PAD src0_sel:WORD_1 src1_sel:DWORD
	s_movk_i32 s4, 0x7f
	v_cmp_lt_i16_e32 vcc, s4, v13
	s_mov_b64 s[4:5], 0
                                        ; implicit-def: $sgpr10
	s_and_saveexec_b64 s[6:7], vcc
	s_xor_b64 s[6:7], exec, s[6:7]
	s_cbranch_execnz .LBB15_2069
; %bb.21:
	s_or_saveexec_b64 s[6:7], s[6:7]
	v_mov_b32_e32 v14, s10
	s_xor_b64 exec, exec, s[6:7]
	s_cbranch_execnz .LBB15_2072
.LBB15_22:
	s_or_b64 exec, exec, s[6:7]
	s_and_saveexec_b64 s[6:7], s[4:5]
	s_cbranch_execz .LBB15_24
.LBB15_23:
	v_bfe_u32 v13, v2, 16, 3
	v_ffbh_u32_e32 v16, v13
	v_min_u32_e32 v16, 32, v16
	v_lshrrev_b32_e32 v14, 19, v2
	v_subrev_u32_e32 v17, 28, v16
	v_and_b32_e32 v14, 15, v14
	v_lshlrev_b32_sdwa v17, v17, v2 dst_sel:DWORD dst_unused:UNUSED_PAD src0_sel:DWORD src1_sel:WORD_1
	v_bfe_u32 v15, v2, 19, 4
	v_sub_u32_e32 v16, 29, v16
	v_and_b32_e32 v17, 7, v17
	v_cmp_eq_u16_e32 vcc, 0, v14
	v_cndmask_b32_e32 v13, v13, v17, vcc
	v_cndmask_b32_e32 v14, v15, v16, vcc
	v_lshlrev_b32_e32 v15, 8, v2
	v_mov_b32_e32 v16, 0x3b800000
	v_lshlrev_b32_e32 v13, 20, v13
	v_and_b32_e32 v15, 0x80000000, v15
	v_lshl_add_u32 v14, v14, 23, v16
	v_or3_b32 v14, v15, v14, v13
.LBB15_24:
	s_or_b64 exec, exec, s[6:7]
	s_nop 0
	v_mfma_f32_16x16x4f32 a[0:3], v12, v14, a[0:3]
	s_movk_i32 s4, 0x7f
	v_cmp_gt_i16_sdwa s[6:7], v6, s4 src0_sel:BYTE_3 src1_sel:DWORD
	s_mov_b64 s[4:5], 0
                                        ; implicit-def: $sgpr10
	s_and_saveexec_b64 s[8:9], s[6:7]
	s_xor_b64 s[6:7], exec, s[8:9]
	s_cbranch_execnz .LBB15_2073
; %bb.25:
	s_or_saveexec_b64 s[6:7], s[6:7]
	v_mov_b32_e32 v12, s10
	s_xor_b64 exec, exec, s[6:7]
	s_cbranch_execnz .LBB15_2076
.LBB15_26:
	s_or_b64 exec, exec, s[6:7]
	s_and_saveexec_b64 s[6:7], s[4:5]
	s_cbranch_execz .LBB15_28
.LBB15_27:
	v_bfe_u32 v12, v6, 24, 3
	v_ffbh_u32_e32 v16, v12
	v_min_u32_e32 v16, 32, v16
	v_lshrrev_b32_e32 v14, 27, v6
	v_subrev_u32_e32 v17, 28, v16
	v_and_b32_e32 v13, 0x80000000, v6
	v_and_b32_e32 v14, 15, v14
	v_bfe_u32 v15, v6, 27, 4
	v_lshlrev_b32_sdwa v6, v17, v6 dst_sel:DWORD dst_unused:UNUSED_PAD src0_sel:DWORD src1_sel:BYTE_3
	v_sub_u32_e32 v16, 29, v16
	v_and_b32_e32 v6, 7, v6
	v_cmp_eq_u16_e32 vcc, 0, v14
	v_cndmask_b32_e32 v6, v12, v6, vcc
	v_cndmask_b32_e32 v12, v15, v16, vcc
	v_mov_b32_e32 v14, 0x3b800000
	v_lshlrev_b32_e32 v6, 20, v6
	v_lshl_add_u32 v12, v12, 23, v14
	v_or3_b32 v12, v13, v12, v6
.LBB15_28:
	s_or_b64 exec, exec, s[6:7]
	s_movk_i32 s4, 0x7f
	v_cmp_gt_i16_sdwa s[6:7], v2, s4 src0_sel:BYTE_3 src1_sel:DWORD
	s_mov_b64 s[4:5], 0
                                        ; implicit-def: $sgpr10
	s_and_saveexec_b64 s[8:9], s[6:7]
	s_xor_b64 s[6:7], exec, s[8:9]
	s_cbranch_execnz .LBB15_2077
; %bb.29:
	s_or_saveexec_b64 s[6:7], s[6:7]
	v_mov_b32_e32 v6, s10
	s_xor_b64 exec, exec, s[6:7]
	s_cbranch_execnz .LBB15_2080
.LBB15_30:
	s_or_b64 exec, exec, s[6:7]
	s_and_saveexec_b64 s[6:7], s[4:5]
	s_cbranch_execz .LBB15_32
.LBB15_31:
	v_bfe_u32 v6, v2, 24, 3
	v_ffbh_u32_e32 v16, v6
	v_min_u32_e32 v16, 32, v16
	v_lshrrev_b32_e32 v14, 27, v2
	v_subrev_u32_e32 v17, 28, v16
	v_and_b32_e32 v13, 0x80000000, v2
	v_and_b32_e32 v14, 15, v14
	v_bfe_u32 v15, v2, 27, 4
	v_lshlrev_b32_sdwa v2, v17, v2 dst_sel:DWORD dst_unused:UNUSED_PAD src0_sel:DWORD src1_sel:BYTE_3
	v_sub_u32_e32 v16, 29, v16
	v_and_b32_e32 v2, 7, v2
	v_cmp_eq_u16_e32 vcc, 0, v14
	v_cndmask_b32_e32 v2, v6, v2, vcc
	v_cndmask_b32_e32 v6, v15, v16, vcc
	v_mov_b32_e32 v14, 0x3b800000
	v_lshlrev_b32_e32 v2, 20, v2
	v_lshl_add_u32 v6, v6, 23, v14
	v_or3_b32 v6, v13, v6, v2
.LBB15_32:
	s_or_b64 exec, exec, s[6:7]
	s_nop 0
	v_mfma_f32_16x16x4f32 a[0:3], v12, v6, a[0:3]
	s_movk_i32 s4, 0x7f
	v_cmp_gt_i16_sdwa s[6:7], v7, s4 src0_sel:BYTE_0 src1_sel:DWORD
	s_mov_b64 s[4:5], 0
                                        ; implicit-def: $sgpr10
	s_and_saveexec_b64 s[8:9], s[6:7]
	s_xor_b64 s[6:7], exec, s[8:9]
	s_cbranch_execnz .LBB15_2081
; %bb.33:
	s_or_saveexec_b64 s[6:7], s[6:7]
	v_mov_b32_e32 v2, s10
	s_xor_b64 exec, exec, s[6:7]
	s_cbranch_execnz .LBB15_2084
.LBB15_34:
	s_or_b64 exec, exec, s[6:7]
	s_and_saveexec_b64 s[6:7], s[4:5]
	s_cbranch_execz .LBB15_36
.LBB15_35:
	v_and_b32_e32 v2, 7, v7
	v_ffbh_u32_e32 v12, v2
	v_min_u32_e32 v12, 32, v12
	v_lshrrev_b16_e32 v6, 3, v7
	v_subrev_u32_e32 v13, 28, v12
	v_and_b32_e32 v6, 15, v6
	v_lshlrev_b32_e32 v13, v13, v7
	v_sub_u32_e32 v12, 29, v12
	v_and_b32_e32 v13, 7, v13
	v_cmp_eq_u16_e32 vcc, 0, v6
	v_cndmask_b32_e32 v2, v2, v13, vcc
	v_cndmask_b32_e32 v6, v6, v12, vcc
	v_lshlrev_b32_e32 v12, 24, v7
	v_mov_b32_e32 v13, 0x3b800000
	v_lshlrev_b32_e32 v2, 20, v2
	v_and_b32_e32 v12, 0x80000000, v12
	v_lshl_add_u32 v6, v6, 23, v13
	v_or3_b32 v2, v12, v6, v2
.LBB15_36:
	s_or_b64 exec, exec, s[6:7]
	s_movk_i32 s4, 0x7f
	v_cmp_gt_i16_sdwa s[6:7], v3, s4 src0_sel:BYTE_0 src1_sel:DWORD
	s_mov_b64 s[4:5], 0
                                        ; implicit-def: $sgpr10
	s_and_saveexec_b64 s[8:9], s[6:7]
	s_xor_b64 s[6:7], exec, s[8:9]
	s_cbranch_execnz .LBB15_2085
; %bb.37:
	s_or_saveexec_b64 s[6:7], s[6:7]
	v_mov_b32_e32 v6, s10
	s_xor_b64 exec, exec, s[6:7]
	s_cbranch_execnz .LBB15_2088
.LBB15_38:
	s_or_b64 exec, exec, s[6:7]
	s_and_saveexec_b64 s[6:7], s[4:5]
	s_cbranch_execz .LBB15_40
.LBB15_39:
	v_and_b32_e32 v6, 7, v3
	v_ffbh_u32_e32 v13, v6
	v_min_u32_e32 v13, 32, v13
	v_lshrrev_b16_e32 v12, 3, v3
	v_subrev_u32_e32 v14, 28, v13
	v_and_b32_e32 v12, 15, v12
	v_lshlrev_b32_e32 v14, v14, v3
	v_sub_u32_e32 v13, 29, v13
	v_and_b32_e32 v14, 7, v14
	v_cmp_eq_u16_e32 vcc, 0, v12
	v_cndmask_b32_e32 v6, v6, v14, vcc
	v_cndmask_b32_e32 v12, v12, v13, vcc
	v_lshlrev_b32_e32 v13, 24, v3
	v_mov_b32_e32 v14, 0x3b800000
	v_lshlrev_b32_e32 v6, 20, v6
	v_and_b32_e32 v13, 0x80000000, v13
	v_lshl_add_u32 v12, v12, 23, v14
	v_or3_b32 v6, v13, v12, v6
.LBB15_40:
	s_or_b64 exec, exec, s[6:7]
	s_nop 0
	v_mfma_f32_16x16x4f32 a[0:3], v2, v6, a[0:3]
	v_lshrrev_b32_e32 v6, 8, v7
	s_movk_i32 s4, 0x7f
	v_cmp_gt_i16_sdwa s[6:7], v6, s4 src0_sel:BYTE_0 src1_sel:DWORD
	s_mov_b64 s[4:5], 0
                                        ; implicit-def: $sgpr10
	s_and_saveexec_b64 s[8:9], s[6:7]
	s_xor_b64 s[6:7], exec, s[8:9]
	s_cbranch_execnz .LBB15_2089
; %bb.41:
	s_or_saveexec_b64 s[6:7], s[6:7]
	v_mov_b32_e32 v2, s10
	s_xor_b64 exec, exec, s[6:7]
	s_cbranch_execnz .LBB15_2092
.LBB15_42:
	s_or_b64 exec, exec, s[6:7]
	s_and_saveexec_b64 s[6:7], s[4:5]
	s_cbranch_execz .LBB15_44
.LBB15_43:
	v_bfe_u32 v2, v7, 8, 3
	v_ffbh_u32_e32 v13, v2
	v_min_u32_e32 v13, 32, v13
	v_lshrrev_b16_e32 v12, 3, v6
	v_subrev_u32_e32 v14, 28, v13
	v_and_b32_e32 v12, 15, v12
	v_lshlrev_b32_e32 v6, v14, v6
	v_sub_u32_e32 v13, 29, v13
	v_and_b32_e32 v6, 7, v6
	v_cmp_eq_u16_e32 vcc, 0, v12
	v_cndmask_b32_e32 v2, v2, v6, vcc
	v_cndmask_b32_e32 v6, v12, v13, vcc
	v_lshlrev_b32_e32 v12, 16, v7
	v_mov_b32_e32 v13, 0x3b800000
	v_lshlrev_b32_e32 v2, 20, v2
	v_and_b32_e32 v12, 0x80000000, v12
	v_lshl_add_u32 v6, v6, 23, v13
	v_or3_b32 v2, v12, v6, v2
.LBB15_44:
	s_or_b64 exec, exec, s[6:7]
	v_lshrrev_b32_e32 v6, 8, v3
	s_movk_i32 s4, 0x7f
	v_cmp_gt_i16_sdwa s[6:7], v6, s4 src0_sel:BYTE_0 src1_sel:DWORD
	s_mov_b64 s[4:5], 0
                                        ; implicit-def: $sgpr10
	s_and_saveexec_b64 s[8:9], s[6:7]
	s_xor_b64 s[6:7], exec, s[8:9]
	s_cbranch_execnz .LBB15_2093
; %bb.45:
	s_or_saveexec_b64 s[6:7], s[6:7]
	v_mov_b32_e32 v12, s10
	s_xor_b64 exec, exec, s[6:7]
	s_cbranch_execnz .LBB15_2096
.LBB15_46:
	s_or_b64 exec, exec, s[6:7]
	s_and_saveexec_b64 s[6:7], s[4:5]
	s_cbranch_execz .LBB15_48
.LBB15_47:
	v_bfe_u32 v12, v3, 8, 3
	v_ffbh_u32_e32 v14, v12
	v_min_u32_e32 v14, 32, v14
	v_lshrrev_b16_e32 v13, 3, v6
	v_subrev_u32_e32 v15, 28, v14
	v_and_b32_e32 v13, 15, v13
	v_lshlrev_b32_e32 v6, v15, v6
	v_sub_u32_e32 v14, 29, v14
	v_and_b32_e32 v6, 7, v6
	v_cmp_eq_u16_e32 vcc, 0, v13
	v_cndmask_b32_e32 v6, v12, v6, vcc
	v_cndmask_b32_e32 v12, v13, v14, vcc
	v_lshlrev_b32_e32 v13, 16, v3
	v_mov_b32_e32 v14, 0x3b800000
	v_lshlrev_b32_e32 v6, 20, v6
	v_and_b32_e32 v13, 0x80000000, v13
	v_lshl_add_u32 v12, v12, 23, v14
	v_or3_b32 v12, v13, v12, v6
.LBB15_48:
	s_or_b64 exec, exec, s[6:7]
	s_nop 0
	v_mfma_f32_16x16x4f32 a[0:3], v2, v12, a[0:3]
	s_movk_i32 s4, 0xff
	v_and_b32_sdwa v6, v7, s4 dst_sel:DWORD dst_unused:UNUSED_PAD src0_sel:WORD_1 src1_sel:DWORD
	s_movk_i32 s4, 0x7f
	v_cmp_lt_i16_e32 vcc, s4, v6
	s_mov_b64 s[4:5], 0
                                        ; implicit-def: $sgpr10
	s_and_saveexec_b64 s[6:7], vcc
	s_xor_b64 s[6:7], exec, s[6:7]
	s_cbranch_execnz .LBB15_2097
; %bb.49:
	s_or_saveexec_b64 s[6:7], s[6:7]
	v_mov_b32_e32 v2, s10
	s_xor_b64 exec, exec, s[6:7]
	s_cbranch_execnz .LBB15_2100
.LBB15_50:
	s_or_b64 exec, exec, s[6:7]
	s_and_saveexec_b64 s[6:7], s[4:5]
	s_cbranch_execz .LBB15_52
.LBB15_51:
	v_bfe_u32 v2, v7, 16, 3
	v_ffbh_u32_e32 v13, v2
	v_min_u32_e32 v13, 32, v13
	v_lshrrev_b32_e32 v6, 19, v7
	v_subrev_u32_e32 v14, 28, v13
	v_and_b32_e32 v6, 15, v6
	v_lshlrev_b32_sdwa v14, v14, v7 dst_sel:DWORD dst_unused:UNUSED_PAD src0_sel:DWORD src1_sel:WORD_1
	v_bfe_u32 v12, v7, 19, 4
	v_sub_u32_e32 v13, 29, v13
	v_and_b32_e32 v14, 7, v14
	v_cmp_eq_u16_e32 vcc, 0, v6
	v_cndmask_b32_e32 v2, v2, v14, vcc
	v_cndmask_b32_e32 v6, v12, v13, vcc
	v_lshlrev_b32_e32 v12, 8, v7
	v_mov_b32_e32 v13, 0x3b800000
	v_lshlrev_b32_e32 v2, 20, v2
	v_and_b32_e32 v12, 0x80000000, v12
	v_lshl_add_u32 v6, v6, 23, v13
	v_or3_b32 v2, v12, v6, v2
.LBB15_52:
	s_or_b64 exec, exec, s[6:7]
	s_movk_i32 s4, 0xff
	v_and_b32_sdwa v6, v3, s4 dst_sel:DWORD dst_unused:UNUSED_PAD src0_sel:WORD_1 src1_sel:DWORD
	s_movk_i32 s4, 0x7f
	v_cmp_lt_i16_e32 vcc, s4, v6
	s_mov_b64 s[4:5], 0
                                        ; implicit-def: $sgpr10
	s_and_saveexec_b64 s[6:7], vcc
	s_xor_b64 s[6:7], exec, s[6:7]
	s_cbranch_execnz .LBB15_2101
; %bb.53:
	s_or_saveexec_b64 s[6:7], s[6:7]
	v_mov_b32_e32 v12, s10
	s_xor_b64 exec, exec, s[6:7]
	s_cbranch_execnz .LBB15_2104
.LBB15_54:
	s_or_b64 exec, exec, s[6:7]
	s_and_saveexec_b64 s[6:7], s[4:5]
	s_cbranch_execz .LBB15_56
.LBB15_55:
	v_bfe_u32 v6, v3, 16, 3
	v_ffbh_u32_e32 v14, v6
	v_min_u32_e32 v14, 32, v14
	v_lshrrev_b32_e32 v12, 19, v3
	v_subrev_u32_e32 v15, 28, v14
	v_and_b32_e32 v12, 15, v12
	v_lshlrev_b32_sdwa v15, v15, v3 dst_sel:DWORD dst_unused:UNUSED_PAD src0_sel:DWORD src1_sel:WORD_1
	v_bfe_u32 v13, v3, 19, 4
	v_sub_u32_e32 v14, 29, v14
	v_and_b32_e32 v15, 7, v15
	v_cmp_eq_u16_e32 vcc, 0, v12
	v_cndmask_b32_e32 v6, v6, v15, vcc
	v_cndmask_b32_e32 v12, v13, v14, vcc
	v_lshlrev_b32_e32 v13, 8, v3
	v_mov_b32_e32 v14, 0x3b800000
	v_lshlrev_b32_e32 v6, 20, v6
	v_and_b32_e32 v13, 0x80000000, v13
	v_lshl_add_u32 v12, v12, 23, v14
	v_or3_b32 v12, v13, v12, v6
.LBB15_56:
	s_or_b64 exec, exec, s[6:7]
	s_nop 0
	v_mfma_f32_16x16x4f32 a[0:3], v2, v12, a[0:3]
	s_movk_i32 s4, 0x7f
	v_cmp_gt_i16_sdwa s[6:7], v7, s4 src0_sel:BYTE_3 src1_sel:DWORD
	s_mov_b64 s[4:5], 0
                                        ; implicit-def: $sgpr10
	s_and_saveexec_b64 s[8:9], s[6:7]
	s_xor_b64 s[6:7], exec, s[8:9]
	s_cbranch_execnz .LBB15_2105
; %bb.57:
	s_or_saveexec_b64 s[6:7], s[6:7]
	v_mov_b32_e32 v2, s10
	s_xor_b64 exec, exec, s[6:7]
	s_cbranch_execnz .LBB15_2108
.LBB15_58:
	s_or_b64 exec, exec, s[6:7]
	s_and_saveexec_b64 s[6:7], s[4:5]
	s_cbranch_execz .LBB15_60
.LBB15_59:
	v_bfe_u32 v2, v7, 24, 3
	v_ffbh_u32_e32 v14, v2
	v_min_u32_e32 v14, 32, v14
	v_lshrrev_b32_e32 v12, 27, v7
	v_subrev_u32_e32 v15, 28, v14
	v_and_b32_e32 v6, 0x80000000, v7
	v_and_b32_e32 v12, 15, v12
	v_bfe_u32 v13, v7, 27, 4
	v_lshlrev_b32_sdwa v7, v15, v7 dst_sel:DWORD dst_unused:UNUSED_PAD src0_sel:DWORD src1_sel:BYTE_3
	v_sub_u32_e32 v14, 29, v14
	v_and_b32_e32 v7, 7, v7
	v_cmp_eq_u16_e32 vcc, 0, v12
	v_cndmask_b32_e32 v2, v2, v7, vcc
	v_cndmask_b32_e32 v7, v13, v14, vcc
	v_mov_b32_e32 v12, 0x3b800000
	v_lshlrev_b32_e32 v2, 20, v2
	v_lshl_add_u32 v7, v7, 23, v12
	v_or3_b32 v2, v6, v7, v2
.LBB15_60:
	s_or_b64 exec, exec, s[6:7]
	s_movk_i32 s4, 0x7f
	v_cmp_gt_i16_sdwa s[6:7], v3, s4 src0_sel:BYTE_3 src1_sel:DWORD
	s_mov_b64 s[4:5], 0
                                        ; implicit-def: $sgpr10
	s_and_saveexec_b64 s[8:9], s[6:7]
	s_xor_b64 s[6:7], exec, s[8:9]
	s_cbranch_execnz .LBB15_2109
; %bb.61:
	s_or_saveexec_b64 s[6:7], s[6:7]
	v_mov_b32_e32 v6, s10
	s_xor_b64 exec, exec, s[6:7]
	s_cbranch_execnz .LBB15_2112
.LBB15_62:
	s_or_b64 exec, exec, s[6:7]
	s_and_saveexec_b64 s[6:7], s[4:5]
	s_cbranch_execz .LBB15_64
.LBB15_63:
	v_bfe_u32 v6, v3, 24, 3
	v_ffbh_u32_e32 v14, v6
	v_min_u32_e32 v14, 32, v14
	v_lshrrev_b32_e32 v12, 27, v3
	v_subrev_u32_e32 v15, 28, v14
	v_and_b32_e32 v7, 0x80000000, v3
	v_and_b32_e32 v12, 15, v12
	v_bfe_u32 v13, v3, 27, 4
	v_lshlrev_b32_sdwa v3, v15, v3 dst_sel:DWORD dst_unused:UNUSED_PAD src0_sel:DWORD src1_sel:BYTE_3
	v_sub_u32_e32 v14, 29, v14
	v_and_b32_e32 v3, 7, v3
	v_cmp_eq_u16_e32 vcc, 0, v12
	v_cndmask_b32_e32 v3, v6, v3, vcc
	v_cndmask_b32_e32 v6, v13, v14, vcc
	v_mov_b32_e32 v12, 0x3b800000
	v_lshlrev_b32_e32 v3, 20, v3
	v_lshl_add_u32 v6, v6, 23, v12
	v_or3_b32 v6, v7, v6, v3
.LBB15_64:
	s_or_b64 exec, exec, s[6:7]
	s_nop 0
	v_mfma_f32_16x16x4f32 a[0:3], v2, v6, a[0:3]
	s_movk_i32 s4, 0x7f
	v_cmp_gt_i16_sdwa s[6:7], v8, s4 src0_sel:BYTE_0 src1_sel:DWORD
	s_mov_b64 s[4:5], 0
                                        ; implicit-def: $sgpr10
	s_and_saveexec_b64 s[8:9], s[6:7]
	s_xor_b64 s[6:7], exec, s[8:9]
	s_cbranch_execnz .LBB15_2113
; %bb.65:
	s_or_saveexec_b64 s[6:7], s[6:7]
	v_mov_b32_e32 v2, s10
	s_xor_b64 exec, exec, s[6:7]
	s_cbranch_execnz .LBB15_2116
.LBB15_66:
	s_or_b64 exec, exec, s[6:7]
	s_and_saveexec_b64 s[6:7], s[4:5]
	s_cbranch_execz .LBB15_68
.LBB15_67:
	v_and_b32_e32 v2, 7, v8
	v_ffbh_u32_e32 v6, v2
	v_min_u32_e32 v6, 32, v6
	v_lshrrev_b16_e32 v3, 3, v8
	v_subrev_u32_e32 v7, 28, v6
	v_and_b32_e32 v3, 15, v3
	v_lshlrev_b32_e32 v7, v7, v8
	v_sub_u32_e32 v6, 29, v6
	v_and_b32_e32 v7, 7, v7
	v_cmp_eq_u16_e32 vcc, 0, v3
	v_cndmask_b32_e32 v2, v2, v7, vcc
	v_cndmask_b32_e32 v3, v3, v6, vcc
	v_lshlrev_b32_e32 v6, 24, v8
	v_mov_b32_e32 v7, 0x3b800000
	v_lshlrev_b32_e32 v2, 20, v2
	v_and_b32_e32 v6, 0x80000000, v6
	v_lshl_add_u32 v3, v3, 23, v7
	v_or3_b32 v2, v6, v3, v2
.LBB15_68:
	s_or_b64 exec, exec, s[6:7]
	s_movk_i32 s4, 0x7f
	v_cmp_gt_i16_sdwa s[6:7], v4, s4 src0_sel:BYTE_0 src1_sel:DWORD
	s_mov_b64 s[4:5], 0
                                        ; implicit-def: $sgpr10
	s_and_saveexec_b64 s[8:9], s[6:7]
	s_xor_b64 s[6:7], exec, s[8:9]
	s_cbranch_execnz .LBB15_2117
; %bb.69:
	s_or_saveexec_b64 s[6:7], s[6:7]
	v_mov_b32_e32 v3, s10
	s_xor_b64 exec, exec, s[6:7]
	s_cbranch_execnz .LBB15_2120
.LBB15_70:
	s_or_b64 exec, exec, s[6:7]
	s_and_saveexec_b64 s[6:7], s[4:5]
	s_cbranch_execz .LBB15_72
.LBB15_71:
	v_and_b32_e32 v3, 7, v4
	v_ffbh_u32_e32 v7, v3
	v_min_u32_e32 v7, 32, v7
	v_lshrrev_b16_e32 v6, 3, v4
	v_subrev_u32_e32 v12, 28, v7
	v_and_b32_e32 v6, 15, v6
	v_lshlrev_b32_e32 v12, v12, v4
	v_sub_u32_e32 v7, 29, v7
	v_and_b32_e32 v12, 7, v12
	v_cmp_eq_u16_e32 vcc, 0, v6
	v_cndmask_b32_e32 v3, v3, v12, vcc
	v_cndmask_b32_e32 v6, v6, v7, vcc
	v_lshlrev_b32_e32 v7, 24, v4
	v_mov_b32_e32 v12, 0x3b800000
	v_lshlrev_b32_e32 v3, 20, v3
	v_and_b32_e32 v7, 0x80000000, v7
	v_lshl_add_u32 v6, v6, 23, v12
	v_or3_b32 v3, v7, v6, v3
.LBB15_72:
	s_or_b64 exec, exec, s[6:7]
	s_nop 0
	v_mfma_f32_16x16x4f32 a[0:3], v2, v3, a[0:3]
	v_lshrrev_b32_e32 v3, 8, v8
	s_movk_i32 s4, 0x7f
	v_cmp_gt_i16_sdwa s[6:7], v3, s4 src0_sel:BYTE_0 src1_sel:DWORD
	s_mov_b64 s[4:5], 0
                                        ; implicit-def: $sgpr10
	s_and_saveexec_b64 s[8:9], s[6:7]
	s_xor_b64 s[6:7], exec, s[8:9]
	s_cbranch_execnz .LBB15_2121
; %bb.73:
	s_or_saveexec_b64 s[6:7], s[6:7]
	v_mov_b32_e32 v2, s10
	s_xor_b64 exec, exec, s[6:7]
	s_cbranch_execnz .LBB15_2124
.LBB15_74:
	s_or_b64 exec, exec, s[6:7]
	s_and_saveexec_b64 s[6:7], s[4:5]
	s_cbranch_execz .LBB15_76
.LBB15_75:
	v_bfe_u32 v2, v8, 8, 3
	v_ffbh_u32_e32 v7, v2
	v_min_u32_e32 v7, 32, v7
	v_lshrrev_b16_e32 v6, 3, v3
	v_subrev_u32_e32 v12, 28, v7
	v_and_b32_e32 v6, 15, v6
	v_lshlrev_b32_e32 v3, v12, v3
	v_sub_u32_e32 v7, 29, v7
	v_and_b32_e32 v3, 7, v3
	v_cmp_eq_u16_e32 vcc, 0, v6
	v_cndmask_b32_e32 v2, v2, v3, vcc
	v_cndmask_b32_e32 v3, v6, v7, vcc
	v_lshlrev_b32_e32 v6, 16, v8
	v_mov_b32_e32 v7, 0x3b800000
	v_lshlrev_b32_e32 v2, 20, v2
	v_and_b32_e32 v6, 0x80000000, v6
	v_lshl_add_u32 v3, v3, 23, v7
	v_or3_b32 v2, v6, v3, v2
.LBB15_76:
	s_or_b64 exec, exec, s[6:7]
	v_lshrrev_b32_e32 v3, 8, v4
	s_movk_i32 s4, 0x7f
	v_cmp_gt_i16_sdwa s[6:7], v3, s4 src0_sel:BYTE_0 src1_sel:DWORD
	s_mov_b64 s[4:5], 0
                                        ; implicit-def: $sgpr10
	s_and_saveexec_b64 s[8:9], s[6:7]
	s_xor_b64 s[6:7], exec, s[8:9]
	s_cbranch_execnz .LBB15_2125
; %bb.77:
	s_or_saveexec_b64 s[6:7], s[6:7]
	v_mov_b32_e32 v6, s10
	s_xor_b64 exec, exec, s[6:7]
	s_cbranch_execnz .LBB15_2128
.LBB15_78:
	s_or_b64 exec, exec, s[6:7]
	s_and_saveexec_b64 s[6:7], s[4:5]
	s_cbranch_execz .LBB15_80
.LBB15_79:
	v_bfe_u32 v6, v4, 8, 3
	v_ffbh_u32_e32 v12, v6
	v_min_u32_e32 v12, 32, v12
	v_lshrrev_b16_e32 v7, 3, v3
	v_subrev_u32_e32 v13, 28, v12
	v_and_b32_e32 v7, 15, v7
	v_lshlrev_b32_e32 v3, v13, v3
	v_sub_u32_e32 v12, 29, v12
	v_and_b32_e32 v3, 7, v3
	v_cmp_eq_u16_e32 vcc, 0, v7
	v_cndmask_b32_e32 v3, v6, v3, vcc
	v_cndmask_b32_e32 v6, v7, v12, vcc
	v_lshlrev_b32_e32 v7, 16, v4
	v_mov_b32_e32 v12, 0x3b800000
	v_lshlrev_b32_e32 v3, 20, v3
	v_and_b32_e32 v7, 0x80000000, v7
	v_lshl_add_u32 v6, v6, 23, v12
	v_or3_b32 v6, v7, v6, v3
.LBB15_80:
	s_or_b64 exec, exec, s[6:7]
	s_nop 0
	v_mfma_f32_16x16x4f32 a[0:3], v2, v6, a[0:3]
	s_movk_i32 s4, 0xff
	v_and_b32_sdwa v3, v8, s4 dst_sel:DWORD dst_unused:UNUSED_PAD src0_sel:WORD_1 src1_sel:DWORD
	s_movk_i32 s4, 0x7f
	v_cmp_lt_i16_e32 vcc, s4, v3
	s_mov_b64 s[4:5], 0
                                        ; implicit-def: $sgpr10
	s_and_saveexec_b64 s[6:7], vcc
	s_xor_b64 s[6:7], exec, s[6:7]
	s_cbranch_execnz .LBB15_2129
; %bb.81:
	s_or_saveexec_b64 s[6:7], s[6:7]
	v_mov_b32_e32 v2, s10
	s_xor_b64 exec, exec, s[6:7]
	s_cbranch_execnz .LBB15_2132
.LBB15_82:
	s_or_b64 exec, exec, s[6:7]
	s_and_saveexec_b64 s[6:7], s[4:5]
	s_cbranch_execz .LBB15_84
.LBB15_83:
	v_bfe_u32 v2, v8, 16, 3
	v_ffbh_u32_e32 v7, v2
	v_min_u32_e32 v7, 32, v7
	v_lshrrev_b32_e32 v3, 19, v8
	v_subrev_u32_e32 v12, 28, v7
	v_and_b32_e32 v3, 15, v3
	v_lshlrev_b32_sdwa v12, v12, v8 dst_sel:DWORD dst_unused:UNUSED_PAD src0_sel:DWORD src1_sel:WORD_1
	v_bfe_u32 v6, v8, 19, 4
	v_sub_u32_e32 v7, 29, v7
	v_and_b32_e32 v12, 7, v12
	v_cmp_eq_u16_e32 vcc, 0, v3
	v_cndmask_b32_e32 v2, v2, v12, vcc
	v_cndmask_b32_e32 v3, v6, v7, vcc
	v_lshlrev_b32_e32 v6, 8, v8
	v_mov_b32_e32 v7, 0x3b800000
	v_lshlrev_b32_e32 v2, 20, v2
	v_and_b32_e32 v6, 0x80000000, v6
	v_lshl_add_u32 v3, v3, 23, v7
	v_or3_b32 v2, v6, v3, v2
.LBB15_84:
	s_or_b64 exec, exec, s[6:7]
	s_movk_i32 s4, 0xff
	v_and_b32_sdwa v3, v4, s4 dst_sel:DWORD dst_unused:UNUSED_PAD src0_sel:WORD_1 src1_sel:DWORD
	s_movk_i32 s4, 0x7f
	v_cmp_lt_i16_e32 vcc, s4, v3
	s_mov_b64 s[4:5], 0
                                        ; implicit-def: $sgpr10
	s_and_saveexec_b64 s[6:7], vcc
	s_xor_b64 s[6:7], exec, s[6:7]
	s_cbranch_execnz .LBB15_2133
; %bb.85:
	s_or_saveexec_b64 s[6:7], s[6:7]
	v_mov_b32_e32 v6, s10
	s_xor_b64 exec, exec, s[6:7]
	s_cbranch_execnz .LBB15_2136
.LBB15_86:
	s_or_b64 exec, exec, s[6:7]
	s_and_saveexec_b64 s[6:7], s[4:5]
	s_cbranch_execz .LBB15_88
.LBB15_87:
	v_bfe_u32 v3, v4, 16, 3
	v_ffbh_u32_e32 v12, v3
	v_min_u32_e32 v12, 32, v12
	v_lshrrev_b32_e32 v6, 19, v4
	v_subrev_u32_e32 v13, 28, v12
	v_and_b32_e32 v6, 15, v6
	v_lshlrev_b32_sdwa v13, v13, v4 dst_sel:DWORD dst_unused:UNUSED_PAD src0_sel:DWORD src1_sel:WORD_1
	v_bfe_u32 v7, v4, 19, 4
	v_sub_u32_e32 v12, 29, v12
	v_and_b32_e32 v13, 7, v13
	v_cmp_eq_u16_e32 vcc, 0, v6
	v_cndmask_b32_e32 v3, v3, v13, vcc
	v_cndmask_b32_e32 v6, v7, v12, vcc
	v_lshlrev_b32_e32 v7, 8, v4
	v_mov_b32_e32 v12, 0x3b800000
	v_lshlrev_b32_e32 v3, 20, v3
	v_and_b32_e32 v7, 0x80000000, v7
	v_lshl_add_u32 v6, v6, 23, v12
	v_or3_b32 v6, v7, v6, v3
.LBB15_88:
	s_or_b64 exec, exec, s[6:7]
	s_nop 0
	v_mfma_f32_16x16x4f32 a[0:3], v2, v6, a[0:3]
	s_movk_i32 s4, 0x7f
	v_cmp_gt_i16_sdwa s[6:7], v8, s4 src0_sel:BYTE_3 src1_sel:DWORD
	s_mov_b64 s[4:5], 0
                                        ; implicit-def: $sgpr10
	s_and_saveexec_b64 s[8:9], s[6:7]
	s_xor_b64 s[6:7], exec, s[8:9]
	s_cbranch_execnz .LBB15_2137
; %bb.89:
	s_or_saveexec_b64 s[6:7], s[6:7]
	v_mov_b32_e32 v2, s10
	s_xor_b64 exec, exec, s[6:7]
	s_cbranch_execnz .LBB15_2140
.LBB15_90:
	s_or_b64 exec, exec, s[6:7]
	s_and_saveexec_b64 s[6:7], s[4:5]
	s_cbranch_execz .LBB15_92
.LBB15_91:
	v_bfe_u32 v2, v8, 24, 3
	v_ffbh_u32_e32 v12, v2
	v_min_u32_e32 v12, 32, v12
	v_lshrrev_b32_e32 v6, 27, v8
	v_subrev_u32_e32 v13, 28, v12
	v_and_b32_e32 v3, 0x80000000, v8
	v_and_b32_e32 v6, 15, v6
	v_bfe_u32 v7, v8, 27, 4
	v_lshlrev_b32_sdwa v8, v13, v8 dst_sel:DWORD dst_unused:UNUSED_PAD src0_sel:DWORD src1_sel:BYTE_3
	v_sub_u32_e32 v12, 29, v12
	v_and_b32_e32 v8, 7, v8
	v_cmp_eq_u16_e32 vcc, 0, v6
	v_cndmask_b32_e32 v2, v2, v8, vcc
	v_cndmask_b32_e32 v6, v7, v12, vcc
	v_mov_b32_e32 v7, 0x3b800000
	v_lshlrev_b32_e32 v2, 20, v2
	v_lshl_add_u32 v6, v6, 23, v7
	v_or3_b32 v2, v3, v6, v2
.LBB15_92:
	s_or_b64 exec, exec, s[6:7]
	s_movk_i32 s4, 0x7f
	v_cmp_gt_i16_sdwa s[6:7], v4, s4 src0_sel:BYTE_3 src1_sel:DWORD
	s_mov_b64 s[4:5], 0
                                        ; implicit-def: $sgpr10
	s_and_saveexec_b64 s[8:9], s[6:7]
	s_xor_b64 s[6:7], exec, s[8:9]
	s_cbranch_execnz .LBB15_2141
; %bb.93:
	s_or_saveexec_b64 s[6:7], s[6:7]
	v_mov_b32_e32 v3, s10
	s_xor_b64 exec, exec, s[6:7]
	s_cbranch_execnz .LBB15_2144
.LBB15_94:
	s_or_b64 exec, exec, s[6:7]
	s_and_saveexec_b64 s[6:7], s[4:5]
	s_cbranch_execz .LBB15_96
.LBB15_95:
	v_bfe_u32 v3, v4, 24, 3
	v_ffbh_u32_e32 v12, v3
	v_min_u32_e32 v12, 32, v12
	v_lshrrev_b32_e32 v7, 27, v4
	v_subrev_u32_e32 v13, 28, v12
	v_and_b32_e32 v6, 0x80000000, v4
	v_and_b32_e32 v7, 15, v7
	v_bfe_u32 v8, v4, 27, 4
	v_lshlrev_b32_sdwa v4, v13, v4 dst_sel:DWORD dst_unused:UNUSED_PAD src0_sel:DWORD src1_sel:BYTE_3
	v_sub_u32_e32 v12, 29, v12
	v_and_b32_e32 v4, 7, v4
	v_cmp_eq_u16_e32 vcc, 0, v7
	v_cndmask_b32_e32 v3, v3, v4, vcc
	v_cndmask_b32_e32 v4, v8, v12, vcc
	v_mov_b32_e32 v7, 0x3b800000
	v_lshlrev_b32_e32 v3, 20, v3
	v_lshl_add_u32 v4, v4, 23, v7
	v_or3_b32 v3, v6, v4, v3
.LBB15_96:
	s_or_b64 exec, exec, s[6:7]
	s_nop 0
	v_mfma_f32_16x16x4f32 a[0:3], v2, v3, a[0:3]
	s_movk_i32 s4, 0x7f
	v_cmp_gt_i16_sdwa s[6:7], v9, s4 src0_sel:BYTE_0 src1_sel:DWORD
	s_mov_b64 s[4:5], 0
                                        ; implicit-def: $sgpr10
	s_and_saveexec_b64 s[8:9], s[6:7]
	s_xor_b64 s[6:7], exec, s[8:9]
	s_cbranch_execnz .LBB15_2145
; %bb.97:
	s_or_saveexec_b64 s[6:7], s[6:7]
	v_mov_b32_e32 v2, s10
	s_xor_b64 exec, exec, s[6:7]
	s_cbranch_execnz .LBB15_2148
.LBB15_98:
	s_or_b64 exec, exec, s[6:7]
	s_and_saveexec_b64 s[6:7], s[4:5]
	s_cbranch_execz .LBB15_100
.LBB15_99:
	v_mov_b32_e32 v2, 8
	v_and_b32_e32 v3, 7, v9
	v_lshrrev_b32_sdwa v2, v2, v9 dst_sel:BYTE_1 dst_unused:UNUSED_PAD src0_sel:DWORD src1_sel:DWORD
	v_ffbh_u32_e32 v4, v3
	v_or_b32_sdwa v2, v9, v2 dst_sel:DWORD dst_unused:UNUSED_PAD src0_sel:BYTE_0 src1_sel:DWORD
	v_min_u32_e32 v4, 32, v4
	v_lshrrev_b16_e32 v2, 3, v2
	v_subrev_u32_e32 v6, 28, v4
	v_and_b32_e32 v2, 15, v2
	v_lshlrev_b32_e32 v6, v6, v9
	v_sub_u32_e32 v4, 29, v4
	v_and_b32_e32 v6, 7, v6
	v_cmp_eq_u16_e32 vcc, 0, v2
	v_cndmask_b32_e32 v3, v3, v6, vcc
	v_cndmask_b32_e32 v2, v2, v4, vcc
	v_lshlrev_b32_e32 v4, 24, v9
	v_mov_b32_e32 v6, 0x3b800000
	v_lshlrev_b32_e32 v3, 20, v3
	v_and_b32_e32 v4, 0x80000000, v4
	v_lshl_add_u32 v2, v2, 23, v6
	v_or3_b32 v2, v4, v2, v3
.LBB15_100:
	s_or_b64 exec, exec, s[6:7]
	s_movk_i32 s4, 0x7f
	v_cmp_gt_i16_sdwa s[6:7], v5, s4 src0_sel:BYTE_0 src1_sel:DWORD
	s_mov_b64 s[4:5], 0
                                        ; implicit-def: $sgpr10
	s_and_saveexec_b64 s[8:9], s[6:7]
	s_xor_b64 s[6:7], exec, s[8:9]
	s_cbranch_execnz .LBB15_2149
; %bb.101:
	s_or_saveexec_b64 s[6:7], s[6:7]
	v_mov_b32_e32 v3, s10
	s_xor_b64 exec, exec, s[6:7]
	s_cbranch_execnz .LBB15_2152
.LBB15_102:
	s_or_b64 exec, exec, s[6:7]
	s_and_saveexec_b64 s[6:7], s[4:5]
	s_cbranch_execz .LBB15_104
.LBB15_103:
	v_mov_b32_e32 v3, 8
	v_and_b32_e32 v4, 7, v5
	v_lshrrev_b32_sdwa v3, v3, v5 dst_sel:BYTE_1 dst_unused:UNUSED_PAD src0_sel:DWORD src1_sel:DWORD
	v_ffbh_u32_e32 v6, v4
	v_or_b32_sdwa v3, v5, v3 dst_sel:DWORD dst_unused:UNUSED_PAD src0_sel:BYTE_0 src1_sel:DWORD
	v_min_u32_e32 v6, 32, v6
	v_lshrrev_b16_e32 v3, 3, v3
	v_subrev_u32_e32 v7, 28, v6
	v_and_b32_e32 v3, 15, v3
	v_lshlrev_b32_e32 v7, v7, v5
	v_sub_u32_e32 v6, 29, v6
	v_and_b32_e32 v7, 7, v7
	v_cmp_eq_u16_e32 vcc, 0, v3
	v_cndmask_b32_e32 v4, v4, v7, vcc
	v_cndmask_b32_e32 v3, v3, v6, vcc
	v_lshlrev_b32_e32 v6, 24, v5
	v_mov_b32_e32 v7, 0x3b800000
	v_lshlrev_b32_e32 v4, 20, v4
	v_and_b32_e32 v6, 0x80000000, v6
	v_lshl_add_u32 v3, v3, 23, v7
	v_or3_b32 v3, v6, v3, v4
.LBB15_104:
	s_or_b64 exec, exec, s[6:7]
	s_nop 0
	v_mfma_f32_16x16x4f32 a[0:3], v2, v3, a[0:3]
	v_lshrrev_b32_e32 v3, 8, v9
	s_movk_i32 s4, 0x7f
	v_cmp_gt_i16_sdwa s[6:7], v3, s4 src0_sel:BYTE_0 src1_sel:DWORD
	s_mov_b64 s[4:5], 0
                                        ; implicit-def: $sgpr10
	s_and_saveexec_b64 s[8:9], s[6:7]
	s_xor_b64 s[6:7], exec, s[8:9]
	s_cbranch_execnz .LBB15_2153
; %bb.105:
	s_or_saveexec_b64 s[6:7], s[6:7]
	v_mov_b32_e32 v2, s10
	s_xor_b64 exec, exec, s[6:7]
	s_cbranch_execnz .LBB15_2156
.LBB15_106:
	s_or_b64 exec, exec, s[6:7]
	s_and_saveexec_b64 s[6:7], s[4:5]
	s_cbranch_execz .LBB15_108
.LBB15_107:
	v_bfe_u32 v2, v9, 8, 3
	v_ffbh_u32_e32 v6, v2
	v_min_u32_e32 v6, 32, v6
	v_lshrrev_b16_e32 v4, 3, v3
	v_subrev_u32_e32 v7, 28, v6
	v_and_b32_e32 v4, 15, v4
	v_lshlrev_b32_e32 v3, v7, v3
	v_sub_u32_e32 v6, 29, v6
	v_and_b32_e32 v3, 7, v3
	v_cmp_eq_u16_e32 vcc, 0, v4
	v_cndmask_b32_e32 v2, v2, v3, vcc
	v_cndmask_b32_e32 v3, v4, v6, vcc
	v_lshlrev_b32_e32 v4, 16, v9
	v_mov_b32_e32 v6, 0x3b800000
	v_lshlrev_b32_e32 v2, 20, v2
	v_and_b32_e32 v4, 0x80000000, v4
	v_lshl_add_u32 v3, v3, 23, v6
	v_or3_b32 v2, v4, v3, v2
.LBB15_108:
	s_or_b64 exec, exec, s[6:7]
	v_lshrrev_b32_e32 v3, 8, v5
	s_movk_i32 s4, 0x7f
	v_cmp_gt_i16_sdwa s[6:7], v3, s4 src0_sel:BYTE_0 src1_sel:DWORD
	s_mov_b64 s[4:5], 0
                                        ; implicit-def: $sgpr10
	s_and_saveexec_b64 s[8:9], s[6:7]
	s_xor_b64 s[6:7], exec, s[8:9]
	s_cbranch_execnz .LBB15_2157
; %bb.109:
	s_or_saveexec_b64 s[6:7], s[6:7]
	v_mov_b32_e32 v4, s10
	s_xor_b64 exec, exec, s[6:7]
	s_cbranch_execnz .LBB15_2160
.LBB15_110:
	s_or_b64 exec, exec, s[6:7]
	s_and_saveexec_b64 s[6:7], s[4:5]
	s_cbranch_execz .LBB15_112
.LBB15_111:
	v_bfe_u32 v4, v5, 8, 3
	v_ffbh_u32_e32 v7, v4
	v_min_u32_e32 v7, 32, v7
	v_lshrrev_b16_e32 v6, 3, v3
	v_subrev_u32_e32 v8, 28, v7
	v_and_b32_e32 v6, 15, v6
	v_lshlrev_b32_e32 v3, v8, v3
	v_sub_u32_e32 v7, 29, v7
	v_and_b32_e32 v3, 7, v3
	v_cmp_eq_u16_e32 vcc, 0, v6
	v_cndmask_b32_e32 v3, v4, v3, vcc
	v_cndmask_b32_e32 v4, v6, v7, vcc
	v_lshlrev_b32_e32 v6, 16, v5
	v_mov_b32_e32 v7, 0x3b800000
	v_lshlrev_b32_e32 v3, 20, v3
	v_and_b32_e32 v6, 0x80000000, v6
	v_lshl_add_u32 v4, v4, 23, v7
	v_or3_b32 v4, v6, v4, v3
.LBB15_112:
	s_or_b64 exec, exec, s[6:7]
	s_nop 0
	v_mfma_f32_16x16x4f32 a[0:3], v2, v4, a[0:3]
	s_movk_i32 s4, 0xff
	v_and_b32_sdwa v3, v9, s4 dst_sel:DWORD dst_unused:UNUSED_PAD src0_sel:WORD_1 src1_sel:DWORD
	s_movk_i32 s4, 0x7f
	v_cmp_lt_i16_e32 vcc, s4, v3
	s_mov_b64 s[4:5], 0
                                        ; implicit-def: $sgpr10
	s_and_saveexec_b64 s[6:7], vcc
	s_xor_b64 s[6:7], exec, s[6:7]
	s_cbranch_execnz .LBB15_2161
; %bb.113:
	s_or_saveexec_b64 s[6:7], s[6:7]
	v_mov_b32_e32 v2, s10
	s_xor_b64 exec, exec, s[6:7]
	s_cbranch_execnz .LBB15_2164
.LBB15_114:
	s_or_b64 exec, exec, s[6:7]
	s_and_saveexec_b64 s[6:7], s[4:5]
	s_cbranch_execz .LBB15_116
.LBB15_115:
	v_bfe_u32 v2, v9, 16, 3
	v_ffbh_u32_e32 v6, v2
	v_min_u32_e32 v6, 32, v6
	v_lshrrev_b32_e32 v3, 19, v9
	v_subrev_u32_e32 v7, 28, v6
	v_and_b32_e32 v3, 15, v3
	v_lshlrev_b32_sdwa v7, v7, v9 dst_sel:DWORD dst_unused:UNUSED_PAD src0_sel:DWORD src1_sel:WORD_1
	v_bfe_u32 v4, v9, 19, 4
	v_sub_u32_e32 v6, 29, v6
	v_and_b32_e32 v7, 7, v7
	v_cmp_eq_u16_e32 vcc, 0, v3
	v_cndmask_b32_e32 v2, v2, v7, vcc
	v_cndmask_b32_e32 v3, v4, v6, vcc
	v_lshlrev_b32_e32 v4, 8, v9
	v_mov_b32_e32 v6, 0x3b800000
	v_lshlrev_b32_e32 v2, 20, v2
	v_and_b32_e32 v4, 0x80000000, v4
	v_lshl_add_u32 v3, v3, 23, v6
	v_or3_b32 v2, v4, v3, v2
.LBB15_116:
	s_or_b64 exec, exec, s[6:7]
	s_movk_i32 s4, 0xff
	v_and_b32_sdwa v3, v5, s4 dst_sel:DWORD dst_unused:UNUSED_PAD src0_sel:WORD_1 src1_sel:DWORD
	s_movk_i32 s4, 0x7f
	v_cmp_lt_i16_e32 vcc, s4, v3
	s_mov_b64 s[4:5], 0
                                        ; implicit-def: $sgpr10
	s_and_saveexec_b64 s[6:7], vcc
	s_xor_b64 s[6:7], exec, s[6:7]
	s_cbranch_execnz .LBB15_2165
; %bb.117:
	s_or_saveexec_b64 s[6:7], s[6:7]
	v_mov_b32_e32 v4, s10
	s_xor_b64 exec, exec, s[6:7]
	s_cbranch_execnz .LBB15_2168
.LBB15_118:
	s_or_b64 exec, exec, s[6:7]
	s_and_saveexec_b64 s[6:7], s[4:5]
	s_cbranch_execz .LBB15_120
.LBB15_119:
	v_bfe_u32 v3, v5, 16, 3
	v_ffbh_u32_e32 v7, v3
	v_min_u32_e32 v7, 32, v7
	v_lshrrev_b32_e32 v4, 19, v5
	v_subrev_u32_e32 v8, 28, v7
	v_and_b32_e32 v4, 15, v4
	v_lshlrev_b32_sdwa v8, v8, v5 dst_sel:DWORD dst_unused:UNUSED_PAD src0_sel:DWORD src1_sel:WORD_1
	v_bfe_u32 v6, v5, 19, 4
	v_sub_u32_e32 v7, 29, v7
	v_and_b32_e32 v8, 7, v8
	v_cmp_eq_u16_e32 vcc, 0, v4
	v_cndmask_b32_e32 v3, v3, v8, vcc
	v_cndmask_b32_e32 v4, v6, v7, vcc
	v_lshlrev_b32_e32 v6, 8, v5
	v_mov_b32_e32 v7, 0x3b800000
	v_lshlrev_b32_e32 v3, 20, v3
	v_and_b32_e32 v6, 0x80000000, v6
	v_lshl_add_u32 v4, v4, 23, v7
	v_or3_b32 v4, v6, v4, v3
.LBB15_120:
	s_or_b64 exec, exec, s[6:7]
	s_nop 0
	v_mfma_f32_16x16x4f32 a[0:3], v2, v4, a[0:3]
	s_movk_i32 s4, 0x7f
	v_cmp_gt_i16_sdwa s[6:7], v9, s4 src0_sel:BYTE_3 src1_sel:DWORD
	s_mov_b64 s[4:5], 0
                                        ; implicit-def: $sgpr10
	s_and_saveexec_b64 s[8:9], s[6:7]
	s_xor_b64 s[6:7], exec, s[8:9]
	s_cbranch_execnz .LBB15_2169
; %bb.121:
	s_or_saveexec_b64 s[6:7], s[6:7]
	v_mov_b32_e32 v2, s10
	s_xor_b64 exec, exec, s[6:7]
	s_cbranch_execnz .LBB15_2172
.LBB15_122:
	s_or_b64 exec, exec, s[6:7]
	s_and_saveexec_b64 s[6:7], s[4:5]
	s_cbranch_execz .LBB15_124
.LBB15_123:
	v_bfe_u32 v2, v9, 24, 3
	v_ffbh_u32_e32 v7, v2
	v_min_u32_e32 v7, 32, v7
	v_lshrrev_b32_e32 v4, 27, v9
	v_subrev_u32_e32 v8, 28, v7
	v_and_b32_e32 v4, 15, v4
	v_lshlrev_b32_sdwa v8, v8, v9 dst_sel:DWORD dst_unused:UNUSED_PAD src0_sel:DWORD src1_sel:BYTE_3
	v_bfe_u32 v6, v9, 27, 4
	v_sub_u32_e32 v7, 29, v7
	v_and_b32_e32 v8, 7, v8
	v_cmp_eq_u16_e32 vcc, 0, v4
	v_cndmask_b32_e32 v2, v2, v8, vcc
	v_cndmask_b32_e32 v4, v6, v7, vcc
	v_mov_b32_e32 v6, 0x3b800000
	v_and_b32_e32 v3, 0x80000000, v9
	v_lshlrev_b32_e32 v2, 20, v2
	v_lshl_add_u32 v4, v4, 23, v6
	v_or3_b32 v2, v3, v4, v2
.LBB15_124:
	s_or_b64 exec, exec, s[6:7]
	s_movk_i32 s4, 0x7f
	v_cmp_gt_i16_sdwa s[6:7], v5, s4 src0_sel:BYTE_3 src1_sel:DWORD
	s_mov_b64 s[4:5], 0
                                        ; implicit-def: $sgpr10
	s_and_saveexec_b64 s[8:9], s[6:7]
	s_xor_b64 s[6:7], exec, s[8:9]
	s_cbranch_execnz .LBB15_2173
; %bb.125:
	s_or_saveexec_b64 s[6:7], s[6:7]
	v_mov_b32_e32 v3, s10
	s_xor_b64 exec, exec, s[6:7]
	s_cbranch_execnz .LBB15_2176
.LBB15_126:
	s_or_b64 exec, exec, s[6:7]
	s_and_saveexec_b64 s[6:7], s[4:5]
	s_cbranch_execz .LBB15_128
.LBB15_127:
	v_bfe_u32 v3, v5, 24, 3
	v_ffbh_u32_e32 v8, v3
	v_min_u32_e32 v8, 32, v8
	v_lshrrev_b32_e32 v6, 27, v5
	v_subrev_u32_e32 v9, 28, v8
	v_and_b32_e32 v4, 0x80000000, v5
	v_and_b32_e32 v6, 15, v6
	v_bfe_u32 v7, v5, 27, 4
	v_lshlrev_b32_sdwa v5, v9, v5 dst_sel:DWORD dst_unused:UNUSED_PAD src0_sel:DWORD src1_sel:BYTE_3
	v_sub_u32_e32 v8, 29, v8
	v_and_b32_e32 v5, 7, v5
	v_cmp_eq_u16_e32 vcc, 0, v6
	v_cndmask_b32_e32 v3, v3, v5, vcc
	v_cndmask_b32_e32 v5, v7, v8, vcc
	v_mov_b32_e32 v6, 0x3b800000
	v_lshlrev_b32_e32 v3, 20, v3
	v_lshl_add_u32 v5, v5, 23, v6
	v_or3_b32 v3, v4, v5, v3
.LBB15_128:
	s_or_b64 exec, exec, s[6:7]
	s_nop 0
	v_mfma_f32_16x16x4f32 a[0:3], v2, v3, a[0:3]
	s_movk_i32 s4, 0x7f
                                        ; implicit-def: $sgpr10
	s_nop 7
	s_nop 1
	flat_store_dwordx4 v[10:11], a[0:3]
	flat_load_dwordx4 v[12:15], v[0:1] offset:8
	s_nop 0
	flat_load_dwordx2 v[10:11], v[0:1] offset:32
	s_waitcnt vmcnt(0) lgkmcnt(0)
	flat_load_dwordx4 v[6:9], v[12:13] offset:16
	flat_load_dwordx4 v[2:5], v[14:15] offset:48
	s_waitcnt vmcnt(0) lgkmcnt(0)
	v_cmp_gt_i16_sdwa s[6:7], v6, s4 src0_sel:BYTE_0 src1_sel:DWORD
	s_mov_b64 s[4:5], 0
	s_and_saveexec_b64 s[8:9], s[6:7]
	s_xor_b64 s[6:7], exec, s[8:9]
	s_cbranch_execnz .LBB15_2177
; %bb.129:
	s_or_saveexec_b64 s[6:7], s[6:7]
	v_mov_b32_e32 v12, s10
	s_xor_b64 exec, exec, s[6:7]
	s_cbranch_execnz .LBB15_2180
.LBB15_130:
	s_or_b64 exec, exec, s[6:7]
	s_and_saveexec_b64 s[6:7], s[4:5]
	s_cbranch_execz .LBB15_132
.LBB15_131:
	v_and_b32_e32 v12, 7, v6
	v_ffbh_u32_e32 v14, v12
	v_min_u32_e32 v14, 32, v14
	v_lshrrev_b16_e32 v13, 3, v6
	v_subrev_u32_e32 v15, 28, v14
	v_and_b32_e32 v13, 15, v13
	v_lshlrev_b32_e32 v15, v15, v6
	v_sub_u32_e32 v14, 29, v14
	v_and_b32_e32 v15, 7, v15
	v_cmp_eq_u16_e32 vcc, 0, v13
	v_cndmask_b32_e32 v12, v12, v15, vcc
	v_cndmask_b32_e32 v13, v13, v14, vcc
	v_lshlrev_b32_e32 v14, 24, v6
	v_mov_b32_e32 v15, 0x3b800000
	v_lshlrev_b32_e32 v12, 20, v12
	v_and_b32_e32 v14, 0x80000000, v14
	v_lshl_add_u32 v13, v13, 23, v15
	v_or3_b32 v12, v14, v13, v12
.LBB15_132:
	s_or_b64 exec, exec, s[6:7]
	s_movk_i32 s4, 0x7f
	v_cmp_gt_i16_sdwa s[6:7], v2, s4 src0_sel:BYTE_0 src1_sel:DWORD
	s_mov_b64 s[4:5], 0
                                        ; implicit-def: $sgpr10
	s_and_saveexec_b64 s[8:9], s[6:7]
	s_xor_b64 s[6:7], exec, s[8:9]
	s_cbranch_execnz .LBB15_2181
; %bb.133:
	s_or_saveexec_b64 s[6:7], s[6:7]
	v_mov_b32_e32 v13, s10
	s_xor_b64 exec, exec, s[6:7]
	s_cbranch_execnz .LBB15_2184
.LBB15_134:
	s_or_b64 exec, exec, s[6:7]
	s_and_saveexec_b64 s[6:7], s[4:5]
	s_cbranch_execz .LBB15_136
.LBB15_135:
	v_and_b32_e32 v13, 7, v2
	v_ffbh_u32_e32 v15, v13
	v_min_u32_e32 v15, 32, v15
	v_lshrrev_b16_e32 v14, 3, v2
	v_subrev_u32_e32 v16, 28, v15
	v_and_b32_e32 v14, 15, v14
	v_lshlrev_b32_e32 v16, v16, v2
	v_sub_u32_e32 v15, 29, v15
	v_and_b32_e32 v16, 7, v16
	v_cmp_eq_u16_e32 vcc, 0, v14
	v_cndmask_b32_e32 v13, v13, v16, vcc
	v_cndmask_b32_e32 v14, v14, v15, vcc
	v_lshlrev_b32_e32 v15, 24, v2
	v_mov_b32_e32 v16, 0x3b800000
	v_lshlrev_b32_e32 v13, 20, v13
	v_and_b32_e32 v15, 0x80000000, v15
	v_lshl_add_u32 v14, v14, 23, v16
	v_or3_b32 v13, v15, v14, v13
.LBB15_136:
	s_or_b64 exec, exec, s[6:7]
	flat_load_dwordx4 a[0:3], v[10:11] offset:16
	s_movk_i32 s4, 0x7f
                                        ; implicit-def: $sgpr10
	s_waitcnt vmcnt(0) lgkmcnt(0)
	v_mfma_f32_16x16x4f32 a[0:3], v12, v13, a[0:3]
	v_lshrrev_b32_e32 v13, 8, v6
	v_cmp_gt_i16_sdwa s[6:7], v13, s4 src0_sel:BYTE_0 src1_sel:DWORD
	s_mov_b64 s[4:5], 0
	s_and_saveexec_b64 s[8:9], s[6:7]
	s_xor_b64 s[6:7], exec, s[8:9]
	s_cbranch_execnz .LBB15_2185
; %bb.137:
	s_or_saveexec_b64 s[6:7], s[6:7]
	v_mov_b32_e32 v12, s10
	s_xor_b64 exec, exec, s[6:7]
	s_cbranch_execnz .LBB15_2188
.LBB15_138:
	s_or_b64 exec, exec, s[6:7]
	s_and_saveexec_b64 s[6:7], s[4:5]
	s_cbranch_execz .LBB15_140
.LBB15_139:
	v_bfe_u32 v12, v6, 8, 3
	v_ffbh_u32_e32 v15, v12
	v_min_u32_e32 v15, 32, v15
	v_lshrrev_b16_e32 v14, 3, v13
	v_subrev_u32_e32 v16, 28, v15
	v_and_b32_e32 v14, 15, v14
	v_lshlrev_b32_e32 v13, v16, v13
	v_sub_u32_e32 v15, 29, v15
	v_and_b32_e32 v13, 7, v13
	v_cmp_eq_u16_e32 vcc, 0, v14
	v_cndmask_b32_e32 v12, v12, v13, vcc
	v_cndmask_b32_e32 v13, v14, v15, vcc
	v_lshlrev_b32_e32 v14, 16, v6
	v_mov_b32_e32 v15, 0x3b800000
	v_lshlrev_b32_e32 v12, 20, v12
	v_and_b32_e32 v14, 0x80000000, v14
	v_lshl_add_u32 v13, v13, 23, v15
	v_or3_b32 v12, v14, v13, v12
.LBB15_140:
	s_or_b64 exec, exec, s[6:7]
	v_lshrrev_b32_e32 v13, 8, v2
	s_movk_i32 s4, 0x7f
	v_cmp_gt_i16_sdwa s[6:7], v13, s4 src0_sel:BYTE_0 src1_sel:DWORD
	s_mov_b64 s[4:5], 0
                                        ; implicit-def: $sgpr10
	s_and_saveexec_b64 s[8:9], s[6:7]
	s_xor_b64 s[6:7], exec, s[8:9]
	s_cbranch_execnz .LBB15_2189
; %bb.141:
	s_or_saveexec_b64 s[6:7], s[6:7]
	v_mov_b32_e32 v14, s10
	s_xor_b64 exec, exec, s[6:7]
	s_cbranch_execnz .LBB15_2192
.LBB15_142:
	s_or_b64 exec, exec, s[6:7]
	s_and_saveexec_b64 s[6:7], s[4:5]
	s_cbranch_execz .LBB15_144
.LBB15_143:
	v_bfe_u32 v14, v2, 8, 3
	v_ffbh_u32_e32 v16, v14
	v_min_u32_e32 v16, 32, v16
	v_lshrrev_b16_e32 v15, 3, v13
	v_subrev_u32_e32 v17, 28, v16
	v_and_b32_e32 v15, 15, v15
	v_lshlrev_b32_e32 v13, v17, v13
	v_sub_u32_e32 v16, 29, v16
	v_and_b32_e32 v13, 7, v13
	v_cmp_eq_u16_e32 vcc, 0, v15
	v_cndmask_b32_e32 v13, v14, v13, vcc
	v_cndmask_b32_e32 v14, v15, v16, vcc
	v_lshlrev_b32_e32 v15, 16, v2
	v_mov_b32_e32 v16, 0x3b800000
	v_lshlrev_b32_e32 v13, 20, v13
	v_and_b32_e32 v15, 0x80000000, v15
	v_lshl_add_u32 v14, v14, 23, v16
	v_or3_b32 v14, v15, v14, v13
.LBB15_144:
	s_or_b64 exec, exec, s[6:7]
	s_nop 0
	v_mfma_f32_16x16x4f32 a[0:3], v12, v14, a[0:3]
	s_movk_i32 s4, 0xff
	v_and_b32_sdwa v13, v6, s4 dst_sel:DWORD dst_unused:UNUSED_PAD src0_sel:WORD_1 src1_sel:DWORD
	s_movk_i32 s4, 0x7f
	v_cmp_lt_i16_e32 vcc, s4, v13
	s_mov_b64 s[4:5], 0
                                        ; implicit-def: $sgpr10
	s_and_saveexec_b64 s[6:7], vcc
	s_xor_b64 s[6:7], exec, s[6:7]
	s_cbranch_execnz .LBB15_2193
; %bb.145:
	s_or_saveexec_b64 s[6:7], s[6:7]
	v_mov_b32_e32 v12, s10
	s_xor_b64 exec, exec, s[6:7]
	s_cbranch_execnz .LBB15_2196
.LBB15_146:
	s_or_b64 exec, exec, s[6:7]
	s_and_saveexec_b64 s[6:7], s[4:5]
	s_cbranch_execz .LBB15_148
.LBB15_147:
	v_bfe_u32 v12, v6, 16, 3
	v_ffbh_u32_e32 v15, v12
	v_min_u32_e32 v15, 32, v15
	v_lshrrev_b32_e32 v13, 19, v6
	v_subrev_u32_e32 v16, 28, v15
	v_and_b32_e32 v13, 15, v13
	v_lshlrev_b32_sdwa v16, v16, v6 dst_sel:DWORD dst_unused:UNUSED_PAD src0_sel:DWORD src1_sel:WORD_1
	v_bfe_u32 v14, v6, 19, 4
	v_sub_u32_e32 v15, 29, v15
	v_and_b32_e32 v16, 7, v16
	v_cmp_eq_u16_e32 vcc, 0, v13
	v_cndmask_b32_e32 v12, v12, v16, vcc
	v_cndmask_b32_e32 v13, v14, v15, vcc
	v_lshlrev_b32_e32 v14, 8, v6
	v_mov_b32_e32 v15, 0x3b800000
	v_lshlrev_b32_e32 v12, 20, v12
	v_and_b32_e32 v14, 0x80000000, v14
	v_lshl_add_u32 v13, v13, 23, v15
	v_or3_b32 v12, v14, v13, v12
.LBB15_148:
	s_or_b64 exec, exec, s[6:7]
	s_movk_i32 s4, 0xff
	v_and_b32_sdwa v13, v2, s4 dst_sel:DWORD dst_unused:UNUSED_PAD src0_sel:WORD_1 src1_sel:DWORD
	s_movk_i32 s4, 0x7f
	v_cmp_lt_i16_e32 vcc, s4, v13
	s_mov_b64 s[4:5], 0
                                        ; implicit-def: $sgpr10
	s_and_saveexec_b64 s[6:7], vcc
	s_xor_b64 s[6:7], exec, s[6:7]
	s_cbranch_execnz .LBB15_2197
; %bb.149:
	s_or_saveexec_b64 s[6:7], s[6:7]
	v_mov_b32_e32 v14, s10
	s_xor_b64 exec, exec, s[6:7]
	s_cbranch_execnz .LBB15_2200
.LBB15_150:
	s_or_b64 exec, exec, s[6:7]
	s_and_saveexec_b64 s[6:7], s[4:5]
	s_cbranch_execz .LBB15_152
.LBB15_151:
	v_bfe_u32 v13, v2, 16, 3
	v_ffbh_u32_e32 v16, v13
	v_min_u32_e32 v16, 32, v16
	v_lshrrev_b32_e32 v14, 19, v2
	v_subrev_u32_e32 v17, 28, v16
	v_and_b32_e32 v14, 15, v14
	v_lshlrev_b32_sdwa v17, v17, v2 dst_sel:DWORD dst_unused:UNUSED_PAD src0_sel:DWORD src1_sel:WORD_1
	v_bfe_u32 v15, v2, 19, 4
	v_sub_u32_e32 v16, 29, v16
	v_and_b32_e32 v17, 7, v17
	v_cmp_eq_u16_e32 vcc, 0, v14
	v_cndmask_b32_e32 v13, v13, v17, vcc
	v_cndmask_b32_e32 v14, v15, v16, vcc
	v_lshlrev_b32_e32 v15, 8, v2
	v_mov_b32_e32 v16, 0x3b800000
	v_lshlrev_b32_e32 v13, 20, v13
	v_and_b32_e32 v15, 0x80000000, v15
	v_lshl_add_u32 v14, v14, 23, v16
	v_or3_b32 v14, v15, v14, v13
.LBB15_152:
	s_or_b64 exec, exec, s[6:7]
	s_nop 0
	v_mfma_f32_16x16x4f32 a[0:3], v12, v14, a[0:3]
	s_movk_i32 s4, 0x7f
	v_cmp_gt_i16_sdwa s[6:7], v6, s4 src0_sel:BYTE_3 src1_sel:DWORD
	s_mov_b64 s[4:5], 0
                                        ; implicit-def: $sgpr10
	s_and_saveexec_b64 s[8:9], s[6:7]
	s_xor_b64 s[6:7], exec, s[8:9]
	s_cbranch_execnz .LBB15_2201
; %bb.153:
	s_or_saveexec_b64 s[6:7], s[6:7]
	v_mov_b32_e32 v12, s10
	s_xor_b64 exec, exec, s[6:7]
	s_cbranch_execnz .LBB15_2204
.LBB15_154:
	s_or_b64 exec, exec, s[6:7]
	s_and_saveexec_b64 s[6:7], s[4:5]
	s_cbranch_execz .LBB15_156
.LBB15_155:
	v_bfe_u32 v12, v6, 24, 3
	v_ffbh_u32_e32 v16, v12
	v_min_u32_e32 v16, 32, v16
	v_lshrrev_b32_e32 v14, 27, v6
	v_subrev_u32_e32 v17, 28, v16
	v_and_b32_e32 v13, 0x80000000, v6
	v_and_b32_e32 v14, 15, v14
	v_bfe_u32 v15, v6, 27, 4
	v_lshlrev_b32_sdwa v6, v17, v6 dst_sel:DWORD dst_unused:UNUSED_PAD src0_sel:DWORD src1_sel:BYTE_3
	v_sub_u32_e32 v16, 29, v16
	v_and_b32_e32 v6, 7, v6
	v_cmp_eq_u16_e32 vcc, 0, v14
	v_cndmask_b32_e32 v6, v12, v6, vcc
	v_cndmask_b32_e32 v12, v15, v16, vcc
	v_mov_b32_e32 v14, 0x3b800000
	v_lshlrev_b32_e32 v6, 20, v6
	v_lshl_add_u32 v12, v12, 23, v14
	v_or3_b32 v12, v13, v12, v6
.LBB15_156:
	s_or_b64 exec, exec, s[6:7]
	s_movk_i32 s4, 0x7f
	v_cmp_gt_i16_sdwa s[6:7], v2, s4 src0_sel:BYTE_3 src1_sel:DWORD
	s_mov_b64 s[4:5], 0
                                        ; implicit-def: $sgpr10
	s_and_saveexec_b64 s[8:9], s[6:7]
	s_xor_b64 s[6:7], exec, s[8:9]
	s_cbranch_execnz .LBB15_2205
; %bb.157:
	s_or_saveexec_b64 s[6:7], s[6:7]
	v_mov_b32_e32 v6, s10
	s_xor_b64 exec, exec, s[6:7]
	s_cbranch_execnz .LBB15_2208
.LBB15_158:
	s_or_b64 exec, exec, s[6:7]
	s_and_saveexec_b64 s[6:7], s[4:5]
	s_cbranch_execz .LBB15_160
.LBB15_159:
	v_bfe_u32 v6, v2, 24, 3
	v_ffbh_u32_e32 v16, v6
	v_min_u32_e32 v16, 32, v16
	v_lshrrev_b32_e32 v14, 27, v2
	v_subrev_u32_e32 v17, 28, v16
	v_and_b32_e32 v13, 0x80000000, v2
	v_and_b32_e32 v14, 15, v14
	v_bfe_u32 v15, v2, 27, 4
	v_lshlrev_b32_sdwa v2, v17, v2 dst_sel:DWORD dst_unused:UNUSED_PAD src0_sel:DWORD src1_sel:BYTE_3
	v_sub_u32_e32 v16, 29, v16
	v_and_b32_e32 v2, 7, v2
	v_cmp_eq_u16_e32 vcc, 0, v14
	v_cndmask_b32_e32 v2, v6, v2, vcc
	v_cndmask_b32_e32 v6, v15, v16, vcc
	v_mov_b32_e32 v14, 0x3b800000
	v_lshlrev_b32_e32 v2, 20, v2
	v_lshl_add_u32 v6, v6, 23, v14
	v_or3_b32 v6, v13, v6, v2
.LBB15_160:
	s_or_b64 exec, exec, s[6:7]
	s_nop 0
	v_mfma_f32_16x16x4f32 a[0:3], v12, v6, a[0:3]
	s_movk_i32 s4, 0x7f
	v_cmp_gt_i16_sdwa s[6:7], v7, s4 src0_sel:BYTE_0 src1_sel:DWORD
	s_mov_b64 s[4:5], 0
                                        ; implicit-def: $sgpr10
	s_and_saveexec_b64 s[8:9], s[6:7]
	s_xor_b64 s[6:7], exec, s[8:9]
	s_cbranch_execnz .LBB15_2209
; %bb.161:
	s_or_saveexec_b64 s[6:7], s[6:7]
	v_mov_b32_e32 v2, s10
	s_xor_b64 exec, exec, s[6:7]
	s_cbranch_execnz .LBB15_2212
.LBB15_162:
	s_or_b64 exec, exec, s[6:7]
	s_and_saveexec_b64 s[6:7], s[4:5]
	s_cbranch_execz .LBB15_164
.LBB15_163:
	v_and_b32_e32 v2, 7, v7
	v_ffbh_u32_e32 v12, v2
	v_min_u32_e32 v12, 32, v12
	v_lshrrev_b16_e32 v6, 3, v7
	v_subrev_u32_e32 v13, 28, v12
	v_and_b32_e32 v6, 15, v6
	v_lshlrev_b32_e32 v13, v13, v7
	v_sub_u32_e32 v12, 29, v12
	v_and_b32_e32 v13, 7, v13
	v_cmp_eq_u16_e32 vcc, 0, v6
	v_cndmask_b32_e32 v2, v2, v13, vcc
	v_cndmask_b32_e32 v6, v6, v12, vcc
	v_lshlrev_b32_e32 v12, 24, v7
	v_mov_b32_e32 v13, 0x3b800000
	v_lshlrev_b32_e32 v2, 20, v2
	v_and_b32_e32 v12, 0x80000000, v12
	v_lshl_add_u32 v6, v6, 23, v13
	v_or3_b32 v2, v12, v6, v2
.LBB15_164:
	s_or_b64 exec, exec, s[6:7]
	s_movk_i32 s4, 0x7f
	v_cmp_gt_i16_sdwa s[6:7], v3, s4 src0_sel:BYTE_0 src1_sel:DWORD
	s_mov_b64 s[4:5], 0
                                        ; implicit-def: $sgpr10
	s_and_saveexec_b64 s[8:9], s[6:7]
	s_xor_b64 s[6:7], exec, s[8:9]
	s_cbranch_execnz .LBB15_2213
; %bb.165:
	s_or_saveexec_b64 s[6:7], s[6:7]
	v_mov_b32_e32 v6, s10
	s_xor_b64 exec, exec, s[6:7]
	s_cbranch_execnz .LBB15_2216
.LBB15_166:
	s_or_b64 exec, exec, s[6:7]
	s_and_saveexec_b64 s[6:7], s[4:5]
	s_cbranch_execz .LBB15_168
.LBB15_167:
	v_and_b32_e32 v6, 7, v3
	v_ffbh_u32_e32 v13, v6
	v_min_u32_e32 v13, 32, v13
	v_lshrrev_b16_e32 v12, 3, v3
	v_subrev_u32_e32 v14, 28, v13
	v_and_b32_e32 v12, 15, v12
	v_lshlrev_b32_e32 v14, v14, v3
	v_sub_u32_e32 v13, 29, v13
	v_and_b32_e32 v14, 7, v14
	v_cmp_eq_u16_e32 vcc, 0, v12
	v_cndmask_b32_e32 v6, v6, v14, vcc
	v_cndmask_b32_e32 v12, v12, v13, vcc
	v_lshlrev_b32_e32 v13, 24, v3
	v_mov_b32_e32 v14, 0x3b800000
	v_lshlrev_b32_e32 v6, 20, v6
	v_and_b32_e32 v13, 0x80000000, v13
	v_lshl_add_u32 v12, v12, 23, v14
	v_or3_b32 v6, v13, v12, v6
.LBB15_168:
	s_or_b64 exec, exec, s[6:7]
	s_nop 0
	v_mfma_f32_16x16x4f32 a[0:3], v2, v6, a[0:3]
	v_lshrrev_b32_e32 v6, 8, v7
	s_movk_i32 s4, 0x7f
	v_cmp_gt_i16_sdwa s[6:7], v6, s4 src0_sel:BYTE_0 src1_sel:DWORD
	s_mov_b64 s[4:5], 0
                                        ; implicit-def: $sgpr10
	s_and_saveexec_b64 s[8:9], s[6:7]
	s_xor_b64 s[6:7], exec, s[8:9]
	s_cbranch_execnz .LBB15_2217
; %bb.169:
	s_or_saveexec_b64 s[6:7], s[6:7]
	v_mov_b32_e32 v2, s10
	s_xor_b64 exec, exec, s[6:7]
	s_cbranch_execnz .LBB15_2220
.LBB15_170:
	s_or_b64 exec, exec, s[6:7]
	s_and_saveexec_b64 s[6:7], s[4:5]
	s_cbranch_execz .LBB15_172
.LBB15_171:
	v_bfe_u32 v2, v7, 8, 3
	v_ffbh_u32_e32 v13, v2
	v_min_u32_e32 v13, 32, v13
	v_lshrrev_b16_e32 v12, 3, v6
	v_subrev_u32_e32 v14, 28, v13
	v_and_b32_e32 v12, 15, v12
	v_lshlrev_b32_e32 v6, v14, v6
	v_sub_u32_e32 v13, 29, v13
	v_and_b32_e32 v6, 7, v6
	v_cmp_eq_u16_e32 vcc, 0, v12
	v_cndmask_b32_e32 v2, v2, v6, vcc
	v_cndmask_b32_e32 v6, v12, v13, vcc
	v_lshlrev_b32_e32 v12, 16, v7
	v_mov_b32_e32 v13, 0x3b800000
	v_lshlrev_b32_e32 v2, 20, v2
	v_and_b32_e32 v12, 0x80000000, v12
	v_lshl_add_u32 v6, v6, 23, v13
	v_or3_b32 v2, v12, v6, v2
.LBB15_172:
	s_or_b64 exec, exec, s[6:7]
	v_lshrrev_b32_e32 v6, 8, v3
	s_movk_i32 s4, 0x7f
	v_cmp_gt_i16_sdwa s[6:7], v6, s4 src0_sel:BYTE_0 src1_sel:DWORD
	s_mov_b64 s[4:5], 0
                                        ; implicit-def: $sgpr10
	s_and_saveexec_b64 s[8:9], s[6:7]
	s_xor_b64 s[6:7], exec, s[8:9]
	s_cbranch_execnz .LBB15_2221
; %bb.173:
	s_or_saveexec_b64 s[6:7], s[6:7]
	v_mov_b32_e32 v12, s10
	s_xor_b64 exec, exec, s[6:7]
	s_cbranch_execnz .LBB15_2224
.LBB15_174:
	s_or_b64 exec, exec, s[6:7]
	s_and_saveexec_b64 s[6:7], s[4:5]
	s_cbranch_execz .LBB15_176
.LBB15_175:
	v_bfe_u32 v12, v3, 8, 3
	v_ffbh_u32_e32 v14, v12
	v_min_u32_e32 v14, 32, v14
	v_lshrrev_b16_e32 v13, 3, v6
	v_subrev_u32_e32 v15, 28, v14
	v_and_b32_e32 v13, 15, v13
	v_lshlrev_b32_e32 v6, v15, v6
	v_sub_u32_e32 v14, 29, v14
	v_and_b32_e32 v6, 7, v6
	v_cmp_eq_u16_e32 vcc, 0, v13
	v_cndmask_b32_e32 v6, v12, v6, vcc
	v_cndmask_b32_e32 v12, v13, v14, vcc
	v_lshlrev_b32_e32 v13, 16, v3
	v_mov_b32_e32 v14, 0x3b800000
	v_lshlrev_b32_e32 v6, 20, v6
	v_and_b32_e32 v13, 0x80000000, v13
	v_lshl_add_u32 v12, v12, 23, v14
	v_or3_b32 v12, v13, v12, v6
.LBB15_176:
	s_or_b64 exec, exec, s[6:7]
	s_nop 0
	v_mfma_f32_16x16x4f32 a[0:3], v2, v12, a[0:3]
	s_movk_i32 s4, 0xff
	v_and_b32_sdwa v6, v7, s4 dst_sel:DWORD dst_unused:UNUSED_PAD src0_sel:WORD_1 src1_sel:DWORD
	s_movk_i32 s4, 0x7f
	v_cmp_lt_i16_e32 vcc, s4, v6
	s_mov_b64 s[4:5], 0
                                        ; implicit-def: $sgpr10
	s_and_saveexec_b64 s[6:7], vcc
	s_xor_b64 s[6:7], exec, s[6:7]
	s_cbranch_execnz .LBB15_2225
; %bb.177:
	s_or_saveexec_b64 s[6:7], s[6:7]
	v_mov_b32_e32 v2, s10
	s_xor_b64 exec, exec, s[6:7]
	s_cbranch_execnz .LBB15_2228
.LBB15_178:
	s_or_b64 exec, exec, s[6:7]
	s_and_saveexec_b64 s[6:7], s[4:5]
	s_cbranch_execz .LBB15_180
.LBB15_179:
	v_bfe_u32 v2, v7, 16, 3
	v_ffbh_u32_e32 v13, v2
	v_min_u32_e32 v13, 32, v13
	v_lshrrev_b32_e32 v6, 19, v7
	v_subrev_u32_e32 v14, 28, v13
	v_and_b32_e32 v6, 15, v6
	v_lshlrev_b32_sdwa v14, v14, v7 dst_sel:DWORD dst_unused:UNUSED_PAD src0_sel:DWORD src1_sel:WORD_1
	v_bfe_u32 v12, v7, 19, 4
	v_sub_u32_e32 v13, 29, v13
	v_and_b32_e32 v14, 7, v14
	v_cmp_eq_u16_e32 vcc, 0, v6
	v_cndmask_b32_e32 v2, v2, v14, vcc
	v_cndmask_b32_e32 v6, v12, v13, vcc
	v_lshlrev_b32_e32 v12, 8, v7
	v_mov_b32_e32 v13, 0x3b800000
	v_lshlrev_b32_e32 v2, 20, v2
	v_and_b32_e32 v12, 0x80000000, v12
	v_lshl_add_u32 v6, v6, 23, v13
	v_or3_b32 v2, v12, v6, v2
.LBB15_180:
	s_or_b64 exec, exec, s[6:7]
	s_movk_i32 s4, 0xff
	v_and_b32_sdwa v6, v3, s4 dst_sel:DWORD dst_unused:UNUSED_PAD src0_sel:WORD_1 src1_sel:DWORD
	s_movk_i32 s4, 0x7f
	v_cmp_lt_i16_e32 vcc, s4, v6
	s_mov_b64 s[4:5], 0
                                        ; implicit-def: $sgpr10
	s_and_saveexec_b64 s[6:7], vcc
	s_xor_b64 s[6:7], exec, s[6:7]
	s_cbranch_execnz .LBB15_2229
; %bb.181:
	s_or_saveexec_b64 s[6:7], s[6:7]
	v_mov_b32_e32 v12, s10
	s_xor_b64 exec, exec, s[6:7]
	s_cbranch_execnz .LBB15_2232
.LBB15_182:
	s_or_b64 exec, exec, s[6:7]
	s_and_saveexec_b64 s[6:7], s[4:5]
	s_cbranch_execz .LBB15_184
.LBB15_183:
	v_bfe_u32 v6, v3, 16, 3
	v_ffbh_u32_e32 v14, v6
	v_min_u32_e32 v14, 32, v14
	v_lshrrev_b32_e32 v12, 19, v3
	v_subrev_u32_e32 v15, 28, v14
	v_and_b32_e32 v12, 15, v12
	v_lshlrev_b32_sdwa v15, v15, v3 dst_sel:DWORD dst_unused:UNUSED_PAD src0_sel:DWORD src1_sel:WORD_1
	v_bfe_u32 v13, v3, 19, 4
	v_sub_u32_e32 v14, 29, v14
	v_and_b32_e32 v15, 7, v15
	v_cmp_eq_u16_e32 vcc, 0, v12
	v_cndmask_b32_e32 v6, v6, v15, vcc
	v_cndmask_b32_e32 v12, v13, v14, vcc
	v_lshlrev_b32_e32 v13, 8, v3
	v_mov_b32_e32 v14, 0x3b800000
	v_lshlrev_b32_e32 v6, 20, v6
	v_and_b32_e32 v13, 0x80000000, v13
	v_lshl_add_u32 v12, v12, 23, v14
	v_or3_b32 v12, v13, v12, v6
.LBB15_184:
	s_or_b64 exec, exec, s[6:7]
	s_nop 0
	v_mfma_f32_16x16x4f32 a[0:3], v2, v12, a[0:3]
	s_movk_i32 s4, 0x7f
	v_cmp_gt_i16_sdwa s[6:7], v7, s4 src0_sel:BYTE_3 src1_sel:DWORD
	s_mov_b64 s[4:5], 0
                                        ; implicit-def: $sgpr10
	s_and_saveexec_b64 s[8:9], s[6:7]
	s_xor_b64 s[6:7], exec, s[8:9]
	s_cbranch_execnz .LBB15_2233
; %bb.185:
	s_or_saveexec_b64 s[6:7], s[6:7]
	v_mov_b32_e32 v2, s10
	s_xor_b64 exec, exec, s[6:7]
	s_cbranch_execnz .LBB15_2236
.LBB15_186:
	s_or_b64 exec, exec, s[6:7]
	s_and_saveexec_b64 s[6:7], s[4:5]
	s_cbranch_execz .LBB15_188
.LBB15_187:
	v_bfe_u32 v2, v7, 24, 3
	v_ffbh_u32_e32 v14, v2
	v_min_u32_e32 v14, 32, v14
	v_lshrrev_b32_e32 v12, 27, v7
	v_subrev_u32_e32 v15, 28, v14
	v_and_b32_e32 v6, 0x80000000, v7
	v_and_b32_e32 v12, 15, v12
	v_bfe_u32 v13, v7, 27, 4
	v_lshlrev_b32_sdwa v7, v15, v7 dst_sel:DWORD dst_unused:UNUSED_PAD src0_sel:DWORD src1_sel:BYTE_3
	v_sub_u32_e32 v14, 29, v14
	v_and_b32_e32 v7, 7, v7
	v_cmp_eq_u16_e32 vcc, 0, v12
	v_cndmask_b32_e32 v2, v2, v7, vcc
	v_cndmask_b32_e32 v7, v13, v14, vcc
	v_mov_b32_e32 v12, 0x3b800000
	v_lshlrev_b32_e32 v2, 20, v2
	v_lshl_add_u32 v7, v7, 23, v12
	v_or3_b32 v2, v6, v7, v2
.LBB15_188:
	s_or_b64 exec, exec, s[6:7]
	s_movk_i32 s4, 0x7f
	v_cmp_gt_i16_sdwa s[6:7], v3, s4 src0_sel:BYTE_3 src1_sel:DWORD
	s_mov_b64 s[4:5], 0
                                        ; implicit-def: $sgpr10
	s_and_saveexec_b64 s[8:9], s[6:7]
	s_xor_b64 s[6:7], exec, s[8:9]
	s_cbranch_execnz .LBB15_2237
; %bb.189:
	s_or_saveexec_b64 s[6:7], s[6:7]
	v_mov_b32_e32 v6, s10
	s_xor_b64 exec, exec, s[6:7]
	s_cbranch_execnz .LBB15_2240
.LBB15_190:
	s_or_b64 exec, exec, s[6:7]
	s_and_saveexec_b64 s[6:7], s[4:5]
	s_cbranch_execz .LBB15_192
.LBB15_191:
	v_bfe_u32 v6, v3, 24, 3
	v_ffbh_u32_e32 v14, v6
	v_min_u32_e32 v14, 32, v14
	v_lshrrev_b32_e32 v12, 27, v3
	v_subrev_u32_e32 v15, 28, v14
	v_and_b32_e32 v7, 0x80000000, v3
	v_and_b32_e32 v12, 15, v12
	v_bfe_u32 v13, v3, 27, 4
	v_lshlrev_b32_sdwa v3, v15, v3 dst_sel:DWORD dst_unused:UNUSED_PAD src0_sel:DWORD src1_sel:BYTE_3
	v_sub_u32_e32 v14, 29, v14
	v_and_b32_e32 v3, 7, v3
	v_cmp_eq_u16_e32 vcc, 0, v12
	v_cndmask_b32_e32 v3, v6, v3, vcc
	v_cndmask_b32_e32 v6, v13, v14, vcc
	v_mov_b32_e32 v12, 0x3b800000
	v_lshlrev_b32_e32 v3, 20, v3
	v_lshl_add_u32 v6, v6, 23, v12
	v_or3_b32 v6, v7, v6, v3
.LBB15_192:
	s_or_b64 exec, exec, s[6:7]
	s_nop 0
	v_mfma_f32_16x16x4f32 a[0:3], v2, v6, a[0:3]
	s_movk_i32 s4, 0x7f
	v_cmp_gt_i16_sdwa s[6:7], v8, s4 src0_sel:BYTE_0 src1_sel:DWORD
	s_mov_b64 s[4:5], 0
                                        ; implicit-def: $sgpr10
	s_and_saveexec_b64 s[8:9], s[6:7]
	s_xor_b64 s[6:7], exec, s[8:9]
	s_cbranch_execnz .LBB15_2241
; %bb.193:
	s_or_saveexec_b64 s[6:7], s[6:7]
	v_mov_b32_e32 v2, s10
	s_xor_b64 exec, exec, s[6:7]
	s_cbranch_execnz .LBB15_2244
.LBB15_194:
	s_or_b64 exec, exec, s[6:7]
	s_and_saveexec_b64 s[6:7], s[4:5]
	s_cbranch_execz .LBB15_196
.LBB15_195:
	v_and_b32_e32 v2, 7, v8
	v_ffbh_u32_e32 v6, v2
	v_min_u32_e32 v6, 32, v6
	v_lshrrev_b16_e32 v3, 3, v8
	v_subrev_u32_e32 v7, 28, v6
	v_and_b32_e32 v3, 15, v3
	v_lshlrev_b32_e32 v7, v7, v8
	v_sub_u32_e32 v6, 29, v6
	v_and_b32_e32 v7, 7, v7
	v_cmp_eq_u16_e32 vcc, 0, v3
	v_cndmask_b32_e32 v2, v2, v7, vcc
	v_cndmask_b32_e32 v3, v3, v6, vcc
	v_lshlrev_b32_e32 v6, 24, v8
	v_mov_b32_e32 v7, 0x3b800000
	v_lshlrev_b32_e32 v2, 20, v2
	v_and_b32_e32 v6, 0x80000000, v6
	v_lshl_add_u32 v3, v3, 23, v7
	v_or3_b32 v2, v6, v3, v2
.LBB15_196:
	s_or_b64 exec, exec, s[6:7]
	s_movk_i32 s4, 0x7f
	v_cmp_gt_i16_sdwa s[6:7], v4, s4 src0_sel:BYTE_0 src1_sel:DWORD
	s_mov_b64 s[4:5], 0
                                        ; implicit-def: $sgpr10
	s_and_saveexec_b64 s[8:9], s[6:7]
	s_xor_b64 s[6:7], exec, s[8:9]
	s_cbranch_execnz .LBB15_2245
; %bb.197:
	s_or_saveexec_b64 s[6:7], s[6:7]
	v_mov_b32_e32 v3, s10
	s_xor_b64 exec, exec, s[6:7]
	s_cbranch_execnz .LBB15_2248
.LBB15_198:
	s_or_b64 exec, exec, s[6:7]
	s_and_saveexec_b64 s[6:7], s[4:5]
	s_cbranch_execz .LBB15_200
.LBB15_199:
	v_and_b32_e32 v3, 7, v4
	v_ffbh_u32_e32 v7, v3
	v_min_u32_e32 v7, 32, v7
	v_lshrrev_b16_e32 v6, 3, v4
	v_subrev_u32_e32 v12, 28, v7
	v_and_b32_e32 v6, 15, v6
	v_lshlrev_b32_e32 v12, v12, v4
	v_sub_u32_e32 v7, 29, v7
	v_and_b32_e32 v12, 7, v12
	v_cmp_eq_u16_e32 vcc, 0, v6
	v_cndmask_b32_e32 v3, v3, v12, vcc
	v_cndmask_b32_e32 v6, v6, v7, vcc
	v_lshlrev_b32_e32 v7, 24, v4
	v_mov_b32_e32 v12, 0x3b800000
	v_lshlrev_b32_e32 v3, 20, v3
	v_and_b32_e32 v7, 0x80000000, v7
	v_lshl_add_u32 v6, v6, 23, v12
	v_or3_b32 v3, v7, v6, v3
.LBB15_200:
	s_or_b64 exec, exec, s[6:7]
	s_nop 0
	v_mfma_f32_16x16x4f32 a[0:3], v2, v3, a[0:3]
	v_lshrrev_b32_e32 v3, 8, v8
	s_movk_i32 s4, 0x7f
	v_cmp_gt_i16_sdwa s[6:7], v3, s4 src0_sel:BYTE_0 src1_sel:DWORD
	s_mov_b64 s[4:5], 0
                                        ; implicit-def: $sgpr10
	s_and_saveexec_b64 s[8:9], s[6:7]
	s_xor_b64 s[6:7], exec, s[8:9]
	s_cbranch_execnz .LBB15_2249
; %bb.201:
	s_or_saveexec_b64 s[6:7], s[6:7]
	v_mov_b32_e32 v2, s10
	s_xor_b64 exec, exec, s[6:7]
	s_cbranch_execnz .LBB15_2252
.LBB15_202:
	s_or_b64 exec, exec, s[6:7]
	s_and_saveexec_b64 s[6:7], s[4:5]
	s_cbranch_execz .LBB15_204
.LBB15_203:
	v_bfe_u32 v2, v8, 8, 3
	v_ffbh_u32_e32 v7, v2
	v_min_u32_e32 v7, 32, v7
	v_lshrrev_b16_e32 v6, 3, v3
	v_subrev_u32_e32 v12, 28, v7
	v_and_b32_e32 v6, 15, v6
	v_lshlrev_b32_e32 v3, v12, v3
	v_sub_u32_e32 v7, 29, v7
	v_and_b32_e32 v3, 7, v3
	v_cmp_eq_u16_e32 vcc, 0, v6
	v_cndmask_b32_e32 v2, v2, v3, vcc
	v_cndmask_b32_e32 v3, v6, v7, vcc
	v_lshlrev_b32_e32 v6, 16, v8
	v_mov_b32_e32 v7, 0x3b800000
	v_lshlrev_b32_e32 v2, 20, v2
	v_and_b32_e32 v6, 0x80000000, v6
	v_lshl_add_u32 v3, v3, 23, v7
	v_or3_b32 v2, v6, v3, v2
.LBB15_204:
	s_or_b64 exec, exec, s[6:7]
	v_lshrrev_b32_e32 v3, 8, v4
	s_movk_i32 s4, 0x7f
	v_cmp_gt_i16_sdwa s[6:7], v3, s4 src0_sel:BYTE_0 src1_sel:DWORD
	s_mov_b64 s[4:5], 0
                                        ; implicit-def: $sgpr10
	s_and_saveexec_b64 s[8:9], s[6:7]
	s_xor_b64 s[6:7], exec, s[8:9]
	s_cbranch_execnz .LBB15_2253
; %bb.205:
	s_or_saveexec_b64 s[6:7], s[6:7]
	v_mov_b32_e32 v6, s10
	s_xor_b64 exec, exec, s[6:7]
	s_cbranch_execnz .LBB15_2256
.LBB15_206:
	s_or_b64 exec, exec, s[6:7]
	s_and_saveexec_b64 s[6:7], s[4:5]
	s_cbranch_execz .LBB15_208
.LBB15_207:
	v_bfe_u32 v6, v4, 8, 3
	v_ffbh_u32_e32 v12, v6
	v_min_u32_e32 v12, 32, v12
	v_lshrrev_b16_e32 v7, 3, v3
	v_subrev_u32_e32 v13, 28, v12
	v_and_b32_e32 v7, 15, v7
	v_lshlrev_b32_e32 v3, v13, v3
	v_sub_u32_e32 v12, 29, v12
	v_and_b32_e32 v3, 7, v3
	v_cmp_eq_u16_e32 vcc, 0, v7
	v_cndmask_b32_e32 v3, v6, v3, vcc
	v_cndmask_b32_e32 v6, v7, v12, vcc
	v_lshlrev_b32_e32 v7, 16, v4
	v_mov_b32_e32 v12, 0x3b800000
	v_lshlrev_b32_e32 v3, 20, v3
	v_and_b32_e32 v7, 0x80000000, v7
	v_lshl_add_u32 v6, v6, 23, v12
	v_or3_b32 v6, v7, v6, v3
.LBB15_208:
	s_or_b64 exec, exec, s[6:7]
	s_nop 0
	v_mfma_f32_16x16x4f32 a[0:3], v2, v6, a[0:3]
	s_movk_i32 s4, 0xff
	v_and_b32_sdwa v3, v8, s4 dst_sel:DWORD dst_unused:UNUSED_PAD src0_sel:WORD_1 src1_sel:DWORD
	s_movk_i32 s4, 0x7f
	v_cmp_lt_i16_e32 vcc, s4, v3
	s_mov_b64 s[4:5], 0
                                        ; implicit-def: $sgpr10
	s_and_saveexec_b64 s[6:7], vcc
	s_xor_b64 s[6:7], exec, s[6:7]
	s_cbranch_execnz .LBB15_2257
; %bb.209:
	s_or_saveexec_b64 s[6:7], s[6:7]
	v_mov_b32_e32 v2, s10
	s_xor_b64 exec, exec, s[6:7]
	s_cbranch_execnz .LBB15_2260
.LBB15_210:
	s_or_b64 exec, exec, s[6:7]
	s_and_saveexec_b64 s[6:7], s[4:5]
	s_cbranch_execz .LBB15_212
.LBB15_211:
	v_bfe_u32 v2, v8, 16, 3
	v_ffbh_u32_e32 v7, v2
	v_min_u32_e32 v7, 32, v7
	v_lshrrev_b32_e32 v3, 19, v8
	v_subrev_u32_e32 v12, 28, v7
	v_and_b32_e32 v3, 15, v3
	v_lshlrev_b32_sdwa v12, v12, v8 dst_sel:DWORD dst_unused:UNUSED_PAD src0_sel:DWORD src1_sel:WORD_1
	v_bfe_u32 v6, v8, 19, 4
	v_sub_u32_e32 v7, 29, v7
	v_and_b32_e32 v12, 7, v12
	v_cmp_eq_u16_e32 vcc, 0, v3
	v_cndmask_b32_e32 v2, v2, v12, vcc
	v_cndmask_b32_e32 v3, v6, v7, vcc
	v_lshlrev_b32_e32 v6, 8, v8
	v_mov_b32_e32 v7, 0x3b800000
	v_lshlrev_b32_e32 v2, 20, v2
	v_and_b32_e32 v6, 0x80000000, v6
	v_lshl_add_u32 v3, v3, 23, v7
	v_or3_b32 v2, v6, v3, v2
.LBB15_212:
	s_or_b64 exec, exec, s[6:7]
	s_movk_i32 s4, 0xff
	v_and_b32_sdwa v3, v4, s4 dst_sel:DWORD dst_unused:UNUSED_PAD src0_sel:WORD_1 src1_sel:DWORD
	s_movk_i32 s4, 0x7f
	v_cmp_lt_i16_e32 vcc, s4, v3
	s_mov_b64 s[4:5], 0
                                        ; implicit-def: $sgpr10
	s_and_saveexec_b64 s[6:7], vcc
	s_xor_b64 s[6:7], exec, s[6:7]
	s_cbranch_execnz .LBB15_2261
; %bb.213:
	s_or_saveexec_b64 s[6:7], s[6:7]
	v_mov_b32_e32 v6, s10
	s_xor_b64 exec, exec, s[6:7]
	s_cbranch_execnz .LBB15_2264
.LBB15_214:
	s_or_b64 exec, exec, s[6:7]
	s_and_saveexec_b64 s[6:7], s[4:5]
	s_cbranch_execz .LBB15_216
.LBB15_215:
	v_bfe_u32 v3, v4, 16, 3
	v_ffbh_u32_e32 v12, v3
	v_min_u32_e32 v12, 32, v12
	v_lshrrev_b32_e32 v6, 19, v4
	v_subrev_u32_e32 v13, 28, v12
	v_and_b32_e32 v6, 15, v6
	v_lshlrev_b32_sdwa v13, v13, v4 dst_sel:DWORD dst_unused:UNUSED_PAD src0_sel:DWORD src1_sel:WORD_1
	v_bfe_u32 v7, v4, 19, 4
	v_sub_u32_e32 v12, 29, v12
	v_and_b32_e32 v13, 7, v13
	v_cmp_eq_u16_e32 vcc, 0, v6
	v_cndmask_b32_e32 v3, v3, v13, vcc
	v_cndmask_b32_e32 v6, v7, v12, vcc
	v_lshlrev_b32_e32 v7, 8, v4
	v_mov_b32_e32 v12, 0x3b800000
	v_lshlrev_b32_e32 v3, 20, v3
	v_and_b32_e32 v7, 0x80000000, v7
	v_lshl_add_u32 v6, v6, 23, v12
	v_or3_b32 v6, v7, v6, v3
.LBB15_216:
	s_or_b64 exec, exec, s[6:7]
	s_nop 0
	v_mfma_f32_16x16x4f32 a[0:3], v2, v6, a[0:3]
	s_movk_i32 s4, 0x7f
	v_cmp_gt_i16_sdwa s[6:7], v8, s4 src0_sel:BYTE_3 src1_sel:DWORD
	s_mov_b64 s[4:5], 0
                                        ; implicit-def: $sgpr10
	s_and_saveexec_b64 s[8:9], s[6:7]
	s_xor_b64 s[6:7], exec, s[8:9]
	s_cbranch_execnz .LBB15_2265
; %bb.217:
	s_or_saveexec_b64 s[6:7], s[6:7]
	v_mov_b32_e32 v2, s10
	s_xor_b64 exec, exec, s[6:7]
	s_cbranch_execnz .LBB15_2268
.LBB15_218:
	s_or_b64 exec, exec, s[6:7]
	s_and_saveexec_b64 s[6:7], s[4:5]
	s_cbranch_execz .LBB15_220
.LBB15_219:
	v_bfe_u32 v2, v8, 24, 3
	v_ffbh_u32_e32 v12, v2
	v_min_u32_e32 v12, 32, v12
	v_lshrrev_b32_e32 v6, 27, v8
	v_subrev_u32_e32 v13, 28, v12
	v_and_b32_e32 v3, 0x80000000, v8
	v_and_b32_e32 v6, 15, v6
	v_bfe_u32 v7, v8, 27, 4
	v_lshlrev_b32_sdwa v8, v13, v8 dst_sel:DWORD dst_unused:UNUSED_PAD src0_sel:DWORD src1_sel:BYTE_3
	v_sub_u32_e32 v12, 29, v12
	v_and_b32_e32 v8, 7, v8
	v_cmp_eq_u16_e32 vcc, 0, v6
	v_cndmask_b32_e32 v2, v2, v8, vcc
	v_cndmask_b32_e32 v6, v7, v12, vcc
	v_mov_b32_e32 v7, 0x3b800000
	v_lshlrev_b32_e32 v2, 20, v2
	v_lshl_add_u32 v6, v6, 23, v7
	v_or3_b32 v2, v3, v6, v2
.LBB15_220:
	s_or_b64 exec, exec, s[6:7]
	s_movk_i32 s4, 0x7f
	v_cmp_gt_i16_sdwa s[6:7], v4, s4 src0_sel:BYTE_3 src1_sel:DWORD
	s_mov_b64 s[4:5], 0
                                        ; implicit-def: $sgpr10
	s_and_saveexec_b64 s[8:9], s[6:7]
	s_xor_b64 s[6:7], exec, s[8:9]
	s_cbranch_execnz .LBB15_2269
; %bb.221:
	s_or_saveexec_b64 s[6:7], s[6:7]
	v_mov_b32_e32 v3, s10
	s_xor_b64 exec, exec, s[6:7]
	s_cbranch_execnz .LBB15_2272
.LBB15_222:
	s_or_b64 exec, exec, s[6:7]
	s_and_saveexec_b64 s[6:7], s[4:5]
	s_cbranch_execz .LBB15_224
.LBB15_223:
	v_bfe_u32 v3, v4, 24, 3
	v_ffbh_u32_e32 v12, v3
	v_min_u32_e32 v12, 32, v12
	v_lshrrev_b32_e32 v7, 27, v4
	v_subrev_u32_e32 v13, 28, v12
	v_and_b32_e32 v6, 0x80000000, v4
	v_and_b32_e32 v7, 15, v7
	v_bfe_u32 v8, v4, 27, 4
	v_lshlrev_b32_sdwa v4, v13, v4 dst_sel:DWORD dst_unused:UNUSED_PAD src0_sel:DWORD src1_sel:BYTE_3
	v_sub_u32_e32 v12, 29, v12
	v_and_b32_e32 v4, 7, v4
	v_cmp_eq_u16_e32 vcc, 0, v7
	v_cndmask_b32_e32 v3, v3, v4, vcc
	v_cndmask_b32_e32 v4, v8, v12, vcc
	v_mov_b32_e32 v7, 0x3b800000
	v_lshlrev_b32_e32 v3, 20, v3
	v_lshl_add_u32 v4, v4, 23, v7
	v_or3_b32 v3, v6, v4, v3
.LBB15_224:
	s_or_b64 exec, exec, s[6:7]
	s_nop 0
	v_mfma_f32_16x16x4f32 a[0:3], v2, v3, a[0:3]
	s_movk_i32 s4, 0x7f
	v_cmp_gt_i16_sdwa s[6:7], v9, s4 src0_sel:BYTE_0 src1_sel:DWORD
	s_mov_b64 s[4:5], 0
                                        ; implicit-def: $sgpr10
	s_and_saveexec_b64 s[8:9], s[6:7]
	s_xor_b64 s[6:7], exec, s[8:9]
	s_cbranch_execnz .LBB15_2273
; %bb.225:
	s_or_saveexec_b64 s[6:7], s[6:7]
	v_mov_b32_e32 v2, s10
	s_xor_b64 exec, exec, s[6:7]
	s_cbranch_execnz .LBB15_2276
.LBB15_226:
	s_or_b64 exec, exec, s[6:7]
	s_and_saveexec_b64 s[6:7], s[4:5]
	s_cbranch_execz .LBB15_228
.LBB15_227:
	v_mov_b32_e32 v2, 8
	v_and_b32_e32 v3, 7, v9
	v_lshrrev_b32_sdwa v2, v2, v9 dst_sel:BYTE_1 dst_unused:UNUSED_PAD src0_sel:DWORD src1_sel:DWORD
	v_ffbh_u32_e32 v4, v3
	v_or_b32_sdwa v2, v9, v2 dst_sel:DWORD dst_unused:UNUSED_PAD src0_sel:BYTE_0 src1_sel:DWORD
	v_min_u32_e32 v4, 32, v4
	v_lshrrev_b16_e32 v2, 3, v2
	v_subrev_u32_e32 v6, 28, v4
	v_and_b32_e32 v2, 15, v2
	v_lshlrev_b32_e32 v6, v6, v9
	v_sub_u32_e32 v4, 29, v4
	v_and_b32_e32 v6, 7, v6
	v_cmp_eq_u16_e32 vcc, 0, v2
	v_cndmask_b32_e32 v3, v3, v6, vcc
	v_cndmask_b32_e32 v2, v2, v4, vcc
	v_lshlrev_b32_e32 v4, 24, v9
	v_mov_b32_e32 v6, 0x3b800000
	v_lshlrev_b32_e32 v3, 20, v3
	v_and_b32_e32 v4, 0x80000000, v4
	v_lshl_add_u32 v2, v2, 23, v6
	v_or3_b32 v2, v4, v2, v3
.LBB15_228:
	s_or_b64 exec, exec, s[6:7]
	s_movk_i32 s4, 0x7f
	v_cmp_gt_i16_sdwa s[6:7], v5, s4 src0_sel:BYTE_0 src1_sel:DWORD
	s_mov_b64 s[4:5], 0
                                        ; implicit-def: $sgpr10
	s_and_saveexec_b64 s[8:9], s[6:7]
	s_xor_b64 s[6:7], exec, s[8:9]
	s_cbranch_execnz .LBB15_2277
; %bb.229:
	s_or_saveexec_b64 s[6:7], s[6:7]
	v_mov_b32_e32 v3, s10
	s_xor_b64 exec, exec, s[6:7]
	s_cbranch_execnz .LBB15_2280
.LBB15_230:
	s_or_b64 exec, exec, s[6:7]
	s_and_saveexec_b64 s[6:7], s[4:5]
	s_cbranch_execz .LBB15_232
.LBB15_231:
	v_mov_b32_e32 v3, 8
	v_and_b32_e32 v4, 7, v5
	v_lshrrev_b32_sdwa v3, v3, v5 dst_sel:BYTE_1 dst_unused:UNUSED_PAD src0_sel:DWORD src1_sel:DWORD
	v_ffbh_u32_e32 v6, v4
	v_or_b32_sdwa v3, v5, v3 dst_sel:DWORD dst_unused:UNUSED_PAD src0_sel:BYTE_0 src1_sel:DWORD
	v_min_u32_e32 v6, 32, v6
	v_lshrrev_b16_e32 v3, 3, v3
	v_subrev_u32_e32 v7, 28, v6
	v_and_b32_e32 v3, 15, v3
	v_lshlrev_b32_e32 v7, v7, v5
	v_sub_u32_e32 v6, 29, v6
	v_and_b32_e32 v7, 7, v7
	v_cmp_eq_u16_e32 vcc, 0, v3
	v_cndmask_b32_e32 v4, v4, v7, vcc
	v_cndmask_b32_e32 v3, v3, v6, vcc
	v_lshlrev_b32_e32 v6, 24, v5
	v_mov_b32_e32 v7, 0x3b800000
	v_lshlrev_b32_e32 v4, 20, v4
	v_and_b32_e32 v6, 0x80000000, v6
	v_lshl_add_u32 v3, v3, 23, v7
	v_or3_b32 v3, v6, v3, v4
.LBB15_232:
	s_or_b64 exec, exec, s[6:7]
	s_nop 0
	v_mfma_f32_16x16x4f32 a[0:3], v2, v3, a[0:3]
	v_lshrrev_b32_e32 v3, 8, v9
	s_movk_i32 s4, 0x7f
	v_cmp_gt_i16_sdwa s[6:7], v3, s4 src0_sel:BYTE_0 src1_sel:DWORD
	s_mov_b64 s[4:5], 0
                                        ; implicit-def: $sgpr10
	s_and_saveexec_b64 s[8:9], s[6:7]
	s_xor_b64 s[6:7], exec, s[8:9]
	s_cbranch_execnz .LBB15_2281
; %bb.233:
	s_or_saveexec_b64 s[6:7], s[6:7]
	v_mov_b32_e32 v2, s10
	s_xor_b64 exec, exec, s[6:7]
	s_cbranch_execnz .LBB15_2284
.LBB15_234:
	s_or_b64 exec, exec, s[6:7]
	s_and_saveexec_b64 s[6:7], s[4:5]
	s_cbranch_execz .LBB15_236
.LBB15_235:
	v_bfe_u32 v2, v9, 8, 3
	v_ffbh_u32_e32 v6, v2
	v_min_u32_e32 v6, 32, v6
	v_lshrrev_b16_e32 v4, 3, v3
	v_subrev_u32_e32 v7, 28, v6
	v_and_b32_e32 v4, 15, v4
	v_lshlrev_b32_e32 v3, v7, v3
	v_sub_u32_e32 v6, 29, v6
	v_and_b32_e32 v3, 7, v3
	v_cmp_eq_u16_e32 vcc, 0, v4
	v_cndmask_b32_e32 v2, v2, v3, vcc
	v_cndmask_b32_e32 v3, v4, v6, vcc
	v_lshlrev_b32_e32 v4, 16, v9
	v_mov_b32_e32 v6, 0x3b800000
	v_lshlrev_b32_e32 v2, 20, v2
	v_and_b32_e32 v4, 0x80000000, v4
	v_lshl_add_u32 v3, v3, 23, v6
	v_or3_b32 v2, v4, v3, v2
.LBB15_236:
	s_or_b64 exec, exec, s[6:7]
	v_lshrrev_b32_e32 v3, 8, v5
	s_movk_i32 s4, 0x7f
	v_cmp_gt_i16_sdwa s[6:7], v3, s4 src0_sel:BYTE_0 src1_sel:DWORD
	s_mov_b64 s[4:5], 0
                                        ; implicit-def: $sgpr10
	s_and_saveexec_b64 s[8:9], s[6:7]
	s_xor_b64 s[6:7], exec, s[8:9]
	s_cbranch_execnz .LBB15_2285
; %bb.237:
	s_or_saveexec_b64 s[6:7], s[6:7]
	v_mov_b32_e32 v4, s10
	s_xor_b64 exec, exec, s[6:7]
	s_cbranch_execnz .LBB15_2288
.LBB15_238:
	s_or_b64 exec, exec, s[6:7]
	s_and_saveexec_b64 s[6:7], s[4:5]
	s_cbranch_execz .LBB15_240
.LBB15_239:
	v_bfe_u32 v4, v5, 8, 3
	v_ffbh_u32_e32 v7, v4
	v_min_u32_e32 v7, 32, v7
	v_lshrrev_b16_e32 v6, 3, v3
	v_subrev_u32_e32 v8, 28, v7
	v_and_b32_e32 v6, 15, v6
	v_lshlrev_b32_e32 v3, v8, v3
	v_sub_u32_e32 v7, 29, v7
	v_and_b32_e32 v3, 7, v3
	v_cmp_eq_u16_e32 vcc, 0, v6
	v_cndmask_b32_e32 v3, v4, v3, vcc
	v_cndmask_b32_e32 v4, v6, v7, vcc
	v_lshlrev_b32_e32 v6, 16, v5
	v_mov_b32_e32 v7, 0x3b800000
	v_lshlrev_b32_e32 v3, 20, v3
	v_and_b32_e32 v6, 0x80000000, v6
	v_lshl_add_u32 v4, v4, 23, v7
	v_or3_b32 v4, v6, v4, v3
.LBB15_240:
	s_or_b64 exec, exec, s[6:7]
	s_nop 0
	v_mfma_f32_16x16x4f32 a[0:3], v2, v4, a[0:3]
	s_movk_i32 s4, 0xff
	v_and_b32_sdwa v3, v9, s4 dst_sel:DWORD dst_unused:UNUSED_PAD src0_sel:WORD_1 src1_sel:DWORD
	s_movk_i32 s4, 0x7f
	v_cmp_lt_i16_e32 vcc, s4, v3
	s_mov_b64 s[4:5], 0
                                        ; implicit-def: $sgpr10
	s_and_saveexec_b64 s[6:7], vcc
	s_xor_b64 s[6:7], exec, s[6:7]
	s_cbranch_execnz .LBB15_2289
; %bb.241:
	s_or_saveexec_b64 s[6:7], s[6:7]
	v_mov_b32_e32 v2, s10
	s_xor_b64 exec, exec, s[6:7]
	s_cbranch_execnz .LBB15_2292
.LBB15_242:
	s_or_b64 exec, exec, s[6:7]
	s_and_saveexec_b64 s[6:7], s[4:5]
	s_cbranch_execz .LBB15_244
.LBB15_243:
	v_bfe_u32 v2, v9, 16, 3
	v_ffbh_u32_e32 v6, v2
	v_min_u32_e32 v6, 32, v6
	v_lshrrev_b32_e32 v3, 19, v9
	v_subrev_u32_e32 v7, 28, v6
	v_and_b32_e32 v3, 15, v3
	v_lshlrev_b32_sdwa v7, v7, v9 dst_sel:DWORD dst_unused:UNUSED_PAD src0_sel:DWORD src1_sel:WORD_1
	v_bfe_u32 v4, v9, 19, 4
	v_sub_u32_e32 v6, 29, v6
	v_and_b32_e32 v7, 7, v7
	v_cmp_eq_u16_e32 vcc, 0, v3
	v_cndmask_b32_e32 v2, v2, v7, vcc
	v_cndmask_b32_e32 v3, v4, v6, vcc
	v_lshlrev_b32_e32 v4, 8, v9
	v_mov_b32_e32 v6, 0x3b800000
	v_lshlrev_b32_e32 v2, 20, v2
	v_and_b32_e32 v4, 0x80000000, v4
	v_lshl_add_u32 v3, v3, 23, v6
	v_or3_b32 v2, v4, v3, v2
.LBB15_244:
	s_or_b64 exec, exec, s[6:7]
	s_movk_i32 s4, 0xff
	v_and_b32_sdwa v3, v5, s4 dst_sel:DWORD dst_unused:UNUSED_PAD src0_sel:WORD_1 src1_sel:DWORD
	s_movk_i32 s4, 0x7f
	v_cmp_lt_i16_e32 vcc, s4, v3
	s_mov_b64 s[4:5], 0
                                        ; implicit-def: $sgpr10
	s_and_saveexec_b64 s[6:7], vcc
	s_xor_b64 s[6:7], exec, s[6:7]
	s_cbranch_execnz .LBB15_2293
; %bb.245:
	s_or_saveexec_b64 s[6:7], s[6:7]
	v_mov_b32_e32 v4, s10
	s_xor_b64 exec, exec, s[6:7]
	s_cbranch_execnz .LBB15_2296
.LBB15_246:
	s_or_b64 exec, exec, s[6:7]
	s_and_saveexec_b64 s[6:7], s[4:5]
	s_cbranch_execz .LBB15_248
.LBB15_247:
	v_bfe_u32 v3, v5, 16, 3
	v_ffbh_u32_e32 v7, v3
	v_min_u32_e32 v7, 32, v7
	v_lshrrev_b32_e32 v4, 19, v5
	v_subrev_u32_e32 v8, 28, v7
	v_and_b32_e32 v4, 15, v4
	v_lshlrev_b32_sdwa v8, v8, v5 dst_sel:DWORD dst_unused:UNUSED_PAD src0_sel:DWORD src1_sel:WORD_1
	v_bfe_u32 v6, v5, 19, 4
	v_sub_u32_e32 v7, 29, v7
	v_and_b32_e32 v8, 7, v8
	v_cmp_eq_u16_e32 vcc, 0, v4
	v_cndmask_b32_e32 v3, v3, v8, vcc
	v_cndmask_b32_e32 v4, v6, v7, vcc
	v_lshlrev_b32_e32 v6, 8, v5
	v_mov_b32_e32 v7, 0x3b800000
	v_lshlrev_b32_e32 v3, 20, v3
	v_and_b32_e32 v6, 0x80000000, v6
	v_lshl_add_u32 v4, v4, 23, v7
	v_or3_b32 v4, v6, v4, v3
.LBB15_248:
	s_or_b64 exec, exec, s[6:7]
	s_nop 0
	v_mfma_f32_16x16x4f32 a[0:3], v2, v4, a[0:3]
	s_movk_i32 s4, 0x7f
	v_cmp_gt_i16_sdwa s[6:7], v9, s4 src0_sel:BYTE_3 src1_sel:DWORD
	s_mov_b64 s[4:5], 0
                                        ; implicit-def: $sgpr10
	s_and_saveexec_b64 s[8:9], s[6:7]
	s_xor_b64 s[6:7], exec, s[8:9]
	s_cbranch_execnz .LBB15_2297
; %bb.249:
	s_or_saveexec_b64 s[6:7], s[6:7]
	v_mov_b32_e32 v2, s10
	s_xor_b64 exec, exec, s[6:7]
	s_cbranch_execnz .LBB15_2300
.LBB15_250:
	s_or_b64 exec, exec, s[6:7]
	s_and_saveexec_b64 s[6:7], s[4:5]
	s_cbranch_execz .LBB15_252
.LBB15_251:
	v_bfe_u32 v2, v9, 24, 3
	v_ffbh_u32_e32 v7, v2
	v_min_u32_e32 v7, 32, v7
	v_lshrrev_b32_e32 v4, 27, v9
	v_subrev_u32_e32 v8, 28, v7
	v_and_b32_e32 v4, 15, v4
	v_lshlrev_b32_sdwa v8, v8, v9 dst_sel:DWORD dst_unused:UNUSED_PAD src0_sel:DWORD src1_sel:BYTE_3
	v_bfe_u32 v6, v9, 27, 4
	v_sub_u32_e32 v7, 29, v7
	v_and_b32_e32 v8, 7, v8
	v_cmp_eq_u16_e32 vcc, 0, v4
	v_cndmask_b32_e32 v2, v2, v8, vcc
	v_cndmask_b32_e32 v4, v6, v7, vcc
	v_mov_b32_e32 v6, 0x3b800000
	v_and_b32_e32 v3, 0x80000000, v9
	v_lshlrev_b32_e32 v2, 20, v2
	v_lshl_add_u32 v4, v4, 23, v6
	v_or3_b32 v2, v3, v4, v2
.LBB15_252:
	s_or_b64 exec, exec, s[6:7]
	s_movk_i32 s4, 0x7f
	v_cmp_gt_i16_sdwa s[6:7], v5, s4 src0_sel:BYTE_3 src1_sel:DWORD
	s_mov_b64 s[4:5], 0
                                        ; implicit-def: $sgpr10
	s_and_saveexec_b64 s[8:9], s[6:7]
	s_xor_b64 s[6:7], exec, s[8:9]
	s_cbranch_execnz .LBB15_2301
; %bb.253:
	s_or_saveexec_b64 s[6:7], s[6:7]
	v_mov_b32_e32 v3, s10
	s_xor_b64 exec, exec, s[6:7]
	s_cbranch_execnz .LBB15_2304
.LBB15_254:
	s_or_b64 exec, exec, s[6:7]
	s_and_saveexec_b64 s[6:7], s[4:5]
	s_cbranch_execz .LBB15_256
.LBB15_255:
	v_bfe_u32 v3, v5, 24, 3
	v_ffbh_u32_e32 v8, v3
	v_min_u32_e32 v8, 32, v8
	v_lshrrev_b32_e32 v6, 27, v5
	v_subrev_u32_e32 v9, 28, v8
	v_and_b32_e32 v4, 0x80000000, v5
	v_and_b32_e32 v6, 15, v6
	v_bfe_u32 v7, v5, 27, 4
	v_lshlrev_b32_sdwa v5, v9, v5 dst_sel:DWORD dst_unused:UNUSED_PAD src0_sel:DWORD src1_sel:BYTE_3
	v_sub_u32_e32 v8, 29, v8
	v_and_b32_e32 v5, 7, v5
	v_cmp_eq_u16_e32 vcc, 0, v6
	v_cndmask_b32_e32 v3, v3, v5, vcc
	v_cndmask_b32_e32 v5, v7, v8, vcc
	v_mov_b32_e32 v6, 0x3b800000
	v_lshlrev_b32_e32 v3, 20, v3
	v_lshl_add_u32 v5, v5, 23, v6
	v_or3_b32 v3, v4, v5, v3
.LBB15_256:
	s_or_b64 exec, exec, s[6:7]
	s_nop 0
	v_mfma_f32_16x16x4f32 a[0:3], v2, v3, a[0:3]
	s_movk_i32 s4, 0x7f
                                        ; implicit-def: $sgpr10
	s_nop 7
	s_nop 1
	flat_store_dwordx4 v[10:11], a[0:3] offset:16
	flat_load_dwordx4 v[12:15], v[0:1] offset:8
	s_nop 0
	flat_load_dwordx2 v[10:11], v[0:1] offset:32
	s_waitcnt vmcnt(0) lgkmcnt(0)
	flat_load_dwordx4 v[6:9], v[12:13] offset:16
	flat_load_dwordx4 v[2:5], v[14:15] offset:80
	s_waitcnt vmcnt(0) lgkmcnt(0)
	v_cmp_gt_i16_sdwa s[6:7], v6, s4 src0_sel:BYTE_0 src1_sel:DWORD
	s_mov_b64 s[4:5], 0
	s_and_saveexec_b64 s[8:9], s[6:7]
	s_xor_b64 s[6:7], exec, s[8:9]
	s_cbranch_execnz .LBB15_2305
; %bb.257:
	s_or_saveexec_b64 s[6:7], s[6:7]
	v_mov_b32_e32 v12, s10
	s_xor_b64 exec, exec, s[6:7]
	s_cbranch_execnz .LBB15_2308
.LBB15_258:
	s_or_b64 exec, exec, s[6:7]
	s_and_saveexec_b64 s[6:7], s[4:5]
	s_cbranch_execz .LBB15_260
.LBB15_259:
	v_and_b32_e32 v12, 7, v6
	v_ffbh_u32_e32 v14, v12
	v_min_u32_e32 v14, 32, v14
	v_lshrrev_b16_e32 v13, 3, v6
	v_subrev_u32_e32 v15, 28, v14
	v_and_b32_e32 v13, 15, v13
	v_lshlrev_b32_e32 v15, v15, v6
	v_sub_u32_e32 v14, 29, v14
	v_and_b32_e32 v15, 7, v15
	v_cmp_eq_u16_e32 vcc, 0, v13
	v_cndmask_b32_e32 v12, v12, v15, vcc
	v_cndmask_b32_e32 v13, v13, v14, vcc
	v_lshlrev_b32_e32 v14, 24, v6
	v_mov_b32_e32 v15, 0x3b800000
	v_lshlrev_b32_e32 v12, 20, v12
	v_and_b32_e32 v14, 0x80000000, v14
	v_lshl_add_u32 v13, v13, 23, v15
	v_or3_b32 v12, v14, v13, v12
.LBB15_260:
	s_or_b64 exec, exec, s[6:7]
	s_movk_i32 s4, 0x7f
	v_cmp_gt_i16_sdwa s[6:7], v2, s4 src0_sel:BYTE_0 src1_sel:DWORD
	s_mov_b64 s[4:5], 0
                                        ; implicit-def: $sgpr10
	s_and_saveexec_b64 s[8:9], s[6:7]
	s_xor_b64 s[6:7], exec, s[8:9]
	s_cbranch_execnz .LBB15_2309
; %bb.261:
	s_or_saveexec_b64 s[6:7], s[6:7]
	v_mov_b32_e32 v13, s10
	s_xor_b64 exec, exec, s[6:7]
	s_cbranch_execnz .LBB15_2312
.LBB15_262:
	s_or_b64 exec, exec, s[6:7]
	s_and_saveexec_b64 s[6:7], s[4:5]
	s_cbranch_execz .LBB15_264
.LBB15_263:
	v_and_b32_e32 v13, 7, v2
	v_ffbh_u32_e32 v15, v13
	v_min_u32_e32 v15, 32, v15
	v_lshrrev_b16_e32 v14, 3, v2
	v_subrev_u32_e32 v16, 28, v15
	v_and_b32_e32 v14, 15, v14
	v_lshlrev_b32_e32 v16, v16, v2
	v_sub_u32_e32 v15, 29, v15
	v_and_b32_e32 v16, 7, v16
	v_cmp_eq_u16_e32 vcc, 0, v14
	v_cndmask_b32_e32 v13, v13, v16, vcc
	v_cndmask_b32_e32 v14, v14, v15, vcc
	v_lshlrev_b32_e32 v15, 24, v2
	v_mov_b32_e32 v16, 0x3b800000
	v_lshlrev_b32_e32 v13, 20, v13
	v_and_b32_e32 v15, 0x80000000, v15
	v_lshl_add_u32 v14, v14, 23, v16
	v_or3_b32 v13, v15, v14, v13
.LBB15_264:
	s_or_b64 exec, exec, s[6:7]
	flat_load_dwordx4 a[0:3], v[10:11] offset:32
	s_movk_i32 s4, 0x7f
                                        ; implicit-def: $sgpr10
	s_waitcnt vmcnt(0) lgkmcnt(0)
	v_mfma_f32_16x16x4f32 a[0:3], v12, v13, a[0:3]
	v_lshrrev_b32_e32 v13, 8, v6
	v_cmp_gt_i16_sdwa s[6:7], v13, s4 src0_sel:BYTE_0 src1_sel:DWORD
	s_mov_b64 s[4:5], 0
	s_and_saveexec_b64 s[8:9], s[6:7]
	s_xor_b64 s[6:7], exec, s[8:9]
	s_cbranch_execnz .LBB15_2313
; %bb.265:
	s_or_saveexec_b64 s[6:7], s[6:7]
	v_mov_b32_e32 v12, s10
	s_xor_b64 exec, exec, s[6:7]
	s_cbranch_execnz .LBB15_2316
.LBB15_266:
	s_or_b64 exec, exec, s[6:7]
	s_and_saveexec_b64 s[6:7], s[4:5]
	s_cbranch_execz .LBB15_268
.LBB15_267:
	v_bfe_u32 v12, v6, 8, 3
	v_ffbh_u32_e32 v15, v12
	v_min_u32_e32 v15, 32, v15
	v_lshrrev_b16_e32 v14, 3, v13
	v_subrev_u32_e32 v16, 28, v15
	v_and_b32_e32 v14, 15, v14
	v_lshlrev_b32_e32 v13, v16, v13
	v_sub_u32_e32 v15, 29, v15
	v_and_b32_e32 v13, 7, v13
	v_cmp_eq_u16_e32 vcc, 0, v14
	v_cndmask_b32_e32 v12, v12, v13, vcc
	v_cndmask_b32_e32 v13, v14, v15, vcc
	v_lshlrev_b32_e32 v14, 16, v6
	v_mov_b32_e32 v15, 0x3b800000
	v_lshlrev_b32_e32 v12, 20, v12
	v_and_b32_e32 v14, 0x80000000, v14
	v_lshl_add_u32 v13, v13, 23, v15
	v_or3_b32 v12, v14, v13, v12
.LBB15_268:
	s_or_b64 exec, exec, s[6:7]
	v_lshrrev_b32_e32 v13, 8, v2
	s_movk_i32 s4, 0x7f
	v_cmp_gt_i16_sdwa s[6:7], v13, s4 src0_sel:BYTE_0 src1_sel:DWORD
	s_mov_b64 s[4:5], 0
                                        ; implicit-def: $sgpr10
	s_and_saveexec_b64 s[8:9], s[6:7]
	s_xor_b64 s[6:7], exec, s[8:9]
	s_cbranch_execnz .LBB15_2317
; %bb.269:
	s_or_saveexec_b64 s[6:7], s[6:7]
	v_mov_b32_e32 v14, s10
	s_xor_b64 exec, exec, s[6:7]
	s_cbranch_execnz .LBB15_2320
.LBB15_270:
	s_or_b64 exec, exec, s[6:7]
	s_and_saveexec_b64 s[6:7], s[4:5]
	s_cbranch_execz .LBB15_272
.LBB15_271:
	v_bfe_u32 v14, v2, 8, 3
	v_ffbh_u32_e32 v16, v14
	v_min_u32_e32 v16, 32, v16
	v_lshrrev_b16_e32 v15, 3, v13
	v_subrev_u32_e32 v17, 28, v16
	v_and_b32_e32 v15, 15, v15
	v_lshlrev_b32_e32 v13, v17, v13
	v_sub_u32_e32 v16, 29, v16
	v_and_b32_e32 v13, 7, v13
	v_cmp_eq_u16_e32 vcc, 0, v15
	v_cndmask_b32_e32 v13, v14, v13, vcc
	v_cndmask_b32_e32 v14, v15, v16, vcc
	v_lshlrev_b32_e32 v15, 16, v2
	v_mov_b32_e32 v16, 0x3b800000
	v_lshlrev_b32_e32 v13, 20, v13
	v_and_b32_e32 v15, 0x80000000, v15
	v_lshl_add_u32 v14, v14, 23, v16
	v_or3_b32 v14, v15, v14, v13
.LBB15_272:
	s_or_b64 exec, exec, s[6:7]
	s_nop 0
	v_mfma_f32_16x16x4f32 a[0:3], v12, v14, a[0:3]
	s_movk_i32 s4, 0xff
	v_and_b32_sdwa v13, v6, s4 dst_sel:DWORD dst_unused:UNUSED_PAD src0_sel:WORD_1 src1_sel:DWORD
	s_movk_i32 s4, 0x7f
	v_cmp_lt_i16_e32 vcc, s4, v13
	s_mov_b64 s[4:5], 0
                                        ; implicit-def: $sgpr10
	s_and_saveexec_b64 s[6:7], vcc
	s_xor_b64 s[6:7], exec, s[6:7]
	s_cbranch_execnz .LBB15_2321
; %bb.273:
	s_or_saveexec_b64 s[6:7], s[6:7]
	v_mov_b32_e32 v12, s10
	s_xor_b64 exec, exec, s[6:7]
	s_cbranch_execnz .LBB15_2324
.LBB15_274:
	s_or_b64 exec, exec, s[6:7]
	s_and_saveexec_b64 s[6:7], s[4:5]
	s_cbranch_execz .LBB15_276
.LBB15_275:
	v_bfe_u32 v12, v6, 16, 3
	v_ffbh_u32_e32 v15, v12
	v_min_u32_e32 v15, 32, v15
	v_lshrrev_b32_e32 v13, 19, v6
	v_subrev_u32_e32 v16, 28, v15
	v_and_b32_e32 v13, 15, v13
	v_lshlrev_b32_sdwa v16, v16, v6 dst_sel:DWORD dst_unused:UNUSED_PAD src0_sel:DWORD src1_sel:WORD_1
	v_bfe_u32 v14, v6, 19, 4
	v_sub_u32_e32 v15, 29, v15
	v_and_b32_e32 v16, 7, v16
	v_cmp_eq_u16_e32 vcc, 0, v13
	v_cndmask_b32_e32 v12, v12, v16, vcc
	v_cndmask_b32_e32 v13, v14, v15, vcc
	v_lshlrev_b32_e32 v14, 8, v6
	v_mov_b32_e32 v15, 0x3b800000
	v_lshlrev_b32_e32 v12, 20, v12
	v_and_b32_e32 v14, 0x80000000, v14
	v_lshl_add_u32 v13, v13, 23, v15
	v_or3_b32 v12, v14, v13, v12
.LBB15_276:
	s_or_b64 exec, exec, s[6:7]
	s_movk_i32 s4, 0xff
	v_and_b32_sdwa v13, v2, s4 dst_sel:DWORD dst_unused:UNUSED_PAD src0_sel:WORD_1 src1_sel:DWORD
	s_movk_i32 s4, 0x7f
	v_cmp_lt_i16_e32 vcc, s4, v13
	s_mov_b64 s[4:5], 0
                                        ; implicit-def: $sgpr10
	s_and_saveexec_b64 s[6:7], vcc
	s_xor_b64 s[6:7], exec, s[6:7]
	s_cbranch_execnz .LBB15_2325
; %bb.277:
	s_or_saveexec_b64 s[6:7], s[6:7]
	v_mov_b32_e32 v14, s10
	s_xor_b64 exec, exec, s[6:7]
	s_cbranch_execnz .LBB15_2328
.LBB15_278:
	s_or_b64 exec, exec, s[6:7]
	s_and_saveexec_b64 s[6:7], s[4:5]
	s_cbranch_execz .LBB15_280
.LBB15_279:
	v_bfe_u32 v13, v2, 16, 3
	v_ffbh_u32_e32 v16, v13
	v_min_u32_e32 v16, 32, v16
	v_lshrrev_b32_e32 v14, 19, v2
	v_subrev_u32_e32 v17, 28, v16
	v_and_b32_e32 v14, 15, v14
	v_lshlrev_b32_sdwa v17, v17, v2 dst_sel:DWORD dst_unused:UNUSED_PAD src0_sel:DWORD src1_sel:WORD_1
	v_bfe_u32 v15, v2, 19, 4
	v_sub_u32_e32 v16, 29, v16
	v_and_b32_e32 v17, 7, v17
	v_cmp_eq_u16_e32 vcc, 0, v14
	v_cndmask_b32_e32 v13, v13, v17, vcc
	v_cndmask_b32_e32 v14, v15, v16, vcc
	v_lshlrev_b32_e32 v15, 8, v2
	v_mov_b32_e32 v16, 0x3b800000
	v_lshlrev_b32_e32 v13, 20, v13
	v_and_b32_e32 v15, 0x80000000, v15
	v_lshl_add_u32 v14, v14, 23, v16
	v_or3_b32 v14, v15, v14, v13
.LBB15_280:
	s_or_b64 exec, exec, s[6:7]
	s_nop 0
	v_mfma_f32_16x16x4f32 a[0:3], v12, v14, a[0:3]
	s_movk_i32 s4, 0x7f
	v_cmp_gt_i16_sdwa s[6:7], v6, s4 src0_sel:BYTE_3 src1_sel:DWORD
	s_mov_b64 s[4:5], 0
                                        ; implicit-def: $sgpr10
	s_and_saveexec_b64 s[8:9], s[6:7]
	s_xor_b64 s[6:7], exec, s[8:9]
	s_cbranch_execnz .LBB15_2329
; %bb.281:
	s_or_saveexec_b64 s[6:7], s[6:7]
	v_mov_b32_e32 v12, s10
	s_xor_b64 exec, exec, s[6:7]
	s_cbranch_execnz .LBB15_2332
.LBB15_282:
	s_or_b64 exec, exec, s[6:7]
	s_and_saveexec_b64 s[6:7], s[4:5]
	s_cbranch_execz .LBB15_284
.LBB15_283:
	v_bfe_u32 v12, v6, 24, 3
	v_ffbh_u32_e32 v16, v12
	v_min_u32_e32 v16, 32, v16
	v_lshrrev_b32_e32 v14, 27, v6
	v_subrev_u32_e32 v17, 28, v16
	v_and_b32_e32 v13, 0x80000000, v6
	v_and_b32_e32 v14, 15, v14
	v_bfe_u32 v15, v6, 27, 4
	v_lshlrev_b32_sdwa v6, v17, v6 dst_sel:DWORD dst_unused:UNUSED_PAD src0_sel:DWORD src1_sel:BYTE_3
	v_sub_u32_e32 v16, 29, v16
	v_and_b32_e32 v6, 7, v6
	v_cmp_eq_u16_e32 vcc, 0, v14
	v_cndmask_b32_e32 v6, v12, v6, vcc
	v_cndmask_b32_e32 v12, v15, v16, vcc
	v_mov_b32_e32 v14, 0x3b800000
	v_lshlrev_b32_e32 v6, 20, v6
	v_lshl_add_u32 v12, v12, 23, v14
	v_or3_b32 v12, v13, v12, v6
.LBB15_284:
	s_or_b64 exec, exec, s[6:7]
	s_movk_i32 s4, 0x7f
	v_cmp_gt_i16_sdwa s[6:7], v2, s4 src0_sel:BYTE_3 src1_sel:DWORD
	s_mov_b64 s[4:5], 0
                                        ; implicit-def: $sgpr10
	s_and_saveexec_b64 s[8:9], s[6:7]
	s_xor_b64 s[6:7], exec, s[8:9]
	s_cbranch_execnz .LBB15_2333
; %bb.285:
	s_or_saveexec_b64 s[6:7], s[6:7]
	v_mov_b32_e32 v6, s10
	s_xor_b64 exec, exec, s[6:7]
	s_cbranch_execnz .LBB15_2336
.LBB15_286:
	s_or_b64 exec, exec, s[6:7]
	s_and_saveexec_b64 s[6:7], s[4:5]
	s_cbranch_execz .LBB15_288
.LBB15_287:
	v_bfe_u32 v6, v2, 24, 3
	v_ffbh_u32_e32 v16, v6
	v_min_u32_e32 v16, 32, v16
	v_lshrrev_b32_e32 v14, 27, v2
	v_subrev_u32_e32 v17, 28, v16
	v_and_b32_e32 v13, 0x80000000, v2
	v_and_b32_e32 v14, 15, v14
	v_bfe_u32 v15, v2, 27, 4
	v_lshlrev_b32_sdwa v2, v17, v2 dst_sel:DWORD dst_unused:UNUSED_PAD src0_sel:DWORD src1_sel:BYTE_3
	v_sub_u32_e32 v16, 29, v16
	v_and_b32_e32 v2, 7, v2
	v_cmp_eq_u16_e32 vcc, 0, v14
	v_cndmask_b32_e32 v2, v6, v2, vcc
	v_cndmask_b32_e32 v6, v15, v16, vcc
	v_mov_b32_e32 v14, 0x3b800000
	v_lshlrev_b32_e32 v2, 20, v2
	v_lshl_add_u32 v6, v6, 23, v14
	v_or3_b32 v6, v13, v6, v2
.LBB15_288:
	s_or_b64 exec, exec, s[6:7]
	s_nop 0
	v_mfma_f32_16x16x4f32 a[0:3], v12, v6, a[0:3]
	s_movk_i32 s4, 0x7f
	v_cmp_gt_i16_sdwa s[6:7], v7, s4 src0_sel:BYTE_0 src1_sel:DWORD
	s_mov_b64 s[4:5], 0
                                        ; implicit-def: $sgpr10
	s_and_saveexec_b64 s[8:9], s[6:7]
	s_xor_b64 s[6:7], exec, s[8:9]
	s_cbranch_execnz .LBB15_2337
; %bb.289:
	s_or_saveexec_b64 s[6:7], s[6:7]
	v_mov_b32_e32 v2, s10
	s_xor_b64 exec, exec, s[6:7]
	s_cbranch_execnz .LBB15_2340
.LBB15_290:
	s_or_b64 exec, exec, s[6:7]
	s_and_saveexec_b64 s[6:7], s[4:5]
	s_cbranch_execz .LBB15_292
.LBB15_291:
	v_and_b32_e32 v2, 7, v7
	v_ffbh_u32_e32 v12, v2
	v_min_u32_e32 v12, 32, v12
	v_lshrrev_b16_e32 v6, 3, v7
	v_subrev_u32_e32 v13, 28, v12
	v_and_b32_e32 v6, 15, v6
	v_lshlrev_b32_e32 v13, v13, v7
	v_sub_u32_e32 v12, 29, v12
	v_and_b32_e32 v13, 7, v13
	v_cmp_eq_u16_e32 vcc, 0, v6
	v_cndmask_b32_e32 v2, v2, v13, vcc
	v_cndmask_b32_e32 v6, v6, v12, vcc
	v_lshlrev_b32_e32 v12, 24, v7
	v_mov_b32_e32 v13, 0x3b800000
	v_lshlrev_b32_e32 v2, 20, v2
	v_and_b32_e32 v12, 0x80000000, v12
	v_lshl_add_u32 v6, v6, 23, v13
	v_or3_b32 v2, v12, v6, v2
.LBB15_292:
	s_or_b64 exec, exec, s[6:7]
	s_movk_i32 s4, 0x7f
	v_cmp_gt_i16_sdwa s[6:7], v3, s4 src0_sel:BYTE_0 src1_sel:DWORD
	s_mov_b64 s[4:5], 0
                                        ; implicit-def: $sgpr10
	s_and_saveexec_b64 s[8:9], s[6:7]
	s_xor_b64 s[6:7], exec, s[8:9]
	s_cbranch_execnz .LBB15_2341
; %bb.293:
	s_or_saveexec_b64 s[6:7], s[6:7]
	v_mov_b32_e32 v6, s10
	s_xor_b64 exec, exec, s[6:7]
	s_cbranch_execnz .LBB15_2344
.LBB15_294:
	s_or_b64 exec, exec, s[6:7]
	s_and_saveexec_b64 s[6:7], s[4:5]
	s_cbranch_execz .LBB15_296
.LBB15_295:
	v_and_b32_e32 v6, 7, v3
	v_ffbh_u32_e32 v13, v6
	v_min_u32_e32 v13, 32, v13
	v_lshrrev_b16_e32 v12, 3, v3
	v_subrev_u32_e32 v14, 28, v13
	v_and_b32_e32 v12, 15, v12
	v_lshlrev_b32_e32 v14, v14, v3
	v_sub_u32_e32 v13, 29, v13
	v_and_b32_e32 v14, 7, v14
	v_cmp_eq_u16_e32 vcc, 0, v12
	v_cndmask_b32_e32 v6, v6, v14, vcc
	v_cndmask_b32_e32 v12, v12, v13, vcc
	v_lshlrev_b32_e32 v13, 24, v3
	v_mov_b32_e32 v14, 0x3b800000
	v_lshlrev_b32_e32 v6, 20, v6
	v_and_b32_e32 v13, 0x80000000, v13
	v_lshl_add_u32 v12, v12, 23, v14
	v_or3_b32 v6, v13, v12, v6
.LBB15_296:
	s_or_b64 exec, exec, s[6:7]
	s_nop 0
	v_mfma_f32_16x16x4f32 a[0:3], v2, v6, a[0:3]
	v_lshrrev_b32_e32 v6, 8, v7
	s_movk_i32 s4, 0x7f
	v_cmp_gt_i16_sdwa s[6:7], v6, s4 src0_sel:BYTE_0 src1_sel:DWORD
	s_mov_b64 s[4:5], 0
                                        ; implicit-def: $sgpr10
	s_and_saveexec_b64 s[8:9], s[6:7]
	s_xor_b64 s[6:7], exec, s[8:9]
	s_cbranch_execnz .LBB15_2345
; %bb.297:
	s_or_saveexec_b64 s[6:7], s[6:7]
	v_mov_b32_e32 v2, s10
	s_xor_b64 exec, exec, s[6:7]
	s_cbranch_execnz .LBB15_2348
.LBB15_298:
	s_or_b64 exec, exec, s[6:7]
	s_and_saveexec_b64 s[6:7], s[4:5]
	s_cbranch_execz .LBB15_300
.LBB15_299:
	v_bfe_u32 v2, v7, 8, 3
	v_ffbh_u32_e32 v13, v2
	v_min_u32_e32 v13, 32, v13
	v_lshrrev_b16_e32 v12, 3, v6
	v_subrev_u32_e32 v14, 28, v13
	v_and_b32_e32 v12, 15, v12
	v_lshlrev_b32_e32 v6, v14, v6
	v_sub_u32_e32 v13, 29, v13
	v_and_b32_e32 v6, 7, v6
	v_cmp_eq_u16_e32 vcc, 0, v12
	v_cndmask_b32_e32 v2, v2, v6, vcc
	v_cndmask_b32_e32 v6, v12, v13, vcc
	v_lshlrev_b32_e32 v12, 16, v7
	v_mov_b32_e32 v13, 0x3b800000
	v_lshlrev_b32_e32 v2, 20, v2
	v_and_b32_e32 v12, 0x80000000, v12
	v_lshl_add_u32 v6, v6, 23, v13
	v_or3_b32 v2, v12, v6, v2
.LBB15_300:
	s_or_b64 exec, exec, s[6:7]
	v_lshrrev_b32_e32 v6, 8, v3
	s_movk_i32 s4, 0x7f
	v_cmp_gt_i16_sdwa s[6:7], v6, s4 src0_sel:BYTE_0 src1_sel:DWORD
	s_mov_b64 s[4:5], 0
                                        ; implicit-def: $sgpr10
	s_and_saveexec_b64 s[8:9], s[6:7]
	s_xor_b64 s[6:7], exec, s[8:9]
	s_cbranch_execnz .LBB15_2349
; %bb.301:
	s_or_saveexec_b64 s[6:7], s[6:7]
	v_mov_b32_e32 v12, s10
	s_xor_b64 exec, exec, s[6:7]
	s_cbranch_execnz .LBB15_2352
.LBB15_302:
	s_or_b64 exec, exec, s[6:7]
	s_and_saveexec_b64 s[6:7], s[4:5]
	s_cbranch_execz .LBB15_304
.LBB15_303:
	v_bfe_u32 v12, v3, 8, 3
	v_ffbh_u32_e32 v14, v12
	v_min_u32_e32 v14, 32, v14
	v_lshrrev_b16_e32 v13, 3, v6
	v_subrev_u32_e32 v15, 28, v14
	v_and_b32_e32 v13, 15, v13
	v_lshlrev_b32_e32 v6, v15, v6
	v_sub_u32_e32 v14, 29, v14
	v_and_b32_e32 v6, 7, v6
	v_cmp_eq_u16_e32 vcc, 0, v13
	v_cndmask_b32_e32 v6, v12, v6, vcc
	v_cndmask_b32_e32 v12, v13, v14, vcc
	v_lshlrev_b32_e32 v13, 16, v3
	v_mov_b32_e32 v14, 0x3b800000
	v_lshlrev_b32_e32 v6, 20, v6
	v_and_b32_e32 v13, 0x80000000, v13
	v_lshl_add_u32 v12, v12, 23, v14
	v_or3_b32 v12, v13, v12, v6
.LBB15_304:
	s_or_b64 exec, exec, s[6:7]
	s_nop 0
	v_mfma_f32_16x16x4f32 a[0:3], v2, v12, a[0:3]
	s_movk_i32 s4, 0xff
	v_and_b32_sdwa v6, v7, s4 dst_sel:DWORD dst_unused:UNUSED_PAD src0_sel:WORD_1 src1_sel:DWORD
	s_movk_i32 s4, 0x7f
	v_cmp_lt_i16_e32 vcc, s4, v6
	s_mov_b64 s[4:5], 0
                                        ; implicit-def: $sgpr10
	s_and_saveexec_b64 s[6:7], vcc
	s_xor_b64 s[6:7], exec, s[6:7]
	s_cbranch_execnz .LBB15_2353
; %bb.305:
	s_or_saveexec_b64 s[6:7], s[6:7]
	v_mov_b32_e32 v2, s10
	s_xor_b64 exec, exec, s[6:7]
	s_cbranch_execnz .LBB15_2356
.LBB15_306:
	s_or_b64 exec, exec, s[6:7]
	s_and_saveexec_b64 s[6:7], s[4:5]
	s_cbranch_execz .LBB15_308
.LBB15_307:
	v_bfe_u32 v2, v7, 16, 3
	v_ffbh_u32_e32 v13, v2
	v_min_u32_e32 v13, 32, v13
	v_lshrrev_b32_e32 v6, 19, v7
	v_subrev_u32_e32 v14, 28, v13
	v_and_b32_e32 v6, 15, v6
	v_lshlrev_b32_sdwa v14, v14, v7 dst_sel:DWORD dst_unused:UNUSED_PAD src0_sel:DWORD src1_sel:WORD_1
	v_bfe_u32 v12, v7, 19, 4
	v_sub_u32_e32 v13, 29, v13
	v_and_b32_e32 v14, 7, v14
	v_cmp_eq_u16_e32 vcc, 0, v6
	v_cndmask_b32_e32 v2, v2, v14, vcc
	v_cndmask_b32_e32 v6, v12, v13, vcc
	v_lshlrev_b32_e32 v12, 8, v7
	v_mov_b32_e32 v13, 0x3b800000
	v_lshlrev_b32_e32 v2, 20, v2
	v_and_b32_e32 v12, 0x80000000, v12
	v_lshl_add_u32 v6, v6, 23, v13
	v_or3_b32 v2, v12, v6, v2
.LBB15_308:
	s_or_b64 exec, exec, s[6:7]
	s_movk_i32 s4, 0xff
	v_and_b32_sdwa v6, v3, s4 dst_sel:DWORD dst_unused:UNUSED_PAD src0_sel:WORD_1 src1_sel:DWORD
	s_movk_i32 s4, 0x7f
	v_cmp_lt_i16_e32 vcc, s4, v6
	s_mov_b64 s[4:5], 0
                                        ; implicit-def: $sgpr10
	s_and_saveexec_b64 s[6:7], vcc
	s_xor_b64 s[6:7], exec, s[6:7]
	s_cbranch_execnz .LBB15_2357
; %bb.309:
	s_or_saveexec_b64 s[6:7], s[6:7]
	v_mov_b32_e32 v12, s10
	s_xor_b64 exec, exec, s[6:7]
	s_cbranch_execnz .LBB15_2360
.LBB15_310:
	s_or_b64 exec, exec, s[6:7]
	s_and_saveexec_b64 s[6:7], s[4:5]
	s_cbranch_execz .LBB15_312
.LBB15_311:
	v_bfe_u32 v6, v3, 16, 3
	v_ffbh_u32_e32 v14, v6
	v_min_u32_e32 v14, 32, v14
	v_lshrrev_b32_e32 v12, 19, v3
	v_subrev_u32_e32 v15, 28, v14
	v_and_b32_e32 v12, 15, v12
	v_lshlrev_b32_sdwa v15, v15, v3 dst_sel:DWORD dst_unused:UNUSED_PAD src0_sel:DWORD src1_sel:WORD_1
	v_bfe_u32 v13, v3, 19, 4
	v_sub_u32_e32 v14, 29, v14
	v_and_b32_e32 v15, 7, v15
	v_cmp_eq_u16_e32 vcc, 0, v12
	v_cndmask_b32_e32 v6, v6, v15, vcc
	v_cndmask_b32_e32 v12, v13, v14, vcc
	v_lshlrev_b32_e32 v13, 8, v3
	v_mov_b32_e32 v14, 0x3b800000
	v_lshlrev_b32_e32 v6, 20, v6
	v_and_b32_e32 v13, 0x80000000, v13
	v_lshl_add_u32 v12, v12, 23, v14
	v_or3_b32 v12, v13, v12, v6
.LBB15_312:
	s_or_b64 exec, exec, s[6:7]
	s_nop 0
	v_mfma_f32_16x16x4f32 a[0:3], v2, v12, a[0:3]
	s_movk_i32 s4, 0x7f
	v_cmp_gt_i16_sdwa s[6:7], v7, s4 src0_sel:BYTE_3 src1_sel:DWORD
	s_mov_b64 s[4:5], 0
                                        ; implicit-def: $sgpr10
	s_and_saveexec_b64 s[8:9], s[6:7]
	s_xor_b64 s[6:7], exec, s[8:9]
	s_cbranch_execnz .LBB15_2361
; %bb.313:
	s_or_saveexec_b64 s[6:7], s[6:7]
	v_mov_b32_e32 v2, s10
	s_xor_b64 exec, exec, s[6:7]
	s_cbranch_execnz .LBB15_2364
.LBB15_314:
	s_or_b64 exec, exec, s[6:7]
	s_and_saveexec_b64 s[6:7], s[4:5]
	s_cbranch_execz .LBB15_316
.LBB15_315:
	v_bfe_u32 v2, v7, 24, 3
	v_ffbh_u32_e32 v14, v2
	v_min_u32_e32 v14, 32, v14
	v_lshrrev_b32_e32 v12, 27, v7
	v_subrev_u32_e32 v15, 28, v14
	v_and_b32_e32 v6, 0x80000000, v7
	v_and_b32_e32 v12, 15, v12
	v_bfe_u32 v13, v7, 27, 4
	v_lshlrev_b32_sdwa v7, v15, v7 dst_sel:DWORD dst_unused:UNUSED_PAD src0_sel:DWORD src1_sel:BYTE_3
	v_sub_u32_e32 v14, 29, v14
	v_and_b32_e32 v7, 7, v7
	v_cmp_eq_u16_e32 vcc, 0, v12
	v_cndmask_b32_e32 v2, v2, v7, vcc
	v_cndmask_b32_e32 v7, v13, v14, vcc
	v_mov_b32_e32 v12, 0x3b800000
	v_lshlrev_b32_e32 v2, 20, v2
	v_lshl_add_u32 v7, v7, 23, v12
	v_or3_b32 v2, v6, v7, v2
.LBB15_316:
	s_or_b64 exec, exec, s[6:7]
	s_movk_i32 s4, 0x7f
	v_cmp_gt_i16_sdwa s[6:7], v3, s4 src0_sel:BYTE_3 src1_sel:DWORD
	s_mov_b64 s[4:5], 0
                                        ; implicit-def: $sgpr10
	s_and_saveexec_b64 s[8:9], s[6:7]
	s_xor_b64 s[6:7], exec, s[8:9]
	s_cbranch_execnz .LBB15_2365
; %bb.317:
	s_or_saveexec_b64 s[6:7], s[6:7]
	v_mov_b32_e32 v6, s10
	s_xor_b64 exec, exec, s[6:7]
	s_cbranch_execnz .LBB15_2368
.LBB15_318:
	s_or_b64 exec, exec, s[6:7]
	s_and_saveexec_b64 s[6:7], s[4:5]
	s_cbranch_execz .LBB15_320
.LBB15_319:
	v_bfe_u32 v6, v3, 24, 3
	v_ffbh_u32_e32 v14, v6
	v_min_u32_e32 v14, 32, v14
	v_lshrrev_b32_e32 v12, 27, v3
	v_subrev_u32_e32 v15, 28, v14
	v_and_b32_e32 v7, 0x80000000, v3
	v_and_b32_e32 v12, 15, v12
	v_bfe_u32 v13, v3, 27, 4
	v_lshlrev_b32_sdwa v3, v15, v3 dst_sel:DWORD dst_unused:UNUSED_PAD src0_sel:DWORD src1_sel:BYTE_3
	v_sub_u32_e32 v14, 29, v14
	v_and_b32_e32 v3, 7, v3
	v_cmp_eq_u16_e32 vcc, 0, v12
	v_cndmask_b32_e32 v3, v6, v3, vcc
	v_cndmask_b32_e32 v6, v13, v14, vcc
	v_mov_b32_e32 v12, 0x3b800000
	v_lshlrev_b32_e32 v3, 20, v3
	v_lshl_add_u32 v6, v6, 23, v12
	v_or3_b32 v6, v7, v6, v3
.LBB15_320:
	s_or_b64 exec, exec, s[6:7]
	s_nop 0
	v_mfma_f32_16x16x4f32 a[0:3], v2, v6, a[0:3]
	s_movk_i32 s4, 0x7f
	v_cmp_gt_i16_sdwa s[6:7], v8, s4 src0_sel:BYTE_0 src1_sel:DWORD
	s_mov_b64 s[4:5], 0
                                        ; implicit-def: $sgpr10
	s_and_saveexec_b64 s[8:9], s[6:7]
	s_xor_b64 s[6:7], exec, s[8:9]
	s_cbranch_execnz .LBB15_2369
; %bb.321:
	s_or_saveexec_b64 s[6:7], s[6:7]
	v_mov_b32_e32 v2, s10
	s_xor_b64 exec, exec, s[6:7]
	s_cbranch_execnz .LBB15_2372
.LBB15_322:
	s_or_b64 exec, exec, s[6:7]
	s_and_saveexec_b64 s[6:7], s[4:5]
	s_cbranch_execz .LBB15_324
.LBB15_323:
	v_and_b32_e32 v2, 7, v8
	v_ffbh_u32_e32 v6, v2
	v_min_u32_e32 v6, 32, v6
	v_lshrrev_b16_e32 v3, 3, v8
	v_subrev_u32_e32 v7, 28, v6
	v_and_b32_e32 v3, 15, v3
	v_lshlrev_b32_e32 v7, v7, v8
	v_sub_u32_e32 v6, 29, v6
	v_and_b32_e32 v7, 7, v7
	v_cmp_eq_u16_e32 vcc, 0, v3
	v_cndmask_b32_e32 v2, v2, v7, vcc
	v_cndmask_b32_e32 v3, v3, v6, vcc
	v_lshlrev_b32_e32 v6, 24, v8
	v_mov_b32_e32 v7, 0x3b800000
	v_lshlrev_b32_e32 v2, 20, v2
	v_and_b32_e32 v6, 0x80000000, v6
	v_lshl_add_u32 v3, v3, 23, v7
	v_or3_b32 v2, v6, v3, v2
.LBB15_324:
	s_or_b64 exec, exec, s[6:7]
	s_movk_i32 s4, 0x7f
	v_cmp_gt_i16_sdwa s[6:7], v4, s4 src0_sel:BYTE_0 src1_sel:DWORD
	s_mov_b64 s[4:5], 0
                                        ; implicit-def: $sgpr10
	s_and_saveexec_b64 s[8:9], s[6:7]
	s_xor_b64 s[6:7], exec, s[8:9]
	s_cbranch_execnz .LBB15_2373
; %bb.325:
	s_or_saveexec_b64 s[6:7], s[6:7]
	v_mov_b32_e32 v3, s10
	s_xor_b64 exec, exec, s[6:7]
	s_cbranch_execnz .LBB15_2376
.LBB15_326:
	s_or_b64 exec, exec, s[6:7]
	s_and_saveexec_b64 s[6:7], s[4:5]
	s_cbranch_execz .LBB15_328
.LBB15_327:
	v_and_b32_e32 v3, 7, v4
	v_ffbh_u32_e32 v7, v3
	v_min_u32_e32 v7, 32, v7
	v_lshrrev_b16_e32 v6, 3, v4
	v_subrev_u32_e32 v12, 28, v7
	v_and_b32_e32 v6, 15, v6
	v_lshlrev_b32_e32 v12, v12, v4
	v_sub_u32_e32 v7, 29, v7
	v_and_b32_e32 v12, 7, v12
	v_cmp_eq_u16_e32 vcc, 0, v6
	v_cndmask_b32_e32 v3, v3, v12, vcc
	v_cndmask_b32_e32 v6, v6, v7, vcc
	v_lshlrev_b32_e32 v7, 24, v4
	v_mov_b32_e32 v12, 0x3b800000
	v_lshlrev_b32_e32 v3, 20, v3
	v_and_b32_e32 v7, 0x80000000, v7
	v_lshl_add_u32 v6, v6, 23, v12
	v_or3_b32 v3, v7, v6, v3
.LBB15_328:
	s_or_b64 exec, exec, s[6:7]
	s_nop 0
	v_mfma_f32_16x16x4f32 a[0:3], v2, v3, a[0:3]
	v_lshrrev_b32_e32 v3, 8, v8
	s_movk_i32 s4, 0x7f
	v_cmp_gt_i16_sdwa s[6:7], v3, s4 src0_sel:BYTE_0 src1_sel:DWORD
	s_mov_b64 s[4:5], 0
                                        ; implicit-def: $sgpr10
	s_and_saveexec_b64 s[8:9], s[6:7]
	s_xor_b64 s[6:7], exec, s[8:9]
	s_cbranch_execnz .LBB15_2377
; %bb.329:
	s_or_saveexec_b64 s[6:7], s[6:7]
	v_mov_b32_e32 v2, s10
	s_xor_b64 exec, exec, s[6:7]
	s_cbranch_execnz .LBB15_2380
.LBB15_330:
	s_or_b64 exec, exec, s[6:7]
	s_and_saveexec_b64 s[6:7], s[4:5]
	s_cbranch_execz .LBB15_332
.LBB15_331:
	v_bfe_u32 v2, v8, 8, 3
	v_ffbh_u32_e32 v7, v2
	v_min_u32_e32 v7, 32, v7
	v_lshrrev_b16_e32 v6, 3, v3
	v_subrev_u32_e32 v12, 28, v7
	v_and_b32_e32 v6, 15, v6
	v_lshlrev_b32_e32 v3, v12, v3
	v_sub_u32_e32 v7, 29, v7
	v_and_b32_e32 v3, 7, v3
	v_cmp_eq_u16_e32 vcc, 0, v6
	v_cndmask_b32_e32 v2, v2, v3, vcc
	v_cndmask_b32_e32 v3, v6, v7, vcc
	v_lshlrev_b32_e32 v6, 16, v8
	v_mov_b32_e32 v7, 0x3b800000
	v_lshlrev_b32_e32 v2, 20, v2
	v_and_b32_e32 v6, 0x80000000, v6
	v_lshl_add_u32 v3, v3, 23, v7
	v_or3_b32 v2, v6, v3, v2
.LBB15_332:
	s_or_b64 exec, exec, s[6:7]
	v_lshrrev_b32_e32 v3, 8, v4
	s_movk_i32 s4, 0x7f
	v_cmp_gt_i16_sdwa s[6:7], v3, s4 src0_sel:BYTE_0 src1_sel:DWORD
	s_mov_b64 s[4:5], 0
                                        ; implicit-def: $sgpr10
	s_and_saveexec_b64 s[8:9], s[6:7]
	s_xor_b64 s[6:7], exec, s[8:9]
	s_cbranch_execnz .LBB15_2381
; %bb.333:
	s_or_saveexec_b64 s[6:7], s[6:7]
	v_mov_b32_e32 v6, s10
	s_xor_b64 exec, exec, s[6:7]
	s_cbranch_execnz .LBB15_2384
.LBB15_334:
	s_or_b64 exec, exec, s[6:7]
	s_and_saveexec_b64 s[6:7], s[4:5]
	s_cbranch_execz .LBB15_336
.LBB15_335:
	v_bfe_u32 v6, v4, 8, 3
	v_ffbh_u32_e32 v12, v6
	v_min_u32_e32 v12, 32, v12
	v_lshrrev_b16_e32 v7, 3, v3
	v_subrev_u32_e32 v13, 28, v12
	v_and_b32_e32 v7, 15, v7
	v_lshlrev_b32_e32 v3, v13, v3
	v_sub_u32_e32 v12, 29, v12
	v_and_b32_e32 v3, 7, v3
	v_cmp_eq_u16_e32 vcc, 0, v7
	v_cndmask_b32_e32 v3, v6, v3, vcc
	v_cndmask_b32_e32 v6, v7, v12, vcc
	v_lshlrev_b32_e32 v7, 16, v4
	v_mov_b32_e32 v12, 0x3b800000
	v_lshlrev_b32_e32 v3, 20, v3
	v_and_b32_e32 v7, 0x80000000, v7
	v_lshl_add_u32 v6, v6, 23, v12
	v_or3_b32 v6, v7, v6, v3
.LBB15_336:
	s_or_b64 exec, exec, s[6:7]
	s_nop 0
	v_mfma_f32_16x16x4f32 a[0:3], v2, v6, a[0:3]
	s_movk_i32 s4, 0xff
	v_and_b32_sdwa v3, v8, s4 dst_sel:DWORD dst_unused:UNUSED_PAD src0_sel:WORD_1 src1_sel:DWORD
	s_movk_i32 s4, 0x7f
	v_cmp_lt_i16_e32 vcc, s4, v3
	s_mov_b64 s[4:5], 0
                                        ; implicit-def: $sgpr10
	s_and_saveexec_b64 s[6:7], vcc
	s_xor_b64 s[6:7], exec, s[6:7]
	s_cbranch_execnz .LBB15_2385
; %bb.337:
	s_or_saveexec_b64 s[6:7], s[6:7]
	v_mov_b32_e32 v2, s10
	s_xor_b64 exec, exec, s[6:7]
	s_cbranch_execnz .LBB15_2388
.LBB15_338:
	s_or_b64 exec, exec, s[6:7]
	s_and_saveexec_b64 s[6:7], s[4:5]
	s_cbranch_execz .LBB15_340
.LBB15_339:
	v_bfe_u32 v2, v8, 16, 3
	v_ffbh_u32_e32 v7, v2
	v_min_u32_e32 v7, 32, v7
	v_lshrrev_b32_e32 v3, 19, v8
	v_subrev_u32_e32 v12, 28, v7
	v_and_b32_e32 v3, 15, v3
	v_lshlrev_b32_sdwa v12, v12, v8 dst_sel:DWORD dst_unused:UNUSED_PAD src0_sel:DWORD src1_sel:WORD_1
	v_bfe_u32 v6, v8, 19, 4
	v_sub_u32_e32 v7, 29, v7
	v_and_b32_e32 v12, 7, v12
	v_cmp_eq_u16_e32 vcc, 0, v3
	v_cndmask_b32_e32 v2, v2, v12, vcc
	v_cndmask_b32_e32 v3, v6, v7, vcc
	v_lshlrev_b32_e32 v6, 8, v8
	v_mov_b32_e32 v7, 0x3b800000
	v_lshlrev_b32_e32 v2, 20, v2
	v_and_b32_e32 v6, 0x80000000, v6
	v_lshl_add_u32 v3, v3, 23, v7
	v_or3_b32 v2, v6, v3, v2
.LBB15_340:
	s_or_b64 exec, exec, s[6:7]
	s_movk_i32 s4, 0xff
	v_and_b32_sdwa v3, v4, s4 dst_sel:DWORD dst_unused:UNUSED_PAD src0_sel:WORD_1 src1_sel:DWORD
	s_movk_i32 s4, 0x7f
	v_cmp_lt_i16_e32 vcc, s4, v3
	s_mov_b64 s[4:5], 0
                                        ; implicit-def: $sgpr10
	s_and_saveexec_b64 s[6:7], vcc
	s_xor_b64 s[6:7], exec, s[6:7]
	s_cbranch_execnz .LBB15_2389
; %bb.341:
	s_or_saveexec_b64 s[6:7], s[6:7]
	v_mov_b32_e32 v6, s10
	s_xor_b64 exec, exec, s[6:7]
	s_cbranch_execnz .LBB15_2392
.LBB15_342:
	s_or_b64 exec, exec, s[6:7]
	s_and_saveexec_b64 s[6:7], s[4:5]
	s_cbranch_execz .LBB15_344
.LBB15_343:
	v_bfe_u32 v3, v4, 16, 3
	v_ffbh_u32_e32 v12, v3
	v_min_u32_e32 v12, 32, v12
	v_lshrrev_b32_e32 v6, 19, v4
	v_subrev_u32_e32 v13, 28, v12
	v_and_b32_e32 v6, 15, v6
	v_lshlrev_b32_sdwa v13, v13, v4 dst_sel:DWORD dst_unused:UNUSED_PAD src0_sel:DWORD src1_sel:WORD_1
	v_bfe_u32 v7, v4, 19, 4
	v_sub_u32_e32 v12, 29, v12
	v_and_b32_e32 v13, 7, v13
	v_cmp_eq_u16_e32 vcc, 0, v6
	v_cndmask_b32_e32 v3, v3, v13, vcc
	v_cndmask_b32_e32 v6, v7, v12, vcc
	v_lshlrev_b32_e32 v7, 8, v4
	v_mov_b32_e32 v12, 0x3b800000
	v_lshlrev_b32_e32 v3, 20, v3
	v_and_b32_e32 v7, 0x80000000, v7
	v_lshl_add_u32 v6, v6, 23, v12
	v_or3_b32 v6, v7, v6, v3
.LBB15_344:
	s_or_b64 exec, exec, s[6:7]
	s_nop 0
	v_mfma_f32_16x16x4f32 a[0:3], v2, v6, a[0:3]
	s_movk_i32 s4, 0x7f
	v_cmp_gt_i16_sdwa s[6:7], v8, s4 src0_sel:BYTE_3 src1_sel:DWORD
	s_mov_b64 s[4:5], 0
                                        ; implicit-def: $sgpr10
	s_and_saveexec_b64 s[8:9], s[6:7]
	s_xor_b64 s[6:7], exec, s[8:9]
	s_cbranch_execnz .LBB15_2393
; %bb.345:
	s_or_saveexec_b64 s[6:7], s[6:7]
	v_mov_b32_e32 v2, s10
	s_xor_b64 exec, exec, s[6:7]
	s_cbranch_execnz .LBB15_2396
.LBB15_346:
	s_or_b64 exec, exec, s[6:7]
	s_and_saveexec_b64 s[6:7], s[4:5]
	s_cbranch_execz .LBB15_348
.LBB15_347:
	v_bfe_u32 v2, v8, 24, 3
	v_ffbh_u32_e32 v12, v2
	v_min_u32_e32 v12, 32, v12
	v_lshrrev_b32_e32 v6, 27, v8
	v_subrev_u32_e32 v13, 28, v12
	v_and_b32_e32 v3, 0x80000000, v8
	v_and_b32_e32 v6, 15, v6
	v_bfe_u32 v7, v8, 27, 4
	v_lshlrev_b32_sdwa v8, v13, v8 dst_sel:DWORD dst_unused:UNUSED_PAD src0_sel:DWORD src1_sel:BYTE_3
	v_sub_u32_e32 v12, 29, v12
	v_and_b32_e32 v8, 7, v8
	v_cmp_eq_u16_e32 vcc, 0, v6
	v_cndmask_b32_e32 v2, v2, v8, vcc
	v_cndmask_b32_e32 v6, v7, v12, vcc
	v_mov_b32_e32 v7, 0x3b800000
	v_lshlrev_b32_e32 v2, 20, v2
	v_lshl_add_u32 v6, v6, 23, v7
	v_or3_b32 v2, v3, v6, v2
.LBB15_348:
	s_or_b64 exec, exec, s[6:7]
	s_movk_i32 s4, 0x7f
	v_cmp_gt_i16_sdwa s[6:7], v4, s4 src0_sel:BYTE_3 src1_sel:DWORD
	s_mov_b64 s[4:5], 0
                                        ; implicit-def: $sgpr10
	s_and_saveexec_b64 s[8:9], s[6:7]
	s_xor_b64 s[6:7], exec, s[8:9]
	s_cbranch_execnz .LBB15_2397
; %bb.349:
	s_or_saveexec_b64 s[6:7], s[6:7]
	v_mov_b32_e32 v3, s10
	s_xor_b64 exec, exec, s[6:7]
	s_cbranch_execnz .LBB15_2400
.LBB15_350:
	s_or_b64 exec, exec, s[6:7]
	s_and_saveexec_b64 s[6:7], s[4:5]
	s_cbranch_execz .LBB15_352
.LBB15_351:
	v_bfe_u32 v3, v4, 24, 3
	v_ffbh_u32_e32 v12, v3
	v_min_u32_e32 v12, 32, v12
	v_lshrrev_b32_e32 v7, 27, v4
	v_subrev_u32_e32 v13, 28, v12
	v_and_b32_e32 v6, 0x80000000, v4
	v_and_b32_e32 v7, 15, v7
	v_bfe_u32 v8, v4, 27, 4
	v_lshlrev_b32_sdwa v4, v13, v4 dst_sel:DWORD dst_unused:UNUSED_PAD src0_sel:DWORD src1_sel:BYTE_3
	v_sub_u32_e32 v12, 29, v12
	v_and_b32_e32 v4, 7, v4
	v_cmp_eq_u16_e32 vcc, 0, v7
	v_cndmask_b32_e32 v3, v3, v4, vcc
	v_cndmask_b32_e32 v4, v8, v12, vcc
	v_mov_b32_e32 v7, 0x3b800000
	v_lshlrev_b32_e32 v3, 20, v3
	v_lshl_add_u32 v4, v4, 23, v7
	v_or3_b32 v3, v6, v4, v3
.LBB15_352:
	s_or_b64 exec, exec, s[6:7]
	s_nop 0
	v_mfma_f32_16x16x4f32 a[0:3], v2, v3, a[0:3]
	s_movk_i32 s4, 0x7f
	v_cmp_gt_i16_sdwa s[6:7], v9, s4 src0_sel:BYTE_0 src1_sel:DWORD
	s_mov_b64 s[4:5], 0
                                        ; implicit-def: $sgpr10
	s_and_saveexec_b64 s[8:9], s[6:7]
	s_xor_b64 s[6:7], exec, s[8:9]
	s_cbranch_execnz .LBB15_2401
; %bb.353:
	s_or_saveexec_b64 s[6:7], s[6:7]
	v_mov_b32_e32 v2, s10
	s_xor_b64 exec, exec, s[6:7]
	s_cbranch_execnz .LBB15_2404
.LBB15_354:
	s_or_b64 exec, exec, s[6:7]
	s_and_saveexec_b64 s[6:7], s[4:5]
	s_cbranch_execz .LBB15_356
.LBB15_355:
	v_mov_b32_e32 v2, 8
	v_and_b32_e32 v3, 7, v9
	v_lshrrev_b32_sdwa v2, v2, v9 dst_sel:BYTE_1 dst_unused:UNUSED_PAD src0_sel:DWORD src1_sel:DWORD
	v_ffbh_u32_e32 v4, v3
	v_or_b32_sdwa v2, v9, v2 dst_sel:DWORD dst_unused:UNUSED_PAD src0_sel:BYTE_0 src1_sel:DWORD
	v_min_u32_e32 v4, 32, v4
	v_lshrrev_b16_e32 v2, 3, v2
	v_subrev_u32_e32 v6, 28, v4
	v_and_b32_e32 v2, 15, v2
	v_lshlrev_b32_e32 v6, v6, v9
	v_sub_u32_e32 v4, 29, v4
	v_and_b32_e32 v6, 7, v6
	v_cmp_eq_u16_e32 vcc, 0, v2
	v_cndmask_b32_e32 v3, v3, v6, vcc
	v_cndmask_b32_e32 v2, v2, v4, vcc
	v_lshlrev_b32_e32 v4, 24, v9
	v_mov_b32_e32 v6, 0x3b800000
	v_lshlrev_b32_e32 v3, 20, v3
	v_and_b32_e32 v4, 0x80000000, v4
	v_lshl_add_u32 v2, v2, 23, v6
	v_or3_b32 v2, v4, v2, v3
.LBB15_356:
	s_or_b64 exec, exec, s[6:7]
	s_movk_i32 s4, 0x7f
	v_cmp_gt_i16_sdwa s[6:7], v5, s4 src0_sel:BYTE_0 src1_sel:DWORD
	s_mov_b64 s[4:5], 0
                                        ; implicit-def: $sgpr10
	s_and_saveexec_b64 s[8:9], s[6:7]
	s_xor_b64 s[6:7], exec, s[8:9]
	s_cbranch_execnz .LBB15_2405
; %bb.357:
	s_or_saveexec_b64 s[6:7], s[6:7]
	v_mov_b32_e32 v3, s10
	s_xor_b64 exec, exec, s[6:7]
	s_cbranch_execnz .LBB15_2408
.LBB15_358:
	s_or_b64 exec, exec, s[6:7]
	s_and_saveexec_b64 s[6:7], s[4:5]
	s_cbranch_execz .LBB15_360
.LBB15_359:
	v_mov_b32_e32 v3, 8
	v_and_b32_e32 v4, 7, v5
	v_lshrrev_b32_sdwa v3, v3, v5 dst_sel:BYTE_1 dst_unused:UNUSED_PAD src0_sel:DWORD src1_sel:DWORD
	v_ffbh_u32_e32 v6, v4
	v_or_b32_sdwa v3, v5, v3 dst_sel:DWORD dst_unused:UNUSED_PAD src0_sel:BYTE_0 src1_sel:DWORD
	v_min_u32_e32 v6, 32, v6
	v_lshrrev_b16_e32 v3, 3, v3
	v_subrev_u32_e32 v7, 28, v6
	v_and_b32_e32 v3, 15, v3
	v_lshlrev_b32_e32 v7, v7, v5
	v_sub_u32_e32 v6, 29, v6
	v_and_b32_e32 v7, 7, v7
	v_cmp_eq_u16_e32 vcc, 0, v3
	v_cndmask_b32_e32 v4, v4, v7, vcc
	v_cndmask_b32_e32 v3, v3, v6, vcc
	v_lshlrev_b32_e32 v6, 24, v5
	v_mov_b32_e32 v7, 0x3b800000
	v_lshlrev_b32_e32 v4, 20, v4
	v_and_b32_e32 v6, 0x80000000, v6
	v_lshl_add_u32 v3, v3, 23, v7
	v_or3_b32 v3, v6, v3, v4
.LBB15_360:
	s_or_b64 exec, exec, s[6:7]
	s_nop 0
	v_mfma_f32_16x16x4f32 a[0:3], v2, v3, a[0:3]
	v_lshrrev_b32_e32 v3, 8, v9
	s_movk_i32 s4, 0x7f
	v_cmp_gt_i16_sdwa s[6:7], v3, s4 src0_sel:BYTE_0 src1_sel:DWORD
	s_mov_b64 s[4:5], 0
                                        ; implicit-def: $sgpr10
	s_and_saveexec_b64 s[8:9], s[6:7]
	s_xor_b64 s[6:7], exec, s[8:9]
	s_cbranch_execnz .LBB15_2409
; %bb.361:
	s_or_saveexec_b64 s[6:7], s[6:7]
	v_mov_b32_e32 v2, s10
	s_xor_b64 exec, exec, s[6:7]
	s_cbranch_execnz .LBB15_2412
.LBB15_362:
	s_or_b64 exec, exec, s[6:7]
	s_and_saveexec_b64 s[6:7], s[4:5]
	s_cbranch_execz .LBB15_364
.LBB15_363:
	v_bfe_u32 v2, v9, 8, 3
	v_ffbh_u32_e32 v6, v2
	v_min_u32_e32 v6, 32, v6
	v_lshrrev_b16_e32 v4, 3, v3
	v_subrev_u32_e32 v7, 28, v6
	v_and_b32_e32 v4, 15, v4
	v_lshlrev_b32_e32 v3, v7, v3
	v_sub_u32_e32 v6, 29, v6
	v_and_b32_e32 v3, 7, v3
	v_cmp_eq_u16_e32 vcc, 0, v4
	v_cndmask_b32_e32 v2, v2, v3, vcc
	v_cndmask_b32_e32 v3, v4, v6, vcc
	v_lshlrev_b32_e32 v4, 16, v9
	v_mov_b32_e32 v6, 0x3b800000
	v_lshlrev_b32_e32 v2, 20, v2
	v_and_b32_e32 v4, 0x80000000, v4
	v_lshl_add_u32 v3, v3, 23, v6
	v_or3_b32 v2, v4, v3, v2
.LBB15_364:
	s_or_b64 exec, exec, s[6:7]
	v_lshrrev_b32_e32 v3, 8, v5
	s_movk_i32 s4, 0x7f
	v_cmp_gt_i16_sdwa s[6:7], v3, s4 src0_sel:BYTE_0 src1_sel:DWORD
	s_mov_b64 s[4:5], 0
                                        ; implicit-def: $sgpr10
	s_and_saveexec_b64 s[8:9], s[6:7]
	s_xor_b64 s[6:7], exec, s[8:9]
	s_cbranch_execnz .LBB15_2413
; %bb.365:
	s_or_saveexec_b64 s[6:7], s[6:7]
	v_mov_b32_e32 v4, s10
	s_xor_b64 exec, exec, s[6:7]
	s_cbranch_execnz .LBB15_2416
.LBB15_366:
	s_or_b64 exec, exec, s[6:7]
	s_and_saveexec_b64 s[6:7], s[4:5]
	s_cbranch_execz .LBB15_368
.LBB15_367:
	v_bfe_u32 v4, v5, 8, 3
	v_ffbh_u32_e32 v7, v4
	v_min_u32_e32 v7, 32, v7
	v_lshrrev_b16_e32 v6, 3, v3
	v_subrev_u32_e32 v8, 28, v7
	v_and_b32_e32 v6, 15, v6
	v_lshlrev_b32_e32 v3, v8, v3
	v_sub_u32_e32 v7, 29, v7
	v_and_b32_e32 v3, 7, v3
	v_cmp_eq_u16_e32 vcc, 0, v6
	v_cndmask_b32_e32 v3, v4, v3, vcc
	v_cndmask_b32_e32 v4, v6, v7, vcc
	v_lshlrev_b32_e32 v6, 16, v5
	v_mov_b32_e32 v7, 0x3b800000
	v_lshlrev_b32_e32 v3, 20, v3
	v_and_b32_e32 v6, 0x80000000, v6
	v_lshl_add_u32 v4, v4, 23, v7
	v_or3_b32 v4, v6, v4, v3
.LBB15_368:
	s_or_b64 exec, exec, s[6:7]
	s_nop 0
	v_mfma_f32_16x16x4f32 a[0:3], v2, v4, a[0:3]
	s_movk_i32 s4, 0xff
	v_and_b32_sdwa v3, v9, s4 dst_sel:DWORD dst_unused:UNUSED_PAD src0_sel:WORD_1 src1_sel:DWORD
	s_movk_i32 s4, 0x7f
	v_cmp_lt_i16_e32 vcc, s4, v3
	s_mov_b64 s[4:5], 0
                                        ; implicit-def: $sgpr10
	s_and_saveexec_b64 s[6:7], vcc
	s_xor_b64 s[6:7], exec, s[6:7]
	s_cbranch_execnz .LBB15_2417
; %bb.369:
	s_or_saveexec_b64 s[6:7], s[6:7]
	v_mov_b32_e32 v2, s10
	s_xor_b64 exec, exec, s[6:7]
	s_cbranch_execnz .LBB15_2420
.LBB15_370:
	s_or_b64 exec, exec, s[6:7]
	s_and_saveexec_b64 s[6:7], s[4:5]
	s_cbranch_execz .LBB15_372
.LBB15_371:
	v_bfe_u32 v2, v9, 16, 3
	v_ffbh_u32_e32 v6, v2
	v_min_u32_e32 v6, 32, v6
	v_lshrrev_b32_e32 v3, 19, v9
	v_subrev_u32_e32 v7, 28, v6
	v_and_b32_e32 v3, 15, v3
	v_lshlrev_b32_sdwa v7, v7, v9 dst_sel:DWORD dst_unused:UNUSED_PAD src0_sel:DWORD src1_sel:WORD_1
	v_bfe_u32 v4, v9, 19, 4
	v_sub_u32_e32 v6, 29, v6
	v_and_b32_e32 v7, 7, v7
	v_cmp_eq_u16_e32 vcc, 0, v3
	v_cndmask_b32_e32 v2, v2, v7, vcc
	v_cndmask_b32_e32 v3, v4, v6, vcc
	v_lshlrev_b32_e32 v4, 8, v9
	v_mov_b32_e32 v6, 0x3b800000
	v_lshlrev_b32_e32 v2, 20, v2
	v_and_b32_e32 v4, 0x80000000, v4
	v_lshl_add_u32 v3, v3, 23, v6
	v_or3_b32 v2, v4, v3, v2
.LBB15_372:
	s_or_b64 exec, exec, s[6:7]
	s_movk_i32 s4, 0xff
	v_and_b32_sdwa v3, v5, s4 dst_sel:DWORD dst_unused:UNUSED_PAD src0_sel:WORD_1 src1_sel:DWORD
	s_movk_i32 s4, 0x7f
	v_cmp_lt_i16_e32 vcc, s4, v3
	s_mov_b64 s[4:5], 0
                                        ; implicit-def: $sgpr10
	s_and_saveexec_b64 s[6:7], vcc
	s_xor_b64 s[6:7], exec, s[6:7]
	s_cbranch_execnz .LBB15_2421
; %bb.373:
	s_or_saveexec_b64 s[6:7], s[6:7]
	v_mov_b32_e32 v4, s10
	s_xor_b64 exec, exec, s[6:7]
	s_cbranch_execnz .LBB15_2424
.LBB15_374:
	s_or_b64 exec, exec, s[6:7]
	s_and_saveexec_b64 s[6:7], s[4:5]
	s_cbranch_execz .LBB15_376
.LBB15_375:
	v_bfe_u32 v3, v5, 16, 3
	v_ffbh_u32_e32 v7, v3
	v_min_u32_e32 v7, 32, v7
	v_lshrrev_b32_e32 v4, 19, v5
	v_subrev_u32_e32 v8, 28, v7
	v_and_b32_e32 v4, 15, v4
	v_lshlrev_b32_sdwa v8, v8, v5 dst_sel:DWORD dst_unused:UNUSED_PAD src0_sel:DWORD src1_sel:WORD_1
	v_bfe_u32 v6, v5, 19, 4
	v_sub_u32_e32 v7, 29, v7
	v_and_b32_e32 v8, 7, v8
	v_cmp_eq_u16_e32 vcc, 0, v4
	v_cndmask_b32_e32 v3, v3, v8, vcc
	v_cndmask_b32_e32 v4, v6, v7, vcc
	v_lshlrev_b32_e32 v6, 8, v5
	v_mov_b32_e32 v7, 0x3b800000
	v_lshlrev_b32_e32 v3, 20, v3
	v_and_b32_e32 v6, 0x80000000, v6
	v_lshl_add_u32 v4, v4, 23, v7
	v_or3_b32 v4, v6, v4, v3
.LBB15_376:
	s_or_b64 exec, exec, s[6:7]
	s_nop 0
	v_mfma_f32_16x16x4f32 a[0:3], v2, v4, a[0:3]
	s_movk_i32 s4, 0x7f
	v_cmp_gt_i16_sdwa s[6:7], v9, s4 src0_sel:BYTE_3 src1_sel:DWORD
	s_mov_b64 s[4:5], 0
                                        ; implicit-def: $sgpr10
	s_and_saveexec_b64 s[8:9], s[6:7]
	s_xor_b64 s[6:7], exec, s[8:9]
	s_cbranch_execnz .LBB15_2425
; %bb.377:
	s_or_saveexec_b64 s[6:7], s[6:7]
	v_mov_b32_e32 v2, s10
	s_xor_b64 exec, exec, s[6:7]
	s_cbranch_execnz .LBB15_2428
.LBB15_378:
	s_or_b64 exec, exec, s[6:7]
	s_and_saveexec_b64 s[6:7], s[4:5]
	s_cbranch_execz .LBB15_380
.LBB15_379:
	v_bfe_u32 v2, v9, 24, 3
	v_ffbh_u32_e32 v7, v2
	v_min_u32_e32 v7, 32, v7
	v_lshrrev_b32_e32 v4, 27, v9
	v_subrev_u32_e32 v8, 28, v7
	v_and_b32_e32 v4, 15, v4
	v_lshlrev_b32_sdwa v8, v8, v9 dst_sel:DWORD dst_unused:UNUSED_PAD src0_sel:DWORD src1_sel:BYTE_3
	v_bfe_u32 v6, v9, 27, 4
	v_sub_u32_e32 v7, 29, v7
	v_and_b32_e32 v8, 7, v8
	v_cmp_eq_u16_e32 vcc, 0, v4
	v_cndmask_b32_e32 v2, v2, v8, vcc
	v_cndmask_b32_e32 v4, v6, v7, vcc
	v_mov_b32_e32 v6, 0x3b800000
	v_and_b32_e32 v3, 0x80000000, v9
	v_lshlrev_b32_e32 v2, 20, v2
	v_lshl_add_u32 v4, v4, 23, v6
	v_or3_b32 v2, v3, v4, v2
.LBB15_380:
	s_or_b64 exec, exec, s[6:7]
	s_movk_i32 s4, 0x7f
	v_cmp_gt_i16_sdwa s[6:7], v5, s4 src0_sel:BYTE_3 src1_sel:DWORD
	s_mov_b64 s[4:5], 0
                                        ; implicit-def: $sgpr10
	s_and_saveexec_b64 s[8:9], s[6:7]
	s_xor_b64 s[6:7], exec, s[8:9]
	s_cbranch_execnz .LBB15_2429
; %bb.381:
	s_or_saveexec_b64 s[6:7], s[6:7]
	v_mov_b32_e32 v3, s10
	s_xor_b64 exec, exec, s[6:7]
	s_cbranch_execnz .LBB15_2432
.LBB15_382:
	s_or_b64 exec, exec, s[6:7]
	s_and_saveexec_b64 s[6:7], s[4:5]
	s_cbranch_execz .LBB15_384
.LBB15_383:
	v_bfe_u32 v3, v5, 24, 3
	v_ffbh_u32_e32 v8, v3
	v_min_u32_e32 v8, 32, v8
	v_lshrrev_b32_e32 v6, 27, v5
	v_subrev_u32_e32 v9, 28, v8
	v_and_b32_e32 v4, 0x80000000, v5
	v_and_b32_e32 v6, 15, v6
	v_bfe_u32 v7, v5, 27, 4
	v_lshlrev_b32_sdwa v5, v9, v5 dst_sel:DWORD dst_unused:UNUSED_PAD src0_sel:DWORD src1_sel:BYTE_3
	v_sub_u32_e32 v8, 29, v8
	v_and_b32_e32 v5, 7, v5
	v_cmp_eq_u16_e32 vcc, 0, v6
	v_cndmask_b32_e32 v3, v3, v5, vcc
	v_cndmask_b32_e32 v5, v7, v8, vcc
	v_mov_b32_e32 v6, 0x3b800000
	v_lshlrev_b32_e32 v3, 20, v3
	v_lshl_add_u32 v5, v5, 23, v6
	v_or3_b32 v3, v4, v5, v3
.LBB15_384:
	s_or_b64 exec, exec, s[6:7]
	s_nop 0
	v_mfma_f32_16x16x4f32 a[0:3], v2, v3, a[0:3]
	s_movk_i32 s4, 0x7f
                                        ; implicit-def: $sgpr10
	s_nop 7
	s_nop 1
	flat_store_dwordx4 v[10:11], a[0:3] offset:32
	flat_load_dwordx4 v[12:15], v[0:1] offset:8
	s_nop 0
	flat_load_dwordx2 v[10:11], v[0:1] offset:32
	s_waitcnt vmcnt(0) lgkmcnt(0)
	flat_load_dwordx4 v[6:9], v[12:13] offset:16
	flat_load_dwordx4 v[2:5], v[14:15] offset:112
	s_waitcnt vmcnt(0) lgkmcnt(0)
	v_cmp_gt_i16_sdwa s[6:7], v6, s4 src0_sel:BYTE_0 src1_sel:DWORD
	s_mov_b64 s[4:5], 0
	s_and_saveexec_b64 s[8:9], s[6:7]
	s_xor_b64 s[6:7], exec, s[8:9]
	s_cbranch_execnz .LBB15_2433
; %bb.385:
	s_or_saveexec_b64 s[6:7], s[6:7]
	v_mov_b32_e32 v12, s10
	s_xor_b64 exec, exec, s[6:7]
	s_cbranch_execnz .LBB15_2436
.LBB15_386:
	s_or_b64 exec, exec, s[6:7]
	s_and_saveexec_b64 s[6:7], s[4:5]
	s_cbranch_execz .LBB15_388
.LBB15_387:
	v_and_b32_e32 v12, 7, v6
	v_ffbh_u32_e32 v14, v12
	v_min_u32_e32 v14, 32, v14
	v_lshrrev_b16_e32 v13, 3, v6
	v_subrev_u32_e32 v15, 28, v14
	v_and_b32_e32 v13, 15, v13
	v_lshlrev_b32_e32 v15, v15, v6
	v_sub_u32_e32 v14, 29, v14
	v_and_b32_e32 v15, 7, v15
	v_cmp_eq_u16_e32 vcc, 0, v13
	v_cndmask_b32_e32 v12, v12, v15, vcc
	v_cndmask_b32_e32 v13, v13, v14, vcc
	v_lshlrev_b32_e32 v14, 24, v6
	v_mov_b32_e32 v15, 0x3b800000
	v_lshlrev_b32_e32 v12, 20, v12
	v_and_b32_e32 v14, 0x80000000, v14
	v_lshl_add_u32 v13, v13, 23, v15
	v_or3_b32 v12, v14, v13, v12
.LBB15_388:
	s_or_b64 exec, exec, s[6:7]
	s_movk_i32 s4, 0x7f
	v_cmp_gt_i16_sdwa s[6:7], v2, s4 src0_sel:BYTE_0 src1_sel:DWORD
	s_mov_b64 s[4:5], 0
                                        ; implicit-def: $sgpr10
	s_and_saveexec_b64 s[8:9], s[6:7]
	s_xor_b64 s[6:7], exec, s[8:9]
	s_cbranch_execnz .LBB15_2437
; %bb.389:
	s_or_saveexec_b64 s[6:7], s[6:7]
	v_mov_b32_e32 v13, s10
	s_xor_b64 exec, exec, s[6:7]
	s_cbranch_execnz .LBB15_2440
.LBB15_390:
	s_or_b64 exec, exec, s[6:7]
	s_and_saveexec_b64 s[6:7], s[4:5]
	s_cbranch_execz .LBB15_392
.LBB15_391:
	v_and_b32_e32 v13, 7, v2
	v_ffbh_u32_e32 v15, v13
	v_min_u32_e32 v15, 32, v15
	v_lshrrev_b16_e32 v14, 3, v2
	v_subrev_u32_e32 v16, 28, v15
	v_and_b32_e32 v14, 15, v14
	v_lshlrev_b32_e32 v16, v16, v2
	v_sub_u32_e32 v15, 29, v15
	v_and_b32_e32 v16, 7, v16
	v_cmp_eq_u16_e32 vcc, 0, v14
	v_cndmask_b32_e32 v13, v13, v16, vcc
	v_cndmask_b32_e32 v14, v14, v15, vcc
	v_lshlrev_b32_e32 v15, 24, v2
	v_mov_b32_e32 v16, 0x3b800000
	v_lshlrev_b32_e32 v13, 20, v13
	v_and_b32_e32 v15, 0x80000000, v15
	v_lshl_add_u32 v14, v14, 23, v16
	v_or3_b32 v13, v15, v14, v13
.LBB15_392:
	s_or_b64 exec, exec, s[6:7]
	flat_load_dwordx4 a[0:3], v[10:11] offset:48
	s_movk_i32 s4, 0x7f
                                        ; implicit-def: $sgpr10
	s_waitcnt vmcnt(0) lgkmcnt(0)
	v_mfma_f32_16x16x4f32 a[0:3], v12, v13, a[0:3]
	v_lshrrev_b32_e32 v13, 8, v6
	v_cmp_gt_i16_sdwa s[6:7], v13, s4 src0_sel:BYTE_0 src1_sel:DWORD
	s_mov_b64 s[4:5], 0
	s_and_saveexec_b64 s[8:9], s[6:7]
	s_xor_b64 s[6:7], exec, s[8:9]
	s_cbranch_execnz .LBB15_2441
; %bb.393:
	s_or_saveexec_b64 s[6:7], s[6:7]
	v_mov_b32_e32 v12, s10
	s_xor_b64 exec, exec, s[6:7]
	s_cbranch_execnz .LBB15_2444
.LBB15_394:
	s_or_b64 exec, exec, s[6:7]
	s_and_saveexec_b64 s[6:7], s[4:5]
	s_cbranch_execz .LBB15_396
.LBB15_395:
	v_bfe_u32 v12, v6, 8, 3
	v_ffbh_u32_e32 v15, v12
	v_min_u32_e32 v15, 32, v15
	v_lshrrev_b16_e32 v14, 3, v13
	v_subrev_u32_e32 v16, 28, v15
	v_and_b32_e32 v14, 15, v14
	v_lshlrev_b32_e32 v13, v16, v13
	v_sub_u32_e32 v15, 29, v15
	v_and_b32_e32 v13, 7, v13
	v_cmp_eq_u16_e32 vcc, 0, v14
	v_cndmask_b32_e32 v12, v12, v13, vcc
	v_cndmask_b32_e32 v13, v14, v15, vcc
	v_lshlrev_b32_e32 v14, 16, v6
	v_mov_b32_e32 v15, 0x3b800000
	v_lshlrev_b32_e32 v12, 20, v12
	v_and_b32_e32 v14, 0x80000000, v14
	v_lshl_add_u32 v13, v13, 23, v15
	v_or3_b32 v12, v14, v13, v12
.LBB15_396:
	s_or_b64 exec, exec, s[6:7]
	v_lshrrev_b32_e32 v13, 8, v2
	s_movk_i32 s4, 0x7f
	v_cmp_gt_i16_sdwa s[6:7], v13, s4 src0_sel:BYTE_0 src1_sel:DWORD
	s_mov_b64 s[4:5], 0
                                        ; implicit-def: $sgpr10
	s_and_saveexec_b64 s[8:9], s[6:7]
	s_xor_b64 s[6:7], exec, s[8:9]
	s_cbranch_execnz .LBB15_2445
; %bb.397:
	s_or_saveexec_b64 s[6:7], s[6:7]
	v_mov_b32_e32 v14, s10
	s_xor_b64 exec, exec, s[6:7]
	s_cbranch_execnz .LBB15_2448
.LBB15_398:
	s_or_b64 exec, exec, s[6:7]
	s_and_saveexec_b64 s[6:7], s[4:5]
	s_cbranch_execz .LBB15_400
.LBB15_399:
	v_bfe_u32 v14, v2, 8, 3
	v_ffbh_u32_e32 v16, v14
	v_min_u32_e32 v16, 32, v16
	v_lshrrev_b16_e32 v15, 3, v13
	v_subrev_u32_e32 v17, 28, v16
	v_and_b32_e32 v15, 15, v15
	v_lshlrev_b32_e32 v13, v17, v13
	v_sub_u32_e32 v16, 29, v16
	v_and_b32_e32 v13, 7, v13
	v_cmp_eq_u16_e32 vcc, 0, v15
	v_cndmask_b32_e32 v13, v14, v13, vcc
	v_cndmask_b32_e32 v14, v15, v16, vcc
	v_lshlrev_b32_e32 v15, 16, v2
	v_mov_b32_e32 v16, 0x3b800000
	v_lshlrev_b32_e32 v13, 20, v13
	v_and_b32_e32 v15, 0x80000000, v15
	v_lshl_add_u32 v14, v14, 23, v16
	v_or3_b32 v14, v15, v14, v13
.LBB15_400:
	s_or_b64 exec, exec, s[6:7]
	s_nop 0
	v_mfma_f32_16x16x4f32 a[0:3], v12, v14, a[0:3]
	s_movk_i32 s4, 0xff
	v_and_b32_sdwa v13, v6, s4 dst_sel:DWORD dst_unused:UNUSED_PAD src0_sel:WORD_1 src1_sel:DWORD
	s_movk_i32 s4, 0x7f
	v_cmp_lt_i16_e32 vcc, s4, v13
	s_mov_b64 s[4:5], 0
                                        ; implicit-def: $sgpr10
	s_and_saveexec_b64 s[6:7], vcc
	s_xor_b64 s[6:7], exec, s[6:7]
	s_cbranch_execnz .LBB15_2449
; %bb.401:
	s_or_saveexec_b64 s[6:7], s[6:7]
	v_mov_b32_e32 v12, s10
	s_xor_b64 exec, exec, s[6:7]
	s_cbranch_execnz .LBB15_2452
.LBB15_402:
	s_or_b64 exec, exec, s[6:7]
	s_and_saveexec_b64 s[6:7], s[4:5]
	s_cbranch_execz .LBB15_404
.LBB15_403:
	v_bfe_u32 v12, v6, 16, 3
	v_ffbh_u32_e32 v15, v12
	v_min_u32_e32 v15, 32, v15
	v_lshrrev_b32_e32 v13, 19, v6
	v_subrev_u32_e32 v16, 28, v15
	v_and_b32_e32 v13, 15, v13
	v_lshlrev_b32_sdwa v16, v16, v6 dst_sel:DWORD dst_unused:UNUSED_PAD src0_sel:DWORD src1_sel:WORD_1
	v_bfe_u32 v14, v6, 19, 4
	v_sub_u32_e32 v15, 29, v15
	v_and_b32_e32 v16, 7, v16
	v_cmp_eq_u16_e32 vcc, 0, v13
	v_cndmask_b32_e32 v12, v12, v16, vcc
	v_cndmask_b32_e32 v13, v14, v15, vcc
	v_lshlrev_b32_e32 v14, 8, v6
	v_mov_b32_e32 v15, 0x3b800000
	v_lshlrev_b32_e32 v12, 20, v12
	v_and_b32_e32 v14, 0x80000000, v14
	v_lshl_add_u32 v13, v13, 23, v15
	v_or3_b32 v12, v14, v13, v12
.LBB15_404:
	s_or_b64 exec, exec, s[6:7]
	s_movk_i32 s4, 0xff
	v_and_b32_sdwa v13, v2, s4 dst_sel:DWORD dst_unused:UNUSED_PAD src0_sel:WORD_1 src1_sel:DWORD
	s_movk_i32 s4, 0x7f
	v_cmp_lt_i16_e32 vcc, s4, v13
	s_mov_b64 s[4:5], 0
                                        ; implicit-def: $sgpr10
	s_and_saveexec_b64 s[6:7], vcc
	s_xor_b64 s[6:7], exec, s[6:7]
	s_cbranch_execnz .LBB15_2453
; %bb.405:
	s_or_saveexec_b64 s[6:7], s[6:7]
	v_mov_b32_e32 v14, s10
	s_xor_b64 exec, exec, s[6:7]
	s_cbranch_execnz .LBB15_2456
.LBB15_406:
	s_or_b64 exec, exec, s[6:7]
	s_and_saveexec_b64 s[6:7], s[4:5]
	s_cbranch_execz .LBB15_408
.LBB15_407:
	v_bfe_u32 v13, v2, 16, 3
	v_ffbh_u32_e32 v16, v13
	v_min_u32_e32 v16, 32, v16
	v_lshrrev_b32_e32 v14, 19, v2
	v_subrev_u32_e32 v17, 28, v16
	v_and_b32_e32 v14, 15, v14
	v_lshlrev_b32_sdwa v17, v17, v2 dst_sel:DWORD dst_unused:UNUSED_PAD src0_sel:DWORD src1_sel:WORD_1
	v_bfe_u32 v15, v2, 19, 4
	v_sub_u32_e32 v16, 29, v16
	v_and_b32_e32 v17, 7, v17
	v_cmp_eq_u16_e32 vcc, 0, v14
	v_cndmask_b32_e32 v13, v13, v17, vcc
	v_cndmask_b32_e32 v14, v15, v16, vcc
	v_lshlrev_b32_e32 v15, 8, v2
	v_mov_b32_e32 v16, 0x3b800000
	v_lshlrev_b32_e32 v13, 20, v13
	v_and_b32_e32 v15, 0x80000000, v15
	v_lshl_add_u32 v14, v14, 23, v16
	v_or3_b32 v14, v15, v14, v13
.LBB15_408:
	s_or_b64 exec, exec, s[6:7]
	s_nop 0
	v_mfma_f32_16x16x4f32 a[0:3], v12, v14, a[0:3]
	s_movk_i32 s4, 0x7f
	v_cmp_gt_i16_sdwa s[6:7], v6, s4 src0_sel:BYTE_3 src1_sel:DWORD
	s_mov_b64 s[4:5], 0
                                        ; implicit-def: $sgpr10
	s_and_saveexec_b64 s[8:9], s[6:7]
	s_xor_b64 s[6:7], exec, s[8:9]
	s_cbranch_execnz .LBB15_2457
; %bb.409:
	s_or_saveexec_b64 s[6:7], s[6:7]
	v_mov_b32_e32 v12, s10
	s_xor_b64 exec, exec, s[6:7]
	s_cbranch_execnz .LBB15_2460
.LBB15_410:
	s_or_b64 exec, exec, s[6:7]
	s_and_saveexec_b64 s[6:7], s[4:5]
	s_cbranch_execz .LBB15_412
.LBB15_411:
	v_bfe_u32 v12, v6, 24, 3
	v_ffbh_u32_e32 v16, v12
	v_min_u32_e32 v16, 32, v16
	v_lshrrev_b32_e32 v14, 27, v6
	v_subrev_u32_e32 v17, 28, v16
	v_and_b32_e32 v13, 0x80000000, v6
	v_and_b32_e32 v14, 15, v14
	v_bfe_u32 v15, v6, 27, 4
	v_lshlrev_b32_sdwa v6, v17, v6 dst_sel:DWORD dst_unused:UNUSED_PAD src0_sel:DWORD src1_sel:BYTE_3
	v_sub_u32_e32 v16, 29, v16
	v_and_b32_e32 v6, 7, v6
	v_cmp_eq_u16_e32 vcc, 0, v14
	v_cndmask_b32_e32 v6, v12, v6, vcc
	v_cndmask_b32_e32 v12, v15, v16, vcc
	v_mov_b32_e32 v14, 0x3b800000
	v_lshlrev_b32_e32 v6, 20, v6
	v_lshl_add_u32 v12, v12, 23, v14
	v_or3_b32 v12, v13, v12, v6
.LBB15_412:
	s_or_b64 exec, exec, s[6:7]
	s_movk_i32 s4, 0x7f
	v_cmp_gt_i16_sdwa s[6:7], v2, s4 src0_sel:BYTE_3 src1_sel:DWORD
	s_mov_b64 s[4:5], 0
                                        ; implicit-def: $sgpr10
	s_and_saveexec_b64 s[8:9], s[6:7]
	s_xor_b64 s[6:7], exec, s[8:9]
	s_cbranch_execnz .LBB15_2461
; %bb.413:
	s_or_saveexec_b64 s[6:7], s[6:7]
	v_mov_b32_e32 v6, s10
	s_xor_b64 exec, exec, s[6:7]
	s_cbranch_execnz .LBB15_2464
.LBB15_414:
	s_or_b64 exec, exec, s[6:7]
	s_and_saveexec_b64 s[6:7], s[4:5]
	s_cbranch_execz .LBB15_416
.LBB15_415:
	v_bfe_u32 v6, v2, 24, 3
	v_ffbh_u32_e32 v16, v6
	v_min_u32_e32 v16, 32, v16
	v_lshrrev_b32_e32 v14, 27, v2
	v_subrev_u32_e32 v17, 28, v16
	v_and_b32_e32 v13, 0x80000000, v2
	v_and_b32_e32 v14, 15, v14
	v_bfe_u32 v15, v2, 27, 4
	v_lshlrev_b32_sdwa v2, v17, v2 dst_sel:DWORD dst_unused:UNUSED_PAD src0_sel:DWORD src1_sel:BYTE_3
	v_sub_u32_e32 v16, 29, v16
	v_and_b32_e32 v2, 7, v2
	v_cmp_eq_u16_e32 vcc, 0, v14
	v_cndmask_b32_e32 v2, v6, v2, vcc
	v_cndmask_b32_e32 v6, v15, v16, vcc
	v_mov_b32_e32 v14, 0x3b800000
	v_lshlrev_b32_e32 v2, 20, v2
	v_lshl_add_u32 v6, v6, 23, v14
	v_or3_b32 v6, v13, v6, v2
.LBB15_416:
	s_or_b64 exec, exec, s[6:7]
	s_nop 0
	v_mfma_f32_16x16x4f32 a[0:3], v12, v6, a[0:3]
	s_movk_i32 s4, 0x7f
	v_cmp_gt_i16_sdwa s[6:7], v7, s4 src0_sel:BYTE_0 src1_sel:DWORD
	s_mov_b64 s[4:5], 0
                                        ; implicit-def: $sgpr10
	s_and_saveexec_b64 s[8:9], s[6:7]
	s_xor_b64 s[6:7], exec, s[8:9]
	s_cbranch_execnz .LBB15_2465
; %bb.417:
	s_or_saveexec_b64 s[6:7], s[6:7]
	v_mov_b32_e32 v2, s10
	s_xor_b64 exec, exec, s[6:7]
	s_cbranch_execnz .LBB15_2468
.LBB15_418:
	s_or_b64 exec, exec, s[6:7]
	s_and_saveexec_b64 s[6:7], s[4:5]
	s_cbranch_execz .LBB15_420
.LBB15_419:
	v_and_b32_e32 v2, 7, v7
	v_ffbh_u32_e32 v12, v2
	v_min_u32_e32 v12, 32, v12
	v_lshrrev_b16_e32 v6, 3, v7
	v_subrev_u32_e32 v13, 28, v12
	v_and_b32_e32 v6, 15, v6
	v_lshlrev_b32_e32 v13, v13, v7
	v_sub_u32_e32 v12, 29, v12
	v_and_b32_e32 v13, 7, v13
	v_cmp_eq_u16_e32 vcc, 0, v6
	v_cndmask_b32_e32 v2, v2, v13, vcc
	v_cndmask_b32_e32 v6, v6, v12, vcc
	v_lshlrev_b32_e32 v12, 24, v7
	v_mov_b32_e32 v13, 0x3b800000
	v_lshlrev_b32_e32 v2, 20, v2
	v_and_b32_e32 v12, 0x80000000, v12
	v_lshl_add_u32 v6, v6, 23, v13
	v_or3_b32 v2, v12, v6, v2
.LBB15_420:
	s_or_b64 exec, exec, s[6:7]
	s_movk_i32 s4, 0x7f
	v_cmp_gt_i16_sdwa s[6:7], v3, s4 src0_sel:BYTE_0 src1_sel:DWORD
	s_mov_b64 s[4:5], 0
                                        ; implicit-def: $sgpr10
	s_and_saveexec_b64 s[8:9], s[6:7]
	s_xor_b64 s[6:7], exec, s[8:9]
	s_cbranch_execnz .LBB15_2469
; %bb.421:
	s_or_saveexec_b64 s[6:7], s[6:7]
	v_mov_b32_e32 v6, s10
	s_xor_b64 exec, exec, s[6:7]
	s_cbranch_execnz .LBB15_2472
.LBB15_422:
	s_or_b64 exec, exec, s[6:7]
	s_and_saveexec_b64 s[6:7], s[4:5]
	s_cbranch_execz .LBB15_424
.LBB15_423:
	v_and_b32_e32 v6, 7, v3
	v_ffbh_u32_e32 v13, v6
	v_min_u32_e32 v13, 32, v13
	v_lshrrev_b16_e32 v12, 3, v3
	v_subrev_u32_e32 v14, 28, v13
	v_and_b32_e32 v12, 15, v12
	v_lshlrev_b32_e32 v14, v14, v3
	v_sub_u32_e32 v13, 29, v13
	v_and_b32_e32 v14, 7, v14
	v_cmp_eq_u16_e32 vcc, 0, v12
	v_cndmask_b32_e32 v6, v6, v14, vcc
	v_cndmask_b32_e32 v12, v12, v13, vcc
	v_lshlrev_b32_e32 v13, 24, v3
	v_mov_b32_e32 v14, 0x3b800000
	v_lshlrev_b32_e32 v6, 20, v6
	v_and_b32_e32 v13, 0x80000000, v13
	v_lshl_add_u32 v12, v12, 23, v14
	v_or3_b32 v6, v13, v12, v6
.LBB15_424:
	s_or_b64 exec, exec, s[6:7]
	s_nop 0
	v_mfma_f32_16x16x4f32 a[0:3], v2, v6, a[0:3]
	v_lshrrev_b32_e32 v6, 8, v7
	s_movk_i32 s4, 0x7f
	v_cmp_gt_i16_sdwa s[6:7], v6, s4 src0_sel:BYTE_0 src1_sel:DWORD
	s_mov_b64 s[4:5], 0
                                        ; implicit-def: $sgpr10
	s_and_saveexec_b64 s[8:9], s[6:7]
	s_xor_b64 s[6:7], exec, s[8:9]
	s_cbranch_execnz .LBB15_2473
; %bb.425:
	s_or_saveexec_b64 s[6:7], s[6:7]
	v_mov_b32_e32 v2, s10
	s_xor_b64 exec, exec, s[6:7]
	s_cbranch_execnz .LBB15_2476
.LBB15_426:
	s_or_b64 exec, exec, s[6:7]
	s_and_saveexec_b64 s[6:7], s[4:5]
	s_cbranch_execz .LBB15_428
.LBB15_427:
	v_bfe_u32 v2, v7, 8, 3
	v_ffbh_u32_e32 v13, v2
	v_min_u32_e32 v13, 32, v13
	v_lshrrev_b16_e32 v12, 3, v6
	v_subrev_u32_e32 v14, 28, v13
	v_and_b32_e32 v12, 15, v12
	v_lshlrev_b32_e32 v6, v14, v6
	v_sub_u32_e32 v13, 29, v13
	v_and_b32_e32 v6, 7, v6
	v_cmp_eq_u16_e32 vcc, 0, v12
	v_cndmask_b32_e32 v2, v2, v6, vcc
	v_cndmask_b32_e32 v6, v12, v13, vcc
	v_lshlrev_b32_e32 v12, 16, v7
	v_mov_b32_e32 v13, 0x3b800000
	v_lshlrev_b32_e32 v2, 20, v2
	v_and_b32_e32 v12, 0x80000000, v12
	v_lshl_add_u32 v6, v6, 23, v13
	v_or3_b32 v2, v12, v6, v2
.LBB15_428:
	s_or_b64 exec, exec, s[6:7]
	v_lshrrev_b32_e32 v6, 8, v3
	s_movk_i32 s4, 0x7f
	v_cmp_gt_i16_sdwa s[6:7], v6, s4 src0_sel:BYTE_0 src1_sel:DWORD
	s_mov_b64 s[4:5], 0
                                        ; implicit-def: $sgpr10
	s_and_saveexec_b64 s[8:9], s[6:7]
	s_xor_b64 s[6:7], exec, s[8:9]
	s_cbranch_execnz .LBB15_2477
; %bb.429:
	s_or_saveexec_b64 s[6:7], s[6:7]
	v_mov_b32_e32 v12, s10
	s_xor_b64 exec, exec, s[6:7]
	s_cbranch_execnz .LBB15_2480
.LBB15_430:
	s_or_b64 exec, exec, s[6:7]
	s_and_saveexec_b64 s[6:7], s[4:5]
	s_cbranch_execz .LBB15_432
.LBB15_431:
	v_bfe_u32 v12, v3, 8, 3
	v_ffbh_u32_e32 v14, v12
	v_min_u32_e32 v14, 32, v14
	v_lshrrev_b16_e32 v13, 3, v6
	v_subrev_u32_e32 v15, 28, v14
	v_and_b32_e32 v13, 15, v13
	v_lshlrev_b32_e32 v6, v15, v6
	v_sub_u32_e32 v14, 29, v14
	v_and_b32_e32 v6, 7, v6
	v_cmp_eq_u16_e32 vcc, 0, v13
	v_cndmask_b32_e32 v6, v12, v6, vcc
	v_cndmask_b32_e32 v12, v13, v14, vcc
	v_lshlrev_b32_e32 v13, 16, v3
	v_mov_b32_e32 v14, 0x3b800000
	v_lshlrev_b32_e32 v6, 20, v6
	v_and_b32_e32 v13, 0x80000000, v13
	v_lshl_add_u32 v12, v12, 23, v14
	v_or3_b32 v12, v13, v12, v6
.LBB15_432:
	s_or_b64 exec, exec, s[6:7]
	s_nop 0
	v_mfma_f32_16x16x4f32 a[0:3], v2, v12, a[0:3]
	s_movk_i32 s4, 0xff
	v_and_b32_sdwa v6, v7, s4 dst_sel:DWORD dst_unused:UNUSED_PAD src0_sel:WORD_1 src1_sel:DWORD
	s_movk_i32 s4, 0x7f
	v_cmp_lt_i16_e32 vcc, s4, v6
	s_mov_b64 s[4:5], 0
                                        ; implicit-def: $sgpr10
	s_and_saveexec_b64 s[6:7], vcc
	s_xor_b64 s[6:7], exec, s[6:7]
	s_cbranch_execnz .LBB15_2481
; %bb.433:
	s_or_saveexec_b64 s[6:7], s[6:7]
	v_mov_b32_e32 v2, s10
	s_xor_b64 exec, exec, s[6:7]
	s_cbranch_execnz .LBB15_2484
.LBB15_434:
	s_or_b64 exec, exec, s[6:7]
	s_and_saveexec_b64 s[6:7], s[4:5]
	s_cbranch_execz .LBB15_436
.LBB15_435:
	v_bfe_u32 v2, v7, 16, 3
	v_ffbh_u32_e32 v13, v2
	v_min_u32_e32 v13, 32, v13
	v_lshrrev_b32_e32 v6, 19, v7
	v_subrev_u32_e32 v14, 28, v13
	v_and_b32_e32 v6, 15, v6
	v_lshlrev_b32_sdwa v14, v14, v7 dst_sel:DWORD dst_unused:UNUSED_PAD src0_sel:DWORD src1_sel:WORD_1
	v_bfe_u32 v12, v7, 19, 4
	v_sub_u32_e32 v13, 29, v13
	v_and_b32_e32 v14, 7, v14
	v_cmp_eq_u16_e32 vcc, 0, v6
	v_cndmask_b32_e32 v2, v2, v14, vcc
	v_cndmask_b32_e32 v6, v12, v13, vcc
	v_lshlrev_b32_e32 v12, 8, v7
	v_mov_b32_e32 v13, 0x3b800000
	v_lshlrev_b32_e32 v2, 20, v2
	v_and_b32_e32 v12, 0x80000000, v12
	v_lshl_add_u32 v6, v6, 23, v13
	v_or3_b32 v2, v12, v6, v2
.LBB15_436:
	s_or_b64 exec, exec, s[6:7]
	s_movk_i32 s4, 0xff
	v_and_b32_sdwa v6, v3, s4 dst_sel:DWORD dst_unused:UNUSED_PAD src0_sel:WORD_1 src1_sel:DWORD
	s_movk_i32 s4, 0x7f
	v_cmp_lt_i16_e32 vcc, s4, v6
	s_mov_b64 s[4:5], 0
                                        ; implicit-def: $sgpr10
	s_and_saveexec_b64 s[6:7], vcc
	s_xor_b64 s[6:7], exec, s[6:7]
	s_cbranch_execnz .LBB15_2485
; %bb.437:
	s_or_saveexec_b64 s[6:7], s[6:7]
	v_mov_b32_e32 v12, s10
	s_xor_b64 exec, exec, s[6:7]
	s_cbranch_execnz .LBB15_2488
.LBB15_438:
	s_or_b64 exec, exec, s[6:7]
	s_and_saveexec_b64 s[6:7], s[4:5]
	s_cbranch_execz .LBB15_440
.LBB15_439:
	v_bfe_u32 v6, v3, 16, 3
	v_ffbh_u32_e32 v14, v6
	v_min_u32_e32 v14, 32, v14
	v_lshrrev_b32_e32 v12, 19, v3
	v_subrev_u32_e32 v15, 28, v14
	v_and_b32_e32 v12, 15, v12
	v_lshlrev_b32_sdwa v15, v15, v3 dst_sel:DWORD dst_unused:UNUSED_PAD src0_sel:DWORD src1_sel:WORD_1
	v_bfe_u32 v13, v3, 19, 4
	v_sub_u32_e32 v14, 29, v14
	v_and_b32_e32 v15, 7, v15
	v_cmp_eq_u16_e32 vcc, 0, v12
	v_cndmask_b32_e32 v6, v6, v15, vcc
	v_cndmask_b32_e32 v12, v13, v14, vcc
	v_lshlrev_b32_e32 v13, 8, v3
	v_mov_b32_e32 v14, 0x3b800000
	v_lshlrev_b32_e32 v6, 20, v6
	v_and_b32_e32 v13, 0x80000000, v13
	v_lshl_add_u32 v12, v12, 23, v14
	v_or3_b32 v12, v13, v12, v6
.LBB15_440:
	s_or_b64 exec, exec, s[6:7]
	s_nop 0
	v_mfma_f32_16x16x4f32 a[0:3], v2, v12, a[0:3]
	s_movk_i32 s4, 0x7f
	v_cmp_gt_i16_sdwa s[6:7], v7, s4 src0_sel:BYTE_3 src1_sel:DWORD
	s_mov_b64 s[4:5], 0
                                        ; implicit-def: $sgpr10
	s_and_saveexec_b64 s[8:9], s[6:7]
	s_xor_b64 s[6:7], exec, s[8:9]
	s_cbranch_execnz .LBB15_2489
; %bb.441:
	s_or_saveexec_b64 s[6:7], s[6:7]
	v_mov_b32_e32 v2, s10
	s_xor_b64 exec, exec, s[6:7]
	s_cbranch_execnz .LBB15_2492
.LBB15_442:
	s_or_b64 exec, exec, s[6:7]
	s_and_saveexec_b64 s[6:7], s[4:5]
	s_cbranch_execz .LBB15_444
.LBB15_443:
	v_bfe_u32 v2, v7, 24, 3
	v_ffbh_u32_e32 v14, v2
	v_min_u32_e32 v14, 32, v14
	v_lshrrev_b32_e32 v12, 27, v7
	v_subrev_u32_e32 v15, 28, v14
	v_and_b32_e32 v6, 0x80000000, v7
	v_and_b32_e32 v12, 15, v12
	v_bfe_u32 v13, v7, 27, 4
	v_lshlrev_b32_sdwa v7, v15, v7 dst_sel:DWORD dst_unused:UNUSED_PAD src0_sel:DWORD src1_sel:BYTE_3
	v_sub_u32_e32 v14, 29, v14
	v_and_b32_e32 v7, 7, v7
	v_cmp_eq_u16_e32 vcc, 0, v12
	v_cndmask_b32_e32 v2, v2, v7, vcc
	v_cndmask_b32_e32 v7, v13, v14, vcc
	v_mov_b32_e32 v12, 0x3b800000
	v_lshlrev_b32_e32 v2, 20, v2
	v_lshl_add_u32 v7, v7, 23, v12
	v_or3_b32 v2, v6, v7, v2
.LBB15_444:
	s_or_b64 exec, exec, s[6:7]
	s_movk_i32 s4, 0x7f
	v_cmp_gt_i16_sdwa s[6:7], v3, s4 src0_sel:BYTE_3 src1_sel:DWORD
	s_mov_b64 s[4:5], 0
                                        ; implicit-def: $sgpr10
	s_and_saveexec_b64 s[8:9], s[6:7]
	s_xor_b64 s[6:7], exec, s[8:9]
	s_cbranch_execnz .LBB15_2493
; %bb.445:
	s_or_saveexec_b64 s[6:7], s[6:7]
	v_mov_b32_e32 v6, s10
	s_xor_b64 exec, exec, s[6:7]
	s_cbranch_execnz .LBB15_2496
.LBB15_446:
	s_or_b64 exec, exec, s[6:7]
	s_and_saveexec_b64 s[6:7], s[4:5]
	s_cbranch_execz .LBB15_448
.LBB15_447:
	v_bfe_u32 v6, v3, 24, 3
	v_ffbh_u32_e32 v14, v6
	v_min_u32_e32 v14, 32, v14
	v_lshrrev_b32_e32 v12, 27, v3
	v_subrev_u32_e32 v15, 28, v14
	v_and_b32_e32 v7, 0x80000000, v3
	v_and_b32_e32 v12, 15, v12
	v_bfe_u32 v13, v3, 27, 4
	v_lshlrev_b32_sdwa v3, v15, v3 dst_sel:DWORD dst_unused:UNUSED_PAD src0_sel:DWORD src1_sel:BYTE_3
	v_sub_u32_e32 v14, 29, v14
	v_and_b32_e32 v3, 7, v3
	v_cmp_eq_u16_e32 vcc, 0, v12
	v_cndmask_b32_e32 v3, v6, v3, vcc
	v_cndmask_b32_e32 v6, v13, v14, vcc
	v_mov_b32_e32 v12, 0x3b800000
	v_lshlrev_b32_e32 v3, 20, v3
	v_lshl_add_u32 v6, v6, 23, v12
	v_or3_b32 v6, v7, v6, v3
.LBB15_448:
	s_or_b64 exec, exec, s[6:7]
	s_nop 0
	v_mfma_f32_16x16x4f32 a[0:3], v2, v6, a[0:3]
	s_movk_i32 s4, 0x7f
	v_cmp_gt_i16_sdwa s[6:7], v8, s4 src0_sel:BYTE_0 src1_sel:DWORD
	s_mov_b64 s[4:5], 0
                                        ; implicit-def: $sgpr10
	s_and_saveexec_b64 s[8:9], s[6:7]
	s_xor_b64 s[6:7], exec, s[8:9]
	s_cbranch_execnz .LBB15_2497
; %bb.449:
	s_or_saveexec_b64 s[6:7], s[6:7]
	v_mov_b32_e32 v2, s10
	s_xor_b64 exec, exec, s[6:7]
	s_cbranch_execnz .LBB15_2500
.LBB15_450:
	s_or_b64 exec, exec, s[6:7]
	s_and_saveexec_b64 s[6:7], s[4:5]
	s_cbranch_execz .LBB15_452
.LBB15_451:
	v_and_b32_e32 v2, 7, v8
	v_ffbh_u32_e32 v6, v2
	v_min_u32_e32 v6, 32, v6
	v_lshrrev_b16_e32 v3, 3, v8
	v_subrev_u32_e32 v7, 28, v6
	v_and_b32_e32 v3, 15, v3
	v_lshlrev_b32_e32 v7, v7, v8
	v_sub_u32_e32 v6, 29, v6
	v_and_b32_e32 v7, 7, v7
	v_cmp_eq_u16_e32 vcc, 0, v3
	v_cndmask_b32_e32 v2, v2, v7, vcc
	v_cndmask_b32_e32 v3, v3, v6, vcc
	v_lshlrev_b32_e32 v6, 24, v8
	v_mov_b32_e32 v7, 0x3b800000
	v_lshlrev_b32_e32 v2, 20, v2
	v_and_b32_e32 v6, 0x80000000, v6
	v_lshl_add_u32 v3, v3, 23, v7
	v_or3_b32 v2, v6, v3, v2
.LBB15_452:
	s_or_b64 exec, exec, s[6:7]
	s_movk_i32 s4, 0x7f
	v_cmp_gt_i16_sdwa s[6:7], v4, s4 src0_sel:BYTE_0 src1_sel:DWORD
	s_mov_b64 s[4:5], 0
                                        ; implicit-def: $sgpr10
	s_and_saveexec_b64 s[8:9], s[6:7]
	s_xor_b64 s[6:7], exec, s[8:9]
	s_cbranch_execnz .LBB15_2501
; %bb.453:
	s_or_saveexec_b64 s[6:7], s[6:7]
	v_mov_b32_e32 v3, s10
	s_xor_b64 exec, exec, s[6:7]
	s_cbranch_execnz .LBB15_2504
.LBB15_454:
	s_or_b64 exec, exec, s[6:7]
	s_and_saveexec_b64 s[6:7], s[4:5]
	s_cbranch_execz .LBB15_456
.LBB15_455:
	v_and_b32_e32 v3, 7, v4
	v_ffbh_u32_e32 v7, v3
	v_min_u32_e32 v7, 32, v7
	v_lshrrev_b16_e32 v6, 3, v4
	v_subrev_u32_e32 v12, 28, v7
	v_and_b32_e32 v6, 15, v6
	v_lshlrev_b32_e32 v12, v12, v4
	v_sub_u32_e32 v7, 29, v7
	v_and_b32_e32 v12, 7, v12
	v_cmp_eq_u16_e32 vcc, 0, v6
	v_cndmask_b32_e32 v3, v3, v12, vcc
	v_cndmask_b32_e32 v6, v6, v7, vcc
	v_lshlrev_b32_e32 v7, 24, v4
	v_mov_b32_e32 v12, 0x3b800000
	v_lshlrev_b32_e32 v3, 20, v3
	v_and_b32_e32 v7, 0x80000000, v7
	v_lshl_add_u32 v6, v6, 23, v12
	v_or3_b32 v3, v7, v6, v3
.LBB15_456:
	s_or_b64 exec, exec, s[6:7]
	s_nop 0
	v_mfma_f32_16x16x4f32 a[0:3], v2, v3, a[0:3]
	v_lshrrev_b32_e32 v3, 8, v8
	s_movk_i32 s4, 0x7f
	v_cmp_gt_i16_sdwa s[6:7], v3, s4 src0_sel:BYTE_0 src1_sel:DWORD
	s_mov_b64 s[4:5], 0
                                        ; implicit-def: $sgpr10
	s_and_saveexec_b64 s[8:9], s[6:7]
	s_xor_b64 s[6:7], exec, s[8:9]
	s_cbranch_execnz .LBB15_2505
; %bb.457:
	s_or_saveexec_b64 s[6:7], s[6:7]
	v_mov_b32_e32 v2, s10
	s_xor_b64 exec, exec, s[6:7]
	s_cbranch_execnz .LBB15_2508
.LBB15_458:
	s_or_b64 exec, exec, s[6:7]
	s_and_saveexec_b64 s[6:7], s[4:5]
	s_cbranch_execz .LBB15_460
.LBB15_459:
	v_bfe_u32 v2, v8, 8, 3
	v_ffbh_u32_e32 v7, v2
	v_min_u32_e32 v7, 32, v7
	v_lshrrev_b16_e32 v6, 3, v3
	v_subrev_u32_e32 v12, 28, v7
	v_and_b32_e32 v6, 15, v6
	v_lshlrev_b32_e32 v3, v12, v3
	v_sub_u32_e32 v7, 29, v7
	v_and_b32_e32 v3, 7, v3
	v_cmp_eq_u16_e32 vcc, 0, v6
	v_cndmask_b32_e32 v2, v2, v3, vcc
	v_cndmask_b32_e32 v3, v6, v7, vcc
	v_lshlrev_b32_e32 v6, 16, v8
	v_mov_b32_e32 v7, 0x3b800000
	v_lshlrev_b32_e32 v2, 20, v2
	v_and_b32_e32 v6, 0x80000000, v6
	v_lshl_add_u32 v3, v3, 23, v7
	v_or3_b32 v2, v6, v3, v2
.LBB15_460:
	s_or_b64 exec, exec, s[6:7]
	v_lshrrev_b32_e32 v3, 8, v4
	s_movk_i32 s4, 0x7f
	v_cmp_gt_i16_sdwa s[6:7], v3, s4 src0_sel:BYTE_0 src1_sel:DWORD
	s_mov_b64 s[4:5], 0
                                        ; implicit-def: $sgpr10
	s_and_saveexec_b64 s[8:9], s[6:7]
	s_xor_b64 s[6:7], exec, s[8:9]
	s_cbranch_execnz .LBB15_2509
; %bb.461:
	s_or_saveexec_b64 s[6:7], s[6:7]
	v_mov_b32_e32 v6, s10
	s_xor_b64 exec, exec, s[6:7]
	s_cbranch_execnz .LBB15_2512
.LBB15_462:
	s_or_b64 exec, exec, s[6:7]
	s_and_saveexec_b64 s[6:7], s[4:5]
	s_cbranch_execz .LBB15_464
.LBB15_463:
	v_bfe_u32 v6, v4, 8, 3
	v_ffbh_u32_e32 v12, v6
	v_min_u32_e32 v12, 32, v12
	v_lshrrev_b16_e32 v7, 3, v3
	v_subrev_u32_e32 v13, 28, v12
	v_and_b32_e32 v7, 15, v7
	v_lshlrev_b32_e32 v3, v13, v3
	v_sub_u32_e32 v12, 29, v12
	v_and_b32_e32 v3, 7, v3
	v_cmp_eq_u16_e32 vcc, 0, v7
	v_cndmask_b32_e32 v3, v6, v3, vcc
	v_cndmask_b32_e32 v6, v7, v12, vcc
	v_lshlrev_b32_e32 v7, 16, v4
	v_mov_b32_e32 v12, 0x3b800000
	v_lshlrev_b32_e32 v3, 20, v3
	v_and_b32_e32 v7, 0x80000000, v7
	v_lshl_add_u32 v6, v6, 23, v12
	v_or3_b32 v6, v7, v6, v3
.LBB15_464:
	s_or_b64 exec, exec, s[6:7]
	s_nop 0
	v_mfma_f32_16x16x4f32 a[0:3], v2, v6, a[0:3]
	s_movk_i32 s4, 0xff
	v_and_b32_sdwa v3, v8, s4 dst_sel:DWORD dst_unused:UNUSED_PAD src0_sel:WORD_1 src1_sel:DWORD
	s_movk_i32 s4, 0x7f
	v_cmp_lt_i16_e32 vcc, s4, v3
	s_mov_b64 s[4:5], 0
                                        ; implicit-def: $sgpr10
	s_and_saveexec_b64 s[6:7], vcc
	s_xor_b64 s[6:7], exec, s[6:7]
	s_cbranch_execnz .LBB15_2513
; %bb.465:
	s_or_saveexec_b64 s[6:7], s[6:7]
	v_mov_b32_e32 v2, s10
	s_xor_b64 exec, exec, s[6:7]
	s_cbranch_execnz .LBB15_2516
.LBB15_466:
	s_or_b64 exec, exec, s[6:7]
	s_and_saveexec_b64 s[6:7], s[4:5]
	s_cbranch_execz .LBB15_468
.LBB15_467:
	v_bfe_u32 v2, v8, 16, 3
	v_ffbh_u32_e32 v7, v2
	v_min_u32_e32 v7, 32, v7
	v_lshrrev_b32_e32 v3, 19, v8
	v_subrev_u32_e32 v12, 28, v7
	v_and_b32_e32 v3, 15, v3
	v_lshlrev_b32_sdwa v12, v12, v8 dst_sel:DWORD dst_unused:UNUSED_PAD src0_sel:DWORD src1_sel:WORD_1
	v_bfe_u32 v6, v8, 19, 4
	v_sub_u32_e32 v7, 29, v7
	v_and_b32_e32 v12, 7, v12
	v_cmp_eq_u16_e32 vcc, 0, v3
	v_cndmask_b32_e32 v2, v2, v12, vcc
	v_cndmask_b32_e32 v3, v6, v7, vcc
	v_lshlrev_b32_e32 v6, 8, v8
	v_mov_b32_e32 v7, 0x3b800000
	v_lshlrev_b32_e32 v2, 20, v2
	v_and_b32_e32 v6, 0x80000000, v6
	v_lshl_add_u32 v3, v3, 23, v7
	v_or3_b32 v2, v6, v3, v2
.LBB15_468:
	s_or_b64 exec, exec, s[6:7]
	s_movk_i32 s4, 0xff
	v_and_b32_sdwa v3, v4, s4 dst_sel:DWORD dst_unused:UNUSED_PAD src0_sel:WORD_1 src1_sel:DWORD
	s_movk_i32 s4, 0x7f
	v_cmp_lt_i16_e32 vcc, s4, v3
	s_mov_b64 s[4:5], 0
                                        ; implicit-def: $sgpr10
	s_and_saveexec_b64 s[6:7], vcc
	s_xor_b64 s[6:7], exec, s[6:7]
	s_cbranch_execnz .LBB15_2517
; %bb.469:
	s_or_saveexec_b64 s[6:7], s[6:7]
	v_mov_b32_e32 v6, s10
	s_xor_b64 exec, exec, s[6:7]
	s_cbranch_execnz .LBB15_2520
.LBB15_470:
	s_or_b64 exec, exec, s[6:7]
	s_and_saveexec_b64 s[6:7], s[4:5]
	s_cbranch_execz .LBB15_472
.LBB15_471:
	v_bfe_u32 v3, v4, 16, 3
	v_ffbh_u32_e32 v12, v3
	v_min_u32_e32 v12, 32, v12
	v_lshrrev_b32_e32 v6, 19, v4
	v_subrev_u32_e32 v13, 28, v12
	v_and_b32_e32 v6, 15, v6
	v_lshlrev_b32_sdwa v13, v13, v4 dst_sel:DWORD dst_unused:UNUSED_PAD src0_sel:DWORD src1_sel:WORD_1
	v_bfe_u32 v7, v4, 19, 4
	v_sub_u32_e32 v12, 29, v12
	v_and_b32_e32 v13, 7, v13
	v_cmp_eq_u16_e32 vcc, 0, v6
	v_cndmask_b32_e32 v3, v3, v13, vcc
	v_cndmask_b32_e32 v6, v7, v12, vcc
	v_lshlrev_b32_e32 v7, 8, v4
	v_mov_b32_e32 v12, 0x3b800000
	v_lshlrev_b32_e32 v3, 20, v3
	v_and_b32_e32 v7, 0x80000000, v7
	v_lshl_add_u32 v6, v6, 23, v12
	v_or3_b32 v6, v7, v6, v3
.LBB15_472:
	s_or_b64 exec, exec, s[6:7]
	s_nop 0
	v_mfma_f32_16x16x4f32 a[0:3], v2, v6, a[0:3]
	s_movk_i32 s4, 0x7f
	v_cmp_gt_i16_sdwa s[6:7], v8, s4 src0_sel:BYTE_3 src1_sel:DWORD
	s_mov_b64 s[4:5], 0
                                        ; implicit-def: $sgpr10
	s_and_saveexec_b64 s[8:9], s[6:7]
	s_xor_b64 s[6:7], exec, s[8:9]
	s_cbranch_execnz .LBB15_2521
; %bb.473:
	s_or_saveexec_b64 s[6:7], s[6:7]
	v_mov_b32_e32 v2, s10
	s_xor_b64 exec, exec, s[6:7]
	s_cbranch_execnz .LBB15_2524
.LBB15_474:
	s_or_b64 exec, exec, s[6:7]
	s_and_saveexec_b64 s[6:7], s[4:5]
	s_cbranch_execz .LBB15_476
.LBB15_475:
	v_bfe_u32 v2, v8, 24, 3
	v_ffbh_u32_e32 v12, v2
	v_min_u32_e32 v12, 32, v12
	v_lshrrev_b32_e32 v6, 27, v8
	v_subrev_u32_e32 v13, 28, v12
	v_and_b32_e32 v3, 0x80000000, v8
	v_and_b32_e32 v6, 15, v6
	v_bfe_u32 v7, v8, 27, 4
	v_lshlrev_b32_sdwa v8, v13, v8 dst_sel:DWORD dst_unused:UNUSED_PAD src0_sel:DWORD src1_sel:BYTE_3
	v_sub_u32_e32 v12, 29, v12
	v_and_b32_e32 v8, 7, v8
	v_cmp_eq_u16_e32 vcc, 0, v6
	v_cndmask_b32_e32 v2, v2, v8, vcc
	v_cndmask_b32_e32 v6, v7, v12, vcc
	v_mov_b32_e32 v7, 0x3b800000
	v_lshlrev_b32_e32 v2, 20, v2
	v_lshl_add_u32 v6, v6, 23, v7
	v_or3_b32 v2, v3, v6, v2
.LBB15_476:
	s_or_b64 exec, exec, s[6:7]
	s_movk_i32 s4, 0x7f
	v_cmp_gt_i16_sdwa s[6:7], v4, s4 src0_sel:BYTE_3 src1_sel:DWORD
	s_mov_b64 s[4:5], 0
                                        ; implicit-def: $sgpr10
	s_and_saveexec_b64 s[8:9], s[6:7]
	s_xor_b64 s[6:7], exec, s[8:9]
	s_cbranch_execnz .LBB15_2525
; %bb.477:
	s_or_saveexec_b64 s[6:7], s[6:7]
	v_mov_b32_e32 v3, s10
	s_xor_b64 exec, exec, s[6:7]
	s_cbranch_execnz .LBB15_2528
.LBB15_478:
	s_or_b64 exec, exec, s[6:7]
	s_and_saveexec_b64 s[6:7], s[4:5]
	s_cbranch_execz .LBB15_480
.LBB15_479:
	v_bfe_u32 v3, v4, 24, 3
	v_ffbh_u32_e32 v12, v3
	v_min_u32_e32 v12, 32, v12
	v_lshrrev_b32_e32 v7, 27, v4
	v_subrev_u32_e32 v13, 28, v12
	v_and_b32_e32 v6, 0x80000000, v4
	v_and_b32_e32 v7, 15, v7
	v_bfe_u32 v8, v4, 27, 4
	v_lshlrev_b32_sdwa v4, v13, v4 dst_sel:DWORD dst_unused:UNUSED_PAD src0_sel:DWORD src1_sel:BYTE_3
	v_sub_u32_e32 v12, 29, v12
	v_and_b32_e32 v4, 7, v4
	v_cmp_eq_u16_e32 vcc, 0, v7
	v_cndmask_b32_e32 v3, v3, v4, vcc
	v_cndmask_b32_e32 v4, v8, v12, vcc
	v_mov_b32_e32 v7, 0x3b800000
	v_lshlrev_b32_e32 v3, 20, v3
	v_lshl_add_u32 v4, v4, 23, v7
	v_or3_b32 v3, v6, v4, v3
.LBB15_480:
	s_or_b64 exec, exec, s[6:7]
	s_nop 0
	v_mfma_f32_16x16x4f32 a[0:3], v2, v3, a[0:3]
	s_movk_i32 s4, 0x7f
	v_cmp_gt_i16_sdwa s[6:7], v9, s4 src0_sel:BYTE_0 src1_sel:DWORD
	s_mov_b64 s[4:5], 0
                                        ; implicit-def: $sgpr10
	s_and_saveexec_b64 s[8:9], s[6:7]
	s_xor_b64 s[6:7], exec, s[8:9]
	s_cbranch_execnz .LBB15_2529
; %bb.481:
	s_or_saveexec_b64 s[6:7], s[6:7]
	v_mov_b32_e32 v2, s10
	s_xor_b64 exec, exec, s[6:7]
	s_cbranch_execnz .LBB15_2532
.LBB15_482:
	s_or_b64 exec, exec, s[6:7]
	s_and_saveexec_b64 s[6:7], s[4:5]
	s_cbranch_execz .LBB15_484
.LBB15_483:
	v_mov_b32_e32 v2, 8
	v_and_b32_e32 v3, 7, v9
	v_lshrrev_b32_sdwa v2, v2, v9 dst_sel:BYTE_1 dst_unused:UNUSED_PAD src0_sel:DWORD src1_sel:DWORD
	v_ffbh_u32_e32 v4, v3
	v_or_b32_sdwa v2, v9, v2 dst_sel:DWORD dst_unused:UNUSED_PAD src0_sel:BYTE_0 src1_sel:DWORD
	v_min_u32_e32 v4, 32, v4
	v_lshrrev_b16_e32 v2, 3, v2
	v_subrev_u32_e32 v6, 28, v4
	v_and_b32_e32 v2, 15, v2
	v_lshlrev_b32_e32 v6, v6, v9
	v_sub_u32_e32 v4, 29, v4
	v_and_b32_e32 v6, 7, v6
	v_cmp_eq_u16_e32 vcc, 0, v2
	v_cndmask_b32_e32 v3, v3, v6, vcc
	v_cndmask_b32_e32 v2, v2, v4, vcc
	v_lshlrev_b32_e32 v4, 24, v9
	v_mov_b32_e32 v6, 0x3b800000
	v_lshlrev_b32_e32 v3, 20, v3
	v_and_b32_e32 v4, 0x80000000, v4
	v_lshl_add_u32 v2, v2, 23, v6
	v_or3_b32 v2, v4, v2, v3
.LBB15_484:
	s_or_b64 exec, exec, s[6:7]
	s_movk_i32 s4, 0x7f
	v_cmp_gt_i16_sdwa s[6:7], v5, s4 src0_sel:BYTE_0 src1_sel:DWORD
	s_mov_b64 s[4:5], 0
                                        ; implicit-def: $sgpr10
	s_and_saveexec_b64 s[8:9], s[6:7]
	s_xor_b64 s[6:7], exec, s[8:9]
	s_cbranch_execnz .LBB15_2533
; %bb.485:
	s_or_saveexec_b64 s[6:7], s[6:7]
	v_mov_b32_e32 v3, s10
	s_xor_b64 exec, exec, s[6:7]
	s_cbranch_execnz .LBB15_2536
.LBB15_486:
	s_or_b64 exec, exec, s[6:7]
	s_and_saveexec_b64 s[6:7], s[4:5]
	s_cbranch_execz .LBB15_488
.LBB15_487:
	v_mov_b32_e32 v3, 8
	v_and_b32_e32 v4, 7, v5
	v_lshrrev_b32_sdwa v3, v3, v5 dst_sel:BYTE_1 dst_unused:UNUSED_PAD src0_sel:DWORD src1_sel:DWORD
	v_ffbh_u32_e32 v6, v4
	v_or_b32_sdwa v3, v5, v3 dst_sel:DWORD dst_unused:UNUSED_PAD src0_sel:BYTE_0 src1_sel:DWORD
	v_min_u32_e32 v6, 32, v6
	v_lshrrev_b16_e32 v3, 3, v3
	v_subrev_u32_e32 v7, 28, v6
	v_and_b32_e32 v3, 15, v3
	v_lshlrev_b32_e32 v7, v7, v5
	v_sub_u32_e32 v6, 29, v6
	v_and_b32_e32 v7, 7, v7
	v_cmp_eq_u16_e32 vcc, 0, v3
	v_cndmask_b32_e32 v4, v4, v7, vcc
	v_cndmask_b32_e32 v3, v3, v6, vcc
	v_lshlrev_b32_e32 v6, 24, v5
	v_mov_b32_e32 v7, 0x3b800000
	v_lshlrev_b32_e32 v4, 20, v4
	v_and_b32_e32 v6, 0x80000000, v6
	v_lshl_add_u32 v3, v3, 23, v7
	v_or3_b32 v3, v6, v3, v4
.LBB15_488:
	s_or_b64 exec, exec, s[6:7]
	s_nop 0
	v_mfma_f32_16x16x4f32 a[0:3], v2, v3, a[0:3]
	v_lshrrev_b32_e32 v3, 8, v9
	s_movk_i32 s4, 0x7f
	v_cmp_gt_i16_sdwa s[6:7], v3, s4 src0_sel:BYTE_0 src1_sel:DWORD
	s_mov_b64 s[4:5], 0
                                        ; implicit-def: $sgpr10
	s_and_saveexec_b64 s[8:9], s[6:7]
	s_xor_b64 s[6:7], exec, s[8:9]
	s_cbranch_execnz .LBB15_2537
; %bb.489:
	s_or_saveexec_b64 s[6:7], s[6:7]
	v_mov_b32_e32 v2, s10
	s_xor_b64 exec, exec, s[6:7]
	s_cbranch_execnz .LBB15_2540
.LBB15_490:
	s_or_b64 exec, exec, s[6:7]
	s_and_saveexec_b64 s[6:7], s[4:5]
	s_cbranch_execz .LBB15_492
.LBB15_491:
	v_bfe_u32 v2, v9, 8, 3
	v_ffbh_u32_e32 v6, v2
	v_min_u32_e32 v6, 32, v6
	v_lshrrev_b16_e32 v4, 3, v3
	v_subrev_u32_e32 v7, 28, v6
	v_and_b32_e32 v4, 15, v4
	v_lshlrev_b32_e32 v3, v7, v3
	v_sub_u32_e32 v6, 29, v6
	v_and_b32_e32 v3, 7, v3
	v_cmp_eq_u16_e32 vcc, 0, v4
	v_cndmask_b32_e32 v2, v2, v3, vcc
	v_cndmask_b32_e32 v3, v4, v6, vcc
	v_lshlrev_b32_e32 v4, 16, v9
	v_mov_b32_e32 v6, 0x3b800000
	v_lshlrev_b32_e32 v2, 20, v2
	v_and_b32_e32 v4, 0x80000000, v4
	v_lshl_add_u32 v3, v3, 23, v6
	v_or3_b32 v2, v4, v3, v2
.LBB15_492:
	s_or_b64 exec, exec, s[6:7]
	v_lshrrev_b32_e32 v3, 8, v5
	s_movk_i32 s4, 0x7f
	v_cmp_gt_i16_sdwa s[6:7], v3, s4 src0_sel:BYTE_0 src1_sel:DWORD
	s_mov_b64 s[4:5], 0
                                        ; implicit-def: $sgpr10
	s_and_saveexec_b64 s[8:9], s[6:7]
	s_xor_b64 s[6:7], exec, s[8:9]
	s_cbranch_execnz .LBB15_2541
; %bb.493:
	s_or_saveexec_b64 s[6:7], s[6:7]
	v_mov_b32_e32 v4, s10
	s_xor_b64 exec, exec, s[6:7]
	s_cbranch_execnz .LBB15_2544
.LBB15_494:
	s_or_b64 exec, exec, s[6:7]
	s_and_saveexec_b64 s[6:7], s[4:5]
	s_cbranch_execz .LBB15_496
.LBB15_495:
	v_bfe_u32 v4, v5, 8, 3
	v_ffbh_u32_e32 v7, v4
	v_min_u32_e32 v7, 32, v7
	v_lshrrev_b16_e32 v6, 3, v3
	v_subrev_u32_e32 v8, 28, v7
	v_and_b32_e32 v6, 15, v6
	v_lshlrev_b32_e32 v3, v8, v3
	v_sub_u32_e32 v7, 29, v7
	v_and_b32_e32 v3, 7, v3
	v_cmp_eq_u16_e32 vcc, 0, v6
	v_cndmask_b32_e32 v3, v4, v3, vcc
	v_cndmask_b32_e32 v4, v6, v7, vcc
	v_lshlrev_b32_e32 v6, 16, v5
	v_mov_b32_e32 v7, 0x3b800000
	v_lshlrev_b32_e32 v3, 20, v3
	v_and_b32_e32 v6, 0x80000000, v6
	v_lshl_add_u32 v4, v4, 23, v7
	v_or3_b32 v4, v6, v4, v3
.LBB15_496:
	s_or_b64 exec, exec, s[6:7]
	s_nop 0
	v_mfma_f32_16x16x4f32 a[0:3], v2, v4, a[0:3]
	s_movk_i32 s4, 0xff
	v_and_b32_sdwa v3, v9, s4 dst_sel:DWORD dst_unused:UNUSED_PAD src0_sel:WORD_1 src1_sel:DWORD
	s_movk_i32 s4, 0x7f
	v_cmp_lt_i16_e32 vcc, s4, v3
	s_mov_b64 s[4:5], 0
                                        ; implicit-def: $sgpr10
	s_and_saveexec_b64 s[6:7], vcc
	s_xor_b64 s[6:7], exec, s[6:7]
	s_cbranch_execnz .LBB15_2545
; %bb.497:
	s_or_saveexec_b64 s[6:7], s[6:7]
	v_mov_b32_e32 v2, s10
	s_xor_b64 exec, exec, s[6:7]
	s_cbranch_execnz .LBB15_2548
.LBB15_498:
	s_or_b64 exec, exec, s[6:7]
	s_and_saveexec_b64 s[6:7], s[4:5]
	s_cbranch_execz .LBB15_500
.LBB15_499:
	v_bfe_u32 v2, v9, 16, 3
	v_ffbh_u32_e32 v6, v2
	v_min_u32_e32 v6, 32, v6
	v_lshrrev_b32_e32 v3, 19, v9
	v_subrev_u32_e32 v7, 28, v6
	v_and_b32_e32 v3, 15, v3
	v_lshlrev_b32_sdwa v7, v7, v9 dst_sel:DWORD dst_unused:UNUSED_PAD src0_sel:DWORD src1_sel:WORD_1
	v_bfe_u32 v4, v9, 19, 4
	v_sub_u32_e32 v6, 29, v6
	v_and_b32_e32 v7, 7, v7
	v_cmp_eq_u16_e32 vcc, 0, v3
	v_cndmask_b32_e32 v2, v2, v7, vcc
	v_cndmask_b32_e32 v3, v4, v6, vcc
	v_lshlrev_b32_e32 v4, 8, v9
	v_mov_b32_e32 v6, 0x3b800000
	v_lshlrev_b32_e32 v2, 20, v2
	v_and_b32_e32 v4, 0x80000000, v4
	v_lshl_add_u32 v3, v3, 23, v6
	v_or3_b32 v2, v4, v3, v2
.LBB15_500:
	s_or_b64 exec, exec, s[6:7]
	s_movk_i32 s4, 0xff
	v_and_b32_sdwa v3, v5, s4 dst_sel:DWORD dst_unused:UNUSED_PAD src0_sel:WORD_1 src1_sel:DWORD
	s_movk_i32 s4, 0x7f
	v_cmp_lt_i16_e32 vcc, s4, v3
	s_mov_b64 s[4:5], 0
                                        ; implicit-def: $sgpr10
	s_and_saveexec_b64 s[6:7], vcc
	s_xor_b64 s[6:7], exec, s[6:7]
	s_cbranch_execnz .LBB15_2549
; %bb.501:
	s_or_saveexec_b64 s[6:7], s[6:7]
	v_mov_b32_e32 v4, s10
	s_xor_b64 exec, exec, s[6:7]
	s_cbranch_execnz .LBB15_2552
.LBB15_502:
	s_or_b64 exec, exec, s[6:7]
	s_and_saveexec_b64 s[6:7], s[4:5]
	s_cbranch_execz .LBB15_504
.LBB15_503:
	v_bfe_u32 v3, v5, 16, 3
	v_ffbh_u32_e32 v7, v3
	v_min_u32_e32 v7, 32, v7
	v_lshrrev_b32_e32 v4, 19, v5
	v_subrev_u32_e32 v8, 28, v7
	v_and_b32_e32 v4, 15, v4
	v_lshlrev_b32_sdwa v8, v8, v5 dst_sel:DWORD dst_unused:UNUSED_PAD src0_sel:DWORD src1_sel:WORD_1
	v_bfe_u32 v6, v5, 19, 4
	v_sub_u32_e32 v7, 29, v7
	v_and_b32_e32 v8, 7, v8
	v_cmp_eq_u16_e32 vcc, 0, v4
	v_cndmask_b32_e32 v3, v3, v8, vcc
	v_cndmask_b32_e32 v4, v6, v7, vcc
	v_lshlrev_b32_e32 v6, 8, v5
	v_mov_b32_e32 v7, 0x3b800000
	v_lshlrev_b32_e32 v3, 20, v3
	v_and_b32_e32 v6, 0x80000000, v6
	v_lshl_add_u32 v4, v4, 23, v7
	v_or3_b32 v4, v6, v4, v3
.LBB15_504:
	s_or_b64 exec, exec, s[6:7]
	s_nop 0
	v_mfma_f32_16x16x4f32 a[0:3], v2, v4, a[0:3]
	s_movk_i32 s4, 0x7f
	v_cmp_gt_i16_sdwa s[6:7], v9, s4 src0_sel:BYTE_3 src1_sel:DWORD
	s_mov_b64 s[4:5], 0
                                        ; implicit-def: $sgpr10
	s_and_saveexec_b64 s[8:9], s[6:7]
	s_xor_b64 s[6:7], exec, s[8:9]
	s_cbranch_execnz .LBB15_2553
; %bb.505:
	s_or_saveexec_b64 s[6:7], s[6:7]
	v_mov_b32_e32 v2, s10
	s_xor_b64 exec, exec, s[6:7]
	s_cbranch_execnz .LBB15_2556
.LBB15_506:
	s_or_b64 exec, exec, s[6:7]
	s_and_saveexec_b64 s[6:7], s[4:5]
	s_cbranch_execz .LBB15_508
.LBB15_507:
	v_bfe_u32 v2, v9, 24, 3
	v_ffbh_u32_e32 v7, v2
	v_min_u32_e32 v7, 32, v7
	v_lshrrev_b32_e32 v4, 27, v9
	v_subrev_u32_e32 v8, 28, v7
	v_and_b32_e32 v4, 15, v4
	v_lshlrev_b32_sdwa v8, v8, v9 dst_sel:DWORD dst_unused:UNUSED_PAD src0_sel:DWORD src1_sel:BYTE_3
	v_bfe_u32 v6, v9, 27, 4
	v_sub_u32_e32 v7, 29, v7
	v_and_b32_e32 v8, 7, v8
	v_cmp_eq_u16_e32 vcc, 0, v4
	v_cndmask_b32_e32 v2, v2, v8, vcc
	v_cndmask_b32_e32 v4, v6, v7, vcc
	v_mov_b32_e32 v6, 0x3b800000
	v_and_b32_e32 v3, 0x80000000, v9
	v_lshlrev_b32_e32 v2, 20, v2
	v_lshl_add_u32 v4, v4, 23, v6
	v_or3_b32 v2, v3, v4, v2
.LBB15_508:
	s_or_b64 exec, exec, s[6:7]
	s_movk_i32 s4, 0x7f
	v_cmp_gt_i16_sdwa s[6:7], v5, s4 src0_sel:BYTE_3 src1_sel:DWORD
	s_mov_b64 s[4:5], 0
                                        ; implicit-def: $sgpr10
	s_and_saveexec_b64 s[8:9], s[6:7]
	s_xor_b64 s[6:7], exec, s[8:9]
	s_cbranch_execnz .LBB15_2557
; %bb.509:
	s_or_saveexec_b64 s[6:7], s[6:7]
	v_mov_b32_e32 v3, s10
	s_xor_b64 exec, exec, s[6:7]
	s_cbranch_execnz .LBB15_2560
.LBB15_510:
	s_or_b64 exec, exec, s[6:7]
	s_and_saveexec_b64 s[6:7], s[4:5]
	s_cbranch_execz .LBB15_512
.LBB15_511:
	v_bfe_u32 v3, v5, 24, 3
	v_ffbh_u32_e32 v8, v3
	v_min_u32_e32 v8, 32, v8
	v_lshrrev_b32_e32 v6, 27, v5
	v_subrev_u32_e32 v9, 28, v8
	v_and_b32_e32 v4, 0x80000000, v5
	v_and_b32_e32 v6, 15, v6
	v_bfe_u32 v7, v5, 27, 4
	v_lshlrev_b32_sdwa v5, v9, v5 dst_sel:DWORD dst_unused:UNUSED_PAD src0_sel:DWORD src1_sel:BYTE_3
	v_sub_u32_e32 v8, 29, v8
	v_and_b32_e32 v5, 7, v5
	v_cmp_eq_u16_e32 vcc, 0, v6
	v_cndmask_b32_e32 v3, v3, v5, vcc
	v_cndmask_b32_e32 v5, v7, v8, vcc
	v_mov_b32_e32 v6, 0x3b800000
	v_lshlrev_b32_e32 v3, 20, v3
	v_lshl_add_u32 v5, v5, 23, v6
	v_or3_b32 v3, v4, v5, v3
.LBB15_512:
	s_or_b64 exec, exec, s[6:7]
	s_nop 0
	v_mfma_f32_16x16x4f32 a[0:3], v2, v3, a[0:3]
	s_movk_i32 s4, 0x7f
                                        ; implicit-def: $sgpr10
	s_nop 7
	s_nop 1
	flat_store_dwordx4 v[10:11], a[0:3] offset:48
	flat_load_dwordx4 v[12:15], v[0:1] offset:8
	s_nop 0
	flat_load_dwordx2 v[10:11], v[0:1] offset:32
	s_waitcnt vmcnt(0) lgkmcnt(0)
	flat_load_dwordx4 v[6:9], v[12:13] offset:48
	flat_load_dwordx4 v[2:5], v[14:15] offset:16
	s_waitcnt vmcnt(0) lgkmcnt(0)
	v_cmp_gt_i16_sdwa s[6:7], v6, s4 src0_sel:BYTE_0 src1_sel:DWORD
	s_mov_b64 s[4:5], 0
	s_and_saveexec_b64 s[8:9], s[6:7]
	s_xor_b64 s[6:7], exec, s[8:9]
	s_cbranch_execnz .LBB15_2561
; %bb.513:
	s_or_saveexec_b64 s[6:7], s[6:7]
	v_mov_b32_e32 v12, s10
	s_xor_b64 exec, exec, s[6:7]
	s_cbranch_execnz .LBB15_2564
.LBB15_514:
	s_or_b64 exec, exec, s[6:7]
	s_and_saveexec_b64 s[6:7], s[4:5]
	s_cbranch_execz .LBB15_516
.LBB15_515:
	v_and_b32_e32 v12, 7, v6
	v_ffbh_u32_e32 v14, v12
	v_min_u32_e32 v14, 32, v14
	v_lshrrev_b16_e32 v13, 3, v6
	v_subrev_u32_e32 v15, 28, v14
	v_and_b32_e32 v13, 15, v13
	v_lshlrev_b32_e32 v15, v15, v6
	v_sub_u32_e32 v14, 29, v14
	v_and_b32_e32 v15, 7, v15
	v_cmp_eq_u16_e32 vcc, 0, v13
	v_cndmask_b32_e32 v12, v12, v15, vcc
	v_cndmask_b32_e32 v13, v13, v14, vcc
	v_lshlrev_b32_e32 v14, 24, v6
	v_mov_b32_e32 v15, 0x3b800000
	v_lshlrev_b32_e32 v12, 20, v12
	v_and_b32_e32 v14, 0x80000000, v14
	v_lshl_add_u32 v13, v13, 23, v15
	v_or3_b32 v12, v14, v13, v12
.LBB15_516:
	s_or_b64 exec, exec, s[6:7]
	s_movk_i32 s4, 0x7f
	v_cmp_gt_i16_sdwa s[6:7], v2, s4 src0_sel:BYTE_0 src1_sel:DWORD
	s_mov_b64 s[4:5], 0
                                        ; implicit-def: $sgpr10
	s_and_saveexec_b64 s[8:9], s[6:7]
	s_xor_b64 s[6:7], exec, s[8:9]
	s_cbranch_execnz .LBB15_2565
; %bb.517:
	s_or_saveexec_b64 s[6:7], s[6:7]
	v_mov_b32_e32 v13, s10
	s_xor_b64 exec, exec, s[6:7]
	s_cbranch_execnz .LBB15_2568
.LBB15_518:
	s_or_b64 exec, exec, s[6:7]
	s_and_saveexec_b64 s[6:7], s[4:5]
	s_cbranch_execz .LBB15_520
.LBB15_519:
	v_and_b32_e32 v13, 7, v2
	v_ffbh_u32_e32 v15, v13
	v_min_u32_e32 v15, 32, v15
	v_lshrrev_b16_e32 v14, 3, v2
	v_subrev_u32_e32 v16, 28, v15
	v_and_b32_e32 v14, 15, v14
	v_lshlrev_b32_e32 v16, v16, v2
	v_sub_u32_e32 v15, 29, v15
	v_and_b32_e32 v16, 7, v16
	v_cmp_eq_u16_e32 vcc, 0, v14
	v_cndmask_b32_e32 v13, v13, v16, vcc
	v_cndmask_b32_e32 v14, v14, v15, vcc
	v_lshlrev_b32_e32 v15, 24, v2
	v_mov_b32_e32 v16, 0x3b800000
	v_lshlrev_b32_e32 v13, 20, v13
	v_and_b32_e32 v15, 0x80000000, v15
	v_lshl_add_u32 v14, v14, 23, v16
	v_or3_b32 v13, v15, v14, v13
.LBB15_520:
	s_or_b64 exec, exec, s[6:7]
	flat_load_dwordx4 a[0:3], v[10:11] offset:64
	s_movk_i32 s4, 0x7f
                                        ; implicit-def: $sgpr10
	s_waitcnt vmcnt(0) lgkmcnt(0)
	v_mfma_f32_16x16x4f32 a[0:3], v12, v13, a[0:3]
	v_lshrrev_b32_e32 v13, 8, v6
	v_cmp_gt_i16_sdwa s[6:7], v13, s4 src0_sel:BYTE_0 src1_sel:DWORD
	s_mov_b64 s[4:5], 0
	s_and_saveexec_b64 s[8:9], s[6:7]
	s_xor_b64 s[6:7], exec, s[8:9]
	s_cbranch_execnz .LBB15_2569
; %bb.521:
	s_or_saveexec_b64 s[6:7], s[6:7]
	v_mov_b32_e32 v12, s10
	s_xor_b64 exec, exec, s[6:7]
	s_cbranch_execnz .LBB15_2572
.LBB15_522:
	s_or_b64 exec, exec, s[6:7]
	s_and_saveexec_b64 s[6:7], s[4:5]
	s_cbranch_execz .LBB15_524
.LBB15_523:
	v_bfe_u32 v12, v6, 8, 3
	v_ffbh_u32_e32 v15, v12
	v_min_u32_e32 v15, 32, v15
	v_lshrrev_b16_e32 v14, 3, v13
	v_subrev_u32_e32 v16, 28, v15
	v_and_b32_e32 v14, 15, v14
	v_lshlrev_b32_e32 v13, v16, v13
	v_sub_u32_e32 v15, 29, v15
	v_and_b32_e32 v13, 7, v13
	v_cmp_eq_u16_e32 vcc, 0, v14
	v_cndmask_b32_e32 v12, v12, v13, vcc
	v_cndmask_b32_e32 v13, v14, v15, vcc
	v_lshlrev_b32_e32 v14, 16, v6
	v_mov_b32_e32 v15, 0x3b800000
	v_lshlrev_b32_e32 v12, 20, v12
	v_and_b32_e32 v14, 0x80000000, v14
	v_lshl_add_u32 v13, v13, 23, v15
	v_or3_b32 v12, v14, v13, v12
.LBB15_524:
	s_or_b64 exec, exec, s[6:7]
	v_lshrrev_b32_e32 v13, 8, v2
	s_movk_i32 s4, 0x7f
	v_cmp_gt_i16_sdwa s[6:7], v13, s4 src0_sel:BYTE_0 src1_sel:DWORD
	s_mov_b64 s[4:5], 0
                                        ; implicit-def: $sgpr10
	s_and_saveexec_b64 s[8:9], s[6:7]
	s_xor_b64 s[6:7], exec, s[8:9]
	s_cbranch_execnz .LBB15_2573
; %bb.525:
	s_or_saveexec_b64 s[6:7], s[6:7]
	v_mov_b32_e32 v14, s10
	s_xor_b64 exec, exec, s[6:7]
	s_cbranch_execnz .LBB15_2576
.LBB15_526:
	s_or_b64 exec, exec, s[6:7]
	s_and_saveexec_b64 s[6:7], s[4:5]
	s_cbranch_execz .LBB15_528
.LBB15_527:
	v_bfe_u32 v14, v2, 8, 3
	v_ffbh_u32_e32 v16, v14
	v_min_u32_e32 v16, 32, v16
	v_lshrrev_b16_e32 v15, 3, v13
	v_subrev_u32_e32 v17, 28, v16
	v_and_b32_e32 v15, 15, v15
	v_lshlrev_b32_e32 v13, v17, v13
	v_sub_u32_e32 v16, 29, v16
	v_and_b32_e32 v13, 7, v13
	v_cmp_eq_u16_e32 vcc, 0, v15
	v_cndmask_b32_e32 v13, v14, v13, vcc
	v_cndmask_b32_e32 v14, v15, v16, vcc
	v_lshlrev_b32_e32 v15, 16, v2
	v_mov_b32_e32 v16, 0x3b800000
	v_lshlrev_b32_e32 v13, 20, v13
	v_and_b32_e32 v15, 0x80000000, v15
	v_lshl_add_u32 v14, v14, 23, v16
	v_or3_b32 v14, v15, v14, v13
.LBB15_528:
	s_or_b64 exec, exec, s[6:7]
	s_nop 0
	v_mfma_f32_16x16x4f32 a[0:3], v12, v14, a[0:3]
	s_movk_i32 s4, 0xff
	v_and_b32_sdwa v13, v6, s4 dst_sel:DWORD dst_unused:UNUSED_PAD src0_sel:WORD_1 src1_sel:DWORD
	s_movk_i32 s4, 0x7f
	v_cmp_lt_i16_e32 vcc, s4, v13
	s_mov_b64 s[4:5], 0
                                        ; implicit-def: $sgpr10
	s_and_saveexec_b64 s[6:7], vcc
	s_xor_b64 s[6:7], exec, s[6:7]
	s_cbranch_execnz .LBB15_2577
; %bb.529:
	s_or_saveexec_b64 s[6:7], s[6:7]
	v_mov_b32_e32 v12, s10
	s_xor_b64 exec, exec, s[6:7]
	s_cbranch_execnz .LBB15_2580
.LBB15_530:
	s_or_b64 exec, exec, s[6:7]
	s_and_saveexec_b64 s[6:7], s[4:5]
	s_cbranch_execz .LBB15_532
.LBB15_531:
	v_bfe_u32 v12, v6, 16, 3
	v_ffbh_u32_e32 v15, v12
	v_min_u32_e32 v15, 32, v15
	v_lshrrev_b32_e32 v13, 19, v6
	v_subrev_u32_e32 v16, 28, v15
	v_and_b32_e32 v13, 15, v13
	v_lshlrev_b32_sdwa v16, v16, v6 dst_sel:DWORD dst_unused:UNUSED_PAD src0_sel:DWORD src1_sel:WORD_1
	v_bfe_u32 v14, v6, 19, 4
	v_sub_u32_e32 v15, 29, v15
	v_and_b32_e32 v16, 7, v16
	v_cmp_eq_u16_e32 vcc, 0, v13
	v_cndmask_b32_e32 v12, v12, v16, vcc
	v_cndmask_b32_e32 v13, v14, v15, vcc
	v_lshlrev_b32_e32 v14, 8, v6
	v_mov_b32_e32 v15, 0x3b800000
	v_lshlrev_b32_e32 v12, 20, v12
	v_and_b32_e32 v14, 0x80000000, v14
	v_lshl_add_u32 v13, v13, 23, v15
	v_or3_b32 v12, v14, v13, v12
.LBB15_532:
	s_or_b64 exec, exec, s[6:7]
	s_movk_i32 s4, 0xff
	v_and_b32_sdwa v13, v2, s4 dst_sel:DWORD dst_unused:UNUSED_PAD src0_sel:WORD_1 src1_sel:DWORD
	s_movk_i32 s4, 0x7f
	v_cmp_lt_i16_e32 vcc, s4, v13
	s_mov_b64 s[4:5], 0
                                        ; implicit-def: $sgpr10
	s_and_saveexec_b64 s[6:7], vcc
	s_xor_b64 s[6:7], exec, s[6:7]
	s_cbranch_execnz .LBB15_2581
; %bb.533:
	s_or_saveexec_b64 s[6:7], s[6:7]
	v_mov_b32_e32 v14, s10
	s_xor_b64 exec, exec, s[6:7]
	s_cbranch_execnz .LBB15_2584
.LBB15_534:
	s_or_b64 exec, exec, s[6:7]
	s_and_saveexec_b64 s[6:7], s[4:5]
	s_cbranch_execz .LBB15_536
.LBB15_535:
	v_bfe_u32 v13, v2, 16, 3
	v_ffbh_u32_e32 v16, v13
	v_min_u32_e32 v16, 32, v16
	v_lshrrev_b32_e32 v14, 19, v2
	v_subrev_u32_e32 v17, 28, v16
	v_and_b32_e32 v14, 15, v14
	v_lshlrev_b32_sdwa v17, v17, v2 dst_sel:DWORD dst_unused:UNUSED_PAD src0_sel:DWORD src1_sel:WORD_1
	v_bfe_u32 v15, v2, 19, 4
	v_sub_u32_e32 v16, 29, v16
	v_and_b32_e32 v17, 7, v17
	v_cmp_eq_u16_e32 vcc, 0, v14
	v_cndmask_b32_e32 v13, v13, v17, vcc
	v_cndmask_b32_e32 v14, v15, v16, vcc
	v_lshlrev_b32_e32 v15, 8, v2
	v_mov_b32_e32 v16, 0x3b800000
	v_lshlrev_b32_e32 v13, 20, v13
	v_and_b32_e32 v15, 0x80000000, v15
	v_lshl_add_u32 v14, v14, 23, v16
	v_or3_b32 v14, v15, v14, v13
.LBB15_536:
	s_or_b64 exec, exec, s[6:7]
	s_nop 0
	v_mfma_f32_16x16x4f32 a[0:3], v12, v14, a[0:3]
	s_movk_i32 s4, 0x7f
	v_cmp_gt_i16_sdwa s[6:7], v6, s4 src0_sel:BYTE_3 src1_sel:DWORD
	s_mov_b64 s[4:5], 0
                                        ; implicit-def: $sgpr10
	s_and_saveexec_b64 s[8:9], s[6:7]
	s_xor_b64 s[6:7], exec, s[8:9]
	s_cbranch_execnz .LBB15_2585
; %bb.537:
	s_or_saveexec_b64 s[6:7], s[6:7]
	v_mov_b32_e32 v12, s10
	s_xor_b64 exec, exec, s[6:7]
	s_cbranch_execnz .LBB15_2588
.LBB15_538:
	s_or_b64 exec, exec, s[6:7]
	s_and_saveexec_b64 s[6:7], s[4:5]
	s_cbranch_execz .LBB15_540
.LBB15_539:
	v_bfe_u32 v12, v6, 24, 3
	v_ffbh_u32_e32 v16, v12
	v_min_u32_e32 v16, 32, v16
	v_lshrrev_b32_e32 v14, 27, v6
	v_subrev_u32_e32 v17, 28, v16
	v_and_b32_e32 v13, 0x80000000, v6
	v_and_b32_e32 v14, 15, v14
	v_bfe_u32 v15, v6, 27, 4
	v_lshlrev_b32_sdwa v6, v17, v6 dst_sel:DWORD dst_unused:UNUSED_PAD src0_sel:DWORD src1_sel:BYTE_3
	v_sub_u32_e32 v16, 29, v16
	v_and_b32_e32 v6, 7, v6
	v_cmp_eq_u16_e32 vcc, 0, v14
	v_cndmask_b32_e32 v6, v12, v6, vcc
	v_cndmask_b32_e32 v12, v15, v16, vcc
	v_mov_b32_e32 v14, 0x3b800000
	v_lshlrev_b32_e32 v6, 20, v6
	v_lshl_add_u32 v12, v12, 23, v14
	v_or3_b32 v12, v13, v12, v6
.LBB15_540:
	s_or_b64 exec, exec, s[6:7]
	s_movk_i32 s4, 0x7f
	v_cmp_gt_i16_sdwa s[6:7], v2, s4 src0_sel:BYTE_3 src1_sel:DWORD
	s_mov_b64 s[4:5], 0
                                        ; implicit-def: $sgpr10
	s_and_saveexec_b64 s[8:9], s[6:7]
	s_xor_b64 s[6:7], exec, s[8:9]
	s_cbranch_execnz .LBB15_2589
; %bb.541:
	s_or_saveexec_b64 s[6:7], s[6:7]
	v_mov_b32_e32 v6, s10
	s_xor_b64 exec, exec, s[6:7]
	s_cbranch_execnz .LBB15_2592
.LBB15_542:
	s_or_b64 exec, exec, s[6:7]
	s_and_saveexec_b64 s[6:7], s[4:5]
	s_cbranch_execz .LBB15_544
.LBB15_543:
	v_bfe_u32 v6, v2, 24, 3
	v_ffbh_u32_e32 v16, v6
	v_min_u32_e32 v16, 32, v16
	v_lshrrev_b32_e32 v14, 27, v2
	v_subrev_u32_e32 v17, 28, v16
	v_and_b32_e32 v13, 0x80000000, v2
	v_and_b32_e32 v14, 15, v14
	v_bfe_u32 v15, v2, 27, 4
	v_lshlrev_b32_sdwa v2, v17, v2 dst_sel:DWORD dst_unused:UNUSED_PAD src0_sel:DWORD src1_sel:BYTE_3
	v_sub_u32_e32 v16, 29, v16
	v_and_b32_e32 v2, 7, v2
	v_cmp_eq_u16_e32 vcc, 0, v14
	v_cndmask_b32_e32 v2, v6, v2, vcc
	v_cndmask_b32_e32 v6, v15, v16, vcc
	v_mov_b32_e32 v14, 0x3b800000
	v_lshlrev_b32_e32 v2, 20, v2
	v_lshl_add_u32 v6, v6, 23, v14
	v_or3_b32 v6, v13, v6, v2
.LBB15_544:
	s_or_b64 exec, exec, s[6:7]
	s_nop 0
	v_mfma_f32_16x16x4f32 a[0:3], v12, v6, a[0:3]
	s_movk_i32 s4, 0x7f
	v_cmp_gt_i16_sdwa s[6:7], v7, s4 src0_sel:BYTE_0 src1_sel:DWORD
	s_mov_b64 s[4:5], 0
                                        ; implicit-def: $sgpr10
	s_and_saveexec_b64 s[8:9], s[6:7]
	s_xor_b64 s[6:7], exec, s[8:9]
	s_cbranch_execnz .LBB15_2593
; %bb.545:
	s_or_saveexec_b64 s[6:7], s[6:7]
	v_mov_b32_e32 v2, s10
	s_xor_b64 exec, exec, s[6:7]
	s_cbranch_execnz .LBB15_2596
.LBB15_546:
	s_or_b64 exec, exec, s[6:7]
	s_and_saveexec_b64 s[6:7], s[4:5]
	s_cbranch_execz .LBB15_548
.LBB15_547:
	v_and_b32_e32 v2, 7, v7
	v_ffbh_u32_e32 v12, v2
	v_min_u32_e32 v12, 32, v12
	v_lshrrev_b16_e32 v6, 3, v7
	v_subrev_u32_e32 v13, 28, v12
	v_and_b32_e32 v6, 15, v6
	v_lshlrev_b32_e32 v13, v13, v7
	v_sub_u32_e32 v12, 29, v12
	v_and_b32_e32 v13, 7, v13
	v_cmp_eq_u16_e32 vcc, 0, v6
	v_cndmask_b32_e32 v2, v2, v13, vcc
	v_cndmask_b32_e32 v6, v6, v12, vcc
	v_lshlrev_b32_e32 v12, 24, v7
	v_mov_b32_e32 v13, 0x3b800000
	v_lshlrev_b32_e32 v2, 20, v2
	v_and_b32_e32 v12, 0x80000000, v12
	v_lshl_add_u32 v6, v6, 23, v13
	v_or3_b32 v2, v12, v6, v2
.LBB15_548:
	s_or_b64 exec, exec, s[6:7]
	s_movk_i32 s4, 0x7f
	v_cmp_gt_i16_sdwa s[6:7], v3, s4 src0_sel:BYTE_0 src1_sel:DWORD
	s_mov_b64 s[4:5], 0
                                        ; implicit-def: $sgpr10
	s_and_saveexec_b64 s[8:9], s[6:7]
	s_xor_b64 s[6:7], exec, s[8:9]
	s_cbranch_execnz .LBB15_2597
; %bb.549:
	s_or_saveexec_b64 s[6:7], s[6:7]
	v_mov_b32_e32 v6, s10
	s_xor_b64 exec, exec, s[6:7]
	s_cbranch_execnz .LBB15_2600
.LBB15_550:
	s_or_b64 exec, exec, s[6:7]
	s_and_saveexec_b64 s[6:7], s[4:5]
	s_cbranch_execz .LBB15_552
.LBB15_551:
	v_and_b32_e32 v6, 7, v3
	v_ffbh_u32_e32 v13, v6
	v_min_u32_e32 v13, 32, v13
	v_lshrrev_b16_e32 v12, 3, v3
	v_subrev_u32_e32 v14, 28, v13
	v_and_b32_e32 v12, 15, v12
	v_lshlrev_b32_e32 v14, v14, v3
	v_sub_u32_e32 v13, 29, v13
	v_and_b32_e32 v14, 7, v14
	v_cmp_eq_u16_e32 vcc, 0, v12
	v_cndmask_b32_e32 v6, v6, v14, vcc
	v_cndmask_b32_e32 v12, v12, v13, vcc
	v_lshlrev_b32_e32 v13, 24, v3
	v_mov_b32_e32 v14, 0x3b800000
	v_lshlrev_b32_e32 v6, 20, v6
	v_and_b32_e32 v13, 0x80000000, v13
	v_lshl_add_u32 v12, v12, 23, v14
	v_or3_b32 v6, v13, v12, v6
.LBB15_552:
	s_or_b64 exec, exec, s[6:7]
	s_nop 0
	v_mfma_f32_16x16x4f32 a[0:3], v2, v6, a[0:3]
	v_lshrrev_b32_e32 v6, 8, v7
	s_movk_i32 s4, 0x7f
	v_cmp_gt_i16_sdwa s[6:7], v6, s4 src0_sel:BYTE_0 src1_sel:DWORD
	s_mov_b64 s[4:5], 0
                                        ; implicit-def: $sgpr10
	s_and_saveexec_b64 s[8:9], s[6:7]
	s_xor_b64 s[6:7], exec, s[8:9]
	s_cbranch_execnz .LBB15_2601
; %bb.553:
	s_or_saveexec_b64 s[6:7], s[6:7]
	v_mov_b32_e32 v2, s10
	s_xor_b64 exec, exec, s[6:7]
	s_cbranch_execnz .LBB15_2604
.LBB15_554:
	s_or_b64 exec, exec, s[6:7]
	s_and_saveexec_b64 s[6:7], s[4:5]
	s_cbranch_execz .LBB15_556
.LBB15_555:
	v_bfe_u32 v2, v7, 8, 3
	v_ffbh_u32_e32 v13, v2
	v_min_u32_e32 v13, 32, v13
	v_lshrrev_b16_e32 v12, 3, v6
	v_subrev_u32_e32 v14, 28, v13
	v_and_b32_e32 v12, 15, v12
	v_lshlrev_b32_e32 v6, v14, v6
	v_sub_u32_e32 v13, 29, v13
	v_and_b32_e32 v6, 7, v6
	v_cmp_eq_u16_e32 vcc, 0, v12
	v_cndmask_b32_e32 v2, v2, v6, vcc
	v_cndmask_b32_e32 v6, v12, v13, vcc
	v_lshlrev_b32_e32 v12, 16, v7
	v_mov_b32_e32 v13, 0x3b800000
	v_lshlrev_b32_e32 v2, 20, v2
	v_and_b32_e32 v12, 0x80000000, v12
	v_lshl_add_u32 v6, v6, 23, v13
	v_or3_b32 v2, v12, v6, v2
.LBB15_556:
	s_or_b64 exec, exec, s[6:7]
	v_lshrrev_b32_e32 v6, 8, v3
	s_movk_i32 s4, 0x7f
	v_cmp_gt_i16_sdwa s[6:7], v6, s4 src0_sel:BYTE_0 src1_sel:DWORD
	s_mov_b64 s[4:5], 0
                                        ; implicit-def: $sgpr10
	s_and_saveexec_b64 s[8:9], s[6:7]
	s_xor_b64 s[6:7], exec, s[8:9]
	s_cbranch_execnz .LBB15_2605
; %bb.557:
	s_or_saveexec_b64 s[6:7], s[6:7]
	v_mov_b32_e32 v12, s10
	s_xor_b64 exec, exec, s[6:7]
	s_cbranch_execnz .LBB15_2608
.LBB15_558:
	s_or_b64 exec, exec, s[6:7]
	s_and_saveexec_b64 s[6:7], s[4:5]
	s_cbranch_execz .LBB15_560
.LBB15_559:
	v_bfe_u32 v12, v3, 8, 3
	v_ffbh_u32_e32 v14, v12
	v_min_u32_e32 v14, 32, v14
	v_lshrrev_b16_e32 v13, 3, v6
	v_subrev_u32_e32 v15, 28, v14
	v_and_b32_e32 v13, 15, v13
	v_lshlrev_b32_e32 v6, v15, v6
	v_sub_u32_e32 v14, 29, v14
	v_and_b32_e32 v6, 7, v6
	v_cmp_eq_u16_e32 vcc, 0, v13
	v_cndmask_b32_e32 v6, v12, v6, vcc
	v_cndmask_b32_e32 v12, v13, v14, vcc
	v_lshlrev_b32_e32 v13, 16, v3
	v_mov_b32_e32 v14, 0x3b800000
	v_lshlrev_b32_e32 v6, 20, v6
	v_and_b32_e32 v13, 0x80000000, v13
	v_lshl_add_u32 v12, v12, 23, v14
	v_or3_b32 v12, v13, v12, v6
.LBB15_560:
	s_or_b64 exec, exec, s[6:7]
	s_nop 0
	v_mfma_f32_16x16x4f32 a[0:3], v2, v12, a[0:3]
	s_movk_i32 s4, 0xff
	v_and_b32_sdwa v6, v7, s4 dst_sel:DWORD dst_unused:UNUSED_PAD src0_sel:WORD_1 src1_sel:DWORD
	s_movk_i32 s4, 0x7f
	v_cmp_lt_i16_e32 vcc, s4, v6
	s_mov_b64 s[4:5], 0
                                        ; implicit-def: $sgpr10
	s_and_saveexec_b64 s[6:7], vcc
	s_xor_b64 s[6:7], exec, s[6:7]
	s_cbranch_execnz .LBB15_2609
; %bb.561:
	s_or_saveexec_b64 s[6:7], s[6:7]
	v_mov_b32_e32 v2, s10
	s_xor_b64 exec, exec, s[6:7]
	s_cbranch_execnz .LBB15_2612
.LBB15_562:
	s_or_b64 exec, exec, s[6:7]
	s_and_saveexec_b64 s[6:7], s[4:5]
	s_cbranch_execz .LBB15_564
.LBB15_563:
	v_bfe_u32 v2, v7, 16, 3
	v_ffbh_u32_e32 v13, v2
	v_min_u32_e32 v13, 32, v13
	v_lshrrev_b32_e32 v6, 19, v7
	v_subrev_u32_e32 v14, 28, v13
	v_and_b32_e32 v6, 15, v6
	v_lshlrev_b32_sdwa v14, v14, v7 dst_sel:DWORD dst_unused:UNUSED_PAD src0_sel:DWORD src1_sel:WORD_1
	v_bfe_u32 v12, v7, 19, 4
	v_sub_u32_e32 v13, 29, v13
	v_and_b32_e32 v14, 7, v14
	v_cmp_eq_u16_e32 vcc, 0, v6
	v_cndmask_b32_e32 v2, v2, v14, vcc
	v_cndmask_b32_e32 v6, v12, v13, vcc
	v_lshlrev_b32_e32 v12, 8, v7
	v_mov_b32_e32 v13, 0x3b800000
	v_lshlrev_b32_e32 v2, 20, v2
	v_and_b32_e32 v12, 0x80000000, v12
	v_lshl_add_u32 v6, v6, 23, v13
	v_or3_b32 v2, v12, v6, v2
.LBB15_564:
	s_or_b64 exec, exec, s[6:7]
	s_movk_i32 s4, 0xff
	v_and_b32_sdwa v6, v3, s4 dst_sel:DWORD dst_unused:UNUSED_PAD src0_sel:WORD_1 src1_sel:DWORD
	s_movk_i32 s4, 0x7f
	v_cmp_lt_i16_e32 vcc, s4, v6
	s_mov_b64 s[4:5], 0
                                        ; implicit-def: $sgpr10
	s_and_saveexec_b64 s[6:7], vcc
	s_xor_b64 s[6:7], exec, s[6:7]
	s_cbranch_execnz .LBB15_2613
; %bb.565:
	s_or_saveexec_b64 s[6:7], s[6:7]
	v_mov_b32_e32 v12, s10
	s_xor_b64 exec, exec, s[6:7]
	s_cbranch_execnz .LBB15_2616
.LBB15_566:
	s_or_b64 exec, exec, s[6:7]
	s_and_saveexec_b64 s[6:7], s[4:5]
	s_cbranch_execz .LBB15_568
.LBB15_567:
	v_bfe_u32 v6, v3, 16, 3
	v_ffbh_u32_e32 v14, v6
	v_min_u32_e32 v14, 32, v14
	v_lshrrev_b32_e32 v12, 19, v3
	v_subrev_u32_e32 v15, 28, v14
	v_and_b32_e32 v12, 15, v12
	v_lshlrev_b32_sdwa v15, v15, v3 dst_sel:DWORD dst_unused:UNUSED_PAD src0_sel:DWORD src1_sel:WORD_1
	v_bfe_u32 v13, v3, 19, 4
	v_sub_u32_e32 v14, 29, v14
	v_and_b32_e32 v15, 7, v15
	v_cmp_eq_u16_e32 vcc, 0, v12
	v_cndmask_b32_e32 v6, v6, v15, vcc
	v_cndmask_b32_e32 v12, v13, v14, vcc
	v_lshlrev_b32_e32 v13, 8, v3
	v_mov_b32_e32 v14, 0x3b800000
	v_lshlrev_b32_e32 v6, 20, v6
	v_and_b32_e32 v13, 0x80000000, v13
	v_lshl_add_u32 v12, v12, 23, v14
	v_or3_b32 v12, v13, v12, v6
.LBB15_568:
	s_or_b64 exec, exec, s[6:7]
	s_nop 0
	v_mfma_f32_16x16x4f32 a[0:3], v2, v12, a[0:3]
	s_movk_i32 s4, 0x7f
	v_cmp_gt_i16_sdwa s[6:7], v7, s4 src0_sel:BYTE_3 src1_sel:DWORD
	s_mov_b64 s[4:5], 0
                                        ; implicit-def: $sgpr10
	s_and_saveexec_b64 s[8:9], s[6:7]
	s_xor_b64 s[6:7], exec, s[8:9]
	s_cbranch_execnz .LBB15_2617
; %bb.569:
	s_or_saveexec_b64 s[6:7], s[6:7]
	v_mov_b32_e32 v2, s10
	s_xor_b64 exec, exec, s[6:7]
	s_cbranch_execnz .LBB15_2620
.LBB15_570:
	s_or_b64 exec, exec, s[6:7]
	s_and_saveexec_b64 s[6:7], s[4:5]
	s_cbranch_execz .LBB15_572
.LBB15_571:
	v_bfe_u32 v2, v7, 24, 3
	v_ffbh_u32_e32 v14, v2
	v_min_u32_e32 v14, 32, v14
	v_lshrrev_b32_e32 v12, 27, v7
	v_subrev_u32_e32 v15, 28, v14
	v_and_b32_e32 v6, 0x80000000, v7
	v_and_b32_e32 v12, 15, v12
	v_bfe_u32 v13, v7, 27, 4
	v_lshlrev_b32_sdwa v7, v15, v7 dst_sel:DWORD dst_unused:UNUSED_PAD src0_sel:DWORD src1_sel:BYTE_3
	v_sub_u32_e32 v14, 29, v14
	v_and_b32_e32 v7, 7, v7
	v_cmp_eq_u16_e32 vcc, 0, v12
	v_cndmask_b32_e32 v2, v2, v7, vcc
	v_cndmask_b32_e32 v7, v13, v14, vcc
	v_mov_b32_e32 v12, 0x3b800000
	v_lshlrev_b32_e32 v2, 20, v2
	v_lshl_add_u32 v7, v7, 23, v12
	v_or3_b32 v2, v6, v7, v2
.LBB15_572:
	s_or_b64 exec, exec, s[6:7]
	s_movk_i32 s4, 0x7f
	v_cmp_gt_i16_sdwa s[6:7], v3, s4 src0_sel:BYTE_3 src1_sel:DWORD
	s_mov_b64 s[4:5], 0
                                        ; implicit-def: $sgpr10
	s_and_saveexec_b64 s[8:9], s[6:7]
	s_xor_b64 s[6:7], exec, s[8:9]
	s_cbranch_execnz .LBB15_2621
; %bb.573:
	s_or_saveexec_b64 s[6:7], s[6:7]
	v_mov_b32_e32 v6, s10
	s_xor_b64 exec, exec, s[6:7]
	s_cbranch_execnz .LBB15_2624
.LBB15_574:
	s_or_b64 exec, exec, s[6:7]
	s_and_saveexec_b64 s[6:7], s[4:5]
	s_cbranch_execz .LBB15_576
.LBB15_575:
	v_bfe_u32 v6, v3, 24, 3
	v_ffbh_u32_e32 v14, v6
	v_min_u32_e32 v14, 32, v14
	v_lshrrev_b32_e32 v12, 27, v3
	v_subrev_u32_e32 v15, 28, v14
	v_and_b32_e32 v7, 0x80000000, v3
	v_and_b32_e32 v12, 15, v12
	v_bfe_u32 v13, v3, 27, 4
	v_lshlrev_b32_sdwa v3, v15, v3 dst_sel:DWORD dst_unused:UNUSED_PAD src0_sel:DWORD src1_sel:BYTE_3
	v_sub_u32_e32 v14, 29, v14
	v_and_b32_e32 v3, 7, v3
	v_cmp_eq_u16_e32 vcc, 0, v12
	v_cndmask_b32_e32 v3, v6, v3, vcc
	v_cndmask_b32_e32 v6, v13, v14, vcc
	v_mov_b32_e32 v12, 0x3b800000
	v_lshlrev_b32_e32 v3, 20, v3
	v_lshl_add_u32 v6, v6, 23, v12
	v_or3_b32 v6, v7, v6, v3
.LBB15_576:
	s_or_b64 exec, exec, s[6:7]
	s_nop 0
	v_mfma_f32_16x16x4f32 a[0:3], v2, v6, a[0:3]
	s_movk_i32 s4, 0x7f
	v_cmp_gt_i16_sdwa s[6:7], v8, s4 src0_sel:BYTE_0 src1_sel:DWORD
	s_mov_b64 s[4:5], 0
                                        ; implicit-def: $sgpr10
	s_and_saveexec_b64 s[8:9], s[6:7]
	s_xor_b64 s[6:7], exec, s[8:9]
	s_cbranch_execnz .LBB15_2625
; %bb.577:
	s_or_saveexec_b64 s[6:7], s[6:7]
	v_mov_b32_e32 v2, s10
	s_xor_b64 exec, exec, s[6:7]
	s_cbranch_execnz .LBB15_2628
.LBB15_578:
	s_or_b64 exec, exec, s[6:7]
	s_and_saveexec_b64 s[6:7], s[4:5]
	s_cbranch_execz .LBB15_580
.LBB15_579:
	v_and_b32_e32 v2, 7, v8
	v_ffbh_u32_e32 v6, v2
	v_min_u32_e32 v6, 32, v6
	v_lshrrev_b16_e32 v3, 3, v8
	v_subrev_u32_e32 v7, 28, v6
	v_and_b32_e32 v3, 15, v3
	v_lshlrev_b32_e32 v7, v7, v8
	v_sub_u32_e32 v6, 29, v6
	v_and_b32_e32 v7, 7, v7
	v_cmp_eq_u16_e32 vcc, 0, v3
	v_cndmask_b32_e32 v2, v2, v7, vcc
	v_cndmask_b32_e32 v3, v3, v6, vcc
	v_lshlrev_b32_e32 v6, 24, v8
	v_mov_b32_e32 v7, 0x3b800000
	v_lshlrev_b32_e32 v2, 20, v2
	v_and_b32_e32 v6, 0x80000000, v6
	v_lshl_add_u32 v3, v3, 23, v7
	v_or3_b32 v2, v6, v3, v2
.LBB15_580:
	s_or_b64 exec, exec, s[6:7]
	s_movk_i32 s4, 0x7f
	v_cmp_gt_i16_sdwa s[6:7], v4, s4 src0_sel:BYTE_0 src1_sel:DWORD
	s_mov_b64 s[4:5], 0
                                        ; implicit-def: $sgpr10
	s_and_saveexec_b64 s[8:9], s[6:7]
	s_xor_b64 s[6:7], exec, s[8:9]
	s_cbranch_execnz .LBB15_2629
; %bb.581:
	s_or_saveexec_b64 s[6:7], s[6:7]
	v_mov_b32_e32 v3, s10
	s_xor_b64 exec, exec, s[6:7]
	s_cbranch_execnz .LBB15_2632
.LBB15_582:
	s_or_b64 exec, exec, s[6:7]
	s_and_saveexec_b64 s[6:7], s[4:5]
	s_cbranch_execz .LBB15_584
.LBB15_583:
	v_and_b32_e32 v3, 7, v4
	v_ffbh_u32_e32 v7, v3
	v_min_u32_e32 v7, 32, v7
	v_lshrrev_b16_e32 v6, 3, v4
	v_subrev_u32_e32 v12, 28, v7
	v_and_b32_e32 v6, 15, v6
	v_lshlrev_b32_e32 v12, v12, v4
	v_sub_u32_e32 v7, 29, v7
	v_and_b32_e32 v12, 7, v12
	v_cmp_eq_u16_e32 vcc, 0, v6
	v_cndmask_b32_e32 v3, v3, v12, vcc
	v_cndmask_b32_e32 v6, v6, v7, vcc
	v_lshlrev_b32_e32 v7, 24, v4
	v_mov_b32_e32 v12, 0x3b800000
	v_lshlrev_b32_e32 v3, 20, v3
	v_and_b32_e32 v7, 0x80000000, v7
	v_lshl_add_u32 v6, v6, 23, v12
	v_or3_b32 v3, v7, v6, v3
.LBB15_584:
	s_or_b64 exec, exec, s[6:7]
	s_nop 0
	v_mfma_f32_16x16x4f32 a[0:3], v2, v3, a[0:3]
	v_lshrrev_b32_e32 v3, 8, v8
	s_movk_i32 s4, 0x7f
	v_cmp_gt_i16_sdwa s[6:7], v3, s4 src0_sel:BYTE_0 src1_sel:DWORD
	s_mov_b64 s[4:5], 0
                                        ; implicit-def: $sgpr10
	s_and_saveexec_b64 s[8:9], s[6:7]
	s_xor_b64 s[6:7], exec, s[8:9]
	s_cbranch_execnz .LBB15_2633
; %bb.585:
	s_or_saveexec_b64 s[6:7], s[6:7]
	v_mov_b32_e32 v2, s10
	s_xor_b64 exec, exec, s[6:7]
	s_cbranch_execnz .LBB15_2636
.LBB15_586:
	s_or_b64 exec, exec, s[6:7]
	s_and_saveexec_b64 s[6:7], s[4:5]
	s_cbranch_execz .LBB15_588
.LBB15_587:
	v_bfe_u32 v2, v8, 8, 3
	v_ffbh_u32_e32 v7, v2
	v_min_u32_e32 v7, 32, v7
	v_lshrrev_b16_e32 v6, 3, v3
	v_subrev_u32_e32 v12, 28, v7
	v_and_b32_e32 v6, 15, v6
	v_lshlrev_b32_e32 v3, v12, v3
	v_sub_u32_e32 v7, 29, v7
	v_and_b32_e32 v3, 7, v3
	v_cmp_eq_u16_e32 vcc, 0, v6
	v_cndmask_b32_e32 v2, v2, v3, vcc
	v_cndmask_b32_e32 v3, v6, v7, vcc
	v_lshlrev_b32_e32 v6, 16, v8
	v_mov_b32_e32 v7, 0x3b800000
	v_lshlrev_b32_e32 v2, 20, v2
	v_and_b32_e32 v6, 0x80000000, v6
	v_lshl_add_u32 v3, v3, 23, v7
	v_or3_b32 v2, v6, v3, v2
.LBB15_588:
	s_or_b64 exec, exec, s[6:7]
	v_lshrrev_b32_e32 v3, 8, v4
	s_movk_i32 s4, 0x7f
	v_cmp_gt_i16_sdwa s[6:7], v3, s4 src0_sel:BYTE_0 src1_sel:DWORD
	s_mov_b64 s[4:5], 0
                                        ; implicit-def: $sgpr10
	s_and_saveexec_b64 s[8:9], s[6:7]
	s_xor_b64 s[6:7], exec, s[8:9]
	s_cbranch_execnz .LBB15_2637
; %bb.589:
	s_or_saveexec_b64 s[6:7], s[6:7]
	v_mov_b32_e32 v6, s10
	s_xor_b64 exec, exec, s[6:7]
	s_cbranch_execnz .LBB15_2640
.LBB15_590:
	s_or_b64 exec, exec, s[6:7]
	s_and_saveexec_b64 s[6:7], s[4:5]
	s_cbranch_execz .LBB15_592
.LBB15_591:
	v_bfe_u32 v6, v4, 8, 3
	v_ffbh_u32_e32 v12, v6
	v_min_u32_e32 v12, 32, v12
	v_lshrrev_b16_e32 v7, 3, v3
	v_subrev_u32_e32 v13, 28, v12
	v_and_b32_e32 v7, 15, v7
	v_lshlrev_b32_e32 v3, v13, v3
	v_sub_u32_e32 v12, 29, v12
	v_and_b32_e32 v3, 7, v3
	v_cmp_eq_u16_e32 vcc, 0, v7
	v_cndmask_b32_e32 v3, v6, v3, vcc
	v_cndmask_b32_e32 v6, v7, v12, vcc
	v_lshlrev_b32_e32 v7, 16, v4
	v_mov_b32_e32 v12, 0x3b800000
	v_lshlrev_b32_e32 v3, 20, v3
	v_and_b32_e32 v7, 0x80000000, v7
	v_lshl_add_u32 v6, v6, 23, v12
	v_or3_b32 v6, v7, v6, v3
.LBB15_592:
	s_or_b64 exec, exec, s[6:7]
	s_nop 0
	v_mfma_f32_16x16x4f32 a[0:3], v2, v6, a[0:3]
	s_movk_i32 s4, 0xff
	v_and_b32_sdwa v3, v8, s4 dst_sel:DWORD dst_unused:UNUSED_PAD src0_sel:WORD_1 src1_sel:DWORD
	s_movk_i32 s4, 0x7f
	v_cmp_lt_i16_e32 vcc, s4, v3
	s_mov_b64 s[4:5], 0
                                        ; implicit-def: $sgpr10
	s_and_saveexec_b64 s[6:7], vcc
	s_xor_b64 s[6:7], exec, s[6:7]
	s_cbranch_execnz .LBB15_2641
; %bb.593:
	s_or_saveexec_b64 s[6:7], s[6:7]
	v_mov_b32_e32 v2, s10
	s_xor_b64 exec, exec, s[6:7]
	s_cbranch_execnz .LBB15_2644
.LBB15_594:
	s_or_b64 exec, exec, s[6:7]
	s_and_saveexec_b64 s[6:7], s[4:5]
	s_cbranch_execz .LBB15_596
.LBB15_595:
	v_bfe_u32 v2, v8, 16, 3
	v_ffbh_u32_e32 v7, v2
	v_min_u32_e32 v7, 32, v7
	v_lshrrev_b32_e32 v3, 19, v8
	v_subrev_u32_e32 v12, 28, v7
	v_and_b32_e32 v3, 15, v3
	v_lshlrev_b32_sdwa v12, v12, v8 dst_sel:DWORD dst_unused:UNUSED_PAD src0_sel:DWORD src1_sel:WORD_1
	v_bfe_u32 v6, v8, 19, 4
	v_sub_u32_e32 v7, 29, v7
	v_and_b32_e32 v12, 7, v12
	v_cmp_eq_u16_e32 vcc, 0, v3
	v_cndmask_b32_e32 v2, v2, v12, vcc
	v_cndmask_b32_e32 v3, v6, v7, vcc
	v_lshlrev_b32_e32 v6, 8, v8
	v_mov_b32_e32 v7, 0x3b800000
	v_lshlrev_b32_e32 v2, 20, v2
	v_and_b32_e32 v6, 0x80000000, v6
	v_lshl_add_u32 v3, v3, 23, v7
	v_or3_b32 v2, v6, v3, v2
.LBB15_596:
	s_or_b64 exec, exec, s[6:7]
	s_movk_i32 s4, 0xff
	v_and_b32_sdwa v3, v4, s4 dst_sel:DWORD dst_unused:UNUSED_PAD src0_sel:WORD_1 src1_sel:DWORD
	s_movk_i32 s4, 0x7f
	v_cmp_lt_i16_e32 vcc, s4, v3
	s_mov_b64 s[4:5], 0
                                        ; implicit-def: $sgpr10
	s_and_saveexec_b64 s[6:7], vcc
	s_xor_b64 s[6:7], exec, s[6:7]
	s_cbranch_execnz .LBB15_2645
; %bb.597:
	s_or_saveexec_b64 s[6:7], s[6:7]
	v_mov_b32_e32 v6, s10
	s_xor_b64 exec, exec, s[6:7]
	s_cbranch_execnz .LBB15_2648
.LBB15_598:
	s_or_b64 exec, exec, s[6:7]
	s_and_saveexec_b64 s[6:7], s[4:5]
	s_cbranch_execz .LBB15_600
.LBB15_599:
	v_bfe_u32 v3, v4, 16, 3
	v_ffbh_u32_e32 v12, v3
	v_min_u32_e32 v12, 32, v12
	v_lshrrev_b32_e32 v6, 19, v4
	v_subrev_u32_e32 v13, 28, v12
	v_and_b32_e32 v6, 15, v6
	v_lshlrev_b32_sdwa v13, v13, v4 dst_sel:DWORD dst_unused:UNUSED_PAD src0_sel:DWORD src1_sel:WORD_1
	v_bfe_u32 v7, v4, 19, 4
	v_sub_u32_e32 v12, 29, v12
	v_and_b32_e32 v13, 7, v13
	v_cmp_eq_u16_e32 vcc, 0, v6
	v_cndmask_b32_e32 v3, v3, v13, vcc
	v_cndmask_b32_e32 v6, v7, v12, vcc
	v_lshlrev_b32_e32 v7, 8, v4
	v_mov_b32_e32 v12, 0x3b800000
	v_lshlrev_b32_e32 v3, 20, v3
	v_and_b32_e32 v7, 0x80000000, v7
	v_lshl_add_u32 v6, v6, 23, v12
	v_or3_b32 v6, v7, v6, v3
.LBB15_600:
	s_or_b64 exec, exec, s[6:7]
	s_nop 0
	v_mfma_f32_16x16x4f32 a[0:3], v2, v6, a[0:3]
	s_movk_i32 s4, 0x7f
	v_cmp_gt_i16_sdwa s[6:7], v8, s4 src0_sel:BYTE_3 src1_sel:DWORD
	s_mov_b64 s[4:5], 0
                                        ; implicit-def: $sgpr10
	s_and_saveexec_b64 s[8:9], s[6:7]
	s_xor_b64 s[6:7], exec, s[8:9]
	s_cbranch_execnz .LBB15_2649
; %bb.601:
	s_or_saveexec_b64 s[6:7], s[6:7]
	v_mov_b32_e32 v2, s10
	s_xor_b64 exec, exec, s[6:7]
	s_cbranch_execnz .LBB15_2652
.LBB15_602:
	s_or_b64 exec, exec, s[6:7]
	s_and_saveexec_b64 s[6:7], s[4:5]
	s_cbranch_execz .LBB15_604
.LBB15_603:
	v_bfe_u32 v2, v8, 24, 3
	v_ffbh_u32_e32 v12, v2
	v_min_u32_e32 v12, 32, v12
	v_lshrrev_b32_e32 v6, 27, v8
	v_subrev_u32_e32 v13, 28, v12
	v_and_b32_e32 v3, 0x80000000, v8
	v_and_b32_e32 v6, 15, v6
	v_bfe_u32 v7, v8, 27, 4
	v_lshlrev_b32_sdwa v8, v13, v8 dst_sel:DWORD dst_unused:UNUSED_PAD src0_sel:DWORD src1_sel:BYTE_3
	v_sub_u32_e32 v12, 29, v12
	v_and_b32_e32 v8, 7, v8
	v_cmp_eq_u16_e32 vcc, 0, v6
	v_cndmask_b32_e32 v2, v2, v8, vcc
	v_cndmask_b32_e32 v6, v7, v12, vcc
	v_mov_b32_e32 v7, 0x3b800000
	v_lshlrev_b32_e32 v2, 20, v2
	v_lshl_add_u32 v6, v6, 23, v7
	v_or3_b32 v2, v3, v6, v2
.LBB15_604:
	s_or_b64 exec, exec, s[6:7]
	s_movk_i32 s4, 0x7f
	v_cmp_gt_i16_sdwa s[6:7], v4, s4 src0_sel:BYTE_3 src1_sel:DWORD
	s_mov_b64 s[4:5], 0
                                        ; implicit-def: $sgpr10
	s_and_saveexec_b64 s[8:9], s[6:7]
	s_xor_b64 s[6:7], exec, s[8:9]
	s_cbranch_execnz .LBB15_2653
; %bb.605:
	s_or_saveexec_b64 s[6:7], s[6:7]
	v_mov_b32_e32 v3, s10
	s_xor_b64 exec, exec, s[6:7]
	s_cbranch_execnz .LBB15_2656
.LBB15_606:
	s_or_b64 exec, exec, s[6:7]
	s_and_saveexec_b64 s[6:7], s[4:5]
	s_cbranch_execz .LBB15_608
.LBB15_607:
	v_bfe_u32 v3, v4, 24, 3
	v_ffbh_u32_e32 v12, v3
	v_min_u32_e32 v12, 32, v12
	v_lshrrev_b32_e32 v7, 27, v4
	v_subrev_u32_e32 v13, 28, v12
	v_and_b32_e32 v6, 0x80000000, v4
	v_and_b32_e32 v7, 15, v7
	v_bfe_u32 v8, v4, 27, 4
	v_lshlrev_b32_sdwa v4, v13, v4 dst_sel:DWORD dst_unused:UNUSED_PAD src0_sel:DWORD src1_sel:BYTE_3
	v_sub_u32_e32 v12, 29, v12
	v_and_b32_e32 v4, 7, v4
	v_cmp_eq_u16_e32 vcc, 0, v7
	v_cndmask_b32_e32 v3, v3, v4, vcc
	v_cndmask_b32_e32 v4, v8, v12, vcc
	v_mov_b32_e32 v7, 0x3b800000
	v_lshlrev_b32_e32 v3, 20, v3
	v_lshl_add_u32 v4, v4, 23, v7
	v_or3_b32 v3, v6, v4, v3
.LBB15_608:
	s_or_b64 exec, exec, s[6:7]
	s_nop 0
	v_mfma_f32_16x16x4f32 a[0:3], v2, v3, a[0:3]
	s_movk_i32 s4, 0x7f
	v_cmp_gt_i16_sdwa s[6:7], v9, s4 src0_sel:BYTE_0 src1_sel:DWORD
	s_mov_b64 s[4:5], 0
                                        ; implicit-def: $sgpr10
	s_and_saveexec_b64 s[8:9], s[6:7]
	s_xor_b64 s[6:7], exec, s[8:9]
	s_cbranch_execnz .LBB15_2657
; %bb.609:
	s_or_saveexec_b64 s[6:7], s[6:7]
	v_mov_b32_e32 v2, s10
	s_xor_b64 exec, exec, s[6:7]
	s_cbranch_execnz .LBB15_2660
.LBB15_610:
	s_or_b64 exec, exec, s[6:7]
	s_and_saveexec_b64 s[6:7], s[4:5]
	s_cbranch_execz .LBB15_612
.LBB15_611:
	v_mov_b32_e32 v2, 8
	v_and_b32_e32 v3, 7, v9
	v_lshrrev_b32_sdwa v2, v2, v9 dst_sel:BYTE_1 dst_unused:UNUSED_PAD src0_sel:DWORD src1_sel:DWORD
	v_ffbh_u32_e32 v4, v3
	v_or_b32_sdwa v2, v9, v2 dst_sel:DWORD dst_unused:UNUSED_PAD src0_sel:BYTE_0 src1_sel:DWORD
	v_min_u32_e32 v4, 32, v4
	v_lshrrev_b16_e32 v2, 3, v2
	v_subrev_u32_e32 v6, 28, v4
	v_and_b32_e32 v2, 15, v2
	v_lshlrev_b32_e32 v6, v6, v9
	v_sub_u32_e32 v4, 29, v4
	v_and_b32_e32 v6, 7, v6
	v_cmp_eq_u16_e32 vcc, 0, v2
	v_cndmask_b32_e32 v3, v3, v6, vcc
	v_cndmask_b32_e32 v2, v2, v4, vcc
	v_lshlrev_b32_e32 v4, 24, v9
	v_mov_b32_e32 v6, 0x3b800000
	v_lshlrev_b32_e32 v3, 20, v3
	v_and_b32_e32 v4, 0x80000000, v4
	v_lshl_add_u32 v2, v2, 23, v6
	v_or3_b32 v2, v4, v2, v3
.LBB15_612:
	s_or_b64 exec, exec, s[6:7]
	s_movk_i32 s4, 0x7f
	v_cmp_gt_i16_sdwa s[6:7], v5, s4 src0_sel:BYTE_0 src1_sel:DWORD
	s_mov_b64 s[4:5], 0
                                        ; implicit-def: $sgpr10
	s_and_saveexec_b64 s[8:9], s[6:7]
	s_xor_b64 s[6:7], exec, s[8:9]
	s_cbranch_execnz .LBB15_2661
; %bb.613:
	s_or_saveexec_b64 s[6:7], s[6:7]
	v_mov_b32_e32 v3, s10
	s_xor_b64 exec, exec, s[6:7]
	s_cbranch_execnz .LBB15_2664
.LBB15_614:
	s_or_b64 exec, exec, s[6:7]
	s_and_saveexec_b64 s[6:7], s[4:5]
	s_cbranch_execz .LBB15_616
.LBB15_615:
	v_mov_b32_e32 v3, 8
	v_and_b32_e32 v4, 7, v5
	v_lshrrev_b32_sdwa v3, v3, v5 dst_sel:BYTE_1 dst_unused:UNUSED_PAD src0_sel:DWORD src1_sel:DWORD
	v_ffbh_u32_e32 v6, v4
	v_or_b32_sdwa v3, v5, v3 dst_sel:DWORD dst_unused:UNUSED_PAD src0_sel:BYTE_0 src1_sel:DWORD
	v_min_u32_e32 v6, 32, v6
	v_lshrrev_b16_e32 v3, 3, v3
	v_subrev_u32_e32 v7, 28, v6
	v_and_b32_e32 v3, 15, v3
	v_lshlrev_b32_e32 v7, v7, v5
	v_sub_u32_e32 v6, 29, v6
	v_and_b32_e32 v7, 7, v7
	v_cmp_eq_u16_e32 vcc, 0, v3
	v_cndmask_b32_e32 v4, v4, v7, vcc
	v_cndmask_b32_e32 v3, v3, v6, vcc
	v_lshlrev_b32_e32 v6, 24, v5
	v_mov_b32_e32 v7, 0x3b800000
	v_lshlrev_b32_e32 v4, 20, v4
	v_and_b32_e32 v6, 0x80000000, v6
	v_lshl_add_u32 v3, v3, 23, v7
	v_or3_b32 v3, v6, v3, v4
.LBB15_616:
	s_or_b64 exec, exec, s[6:7]
	s_nop 0
	v_mfma_f32_16x16x4f32 a[0:3], v2, v3, a[0:3]
	v_lshrrev_b32_e32 v3, 8, v9
	s_movk_i32 s4, 0x7f
	v_cmp_gt_i16_sdwa s[6:7], v3, s4 src0_sel:BYTE_0 src1_sel:DWORD
	s_mov_b64 s[4:5], 0
                                        ; implicit-def: $sgpr10
	s_and_saveexec_b64 s[8:9], s[6:7]
	s_xor_b64 s[6:7], exec, s[8:9]
	s_cbranch_execnz .LBB15_2665
; %bb.617:
	s_or_saveexec_b64 s[6:7], s[6:7]
	v_mov_b32_e32 v2, s10
	s_xor_b64 exec, exec, s[6:7]
	s_cbranch_execnz .LBB15_2668
.LBB15_618:
	s_or_b64 exec, exec, s[6:7]
	s_and_saveexec_b64 s[6:7], s[4:5]
	s_cbranch_execz .LBB15_620
.LBB15_619:
	v_bfe_u32 v2, v9, 8, 3
	v_ffbh_u32_e32 v6, v2
	v_min_u32_e32 v6, 32, v6
	v_lshrrev_b16_e32 v4, 3, v3
	v_subrev_u32_e32 v7, 28, v6
	v_and_b32_e32 v4, 15, v4
	v_lshlrev_b32_e32 v3, v7, v3
	v_sub_u32_e32 v6, 29, v6
	v_and_b32_e32 v3, 7, v3
	v_cmp_eq_u16_e32 vcc, 0, v4
	v_cndmask_b32_e32 v2, v2, v3, vcc
	v_cndmask_b32_e32 v3, v4, v6, vcc
	v_lshlrev_b32_e32 v4, 16, v9
	v_mov_b32_e32 v6, 0x3b800000
	v_lshlrev_b32_e32 v2, 20, v2
	v_and_b32_e32 v4, 0x80000000, v4
	v_lshl_add_u32 v3, v3, 23, v6
	v_or3_b32 v2, v4, v3, v2
.LBB15_620:
	s_or_b64 exec, exec, s[6:7]
	v_lshrrev_b32_e32 v3, 8, v5
	s_movk_i32 s4, 0x7f
	v_cmp_gt_i16_sdwa s[6:7], v3, s4 src0_sel:BYTE_0 src1_sel:DWORD
	s_mov_b64 s[4:5], 0
                                        ; implicit-def: $sgpr10
	s_and_saveexec_b64 s[8:9], s[6:7]
	s_xor_b64 s[6:7], exec, s[8:9]
	s_cbranch_execnz .LBB15_2669
; %bb.621:
	s_or_saveexec_b64 s[6:7], s[6:7]
	v_mov_b32_e32 v4, s10
	s_xor_b64 exec, exec, s[6:7]
	s_cbranch_execnz .LBB15_2672
.LBB15_622:
	s_or_b64 exec, exec, s[6:7]
	s_and_saveexec_b64 s[6:7], s[4:5]
	s_cbranch_execz .LBB15_624
.LBB15_623:
	v_bfe_u32 v4, v5, 8, 3
	v_ffbh_u32_e32 v7, v4
	v_min_u32_e32 v7, 32, v7
	v_lshrrev_b16_e32 v6, 3, v3
	v_subrev_u32_e32 v8, 28, v7
	v_and_b32_e32 v6, 15, v6
	v_lshlrev_b32_e32 v3, v8, v3
	v_sub_u32_e32 v7, 29, v7
	v_and_b32_e32 v3, 7, v3
	v_cmp_eq_u16_e32 vcc, 0, v6
	v_cndmask_b32_e32 v3, v4, v3, vcc
	v_cndmask_b32_e32 v4, v6, v7, vcc
	v_lshlrev_b32_e32 v6, 16, v5
	v_mov_b32_e32 v7, 0x3b800000
	v_lshlrev_b32_e32 v3, 20, v3
	v_and_b32_e32 v6, 0x80000000, v6
	v_lshl_add_u32 v4, v4, 23, v7
	v_or3_b32 v4, v6, v4, v3
.LBB15_624:
	s_or_b64 exec, exec, s[6:7]
	s_nop 0
	v_mfma_f32_16x16x4f32 a[0:3], v2, v4, a[0:3]
	s_movk_i32 s4, 0xff
	v_and_b32_sdwa v3, v9, s4 dst_sel:DWORD dst_unused:UNUSED_PAD src0_sel:WORD_1 src1_sel:DWORD
	s_movk_i32 s4, 0x7f
	v_cmp_lt_i16_e32 vcc, s4, v3
	s_mov_b64 s[4:5], 0
                                        ; implicit-def: $sgpr10
	s_and_saveexec_b64 s[6:7], vcc
	s_xor_b64 s[6:7], exec, s[6:7]
	s_cbranch_execnz .LBB15_2673
; %bb.625:
	s_or_saveexec_b64 s[6:7], s[6:7]
	v_mov_b32_e32 v2, s10
	s_xor_b64 exec, exec, s[6:7]
	s_cbranch_execnz .LBB15_2676
.LBB15_626:
	s_or_b64 exec, exec, s[6:7]
	s_and_saveexec_b64 s[6:7], s[4:5]
	s_cbranch_execz .LBB15_628
.LBB15_627:
	v_bfe_u32 v2, v9, 16, 3
	v_ffbh_u32_e32 v6, v2
	v_min_u32_e32 v6, 32, v6
	v_lshrrev_b32_e32 v3, 19, v9
	v_subrev_u32_e32 v7, 28, v6
	v_and_b32_e32 v3, 15, v3
	v_lshlrev_b32_sdwa v7, v7, v9 dst_sel:DWORD dst_unused:UNUSED_PAD src0_sel:DWORD src1_sel:WORD_1
	v_bfe_u32 v4, v9, 19, 4
	v_sub_u32_e32 v6, 29, v6
	v_and_b32_e32 v7, 7, v7
	v_cmp_eq_u16_e32 vcc, 0, v3
	v_cndmask_b32_e32 v2, v2, v7, vcc
	v_cndmask_b32_e32 v3, v4, v6, vcc
	v_lshlrev_b32_e32 v4, 8, v9
	v_mov_b32_e32 v6, 0x3b800000
	v_lshlrev_b32_e32 v2, 20, v2
	v_and_b32_e32 v4, 0x80000000, v4
	v_lshl_add_u32 v3, v3, 23, v6
	v_or3_b32 v2, v4, v3, v2
.LBB15_628:
	s_or_b64 exec, exec, s[6:7]
	s_movk_i32 s4, 0xff
	v_and_b32_sdwa v3, v5, s4 dst_sel:DWORD dst_unused:UNUSED_PAD src0_sel:WORD_1 src1_sel:DWORD
	s_movk_i32 s4, 0x7f
	v_cmp_lt_i16_e32 vcc, s4, v3
	s_mov_b64 s[4:5], 0
                                        ; implicit-def: $sgpr10
	s_and_saveexec_b64 s[6:7], vcc
	s_xor_b64 s[6:7], exec, s[6:7]
	s_cbranch_execnz .LBB15_2677
; %bb.629:
	s_or_saveexec_b64 s[6:7], s[6:7]
	v_mov_b32_e32 v4, s10
	s_xor_b64 exec, exec, s[6:7]
	s_cbranch_execnz .LBB15_2680
.LBB15_630:
	s_or_b64 exec, exec, s[6:7]
	s_and_saveexec_b64 s[6:7], s[4:5]
	s_cbranch_execz .LBB15_632
.LBB15_631:
	v_bfe_u32 v3, v5, 16, 3
	v_ffbh_u32_e32 v7, v3
	v_min_u32_e32 v7, 32, v7
	v_lshrrev_b32_e32 v4, 19, v5
	v_subrev_u32_e32 v8, 28, v7
	v_and_b32_e32 v4, 15, v4
	v_lshlrev_b32_sdwa v8, v8, v5 dst_sel:DWORD dst_unused:UNUSED_PAD src0_sel:DWORD src1_sel:WORD_1
	v_bfe_u32 v6, v5, 19, 4
	v_sub_u32_e32 v7, 29, v7
	v_and_b32_e32 v8, 7, v8
	v_cmp_eq_u16_e32 vcc, 0, v4
	v_cndmask_b32_e32 v3, v3, v8, vcc
	v_cndmask_b32_e32 v4, v6, v7, vcc
	v_lshlrev_b32_e32 v6, 8, v5
	v_mov_b32_e32 v7, 0x3b800000
	v_lshlrev_b32_e32 v3, 20, v3
	v_and_b32_e32 v6, 0x80000000, v6
	v_lshl_add_u32 v4, v4, 23, v7
	v_or3_b32 v4, v6, v4, v3
.LBB15_632:
	s_or_b64 exec, exec, s[6:7]
	s_nop 0
	v_mfma_f32_16x16x4f32 a[0:3], v2, v4, a[0:3]
	s_movk_i32 s4, 0x7f
	v_cmp_gt_i16_sdwa s[6:7], v9, s4 src0_sel:BYTE_3 src1_sel:DWORD
	s_mov_b64 s[4:5], 0
                                        ; implicit-def: $sgpr10
	s_and_saveexec_b64 s[8:9], s[6:7]
	s_xor_b64 s[6:7], exec, s[8:9]
	s_cbranch_execnz .LBB15_2681
; %bb.633:
	s_or_saveexec_b64 s[6:7], s[6:7]
	v_mov_b32_e32 v2, s10
	s_xor_b64 exec, exec, s[6:7]
	s_cbranch_execnz .LBB15_2684
.LBB15_634:
	s_or_b64 exec, exec, s[6:7]
	s_and_saveexec_b64 s[6:7], s[4:5]
	s_cbranch_execz .LBB15_636
.LBB15_635:
	v_bfe_u32 v2, v9, 24, 3
	v_ffbh_u32_e32 v7, v2
	v_min_u32_e32 v7, 32, v7
	v_lshrrev_b32_e32 v4, 27, v9
	v_subrev_u32_e32 v8, 28, v7
	v_and_b32_e32 v4, 15, v4
	v_lshlrev_b32_sdwa v8, v8, v9 dst_sel:DWORD dst_unused:UNUSED_PAD src0_sel:DWORD src1_sel:BYTE_3
	v_bfe_u32 v6, v9, 27, 4
	v_sub_u32_e32 v7, 29, v7
	v_and_b32_e32 v8, 7, v8
	v_cmp_eq_u16_e32 vcc, 0, v4
	v_cndmask_b32_e32 v2, v2, v8, vcc
	v_cndmask_b32_e32 v4, v6, v7, vcc
	v_mov_b32_e32 v6, 0x3b800000
	v_and_b32_e32 v3, 0x80000000, v9
	v_lshlrev_b32_e32 v2, 20, v2
	v_lshl_add_u32 v4, v4, 23, v6
	v_or3_b32 v2, v3, v4, v2
.LBB15_636:
	s_or_b64 exec, exec, s[6:7]
	s_movk_i32 s4, 0x7f
	v_cmp_gt_i16_sdwa s[6:7], v5, s4 src0_sel:BYTE_3 src1_sel:DWORD
	s_mov_b64 s[4:5], 0
                                        ; implicit-def: $sgpr10
	s_and_saveexec_b64 s[8:9], s[6:7]
	s_xor_b64 s[6:7], exec, s[8:9]
	s_cbranch_execnz .LBB15_2685
; %bb.637:
	s_or_saveexec_b64 s[6:7], s[6:7]
	v_mov_b32_e32 v3, s10
	s_xor_b64 exec, exec, s[6:7]
	s_cbranch_execnz .LBB15_2688
.LBB15_638:
	s_or_b64 exec, exec, s[6:7]
	s_and_saveexec_b64 s[6:7], s[4:5]
	s_cbranch_execz .LBB15_640
.LBB15_639:
	v_bfe_u32 v3, v5, 24, 3
	v_ffbh_u32_e32 v8, v3
	v_min_u32_e32 v8, 32, v8
	v_lshrrev_b32_e32 v6, 27, v5
	v_subrev_u32_e32 v9, 28, v8
	v_and_b32_e32 v4, 0x80000000, v5
	v_and_b32_e32 v6, 15, v6
	v_bfe_u32 v7, v5, 27, 4
	v_lshlrev_b32_sdwa v5, v9, v5 dst_sel:DWORD dst_unused:UNUSED_PAD src0_sel:DWORD src1_sel:BYTE_3
	v_sub_u32_e32 v8, 29, v8
	v_and_b32_e32 v5, 7, v5
	v_cmp_eq_u16_e32 vcc, 0, v6
	v_cndmask_b32_e32 v3, v3, v5, vcc
	v_cndmask_b32_e32 v5, v7, v8, vcc
	v_mov_b32_e32 v6, 0x3b800000
	v_lshlrev_b32_e32 v3, 20, v3
	v_lshl_add_u32 v5, v5, 23, v6
	v_or3_b32 v3, v4, v5, v3
.LBB15_640:
	s_or_b64 exec, exec, s[6:7]
	s_nop 0
	v_mfma_f32_16x16x4f32 a[0:3], v2, v3, a[0:3]
	s_movk_i32 s4, 0x7f
                                        ; implicit-def: $sgpr10
	s_nop 7
	s_nop 1
	flat_store_dwordx4 v[10:11], a[0:3] offset:64
	flat_load_dwordx4 v[12:15], v[0:1] offset:8
	s_nop 0
	flat_load_dwordx2 v[10:11], v[0:1] offset:32
	s_waitcnt vmcnt(0) lgkmcnt(0)
	flat_load_dwordx4 v[6:9], v[12:13] offset:48
	flat_load_dwordx4 v[2:5], v[14:15] offset:48
	s_waitcnt vmcnt(0) lgkmcnt(0)
	v_cmp_gt_i16_sdwa s[6:7], v6, s4 src0_sel:BYTE_0 src1_sel:DWORD
	s_mov_b64 s[4:5], 0
	s_and_saveexec_b64 s[8:9], s[6:7]
	s_xor_b64 s[6:7], exec, s[8:9]
	s_cbranch_execnz .LBB15_2689
; %bb.641:
	s_or_saveexec_b64 s[6:7], s[6:7]
	v_mov_b32_e32 v12, s10
	s_xor_b64 exec, exec, s[6:7]
	s_cbranch_execnz .LBB15_2692
.LBB15_642:
	s_or_b64 exec, exec, s[6:7]
	s_and_saveexec_b64 s[6:7], s[4:5]
	s_cbranch_execz .LBB15_644
.LBB15_643:
	v_and_b32_e32 v12, 7, v6
	v_ffbh_u32_e32 v14, v12
	v_min_u32_e32 v14, 32, v14
	v_lshrrev_b16_e32 v13, 3, v6
	v_subrev_u32_e32 v15, 28, v14
	v_and_b32_e32 v13, 15, v13
	v_lshlrev_b32_e32 v15, v15, v6
	v_sub_u32_e32 v14, 29, v14
	v_and_b32_e32 v15, 7, v15
	v_cmp_eq_u16_e32 vcc, 0, v13
	v_cndmask_b32_e32 v12, v12, v15, vcc
	v_cndmask_b32_e32 v13, v13, v14, vcc
	v_lshlrev_b32_e32 v14, 24, v6
	v_mov_b32_e32 v15, 0x3b800000
	v_lshlrev_b32_e32 v12, 20, v12
	v_and_b32_e32 v14, 0x80000000, v14
	v_lshl_add_u32 v13, v13, 23, v15
	v_or3_b32 v12, v14, v13, v12
.LBB15_644:
	s_or_b64 exec, exec, s[6:7]
	s_movk_i32 s4, 0x7f
	v_cmp_gt_i16_sdwa s[6:7], v2, s4 src0_sel:BYTE_0 src1_sel:DWORD
	s_mov_b64 s[4:5], 0
                                        ; implicit-def: $sgpr10
	s_and_saveexec_b64 s[8:9], s[6:7]
	s_xor_b64 s[6:7], exec, s[8:9]
	s_cbranch_execnz .LBB15_2693
; %bb.645:
	s_or_saveexec_b64 s[6:7], s[6:7]
	v_mov_b32_e32 v13, s10
	s_xor_b64 exec, exec, s[6:7]
	s_cbranch_execnz .LBB15_2696
.LBB15_646:
	s_or_b64 exec, exec, s[6:7]
	s_and_saveexec_b64 s[6:7], s[4:5]
	s_cbranch_execz .LBB15_648
.LBB15_647:
	v_and_b32_e32 v13, 7, v2
	v_ffbh_u32_e32 v15, v13
	v_min_u32_e32 v15, 32, v15
	v_lshrrev_b16_e32 v14, 3, v2
	v_subrev_u32_e32 v16, 28, v15
	v_and_b32_e32 v14, 15, v14
	v_lshlrev_b32_e32 v16, v16, v2
	v_sub_u32_e32 v15, 29, v15
	v_and_b32_e32 v16, 7, v16
	v_cmp_eq_u16_e32 vcc, 0, v14
	v_cndmask_b32_e32 v13, v13, v16, vcc
	v_cndmask_b32_e32 v14, v14, v15, vcc
	v_lshlrev_b32_e32 v15, 24, v2
	v_mov_b32_e32 v16, 0x3b800000
	v_lshlrev_b32_e32 v13, 20, v13
	v_and_b32_e32 v15, 0x80000000, v15
	v_lshl_add_u32 v14, v14, 23, v16
	v_or3_b32 v13, v15, v14, v13
.LBB15_648:
	s_or_b64 exec, exec, s[6:7]
	flat_load_dwordx4 a[0:3], v[10:11] offset:80
	s_movk_i32 s4, 0x7f
                                        ; implicit-def: $sgpr10
	s_waitcnt vmcnt(0) lgkmcnt(0)
	v_mfma_f32_16x16x4f32 a[0:3], v12, v13, a[0:3]
	v_lshrrev_b32_e32 v13, 8, v6
	v_cmp_gt_i16_sdwa s[6:7], v13, s4 src0_sel:BYTE_0 src1_sel:DWORD
	s_mov_b64 s[4:5], 0
	s_and_saveexec_b64 s[8:9], s[6:7]
	s_xor_b64 s[6:7], exec, s[8:9]
	s_cbranch_execnz .LBB15_2697
; %bb.649:
	s_or_saveexec_b64 s[6:7], s[6:7]
	v_mov_b32_e32 v12, s10
	s_xor_b64 exec, exec, s[6:7]
	s_cbranch_execnz .LBB15_2700
.LBB15_650:
	s_or_b64 exec, exec, s[6:7]
	s_and_saveexec_b64 s[6:7], s[4:5]
	s_cbranch_execz .LBB15_652
.LBB15_651:
	v_bfe_u32 v12, v6, 8, 3
	v_ffbh_u32_e32 v15, v12
	v_min_u32_e32 v15, 32, v15
	v_lshrrev_b16_e32 v14, 3, v13
	v_subrev_u32_e32 v16, 28, v15
	v_and_b32_e32 v14, 15, v14
	v_lshlrev_b32_e32 v13, v16, v13
	v_sub_u32_e32 v15, 29, v15
	v_and_b32_e32 v13, 7, v13
	v_cmp_eq_u16_e32 vcc, 0, v14
	v_cndmask_b32_e32 v12, v12, v13, vcc
	v_cndmask_b32_e32 v13, v14, v15, vcc
	v_lshlrev_b32_e32 v14, 16, v6
	v_mov_b32_e32 v15, 0x3b800000
	v_lshlrev_b32_e32 v12, 20, v12
	v_and_b32_e32 v14, 0x80000000, v14
	v_lshl_add_u32 v13, v13, 23, v15
	v_or3_b32 v12, v14, v13, v12
.LBB15_652:
	s_or_b64 exec, exec, s[6:7]
	v_lshrrev_b32_e32 v13, 8, v2
	s_movk_i32 s4, 0x7f
	v_cmp_gt_i16_sdwa s[6:7], v13, s4 src0_sel:BYTE_0 src1_sel:DWORD
	s_mov_b64 s[4:5], 0
                                        ; implicit-def: $sgpr10
	s_and_saveexec_b64 s[8:9], s[6:7]
	s_xor_b64 s[6:7], exec, s[8:9]
	s_cbranch_execnz .LBB15_2701
; %bb.653:
	s_or_saveexec_b64 s[6:7], s[6:7]
	v_mov_b32_e32 v14, s10
	s_xor_b64 exec, exec, s[6:7]
	s_cbranch_execnz .LBB15_2704
.LBB15_654:
	s_or_b64 exec, exec, s[6:7]
	s_and_saveexec_b64 s[6:7], s[4:5]
	s_cbranch_execz .LBB15_656
.LBB15_655:
	v_bfe_u32 v14, v2, 8, 3
	v_ffbh_u32_e32 v16, v14
	v_min_u32_e32 v16, 32, v16
	v_lshrrev_b16_e32 v15, 3, v13
	v_subrev_u32_e32 v17, 28, v16
	v_and_b32_e32 v15, 15, v15
	v_lshlrev_b32_e32 v13, v17, v13
	v_sub_u32_e32 v16, 29, v16
	v_and_b32_e32 v13, 7, v13
	v_cmp_eq_u16_e32 vcc, 0, v15
	v_cndmask_b32_e32 v13, v14, v13, vcc
	v_cndmask_b32_e32 v14, v15, v16, vcc
	v_lshlrev_b32_e32 v15, 16, v2
	v_mov_b32_e32 v16, 0x3b800000
	v_lshlrev_b32_e32 v13, 20, v13
	v_and_b32_e32 v15, 0x80000000, v15
	v_lshl_add_u32 v14, v14, 23, v16
	v_or3_b32 v14, v15, v14, v13
.LBB15_656:
	s_or_b64 exec, exec, s[6:7]
	s_nop 0
	v_mfma_f32_16x16x4f32 a[0:3], v12, v14, a[0:3]
	s_movk_i32 s4, 0xff
	v_and_b32_sdwa v13, v6, s4 dst_sel:DWORD dst_unused:UNUSED_PAD src0_sel:WORD_1 src1_sel:DWORD
	s_movk_i32 s4, 0x7f
	v_cmp_lt_i16_e32 vcc, s4, v13
	s_mov_b64 s[4:5], 0
                                        ; implicit-def: $sgpr10
	s_and_saveexec_b64 s[6:7], vcc
	s_xor_b64 s[6:7], exec, s[6:7]
	s_cbranch_execnz .LBB15_2705
; %bb.657:
	s_or_saveexec_b64 s[6:7], s[6:7]
	v_mov_b32_e32 v12, s10
	s_xor_b64 exec, exec, s[6:7]
	s_cbranch_execnz .LBB15_2708
.LBB15_658:
	s_or_b64 exec, exec, s[6:7]
	s_and_saveexec_b64 s[6:7], s[4:5]
	s_cbranch_execz .LBB15_660
.LBB15_659:
	v_bfe_u32 v12, v6, 16, 3
	v_ffbh_u32_e32 v15, v12
	v_min_u32_e32 v15, 32, v15
	v_lshrrev_b32_e32 v13, 19, v6
	v_subrev_u32_e32 v16, 28, v15
	v_and_b32_e32 v13, 15, v13
	v_lshlrev_b32_sdwa v16, v16, v6 dst_sel:DWORD dst_unused:UNUSED_PAD src0_sel:DWORD src1_sel:WORD_1
	v_bfe_u32 v14, v6, 19, 4
	v_sub_u32_e32 v15, 29, v15
	v_and_b32_e32 v16, 7, v16
	v_cmp_eq_u16_e32 vcc, 0, v13
	v_cndmask_b32_e32 v12, v12, v16, vcc
	v_cndmask_b32_e32 v13, v14, v15, vcc
	v_lshlrev_b32_e32 v14, 8, v6
	v_mov_b32_e32 v15, 0x3b800000
	v_lshlrev_b32_e32 v12, 20, v12
	v_and_b32_e32 v14, 0x80000000, v14
	v_lshl_add_u32 v13, v13, 23, v15
	v_or3_b32 v12, v14, v13, v12
.LBB15_660:
	s_or_b64 exec, exec, s[6:7]
	s_movk_i32 s4, 0xff
	v_and_b32_sdwa v13, v2, s4 dst_sel:DWORD dst_unused:UNUSED_PAD src0_sel:WORD_1 src1_sel:DWORD
	s_movk_i32 s4, 0x7f
	v_cmp_lt_i16_e32 vcc, s4, v13
	s_mov_b64 s[4:5], 0
                                        ; implicit-def: $sgpr10
	s_and_saveexec_b64 s[6:7], vcc
	s_xor_b64 s[6:7], exec, s[6:7]
	s_cbranch_execnz .LBB15_2709
; %bb.661:
	s_or_saveexec_b64 s[6:7], s[6:7]
	v_mov_b32_e32 v14, s10
	s_xor_b64 exec, exec, s[6:7]
	s_cbranch_execnz .LBB15_2712
.LBB15_662:
	s_or_b64 exec, exec, s[6:7]
	s_and_saveexec_b64 s[6:7], s[4:5]
	s_cbranch_execz .LBB15_664
.LBB15_663:
	v_bfe_u32 v13, v2, 16, 3
	v_ffbh_u32_e32 v16, v13
	v_min_u32_e32 v16, 32, v16
	v_lshrrev_b32_e32 v14, 19, v2
	v_subrev_u32_e32 v17, 28, v16
	v_and_b32_e32 v14, 15, v14
	v_lshlrev_b32_sdwa v17, v17, v2 dst_sel:DWORD dst_unused:UNUSED_PAD src0_sel:DWORD src1_sel:WORD_1
	v_bfe_u32 v15, v2, 19, 4
	v_sub_u32_e32 v16, 29, v16
	v_and_b32_e32 v17, 7, v17
	v_cmp_eq_u16_e32 vcc, 0, v14
	v_cndmask_b32_e32 v13, v13, v17, vcc
	v_cndmask_b32_e32 v14, v15, v16, vcc
	v_lshlrev_b32_e32 v15, 8, v2
	v_mov_b32_e32 v16, 0x3b800000
	v_lshlrev_b32_e32 v13, 20, v13
	v_and_b32_e32 v15, 0x80000000, v15
	v_lshl_add_u32 v14, v14, 23, v16
	v_or3_b32 v14, v15, v14, v13
.LBB15_664:
	s_or_b64 exec, exec, s[6:7]
	s_nop 0
	v_mfma_f32_16x16x4f32 a[0:3], v12, v14, a[0:3]
	s_movk_i32 s4, 0x7f
	v_cmp_gt_i16_sdwa s[6:7], v6, s4 src0_sel:BYTE_3 src1_sel:DWORD
	s_mov_b64 s[4:5], 0
                                        ; implicit-def: $sgpr10
	s_and_saveexec_b64 s[8:9], s[6:7]
	s_xor_b64 s[6:7], exec, s[8:9]
	s_cbranch_execnz .LBB15_2713
; %bb.665:
	s_or_saveexec_b64 s[6:7], s[6:7]
	v_mov_b32_e32 v12, s10
	s_xor_b64 exec, exec, s[6:7]
	s_cbranch_execnz .LBB15_2716
.LBB15_666:
	s_or_b64 exec, exec, s[6:7]
	s_and_saveexec_b64 s[6:7], s[4:5]
	s_cbranch_execz .LBB15_668
.LBB15_667:
	v_bfe_u32 v12, v6, 24, 3
	v_ffbh_u32_e32 v16, v12
	v_min_u32_e32 v16, 32, v16
	v_lshrrev_b32_e32 v14, 27, v6
	v_subrev_u32_e32 v17, 28, v16
	v_and_b32_e32 v13, 0x80000000, v6
	v_and_b32_e32 v14, 15, v14
	v_bfe_u32 v15, v6, 27, 4
	v_lshlrev_b32_sdwa v6, v17, v6 dst_sel:DWORD dst_unused:UNUSED_PAD src0_sel:DWORD src1_sel:BYTE_3
	v_sub_u32_e32 v16, 29, v16
	v_and_b32_e32 v6, 7, v6
	v_cmp_eq_u16_e32 vcc, 0, v14
	v_cndmask_b32_e32 v6, v12, v6, vcc
	v_cndmask_b32_e32 v12, v15, v16, vcc
	v_mov_b32_e32 v14, 0x3b800000
	v_lshlrev_b32_e32 v6, 20, v6
	v_lshl_add_u32 v12, v12, 23, v14
	v_or3_b32 v12, v13, v12, v6
.LBB15_668:
	s_or_b64 exec, exec, s[6:7]
	s_movk_i32 s4, 0x7f
	v_cmp_gt_i16_sdwa s[6:7], v2, s4 src0_sel:BYTE_3 src1_sel:DWORD
	s_mov_b64 s[4:5], 0
                                        ; implicit-def: $sgpr10
	s_and_saveexec_b64 s[8:9], s[6:7]
	s_xor_b64 s[6:7], exec, s[8:9]
	s_cbranch_execnz .LBB15_2717
; %bb.669:
	s_or_saveexec_b64 s[6:7], s[6:7]
	v_mov_b32_e32 v6, s10
	s_xor_b64 exec, exec, s[6:7]
	s_cbranch_execnz .LBB15_2720
.LBB15_670:
	s_or_b64 exec, exec, s[6:7]
	s_and_saveexec_b64 s[6:7], s[4:5]
	s_cbranch_execz .LBB15_672
.LBB15_671:
	v_bfe_u32 v6, v2, 24, 3
	v_ffbh_u32_e32 v16, v6
	v_min_u32_e32 v16, 32, v16
	v_lshrrev_b32_e32 v14, 27, v2
	v_subrev_u32_e32 v17, 28, v16
	v_and_b32_e32 v13, 0x80000000, v2
	v_and_b32_e32 v14, 15, v14
	v_bfe_u32 v15, v2, 27, 4
	v_lshlrev_b32_sdwa v2, v17, v2 dst_sel:DWORD dst_unused:UNUSED_PAD src0_sel:DWORD src1_sel:BYTE_3
	v_sub_u32_e32 v16, 29, v16
	v_and_b32_e32 v2, 7, v2
	v_cmp_eq_u16_e32 vcc, 0, v14
	v_cndmask_b32_e32 v2, v6, v2, vcc
	v_cndmask_b32_e32 v6, v15, v16, vcc
	v_mov_b32_e32 v14, 0x3b800000
	v_lshlrev_b32_e32 v2, 20, v2
	v_lshl_add_u32 v6, v6, 23, v14
	v_or3_b32 v6, v13, v6, v2
.LBB15_672:
	s_or_b64 exec, exec, s[6:7]
	s_nop 0
	v_mfma_f32_16x16x4f32 a[0:3], v12, v6, a[0:3]
	s_movk_i32 s4, 0x7f
	v_cmp_gt_i16_sdwa s[6:7], v7, s4 src0_sel:BYTE_0 src1_sel:DWORD
	s_mov_b64 s[4:5], 0
                                        ; implicit-def: $sgpr10
	s_and_saveexec_b64 s[8:9], s[6:7]
	s_xor_b64 s[6:7], exec, s[8:9]
	s_cbranch_execnz .LBB15_2721
; %bb.673:
	s_or_saveexec_b64 s[6:7], s[6:7]
	v_mov_b32_e32 v2, s10
	s_xor_b64 exec, exec, s[6:7]
	s_cbranch_execnz .LBB15_2724
.LBB15_674:
	s_or_b64 exec, exec, s[6:7]
	s_and_saveexec_b64 s[6:7], s[4:5]
	s_cbranch_execz .LBB15_676
.LBB15_675:
	v_and_b32_e32 v2, 7, v7
	v_ffbh_u32_e32 v12, v2
	v_min_u32_e32 v12, 32, v12
	v_lshrrev_b16_e32 v6, 3, v7
	v_subrev_u32_e32 v13, 28, v12
	v_and_b32_e32 v6, 15, v6
	v_lshlrev_b32_e32 v13, v13, v7
	v_sub_u32_e32 v12, 29, v12
	v_and_b32_e32 v13, 7, v13
	v_cmp_eq_u16_e32 vcc, 0, v6
	v_cndmask_b32_e32 v2, v2, v13, vcc
	v_cndmask_b32_e32 v6, v6, v12, vcc
	v_lshlrev_b32_e32 v12, 24, v7
	v_mov_b32_e32 v13, 0x3b800000
	v_lshlrev_b32_e32 v2, 20, v2
	v_and_b32_e32 v12, 0x80000000, v12
	v_lshl_add_u32 v6, v6, 23, v13
	v_or3_b32 v2, v12, v6, v2
.LBB15_676:
	s_or_b64 exec, exec, s[6:7]
	s_movk_i32 s4, 0x7f
	v_cmp_gt_i16_sdwa s[6:7], v3, s4 src0_sel:BYTE_0 src1_sel:DWORD
	s_mov_b64 s[4:5], 0
                                        ; implicit-def: $sgpr10
	s_and_saveexec_b64 s[8:9], s[6:7]
	s_xor_b64 s[6:7], exec, s[8:9]
	s_cbranch_execnz .LBB15_2725
; %bb.677:
	s_or_saveexec_b64 s[6:7], s[6:7]
	v_mov_b32_e32 v6, s10
	s_xor_b64 exec, exec, s[6:7]
	s_cbranch_execnz .LBB15_2728
.LBB15_678:
	s_or_b64 exec, exec, s[6:7]
	s_and_saveexec_b64 s[6:7], s[4:5]
	s_cbranch_execz .LBB15_680
.LBB15_679:
	v_and_b32_e32 v6, 7, v3
	v_ffbh_u32_e32 v13, v6
	v_min_u32_e32 v13, 32, v13
	v_lshrrev_b16_e32 v12, 3, v3
	v_subrev_u32_e32 v14, 28, v13
	v_and_b32_e32 v12, 15, v12
	v_lshlrev_b32_e32 v14, v14, v3
	v_sub_u32_e32 v13, 29, v13
	v_and_b32_e32 v14, 7, v14
	v_cmp_eq_u16_e32 vcc, 0, v12
	v_cndmask_b32_e32 v6, v6, v14, vcc
	v_cndmask_b32_e32 v12, v12, v13, vcc
	v_lshlrev_b32_e32 v13, 24, v3
	v_mov_b32_e32 v14, 0x3b800000
	v_lshlrev_b32_e32 v6, 20, v6
	v_and_b32_e32 v13, 0x80000000, v13
	v_lshl_add_u32 v12, v12, 23, v14
	v_or3_b32 v6, v13, v12, v6
.LBB15_680:
	s_or_b64 exec, exec, s[6:7]
	s_nop 0
	v_mfma_f32_16x16x4f32 a[0:3], v2, v6, a[0:3]
	v_lshrrev_b32_e32 v6, 8, v7
	s_movk_i32 s4, 0x7f
	v_cmp_gt_i16_sdwa s[6:7], v6, s4 src0_sel:BYTE_0 src1_sel:DWORD
	s_mov_b64 s[4:5], 0
                                        ; implicit-def: $sgpr10
	s_and_saveexec_b64 s[8:9], s[6:7]
	s_xor_b64 s[6:7], exec, s[8:9]
	s_cbranch_execnz .LBB15_2729
; %bb.681:
	s_or_saveexec_b64 s[6:7], s[6:7]
	v_mov_b32_e32 v2, s10
	s_xor_b64 exec, exec, s[6:7]
	s_cbranch_execnz .LBB15_2732
.LBB15_682:
	s_or_b64 exec, exec, s[6:7]
	s_and_saveexec_b64 s[6:7], s[4:5]
	s_cbranch_execz .LBB15_684
.LBB15_683:
	v_bfe_u32 v2, v7, 8, 3
	v_ffbh_u32_e32 v13, v2
	v_min_u32_e32 v13, 32, v13
	v_lshrrev_b16_e32 v12, 3, v6
	v_subrev_u32_e32 v14, 28, v13
	v_and_b32_e32 v12, 15, v12
	v_lshlrev_b32_e32 v6, v14, v6
	v_sub_u32_e32 v13, 29, v13
	v_and_b32_e32 v6, 7, v6
	v_cmp_eq_u16_e32 vcc, 0, v12
	v_cndmask_b32_e32 v2, v2, v6, vcc
	v_cndmask_b32_e32 v6, v12, v13, vcc
	v_lshlrev_b32_e32 v12, 16, v7
	v_mov_b32_e32 v13, 0x3b800000
	v_lshlrev_b32_e32 v2, 20, v2
	v_and_b32_e32 v12, 0x80000000, v12
	v_lshl_add_u32 v6, v6, 23, v13
	v_or3_b32 v2, v12, v6, v2
.LBB15_684:
	s_or_b64 exec, exec, s[6:7]
	v_lshrrev_b32_e32 v6, 8, v3
	s_movk_i32 s4, 0x7f
	v_cmp_gt_i16_sdwa s[6:7], v6, s4 src0_sel:BYTE_0 src1_sel:DWORD
	s_mov_b64 s[4:5], 0
                                        ; implicit-def: $sgpr10
	s_and_saveexec_b64 s[8:9], s[6:7]
	s_xor_b64 s[6:7], exec, s[8:9]
	s_cbranch_execnz .LBB15_2733
; %bb.685:
	s_or_saveexec_b64 s[6:7], s[6:7]
	v_mov_b32_e32 v12, s10
	s_xor_b64 exec, exec, s[6:7]
	s_cbranch_execnz .LBB15_2736
.LBB15_686:
	s_or_b64 exec, exec, s[6:7]
	s_and_saveexec_b64 s[6:7], s[4:5]
	s_cbranch_execz .LBB15_688
.LBB15_687:
	v_bfe_u32 v12, v3, 8, 3
	v_ffbh_u32_e32 v14, v12
	v_min_u32_e32 v14, 32, v14
	v_lshrrev_b16_e32 v13, 3, v6
	v_subrev_u32_e32 v15, 28, v14
	v_and_b32_e32 v13, 15, v13
	v_lshlrev_b32_e32 v6, v15, v6
	v_sub_u32_e32 v14, 29, v14
	v_and_b32_e32 v6, 7, v6
	v_cmp_eq_u16_e32 vcc, 0, v13
	v_cndmask_b32_e32 v6, v12, v6, vcc
	v_cndmask_b32_e32 v12, v13, v14, vcc
	v_lshlrev_b32_e32 v13, 16, v3
	v_mov_b32_e32 v14, 0x3b800000
	v_lshlrev_b32_e32 v6, 20, v6
	v_and_b32_e32 v13, 0x80000000, v13
	v_lshl_add_u32 v12, v12, 23, v14
	v_or3_b32 v12, v13, v12, v6
.LBB15_688:
	s_or_b64 exec, exec, s[6:7]
	s_nop 0
	v_mfma_f32_16x16x4f32 a[0:3], v2, v12, a[0:3]
	s_movk_i32 s4, 0xff
	v_and_b32_sdwa v6, v7, s4 dst_sel:DWORD dst_unused:UNUSED_PAD src0_sel:WORD_1 src1_sel:DWORD
	s_movk_i32 s4, 0x7f
	v_cmp_lt_i16_e32 vcc, s4, v6
	s_mov_b64 s[4:5], 0
                                        ; implicit-def: $sgpr10
	s_and_saveexec_b64 s[6:7], vcc
	s_xor_b64 s[6:7], exec, s[6:7]
	s_cbranch_execnz .LBB15_2737
; %bb.689:
	s_or_saveexec_b64 s[6:7], s[6:7]
	v_mov_b32_e32 v2, s10
	s_xor_b64 exec, exec, s[6:7]
	s_cbranch_execnz .LBB15_2740
.LBB15_690:
	s_or_b64 exec, exec, s[6:7]
	s_and_saveexec_b64 s[6:7], s[4:5]
	s_cbranch_execz .LBB15_692
.LBB15_691:
	v_bfe_u32 v2, v7, 16, 3
	v_ffbh_u32_e32 v13, v2
	v_min_u32_e32 v13, 32, v13
	v_lshrrev_b32_e32 v6, 19, v7
	v_subrev_u32_e32 v14, 28, v13
	v_and_b32_e32 v6, 15, v6
	v_lshlrev_b32_sdwa v14, v14, v7 dst_sel:DWORD dst_unused:UNUSED_PAD src0_sel:DWORD src1_sel:WORD_1
	v_bfe_u32 v12, v7, 19, 4
	v_sub_u32_e32 v13, 29, v13
	v_and_b32_e32 v14, 7, v14
	v_cmp_eq_u16_e32 vcc, 0, v6
	v_cndmask_b32_e32 v2, v2, v14, vcc
	v_cndmask_b32_e32 v6, v12, v13, vcc
	v_lshlrev_b32_e32 v12, 8, v7
	v_mov_b32_e32 v13, 0x3b800000
	v_lshlrev_b32_e32 v2, 20, v2
	v_and_b32_e32 v12, 0x80000000, v12
	v_lshl_add_u32 v6, v6, 23, v13
	v_or3_b32 v2, v12, v6, v2
.LBB15_692:
	s_or_b64 exec, exec, s[6:7]
	s_movk_i32 s4, 0xff
	v_and_b32_sdwa v6, v3, s4 dst_sel:DWORD dst_unused:UNUSED_PAD src0_sel:WORD_1 src1_sel:DWORD
	s_movk_i32 s4, 0x7f
	v_cmp_lt_i16_e32 vcc, s4, v6
	s_mov_b64 s[4:5], 0
                                        ; implicit-def: $sgpr10
	s_and_saveexec_b64 s[6:7], vcc
	s_xor_b64 s[6:7], exec, s[6:7]
	s_cbranch_execnz .LBB15_2741
; %bb.693:
	s_or_saveexec_b64 s[6:7], s[6:7]
	v_mov_b32_e32 v12, s10
	s_xor_b64 exec, exec, s[6:7]
	s_cbranch_execnz .LBB15_2744
.LBB15_694:
	s_or_b64 exec, exec, s[6:7]
	s_and_saveexec_b64 s[6:7], s[4:5]
	s_cbranch_execz .LBB15_696
.LBB15_695:
	v_bfe_u32 v6, v3, 16, 3
	v_ffbh_u32_e32 v14, v6
	v_min_u32_e32 v14, 32, v14
	v_lshrrev_b32_e32 v12, 19, v3
	v_subrev_u32_e32 v15, 28, v14
	v_and_b32_e32 v12, 15, v12
	v_lshlrev_b32_sdwa v15, v15, v3 dst_sel:DWORD dst_unused:UNUSED_PAD src0_sel:DWORD src1_sel:WORD_1
	v_bfe_u32 v13, v3, 19, 4
	v_sub_u32_e32 v14, 29, v14
	v_and_b32_e32 v15, 7, v15
	v_cmp_eq_u16_e32 vcc, 0, v12
	v_cndmask_b32_e32 v6, v6, v15, vcc
	v_cndmask_b32_e32 v12, v13, v14, vcc
	v_lshlrev_b32_e32 v13, 8, v3
	v_mov_b32_e32 v14, 0x3b800000
	v_lshlrev_b32_e32 v6, 20, v6
	v_and_b32_e32 v13, 0x80000000, v13
	v_lshl_add_u32 v12, v12, 23, v14
	v_or3_b32 v12, v13, v12, v6
.LBB15_696:
	s_or_b64 exec, exec, s[6:7]
	s_nop 0
	v_mfma_f32_16x16x4f32 a[0:3], v2, v12, a[0:3]
	s_movk_i32 s4, 0x7f
	v_cmp_gt_i16_sdwa s[6:7], v7, s4 src0_sel:BYTE_3 src1_sel:DWORD
	s_mov_b64 s[4:5], 0
                                        ; implicit-def: $sgpr10
	s_and_saveexec_b64 s[8:9], s[6:7]
	s_xor_b64 s[6:7], exec, s[8:9]
	s_cbranch_execnz .LBB15_2745
; %bb.697:
	s_or_saveexec_b64 s[6:7], s[6:7]
	v_mov_b32_e32 v2, s10
	s_xor_b64 exec, exec, s[6:7]
	s_cbranch_execnz .LBB15_2748
.LBB15_698:
	s_or_b64 exec, exec, s[6:7]
	s_and_saveexec_b64 s[6:7], s[4:5]
	s_cbranch_execz .LBB15_700
.LBB15_699:
	v_bfe_u32 v2, v7, 24, 3
	v_ffbh_u32_e32 v14, v2
	v_min_u32_e32 v14, 32, v14
	v_lshrrev_b32_e32 v12, 27, v7
	v_subrev_u32_e32 v15, 28, v14
	v_and_b32_e32 v6, 0x80000000, v7
	v_and_b32_e32 v12, 15, v12
	v_bfe_u32 v13, v7, 27, 4
	v_lshlrev_b32_sdwa v7, v15, v7 dst_sel:DWORD dst_unused:UNUSED_PAD src0_sel:DWORD src1_sel:BYTE_3
	v_sub_u32_e32 v14, 29, v14
	v_and_b32_e32 v7, 7, v7
	v_cmp_eq_u16_e32 vcc, 0, v12
	v_cndmask_b32_e32 v2, v2, v7, vcc
	v_cndmask_b32_e32 v7, v13, v14, vcc
	v_mov_b32_e32 v12, 0x3b800000
	v_lshlrev_b32_e32 v2, 20, v2
	v_lshl_add_u32 v7, v7, 23, v12
	v_or3_b32 v2, v6, v7, v2
.LBB15_700:
	s_or_b64 exec, exec, s[6:7]
	s_movk_i32 s4, 0x7f
	v_cmp_gt_i16_sdwa s[6:7], v3, s4 src0_sel:BYTE_3 src1_sel:DWORD
	s_mov_b64 s[4:5], 0
                                        ; implicit-def: $sgpr10
	s_and_saveexec_b64 s[8:9], s[6:7]
	s_xor_b64 s[6:7], exec, s[8:9]
	s_cbranch_execnz .LBB15_2749
; %bb.701:
	s_or_saveexec_b64 s[6:7], s[6:7]
	v_mov_b32_e32 v6, s10
	s_xor_b64 exec, exec, s[6:7]
	s_cbranch_execnz .LBB15_2752
.LBB15_702:
	s_or_b64 exec, exec, s[6:7]
	s_and_saveexec_b64 s[6:7], s[4:5]
	s_cbranch_execz .LBB15_704
.LBB15_703:
	v_bfe_u32 v6, v3, 24, 3
	v_ffbh_u32_e32 v14, v6
	v_min_u32_e32 v14, 32, v14
	v_lshrrev_b32_e32 v12, 27, v3
	v_subrev_u32_e32 v15, 28, v14
	v_and_b32_e32 v7, 0x80000000, v3
	v_and_b32_e32 v12, 15, v12
	v_bfe_u32 v13, v3, 27, 4
	v_lshlrev_b32_sdwa v3, v15, v3 dst_sel:DWORD dst_unused:UNUSED_PAD src0_sel:DWORD src1_sel:BYTE_3
	v_sub_u32_e32 v14, 29, v14
	v_and_b32_e32 v3, 7, v3
	v_cmp_eq_u16_e32 vcc, 0, v12
	v_cndmask_b32_e32 v3, v6, v3, vcc
	v_cndmask_b32_e32 v6, v13, v14, vcc
	v_mov_b32_e32 v12, 0x3b800000
	v_lshlrev_b32_e32 v3, 20, v3
	v_lshl_add_u32 v6, v6, 23, v12
	v_or3_b32 v6, v7, v6, v3
.LBB15_704:
	s_or_b64 exec, exec, s[6:7]
	s_nop 0
	v_mfma_f32_16x16x4f32 a[0:3], v2, v6, a[0:3]
	s_movk_i32 s4, 0x7f
	v_cmp_gt_i16_sdwa s[6:7], v8, s4 src0_sel:BYTE_0 src1_sel:DWORD
	s_mov_b64 s[4:5], 0
                                        ; implicit-def: $sgpr10
	s_and_saveexec_b64 s[8:9], s[6:7]
	s_xor_b64 s[6:7], exec, s[8:9]
	s_cbranch_execnz .LBB15_2753
; %bb.705:
	s_or_saveexec_b64 s[6:7], s[6:7]
	v_mov_b32_e32 v2, s10
	s_xor_b64 exec, exec, s[6:7]
	s_cbranch_execnz .LBB15_2756
.LBB15_706:
	s_or_b64 exec, exec, s[6:7]
	s_and_saveexec_b64 s[6:7], s[4:5]
	s_cbranch_execz .LBB15_708
.LBB15_707:
	v_and_b32_e32 v2, 7, v8
	v_ffbh_u32_e32 v6, v2
	v_min_u32_e32 v6, 32, v6
	v_lshrrev_b16_e32 v3, 3, v8
	v_subrev_u32_e32 v7, 28, v6
	v_and_b32_e32 v3, 15, v3
	v_lshlrev_b32_e32 v7, v7, v8
	v_sub_u32_e32 v6, 29, v6
	v_and_b32_e32 v7, 7, v7
	v_cmp_eq_u16_e32 vcc, 0, v3
	v_cndmask_b32_e32 v2, v2, v7, vcc
	v_cndmask_b32_e32 v3, v3, v6, vcc
	v_lshlrev_b32_e32 v6, 24, v8
	v_mov_b32_e32 v7, 0x3b800000
	v_lshlrev_b32_e32 v2, 20, v2
	v_and_b32_e32 v6, 0x80000000, v6
	v_lshl_add_u32 v3, v3, 23, v7
	v_or3_b32 v2, v6, v3, v2
.LBB15_708:
	s_or_b64 exec, exec, s[6:7]
	s_movk_i32 s4, 0x7f
	v_cmp_gt_i16_sdwa s[6:7], v4, s4 src0_sel:BYTE_0 src1_sel:DWORD
	s_mov_b64 s[4:5], 0
                                        ; implicit-def: $sgpr10
	s_and_saveexec_b64 s[8:9], s[6:7]
	s_xor_b64 s[6:7], exec, s[8:9]
	s_cbranch_execnz .LBB15_2757
; %bb.709:
	s_or_saveexec_b64 s[6:7], s[6:7]
	v_mov_b32_e32 v3, s10
	s_xor_b64 exec, exec, s[6:7]
	s_cbranch_execnz .LBB15_2760
.LBB15_710:
	s_or_b64 exec, exec, s[6:7]
	s_and_saveexec_b64 s[6:7], s[4:5]
	s_cbranch_execz .LBB15_712
.LBB15_711:
	v_and_b32_e32 v3, 7, v4
	v_ffbh_u32_e32 v7, v3
	v_min_u32_e32 v7, 32, v7
	v_lshrrev_b16_e32 v6, 3, v4
	v_subrev_u32_e32 v12, 28, v7
	v_and_b32_e32 v6, 15, v6
	v_lshlrev_b32_e32 v12, v12, v4
	v_sub_u32_e32 v7, 29, v7
	v_and_b32_e32 v12, 7, v12
	v_cmp_eq_u16_e32 vcc, 0, v6
	v_cndmask_b32_e32 v3, v3, v12, vcc
	v_cndmask_b32_e32 v6, v6, v7, vcc
	v_lshlrev_b32_e32 v7, 24, v4
	v_mov_b32_e32 v12, 0x3b800000
	v_lshlrev_b32_e32 v3, 20, v3
	v_and_b32_e32 v7, 0x80000000, v7
	v_lshl_add_u32 v6, v6, 23, v12
	v_or3_b32 v3, v7, v6, v3
.LBB15_712:
	s_or_b64 exec, exec, s[6:7]
	s_nop 0
	v_mfma_f32_16x16x4f32 a[0:3], v2, v3, a[0:3]
	v_lshrrev_b32_e32 v3, 8, v8
	s_movk_i32 s4, 0x7f
	v_cmp_gt_i16_sdwa s[6:7], v3, s4 src0_sel:BYTE_0 src1_sel:DWORD
	s_mov_b64 s[4:5], 0
                                        ; implicit-def: $sgpr10
	s_and_saveexec_b64 s[8:9], s[6:7]
	s_xor_b64 s[6:7], exec, s[8:9]
	s_cbranch_execnz .LBB15_2761
; %bb.713:
	s_or_saveexec_b64 s[6:7], s[6:7]
	v_mov_b32_e32 v2, s10
	s_xor_b64 exec, exec, s[6:7]
	s_cbranch_execnz .LBB15_2764
.LBB15_714:
	s_or_b64 exec, exec, s[6:7]
	s_and_saveexec_b64 s[6:7], s[4:5]
	s_cbranch_execz .LBB15_716
.LBB15_715:
	v_bfe_u32 v2, v8, 8, 3
	v_ffbh_u32_e32 v7, v2
	v_min_u32_e32 v7, 32, v7
	v_lshrrev_b16_e32 v6, 3, v3
	v_subrev_u32_e32 v12, 28, v7
	v_and_b32_e32 v6, 15, v6
	v_lshlrev_b32_e32 v3, v12, v3
	v_sub_u32_e32 v7, 29, v7
	v_and_b32_e32 v3, 7, v3
	v_cmp_eq_u16_e32 vcc, 0, v6
	v_cndmask_b32_e32 v2, v2, v3, vcc
	v_cndmask_b32_e32 v3, v6, v7, vcc
	v_lshlrev_b32_e32 v6, 16, v8
	v_mov_b32_e32 v7, 0x3b800000
	v_lshlrev_b32_e32 v2, 20, v2
	v_and_b32_e32 v6, 0x80000000, v6
	v_lshl_add_u32 v3, v3, 23, v7
	v_or3_b32 v2, v6, v3, v2
.LBB15_716:
	s_or_b64 exec, exec, s[6:7]
	v_lshrrev_b32_e32 v3, 8, v4
	s_movk_i32 s4, 0x7f
	v_cmp_gt_i16_sdwa s[6:7], v3, s4 src0_sel:BYTE_0 src1_sel:DWORD
	s_mov_b64 s[4:5], 0
                                        ; implicit-def: $sgpr10
	s_and_saveexec_b64 s[8:9], s[6:7]
	s_xor_b64 s[6:7], exec, s[8:9]
	s_cbranch_execnz .LBB15_2765
; %bb.717:
	s_or_saveexec_b64 s[6:7], s[6:7]
	v_mov_b32_e32 v6, s10
	s_xor_b64 exec, exec, s[6:7]
	s_cbranch_execnz .LBB15_2768
.LBB15_718:
	s_or_b64 exec, exec, s[6:7]
	s_and_saveexec_b64 s[6:7], s[4:5]
	s_cbranch_execz .LBB15_720
.LBB15_719:
	v_bfe_u32 v6, v4, 8, 3
	v_ffbh_u32_e32 v12, v6
	v_min_u32_e32 v12, 32, v12
	v_lshrrev_b16_e32 v7, 3, v3
	v_subrev_u32_e32 v13, 28, v12
	v_and_b32_e32 v7, 15, v7
	v_lshlrev_b32_e32 v3, v13, v3
	v_sub_u32_e32 v12, 29, v12
	v_and_b32_e32 v3, 7, v3
	v_cmp_eq_u16_e32 vcc, 0, v7
	v_cndmask_b32_e32 v3, v6, v3, vcc
	v_cndmask_b32_e32 v6, v7, v12, vcc
	v_lshlrev_b32_e32 v7, 16, v4
	v_mov_b32_e32 v12, 0x3b800000
	v_lshlrev_b32_e32 v3, 20, v3
	v_and_b32_e32 v7, 0x80000000, v7
	v_lshl_add_u32 v6, v6, 23, v12
	v_or3_b32 v6, v7, v6, v3
.LBB15_720:
	s_or_b64 exec, exec, s[6:7]
	s_nop 0
	v_mfma_f32_16x16x4f32 a[0:3], v2, v6, a[0:3]
	s_movk_i32 s4, 0xff
	v_and_b32_sdwa v3, v8, s4 dst_sel:DWORD dst_unused:UNUSED_PAD src0_sel:WORD_1 src1_sel:DWORD
	s_movk_i32 s4, 0x7f
	v_cmp_lt_i16_e32 vcc, s4, v3
	s_mov_b64 s[4:5], 0
                                        ; implicit-def: $sgpr10
	s_and_saveexec_b64 s[6:7], vcc
	s_xor_b64 s[6:7], exec, s[6:7]
	s_cbranch_execnz .LBB15_2769
; %bb.721:
	s_or_saveexec_b64 s[6:7], s[6:7]
	v_mov_b32_e32 v2, s10
	s_xor_b64 exec, exec, s[6:7]
	s_cbranch_execnz .LBB15_2772
.LBB15_722:
	s_or_b64 exec, exec, s[6:7]
	s_and_saveexec_b64 s[6:7], s[4:5]
	s_cbranch_execz .LBB15_724
.LBB15_723:
	v_bfe_u32 v2, v8, 16, 3
	v_ffbh_u32_e32 v7, v2
	v_min_u32_e32 v7, 32, v7
	v_lshrrev_b32_e32 v3, 19, v8
	v_subrev_u32_e32 v12, 28, v7
	v_and_b32_e32 v3, 15, v3
	v_lshlrev_b32_sdwa v12, v12, v8 dst_sel:DWORD dst_unused:UNUSED_PAD src0_sel:DWORD src1_sel:WORD_1
	v_bfe_u32 v6, v8, 19, 4
	v_sub_u32_e32 v7, 29, v7
	v_and_b32_e32 v12, 7, v12
	v_cmp_eq_u16_e32 vcc, 0, v3
	v_cndmask_b32_e32 v2, v2, v12, vcc
	v_cndmask_b32_e32 v3, v6, v7, vcc
	v_lshlrev_b32_e32 v6, 8, v8
	v_mov_b32_e32 v7, 0x3b800000
	v_lshlrev_b32_e32 v2, 20, v2
	v_and_b32_e32 v6, 0x80000000, v6
	v_lshl_add_u32 v3, v3, 23, v7
	v_or3_b32 v2, v6, v3, v2
.LBB15_724:
	s_or_b64 exec, exec, s[6:7]
	s_movk_i32 s4, 0xff
	v_and_b32_sdwa v3, v4, s4 dst_sel:DWORD dst_unused:UNUSED_PAD src0_sel:WORD_1 src1_sel:DWORD
	s_movk_i32 s4, 0x7f
	v_cmp_lt_i16_e32 vcc, s4, v3
	s_mov_b64 s[4:5], 0
                                        ; implicit-def: $sgpr10
	s_and_saveexec_b64 s[6:7], vcc
	s_xor_b64 s[6:7], exec, s[6:7]
	s_cbranch_execnz .LBB15_2773
; %bb.725:
	s_or_saveexec_b64 s[6:7], s[6:7]
	v_mov_b32_e32 v6, s10
	s_xor_b64 exec, exec, s[6:7]
	s_cbranch_execnz .LBB15_2776
.LBB15_726:
	s_or_b64 exec, exec, s[6:7]
	s_and_saveexec_b64 s[6:7], s[4:5]
	s_cbranch_execz .LBB15_728
.LBB15_727:
	v_bfe_u32 v3, v4, 16, 3
	v_ffbh_u32_e32 v12, v3
	v_min_u32_e32 v12, 32, v12
	v_lshrrev_b32_e32 v6, 19, v4
	v_subrev_u32_e32 v13, 28, v12
	v_and_b32_e32 v6, 15, v6
	v_lshlrev_b32_sdwa v13, v13, v4 dst_sel:DWORD dst_unused:UNUSED_PAD src0_sel:DWORD src1_sel:WORD_1
	v_bfe_u32 v7, v4, 19, 4
	v_sub_u32_e32 v12, 29, v12
	v_and_b32_e32 v13, 7, v13
	v_cmp_eq_u16_e32 vcc, 0, v6
	v_cndmask_b32_e32 v3, v3, v13, vcc
	v_cndmask_b32_e32 v6, v7, v12, vcc
	v_lshlrev_b32_e32 v7, 8, v4
	v_mov_b32_e32 v12, 0x3b800000
	v_lshlrev_b32_e32 v3, 20, v3
	v_and_b32_e32 v7, 0x80000000, v7
	v_lshl_add_u32 v6, v6, 23, v12
	v_or3_b32 v6, v7, v6, v3
.LBB15_728:
	s_or_b64 exec, exec, s[6:7]
	s_nop 0
	v_mfma_f32_16x16x4f32 a[0:3], v2, v6, a[0:3]
	s_movk_i32 s4, 0x7f
	v_cmp_gt_i16_sdwa s[6:7], v8, s4 src0_sel:BYTE_3 src1_sel:DWORD
	s_mov_b64 s[4:5], 0
                                        ; implicit-def: $sgpr10
	s_and_saveexec_b64 s[8:9], s[6:7]
	s_xor_b64 s[6:7], exec, s[8:9]
	s_cbranch_execnz .LBB15_2777
; %bb.729:
	s_or_saveexec_b64 s[6:7], s[6:7]
	v_mov_b32_e32 v2, s10
	s_xor_b64 exec, exec, s[6:7]
	s_cbranch_execnz .LBB15_2780
.LBB15_730:
	s_or_b64 exec, exec, s[6:7]
	s_and_saveexec_b64 s[6:7], s[4:5]
	s_cbranch_execz .LBB15_732
.LBB15_731:
	v_bfe_u32 v2, v8, 24, 3
	v_ffbh_u32_e32 v12, v2
	v_min_u32_e32 v12, 32, v12
	v_lshrrev_b32_e32 v6, 27, v8
	v_subrev_u32_e32 v13, 28, v12
	v_and_b32_e32 v3, 0x80000000, v8
	v_and_b32_e32 v6, 15, v6
	v_bfe_u32 v7, v8, 27, 4
	v_lshlrev_b32_sdwa v8, v13, v8 dst_sel:DWORD dst_unused:UNUSED_PAD src0_sel:DWORD src1_sel:BYTE_3
	v_sub_u32_e32 v12, 29, v12
	v_and_b32_e32 v8, 7, v8
	v_cmp_eq_u16_e32 vcc, 0, v6
	v_cndmask_b32_e32 v2, v2, v8, vcc
	v_cndmask_b32_e32 v6, v7, v12, vcc
	v_mov_b32_e32 v7, 0x3b800000
	v_lshlrev_b32_e32 v2, 20, v2
	v_lshl_add_u32 v6, v6, 23, v7
	v_or3_b32 v2, v3, v6, v2
.LBB15_732:
	s_or_b64 exec, exec, s[6:7]
	s_movk_i32 s4, 0x7f
	v_cmp_gt_i16_sdwa s[6:7], v4, s4 src0_sel:BYTE_3 src1_sel:DWORD
	s_mov_b64 s[4:5], 0
                                        ; implicit-def: $sgpr10
	s_and_saveexec_b64 s[8:9], s[6:7]
	s_xor_b64 s[6:7], exec, s[8:9]
	s_cbranch_execnz .LBB15_2781
; %bb.733:
	s_or_saveexec_b64 s[6:7], s[6:7]
	v_mov_b32_e32 v3, s10
	s_xor_b64 exec, exec, s[6:7]
	s_cbranch_execnz .LBB15_2784
.LBB15_734:
	s_or_b64 exec, exec, s[6:7]
	s_and_saveexec_b64 s[6:7], s[4:5]
	s_cbranch_execz .LBB15_736
.LBB15_735:
	v_bfe_u32 v3, v4, 24, 3
	v_ffbh_u32_e32 v12, v3
	v_min_u32_e32 v12, 32, v12
	v_lshrrev_b32_e32 v7, 27, v4
	v_subrev_u32_e32 v13, 28, v12
	v_and_b32_e32 v6, 0x80000000, v4
	v_and_b32_e32 v7, 15, v7
	v_bfe_u32 v8, v4, 27, 4
	v_lshlrev_b32_sdwa v4, v13, v4 dst_sel:DWORD dst_unused:UNUSED_PAD src0_sel:DWORD src1_sel:BYTE_3
	v_sub_u32_e32 v12, 29, v12
	v_and_b32_e32 v4, 7, v4
	v_cmp_eq_u16_e32 vcc, 0, v7
	v_cndmask_b32_e32 v3, v3, v4, vcc
	v_cndmask_b32_e32 v4, v8, v12, vcc
	v_mov_b32_e32 v7, 0x3b800000
	v_lshlrev_b32_e32 v3, 20, v3
	v_lshl_add_u32 v4, v4, 23, v7
	v_or3_b32 v3, v6, v4, v3
.LBB15_736:
	s_or_b64 exec, exec, s[6:7]
	s_nop 0
	v_mfma_f32_16x16x4f32 a[0:3], v2, v3, a[0:3]
	s_movk_i32 s4, 0x7f
	v_cmp_gt_i16_sdwa s[6:7], v9, s4 src0_sel:BYTE_0 src1_sel:DWORD
	s_mov_b64 s[4:5], 0
                                        ; implicit-def: $sgpr10
	s_and_saveexec_b64 s[8:9], s[6:7]
	s_xor_b64 s[6:7], exec, s[8:9]
	s_cbranch_execnz .LBB15_2785
; %bb.737:
	s_or_saveexec_b64 s[6:7], s[6:7]
	v_mov_b32_e32 v2, s10
	s_xor_b64 exec, exec, s[6:7]
	s_cbranch_execnz .LBB15_2788
.LBB15_738:
	s_or_b64 exec, exec, s[6:7]
	s_and_saveexec_b64 s[6:7], s[4:5]
	s_cbranch_execz .LBB15_740
.LBB15_739:
	v_mov_b32_e32 v2, 8
	v_and_b32_e32 v3, 7, v9
	v_lshrrev_b32_sdwa v2, v2, v9 dst_sel:BYTE_1 dst_unused:UNUSED_PAD src0_sel:DWORD src1_sel:DWORD
	v_ffbh_u32_e32 v4, v3
	v_or_b32_sdwa v2, v9, v2 dst_sel:DWORD dst_unused:UNUSED_PAD src0_sel:BYTE_0 src1_sel:DWORD
	v_min_u32_e32 v4, 32, v4
	v_lshrrev_b16_e32 v2, 3, v2
	v_subrev_u32_e32 v6, 28, v4
	v_and_b32_e32 v2, 15, v2
	v_lshlrev_b32_e32 v6, v6, v9
	v_sub_u32_e32 v4, 29, v4
	v_and_b32_e32 v6, 7, v6
	v_cmp_eq_u16_e32 vcc, 0, v2
	v_cndmask_b32_e32 v3, v3, v6, vcc
	v_cndmask_b32_e32 v2, v2, v4, vcc
	v_lshlrev_b32_e32 v4, 24, v9
	v_mov_b32_e32 v6, 0x3b800000
	v_lshlrev_b32_e32 v3, 20, v3
	v_and_b32_e32 v4, 0x80000000, v4
	v_lshl_add_u32 v2, v2, 23, v6
	v_or3_b32 v2, v4, v2, v3
.LBB15_740:
	s_or_b64 exec, exec, s[6:7]
	s_movk_i32 s4, 0x7f
	v_cmp_gt_i16_sdwa s[6:7], v5, s4 src0_sel:BYTE_0 src1_sel:DWORD
	s_mov_b64 s[4:5], 0
                                        ; implicit-def: $sgpr10
	s_and_saveexec_b64 s[8:9], s[6:7]
	s_xor_b64 s[6:7], exec, s[8:9]
	s_cbranch_execnz .LBB15_2789
; %bb.741:
	s_or_saveexec_b64 s[6:7], s[6:7]
	v_mov_b32_e32 v3, s10
	s_xor_b64 exec, exec, s[6:7]
	s_cbranch_execnz .LBB15_2792
.LBB15_742:
	s_or_b64 exec, exec, s[6:7]
	s_and_saveexec_b64 s[6:7], s[4:5]
	s_cbranch_execz .LBB15_744
.LBB15_743:
	v_mov_b32_e32 v3, 8
	v_and_b32_e32 v4, 7, v5
	v_lshrrev_b32_sdwa v3, v3, v5 dst_sel:BYTE_1 dst_unused:UNUSED_PAD src0_sel:DWORD src1_sel:DWORD
	v_ffbh_u32_e32 v6, v4
	v_or_b32_sdwa v3, v5, v3 dst_sel:DWORD dst_unused:UNUSED_PAD src0_sel:BYTE_0 src1_sel:DWORD
	v_min_u32_e32 v6, 32, v6
	v_lshrrev_b16_e32 v3, 3, v3
	v_subrev_u32_e32 v7, 28, v6
	v_and_b32_e32 v3, 15, v3
	v_lshlrev_b32_e32 v7, v7, v5
	v_sub_u32_e32 v6, 29, v6
	v_and_b32_e32 v7, 7, v7
	v_cmp_eq_u16_e32 vcc, 0, v3
	v_cndmask_b32_e32 v4, v4, v7, vcc
	v_cndmask_b32_e32 v3, v3, v6, vcc
	v_lshlrev_b32_e32 v6, 24, v5
	v_mov_b32_e32 v7, 0x3b800000
	v_lshlrev_b32_e32 v4, 20, v4
	v_and_b32_e32 v6, 0x80000000, v6
	v_lshl_add_u32 v3, v3, 23, v7
	v_or3_b32 v3, v6, v3, v4
.LBB15_744:
	s_or_b64 exec, exec, s[6:7]
	s_nop 0
	v_mfma_f32_16x16x4f32 a[0:3], v2, v3, a[0:3]
	v_lshrrev_b32_e32 v3, 8, v9
	s_movk_i32 s4, 0x7f
	v_cmp_gt_i16_sdwa s[6:7], v3, s4 src0_sel:BYTE_0 src1_sel:DWORD
	s_mov_b64 s[4:5], 0
                                        ; implicit-def: $sgpr10
	s_and_saveexec_b64 s[8:9], s[6:7]
	s_xor_b64 s[6:7], exec, s[8:9]
	s_cbranch_execnz .LBB15_2793
; %bb.745:
	s_or_saveexec_b64 s[6:7], s[6:7]
	v_mov_b32_e32 v2, s10
	s_xor_b64 exec, exec, s[6:7]
	s_cbranch_execnz .LBB15_2796
.LBB15_746:
	s_or_b64 exec, exec, s[6:7]
	s_and_saveexec_b64 s[6:7], s[4:5]
	s_cbranch_execz .LBB15_748
.LBB15_747:
	v_bfe_u32 v2, v9, 8, 3
	v_ffbh_u32_e32 v6, v2
	v_min_u32_e32 v6, 32, v6
	v_lshrrev_b16_e32 v4, 3, v3
	v_subrev_u32_e32 v7, 28, v6
	v_and_b32_e32 v4, 15, v4
	v_lshlrev_b32_e32 v3, v7, v3
	v_sub_u32_e32 v6, 29, v6
	v_and_b32_e32 v3, 7, v3
	v_cmp_eq_u16_e32 vcc, 0, v4
	v_cndmask_b32_e32 v2, v2, v3, vcc
	v_cndmask_b32_e32 v3, v4, v6, vcc
	v_lshlrev_b32_e32 v4, 16, v9
	v_mov_b32_e32 v6, 0x3b800000
	v_lshlrev_b32_e32 v2, 20, v2
	v_and_b32_e32 v4, 0x80000000, v4
	v_lshl_add_u32 v3, v3, 23, v6
	v_or3_b32 v2, v4, v3, v2
.LBB15_748:
	s_or_b64 exec, exec, s[6:7]
	v_lshrrev_b32_e32 v3, 8, v5
	s_movk_i32 s4, 0x7f
	v_cmp_gt_i16_sdwa s[6:7], v3, s4 src0_sel:BYTE_0 src1_sel:DWORD
	s_mov_b64 s[4:5], 0
                                        ; implicit-def: $sgpr10
	s_and_saveexec_b64 s[8:9], s[6:7]
	s_xor_b64 s[6:7], exec, s[8:9]
	s_cbranch_execnz .LBB15_2797
; %bb.749:
	s_or_saveexec_b64 s[6:7], s[6:7]
	v_mov_b32_e32 v4, s10
	s_xor_b64 exec, exec, s[6:7]
	s_cbranch_execnz .LBB15_2800
.LBB15_750:
	s_or_b64 exec, exec, s[6:7]
	s_and_saveexec_b64 s[6:7], s[4:5]
	s_cbranch_execz .LBB15_752
.LBB15_751:
	v_bfe_u32 v4, v5, 8, 3
	v_ffbh_u32_e32 v7, v4
	v_min_u32_e32 v7, 32, v7
	v_lshrrev_b16_e32 v6, 3, v3
	v_subrev_u32_e32 v8, 28, v7
	v_and_b32_e32 v6, 15, v6
	v_lshlrev_b32_e32 v3, v8, v3
	v_sub_u32_e32 v7, 29, v7
	v_and_b32_e32 v3, 7, v3
	v_cmp_eq_u16_e32 vcc, 0, v6
	v_cndmask_b32_e32 v3, v4, v3, vcc
	v_cndmask_b32_e32 v4, v6, v7, vcc
	v_lshlrev_b32_e32 v6, 16, v5
	v_mov_b32_e32 v7, 0x3b800000
	v_lshlrev_b32_e32 v3, 20, v3
	v_and_b32_e32 v6, 0x80000000, v6
	v_lshl_add_u32 v4, v4, 23, v7
	v_or3_b32 v4, v6, v4, v3
.LBB15_752:
	s_or_b64 exec, exec, s[6:7]
	s_nop 0
	v_mfma_f32_16x16x4f32 a[0:3], v2, v4, a[0:3]
	s_movk_i32 s4, 0xff
	v_and_b32_sdwa v3, v9, s4 dst_sel:DWORD dst_unused:UNUSED_PAD src0_sel:WORD_1 src1_sel:DWORD
	s_movk_i32 s4, 0x7f
	v_cmp_lt_i16_e32 vcc, s4, v3
	s_mov_b64 s[4:5], 0
                                        ; implicit-def: $sgpr10
	s_and_saveexec_b64 s[6:7], vcc
	s_xor_b64 s[6:7], exec, s[6:7]
	s_cbranch_execnz .LBB15_2801
; %bb.753:
	s_or_saveexec_b64 s[6:7], s[6:7]
	v_mov_b32_e32 v2, s10
	s_xor_b64 exec, exec, s[6:7]
	s_cbranch_execnz .LBB15_2804
.LBB15_754:
	s_or_b64 exec, exec, s[6:7]
	s_and_saveexec_b64 s[6:7], s[4:5]
	s_cbranch_execz .LBB15_756
.LBB15_755:
	v_bfe_u32 v2, v9, 16, 3
	v_ffbh_u32_e32 v6, v2
	v_min_u32_e32 v6, 32, v6
	v_lshrrev_b32_e32 v3, 19, v9
	v_subrev_u32_e32 v7, 28, v6
	v_and_b32_e32 v3, 15, v3
	v_lshlrev_b32_sdwa v7, v7, v9 dst_sel:DWORD dst_unused:UNUSED_PAD src0_sel:DWORD src1_sel:WORD_1
	v_bfe_u32 v4, v9, 19, 4
	v_sub_u32_e32 v6, 29, v6
	v_and_b32_e32 v7, 7, v7
	v_cmp_eq_u16_e32 vcc, 0, v3
	v_cndmask_b32_e32 v2, v2, v7, vcc
	v_cndmask_b32_e32 v3, v4, v6, vcc
	v_lshlrev_b32_e32 v4, 8, v9
	v_mov_b32_e32 v6, 0x3b800000
	v_lshlrev_b32_e32 v2, 20, v2
	v_and_b32_e32 v4, 0x80000000, v4
	v_lshl_add_u32 v3, v3, 23, v6
	v_or3_b32 v2, v4, v3, v2
.LBB15_756:
	s_or_b64 exec, exec, s[6:7]
	s_movk_i32 s4, 0xff
	v_and_b32_sdwa v3, v5, s4 dst_sel:DWORD dst_unused:UNUSED_PAD src0_sel:WORD_1 src1_sel:DWORD
	s_movk_i32 s4, 0x7f
	v_cmp_lt_i16_e32 vcc, s4, v3
	s_mov_b64 s[4:5], 0
                                        ; implicit-def: $sgpr10
	s_and_saveexec_b64 s[6:7], vcc
	s_xor_b64 s[6:7], exec, s[6:7]
	s_cbranch_execnz .LBB15_2805
; %bb.757:
	s_or_saveexec_b64 s[6:7], s[6:7]
	v_mov_b32_e32 v4, s10
	s_xor_b64 exec, exec, s[6:7]
	s_cbranch_execnz .LBB15_2808
.LBB15_758:
	s_or_b64 exec, exec, s[6:7]
	s_and_saveexec_b64 s[6:7], s[4:5]
	s_cbranch_execz .LBB15_760
.LBB15_759:
	v_bfe_u32 v3, v5, 16, 3
	v_ffbh_u32_e32 v7, v3
	v_min_u32_e32 v7, 32, v7
	v_lshrrev_b32_e32 v4, 19, v5
	v_subrev_u32_e32 v8, 28, v7
	v_and_b32_e32 v4, 15, v4
	v_lshlrev_b32_sdwa v8, v8, v5 dst_sel:DWORD dst_unused:UNUSED_PAD src0_sel:DWORD src1_sel:WORD_1
	v_bfe_u32 v6, v5, 19, 4
	v_sub_u32_e32 v7, 29, v7
	v_and_b32_e32 v8, 7, v8
	v_cmp_eq_u16_e32 vcc, 0, v4
	v_cndmask_b32_e32 v3, v3, v8, vcc
	v_cndmask_b32_e32 v4, v6, v7, vcc
	v_lshlrev_b32_e32 v6, 8, v5
	v_mov_b32_e32 v7, 0x3b800000
	v_lshlrev_b32_e32 v3, 20, v3
	v_and_b32_e32 v6, 0x80000000, v6
	v_lshl_add_u32 v4, v4, 23, v7
	v_or3_b32 v4, v6, v4, v3
.LBB15_760:
	s_or_b64 exec, exec, s[6:7]
	s_nop 0
	v_mfma_f32_16x16x4f32 a[0:3], v2, v4, a[0:3]
	s_movk_i32 s4, 0x7f
	v_cmp_gt_i16_sdwa s[6:7], v9, s4 src0_sel:BYTE_3 src1_sel:DWORD
	s_mov_b64 s[4:5], 0
                                        ; implicit-def: $sgpr10
	s_and_saveexec_b64 s[8:9], s[6:7]
	s_xor_b64 s[6:7], exec, s[8:9]
	s_cbranch_execnz .LBB15_2809
; %bb.761:
	s_or_saveexec_b64 s[6:7], s[6:7]
	v_mov_b32_e32 v2, s10
	s_xor_b64 exec, exec, s[6:7]
	s_cbranch_execnz .LBB15_2812
.LBB15_762:
	s_or_b64 exec, exec, s[6:7]
	s_and_saveexec_b64 s[6:7], s[4:5]
	s_cbranch_execz .LBB15_764
.LBB15_763:
	v_bfe_u32 v2, v9, 24, 3
	v_ffbh_u32_e32 v7, v2
	v_min_u32_e32 v7, 32, v7
	v_lshrrev_b32_e32 v4, 27, v9
	v_subrev_u32_e32 v8, 28, v7
	v_and_b32_e32 v4, 15, v4
	v_lshlrev_b32_sdwa v8, v8, v9 dst_sel:DWORD dst_unused:UNUSED_PAD src0_sel:DWORD src1_sel:BYTE_3
	v_bfe_u32 v6, v9, 27, 4
	v_sub_u32_e32 v7, 29, v7
	v_and_b32_e32 v8, 7, v8
	v_cmp_eq_u16_e32 vcc, 0, v4
	v_cndmask_b32_e32 v2, v2, v8, vcc
	v_cndmask_b32_e32 v4, v6, v7, vcc
	v_mov_b32_e32 v6, 0x3b800000
	v_and_b32_e32 v3, 0x80000000, v9
	v_lshlrev_b32_e32 v2, 20, v2
	v_lshl_add_u32 v4, v4, 23, v6
	v_or3_b32 v2, v3, v4, v2
.LBB15_764:
	s_or_b64 exec, exec, s[6:7]
	s_movk_i32 s4, 0x7f
	v_cmp_gt_i16_sdwa s[6:7], v5, s4 src0_sel:BYTE_3 src1_sel:DWORD
	s_mov_b64 s[4:5], 0
                                        ; implicit-def: $sgpr10
	s_and_saveexec_b64 s[8:9], s[6:7]
	s_xor_b64 s[6:7], exec, s[8:9]
	s_cbranch_execnz .LBB15_2813
; %bb.765:
	s_or_saveexec_b64 s[6:7], s[6:7]
	v_mov_b32_e32 v3, s10
	s_xor_b64 exec, exec, s[6:7]
	s_cbranch_execnz .LBB15_2816
.LBB15_766:
	s_or_b64 exec, exec, s[6:7]
	s_and_saveexec_b64 s[6:7], s[4:5]
	s_cbranch_execz .LBB15_768
.LBB15_767:
	v_bfe_u32 v3, v5, 24, 3
	v_ffbh_u32_e32 v8, v3
	v_min_u32_e32 v8, 32, v8
	v_lshrrev_b32_e32 v6, 27, v5
	v_subrev_u32_e32 v9, 28, v8
	v_and_b32_e32 v4, 0x80000000, v5
	v_and_b32_e32 v6, 15, v6
	v_bfe_u32 v7, v5, 27, 4
	v_lshlrev_b32_sdwa v5, v9, v5 dst_sel:DWORD dst_unused:UNUSED_PAD src0_sel:DWORD src1_sel:BYTE_3
	v_sub_u32_e32 v8, 29, v8
	v_and_b32_e32 v5, 7, v5
	v_cmp_eq_u16_e32 vcc, 0, v6
	v_cndmask_b32_e32 v3, v3, v5, vcc
	v_cndmask_b32_e32 v5, v7, v8, vcc
	v_mov_b32_e32 v6, 0x3b800000
	v_lshlrev_b32_e32 v3, 20, v3
	v_lshl_add_u32 v5, v5, 23, v6
	v_or3_b32 v3, v4, v5, v3
.LBB15_768:
	s_or_b64 exec, exec, s[6:7]
	s_nop 0
	v_mfma_f32_16x16x4f32 a[0:3], v2, v3, a[0:3]
	s_movk_i32 s4, 0x7f
                                        ; implicit-def: $sgpr10
	s_nop 7
	s_nop 1
	flat_store_dwordx4 v[10:11], a[0:3] offset:80
	flat_load_dwordx4 v[12:15], v[0:1] offset:8
	s_nop 0
	flat_load_dwordx2 v[10:11], v[0:1] offset:32
	s_waitcnt vmcnt(0) lgkmcnt(0)
	flat_load_dwordx4 v[6:9], v[12:13] offset:48
	flat_load_dwordx4 v[2:5], v[14:15] offset:80
	s_waitcnt vmcnt(0) lgkmcnt(0)
	v_cmp_gt_i16_sdwa s[6:7], v6, s4 src0_sel:BYTE_0 src1_sel:DWORD
	s_mov_b64 s[4:5], 0
	s_and_saveexec_b64 s[8:9], s[6:7]
	s_xor_b64 s[6:7], exec, s[8:9]
	s_cbranch_execnz .LBB15_2817
; %bb.769:
	s_or_saveexec_b64 s[6:7], s[6:7]
	v_mov_b32_e32 v12, s10
	s_xor_b64 exec, exec, s[6:7]
	s_cbranch_execnz .LBB15_2820
.LBB15_770:
	s_or_b64 exec, exec, s[6:7]
	s_and_saveexec_b64 s[6:7], s[4:5]
	s_cbranch_execz .LBB15_772
.LBB15_771:
	v_and_b32_e32 v12, 7, v6
	v_ffbh_u32_e32 v14, v12
	v_min_u32_e32 v14, 32, v14
	v_lshrrev_b16_e32 v13, 3, v6
	v_subrev_u32_e32 v15, 28, v14
	v_and_b32_e32 v13, 15, v13
	v_lshlrev_b32_e32 v15, v15, v6
	v_sub_u32_e32 v14, 29, v14
	v_and_b32_e32 v15, 7, v15
	v_cmp_eq_u16_e32 vcc, 0, v13
	v_cndmask_b32_e32 v12, v12, v15, vcc
	v_cndmask_b32_e32 v13, v13, v14, vcc
	v_lshlrev_b32_e32 v14, 24, v6
	v_mov_b32_e32 v15, 0x3b800000
	v_lshlrev_b32_e32 v12, 20, v12
	v_and_b32_e32 v14, 0x80000000, v14
	v_lshl_add_u32 v13, v13, 23, v15
	v_or3_b32 v12, v14, v13, v12
.LBB15_772:
	s_or_b64 exec, exec, s[6:7]
	s_movk_i32 s4, 0x7f
	v_cmp_gt_i16_sdwa s[6:7], v2, s4 src0_sel:BYTE_0 src1_sel:DWORD
	s_mov_b64 s[4:5], 0
                                        ; implicit-def: $sgpr10
	s_and_saveexec_b64 s[8:9], s[6:7]
	s_xor_b64 s[6:7], exec, s[8:9]
	s_cbranch_execnz .LBB15_2821
; %bb.773:
	s_or_saveexec_b64 s[6:7], s[6:7]
	v_mov_b32_e32 v13, s10
	s_xor_b64 exec, exec, s[6:7]
	s_cbranch_execnz .LBB15_2824
.LBB15_774:
	s_or_b64 exec, exec, s[6:7]
	s_and_saveexec_b64 s[6:7], s[4:5]
	s_cbranch_execz .LBB15_776
.LBB15_775:
	v_and_b32_e32 v13, 7, v2
	v_ffbh_u32_e32 v15, v13
	v_min_u32_e32 v15, 32, v15
	v_lshrrev_b16_e32 v14, 3, v2
	v_subrev_u32_e32 v16, 28, v15
	v_and_b32_e32 v14, 15, v14
	v_lshlrev_b32_e32 v16, v16, v2
	v_sub_u32_e32 v15, 29, v15
	v_and_b32_e32 v16, 7, v16
	v_cmp_eq_u16_e32 vcc, 0, v14
	v_cndmask_b32_e32 v13, v13, v16, vcc
	v_cndmask_b32_e32 v14, v14, v15, vcc
	v_lshlrev_b32_e32 v15, 24, v2
	v_mov_b32_e32 v16, 0x3b800000
	v_lshlrev_b32_e32 v13, 20, v13
	v_and_b32_e32 v15, 0x80000000, v15
	v_lshl_add_u32 v14, v14, 23, v16
	v_or3_b32 v13, v15, v14, v13
.LBB15_776:
	s_or_b64 exec, exec, s[6:7]
	flat_load_dwordx4 a[0:3], v[10:11] offset:96
	s_movk_i32 s4, 0x7f
                                        ; implicit-def: $sgpr10
	s_waitcnt vmcnt(0) lgkmcnt(0)
	v_mfma_f32_16x16x4f32 a[0:3], v12, v13, a[0:3]
	v_lshrrev_b32_e32 v13, 8, v6
	v_cmp_gt_i16_sdwa s[6:7], v13, s4 src0_sel:BYTE_0 src1_sel:DWORD
	s_mov_b64 s[4:5], 0
	s_and_saveexec_b64 s[8:9], s[6:7]
	s_xor_b64 s[6:7], exec, s[8:9]
	s_cbranch_execnz .LBB15_2825
; %bb.777:
	s_or_saveexec_b64 s[6:7], s[6:7]
	v_mov_b32_e32 v12, s10
	s_xor_b64 exec, exec, s[6:7]
	s_cbranch_execnz .LBB15_2828
.LBB15_778:
	s_or_b64 exec, exec, s[6:7]
	s_and_saveexec_b64 s[6:7], s[4:5]
	s_cbranch_execz .LBB15_780
.LBB15_779:
	v_bfe_u32 v12, v6, 8, 3
	v_ffbh_u32_e32 v15, v12
	v_min_u32_e32 v15, 32, v15
	v_lshrrev_b16_e32 v14, 3, v13
	v_subrev_u32_e32 v16, 28, v15
	v_and_b32_e32 v14, 15, v14
	v_lshlrev_b32_e32 v13, v16, v13
	v_sub_u32_e32 v15, 29, v15
	v_and_b32_e32 v13, 7, v13
	v_cmp_eq_u16_e32 vcc, 0, v14
	v_cndmask_b32_e32 v12, v12, v13, vcc
	v_cndmask_b32_e32 v13, v14, v15, vcc
	v_lshlrev_b32_e32 v14, 16, v6
	v_mov_b32_e32 v15, 0x3b800000
	v_lshlrev_b32_e32 v12, 20, v12
	v_and_b32_e32 v14, 0x80000000, v14
	v_lshl_add_u32 v13, v13, 23, v15
	v_or3_b32 v12, v14, v13, v12
.LBB15_780:
	s_or_b64 exec, exec, s[6:7]
	v_lshrrev_b32_e32 v13, 8, v2
	s_movk_i32 s4, 0x7f
	v_cmp_gt_i16_sdwa s[6:7], v13, s4 src0_sel:BYTE_0 src1_sel:DWORD
	s_mov_b64 s[4:5], 0
                                        ; implicit-def: $sgpr10
	s_and_saveexec_b64 s[8:9], s[6:7]
	s_xor_b64 s[6:7], exec, s[8:9]
	s_cbranch_execnz .LBB15_2829
; %bb.781:
	s_or_saveexec_b64 s[6:7], s[6:7]
	v_mov_b32_e32 v14, s10
	s_xor_b64 exec, exec, s[6:7]
	s_cbranch_execnz .LBB15_2832
.LBB15_782:
	s_or_b64 exec, exec, s[6:7]
	s_and_saveexec_b64 s[6:7], s[4:5]
	s_cbranch_execz .LBB15_784
.LBB15_783:
	v_bfe_u32 v14, v2, 8, 3
	v_ffbh_u32_e32 v16, v14
	v_min_u32_e32 v16, 32, v16
	v_lshrrev_b16_e32 v15, 3, v13
	v_subrev_u32_e32 v17, 28, v16
	v_and_b32_e32 v15, 15, v15
	v_lshlrev_b32_e32 v13, v17, v13
	v_sub_u32_e32 v16, 29, v16
	v_and_b32_e32 v13, 7, v13
	v_cmp_eq_u16_e32 vcc, 0, v15
	v_cndmask_b32_e32 v13, v14, v13, vcc
	v_cndmask_b32_e32 v14, v15, v16, vcc
	v_lshlrev_b32_e32 v15, 16, v2
	v_mov_b32_e32 v16, 0x3b800000
	v_lshlrev_b32_e32 v13, 20, v13
	v_and_b32_e32 v15, 0x80000000, v15
	v_lshl_add_u32 v14, v14, 23, v16
	v_or3_b32 v14, v15, v14, v13
.LBB15_784:
	s_or_b64 exec, exec, s[6:7]
	s_nop 0
	v_mfma_f32_16x16x4f32 a[0:3], v12, v14, a[0:3]
	s_movk_i32 s4, 0xff
	v_and_b32_sdwa v13, v6, s4 dst_sel:DWORD dst_unused:UNUSED_PAD src0_sel:WORD_1 src1_sel:DWORD
	s_movk_i32 s4, 0x7f
	v_cmp_lt_i16_e32 vcc, s4, v13
	s_mov_b64 s[4:5], 0
                                        ; implicit-def: $sgpr10
	s_and_saveexec_b64 s[6:7], vcc
	s_xor_b64 s[6:7], exec, s[6:7]
	s_cbranch_execnz .LBB15_2833
; %bb.785:
	s_or_saveexec_b64 s[6:7], s[6:7]
	v_mov_b32_e32 v12, s10
	s_xor_b64 exec, exec, s[6:7]
	s_cbranch_execnz .LBB15_2836
.LBB15_786:
	s_or_b64 exec, exec, s[6:7]
	s_and_saveexec_b64 s[6:7], s[4:5]
	s_cbranch_execz .LBB15_788
.LBB15_787:
	v_bfe_u32 v12, v6, 16, 3
	v_ffbh_u32_e32 v15, v12
	v_min_u32_e32 v15, 32, v15
	v_lshrrev_b32_e32 v13, 19, v6
	v_subrev_u32_e32 v16, 28, v15
	v_and_b32_e32 v13, 15, v13
	v_lshlrev_b32_sdwa v16, v16, v6 dst_sel:DWORD dst_unused:UNUSED_PAD src0_sel:DWORD src1_sel:WORD_1
	v_bfe_u32 v14, v6, 19, 4
	v_sub_u32_e32 v15, 29, v15
	v_and_b32_e32 v16, 7, v16
	v_cmp_eq_u16_e32 vcc, 0, v13
	v_cndmask_b32_e32 v12, v12, v16, vcc
	v_cndmask_b32_e32 v13, v14, v15, vcc
	v_lshlrev_b32_e32 v14, 8, v6
	v_mov_b32_e32 v15, 0x3b800000
	v_lshlrev_b32_e32 v12, 20, v12
	v_and_b32_e32 v14, 0x80000000, v14
	v_lshl_add_u32 v13, v13, 23, v15
	v_or3_b32 v12, v14, v13, v12
.LBB15_788:
	s_or_b64 exec, exec, s[6:7]
	s_movk_i32 s4, 0xff
	v_and_b32_sdwa v13, v2, s4 dst_sel:DWORD dst_unused:UNUSED_PAD src0_sel:WORD_1 src1_sel:DWORD
	s_movk_i32 s4, 0x7f
	v_cmp_lt_i16_e32 vcc, s4, v13
	s_mov_b64 s[4:5], 0
                                        ; implicit-def: $sgpr10
	s_and_saveexec_b64 s[6:7], vcc
	s_xor_b64 s[6:7], exec, s[6:7]
	s_cbranch_execnz .LBB15_2837
; %bb.789:
	s_or_saveexec_b64 s[6:7], s[6:7]
	v_mov_b32_e32 v14, s10
	s_xor_b64 exec, exec, s[6:7]
	s_cbranch_execnz .LBB15_2840
.LBB15_790:
	s_or_b64 exec, exec, s[6:7]
	s_and_saveexec_b64 s[6:7], s[4:5]
	s_cbranch_execz .LBB15_792
.LBB15_791:
	v_bfe_u32 v13, v2, 16, 3
	v_ffbh_u32_e32 v16, v13
	v_min_u32_e32 v16, 32, v16
	v_lshrrev_b32_e32 v14, 19, v2
	v_subrev_u32_e32 v17, 28, v16
	v_and_b32_e32 v14, 15, v14
	v_lshlrev_b32_sdwa v17, v17, v2 dst_sel:DWORD dst_unused:UNUSED_PAD src0_sel:DWORD src1_sel:WORD_1
	v_bfe_u32 v15, v2, 19, 4
	v_sub_u32_e32 v16, 29, v16
	v_and_b32_e32 v17, 7, v17
	v_cmp_eq_u16_e32 vcc, 0, v14
	v_cndmask_b32_e32 v13, v13, v17, vcc
	v_cndmask_b32_e32 v14, v15, v16, vcc
	v_lshlrev_b32_e32 v15, 8, v2
	v_mov_b32_e32 v16, 0x3b800000
	v_lshlrev_b32_e32 v13, 20, v13
	v_and_b32_e32 v15, 0x80000000, v15
	v_lshl_add_u32 v14, v14, 23, v16
	v_or3_b32 v14, v15, v14, v13
.LBB15_792:
	s_or_b64 exec, exec, s[6:7]
	s_nop 0
	v_mfma_f32_16x16x4f32 a[0:3], v12, v14, a[0:3]
	s_movk_i32 s4, 0x7f
	v_cmp_gt_i16_sdwa s[6:7], v6, s4 src0_sel:BYTE_3 src1_sel:DWORD
	s_mov_b64 s[4:5], 0
                                        ; implicit-def: $sgpr10
	s_and_saveexec_b64 s[8:9], s[6:7]
	s_xor_b64 s[6:7], exec, s[8:9]
	s_cbranch_execnz .LBB15_2841
; %bb.793:
	s_or_saveexec_b64 s[6:7], s[6:7]
	v_mov_b32_e32 v12, s10
	s_xor_b64 exec, exec, s[6:7]
	s_cbranch_execnz .LBB15_2844
.LBB15_794:
	s_or_b64 exec, exec, s[6:7]
	s_and_saveexec_b64 s[6:7], s[4:5]
	s_cbranch_execz .LBB15_796
.LBB15_795:
	v_bfe_u32 v12, v6, 24, 3
	v_ffbh_u32_e32 v16, v12
	v_min_u32_e32 v16, 32, v16
	v_lshrrev_b32_e32 v14, 27, v6
	v_subrev_u32_e32 v17, 28, v16
	v_and_b32_e32 v13, 0x80000000, v6
	v_and_b32_e32 v14, 15, v14
	v_bfe_u32 v15, v6, 27, 4
	v_lshlrev_b32_sdwa v6, v17, v6 dst_sel:DWORD dst_unused:UNUSED_PAD src0_sel:DWORD src1_sel:BYTE_3
	v_sub_u32_e32 v16, 29, v16
	v_and_b32_e32 v6, 7, v6
	v_cmp_eq_u16_e32 vcc, 0, v14
	v_cndmask_b32_e32 v6, v12, v6, vcc
	v_cndmask_b32_e32 v12, v15, v16, vcc
	v_mov_b32_e32 v14, 0x3b800000
	v_lshlrev_b32_e32 v6, 20, v6
	v_lshl_add_u32 v12, v12, 23, v14
	v_or3_b32 v12, v13, v12, v6
.LBB15_796:
	s_or_b64 exec, exec, s[6:7]
	s_movk_i32 s4, 0x7f
	v_cmp_gt_i16_sdwa s[6:7], v2, s4 src0_sel:BYTE_3 src1_sel:DWORD
	s_mov_b64 s[4:5], 0
                                        ; implicit-def: $sgpr10
	s_and_saveexec_b64 s[8:9], s[6:7]
	s_xor_b64 s[6:7], exec, s[8:9]
	s_cbranch_execnz .LBB15_2845
; %bb.797:
	s_or_saveexec_b64 s[6:7], s[6:7]
	v_mov_b32_e32 v6, s10
	s_xor_b64 exec, exec, s[6:7]
	s_cbranch_execnz .LBB15_2848
.LBB15_798:
	s_or_b64 exec, exec, s[6:7]
	s_and_saveexec_b64 s[6:7], s[4:5]
	s_cbranch_execz .LBB15_800
.LBB15_799:
	v_bfe_u32 v6, v2, 24, 3
	v_ffbh_u32_e32 v16, v6
	v_min_u32_e32 v16, 32, v16
	v_lshrrev_b32_e32 v14, 27, v2
	v_subrev_u32_e32 v17, 28, v16
	v_and_b32_e32 v13, 0x80000000, v2
	v_and_b32_e32 v14, 15, v14
	v_bfe_u32 v15, v2, 27, 4
	v_lshlrev_b32_sdwa v2, v17, v2 dst_sel:DWORD dst_unused:UNUSED_PAD src0_sel:DWORD src1_sel:BYTE_3
	v_sub_u32_e32 v16, 29, v16
	v_and_b32_e32 v2, 7, v2
	v_cmp_eq_u16_e32 vcc, 0, v14
	v_cndmask_b32_e32 v2, v6, v2, vcc
	v_cndmask_b32_e32 v6, v15, v16, vcc
	v_mov_b32_e32 v14, 0x3b800000
	v_lshlrev_b32_e32 v2, 20, v2
	v_lshl_add_u32 v6, v6, 23, v14
	v_or3_b32 v6, v13, v6, v2
.LBB15_800:
	s_or_b64 exec, exec, s[6:7]
	s_nop 0
	v_mfma_f32_16x16x4f32 a[0:3], v12, v6, a[0:3]
	s_movk_i32 s4, 0x7f
	v_cmp_gt_i16_sdwa s[6:7], v7, s4 src0_sel:BYTE_0 src1_sel:DWORD
	s_mov_b64 s[4:5], 0
                                        ; implicit-def: $sgpr10
	s_and_saveexec_b64 s[8:9], s[6:7]
	s_xor_b64 s[6:7], exec, s[8:9]
	s_cbranch_execnz .LBB15_2849
; %bb.801:
	s_or_saveexec_b64 s[6:7], s[6:7]
	v_mov_b32_e32 v2, s10
	s_xor_b64 exec, exec, s[6:7]
	s_cbranch_execnz .LBB15_2852
.LBB15_802:
	s_or_b64 exec, exec, s[6:7]
	s_and_saveexec_b64 s[6:7], s[4:5]
	s_cbranch_execz .LBB15_804
.LBB15_803:
	v_and_b32_e32 v2, 7, v7
	v_ffbh_u32_e32 v12, v2
	v_min_u32_e32 v12, 32, v12
	v_lshrrev_b16_e32 v6, 3, v7
	v_subrev_u32_e32 v13, 28, v12
	v_and_b32_e32 v6, 15, v6
	v_lshlrev_b32_e32 v13, v13, v7
	v_sub_u32_e32 v12, 29, v12
	v_and_b32_e32 v13, 7, v13
	v_cmp_eq_u16_e32 vcc, 0, v6
	v_cndmask_b32_e32 v2, v2, v13, vcc
	v_cndmask_b32_e32 v6, v6, v12, vcc
	v_lshlrev_b32_e32 v12, 24, v7
	v_mov_b32_e32 v13, 0x3b800000
	v_lshlrev_b32_e32 v2, 20, v2
	v_and_b32_e32 v12, 0x80000000, v12
	v_lshl_add_u32 v6, v6, 23, v13
	v_or3_b32 v2, v12, v6, v2
.LBB15_804:
	s_or_b64 exec, exec, s[6:7]
	s_movk_i32 s4, 0x7f
	v_cmp_gt_i16_sdwa s[6:7], v3, s4 src0_sel:BYTE_0 src1_sel:DWORD
	s_mov_b64 s[4:5], 0
                                        ; implicit-def: $sgpr10
	s_and_saveexec_b64 s[8:9], s[6:7]
	s_xor_b64 s[6:7], exec, s[8:9]
	s_cbranch_execnz .LBB15_2853
; %bb.805:
	s_or_saveexec_b64 s[6:7], s[6:7]
	v_mov_b32_e32 v6, s10
	s_xor_b64 exec, exec, s[6:7]
	s_cbranch_execnz .LBB15_2856
.LBB15_806:
	s_or_b64 exec, exec, s[6:7]
	s_and_saveexec_b64 s[6:7], s[4:5]
	s_cbranch_execz .LBB15_808
.LBB15_807:
	v_and_b32_e32 v6, 7, v3
	v_ffbh_u32_e32 v13, v6
	v_min_u32_e32 v13, 32, v13
	v_lshrrev_b16_e32 v12, 3, v3
	v_subrev_u32_e32 v14, 28, v13
	v_and_b32_e32 v12, 15, v12
	v_lshlrev_b32_e32 v14, v14, v3
	v_sub_u32_e32 v13, 29, v13
	v_and_b32_e32 v14, 7, v14
	v_cmp_eq_u16_e32 vcc, 0, v12
	v_cndmask_b32_e32 v6, v6, v14, vcc
	v_cndmask_b32_e32 v12, v12, v13, vcc
	v_lshlrev_b32_e32 v13, 24, v3
	v_mov_b32_e32 v14, 0x3b800000
	v_lshlrev_b32_e32 v6, 20, v6
	v_and_b32_e32 v13, 0x80000000, v13
	v_lshl_add_u32 v12, v12, 23, v14
	v_or3_b32 v6, v13, v12, v6
.LBB15_808:
	s_or_b64 exec, exec, s[6:7]
	s_nop 0
	v_mfma_f32_16x16x4f32 a[0:3], v2, v6, a[0:3]
	v_lshrrev_b32_e32 v6, 8, v7
	s_movk_i32 s4, 0x7f
	v_cmp_gt_i16_sdwa s[6:7], v6, s4 src0_sel:BYTE_0 src1_sel:DWORD
	s_mov_b64 s[4:5], 0
                                        ; implicit-def: $sgpr10
	s_and_saveexec_b64 s[8:9], s[6:7]
	s_xor_b64 s[6:7], exec, s[8:9]
	s_cbranch_execnz .LBB15_2857
; %bb.809:
	s_or_saveexec_b64 s[6:7], s[6:7]
	v_mov_b32_e32 v2, s10
	s_xor_b64 exec, exec, s[6:7]
	s_cbranch_execnz .LBB15_2860
.LBB15_810:
	s_or_b64 exec, exec, s[6:7]
	s_and_saveexec_b64 s[6:7], s[4:5]
	s_cbranch_execz .LBB15_812
.LBB15_811:
	v_bfe_u32 v2, v7, 8, 3
	v_ffbh_u32_e32 v13, v2
	v_min_u32_e32 v13, 32, v13
	v_lshrrev_b16_e32 v12, 3, v6
	v_subrev_u32_e32 v14, 28, v13
	v_and_b32_e32 v12, 15, v12
	v_lshlrev_b32_e32 v6, v14, v6
	v_sub_u32_e32 v13, 29, v13
	v_and_b32_e32 v6, 7, v6
	v_cmp_eq_u16_e32 vcc, 0, v12
	v_cndmask_b32_e32 v2, v2, v6, vcc
	v_cndmask_b32_e32 v6, v12, v13, vcc
	v_lshlrev_b32_e32 v12, 16, v7
	v_mov_b32_e32 v13, 0x3b800000
	v_lshlrev_b32_e32 v2, 20, v2
	v_and_b32_e32 v12, 0x80000000, v12
	v_lshl_add_u32 v6, v6, 23, v13
	v_or3_b32 v2, v12, v6, v2
.LBB15_812:
	s_or_b64 exec, exec, s[6:7]
	v_lshrrev_b32_e32 v6, 8, v3
	s_movk_i32 s4, 0x7f
	v_cmp_gt_i16_sdwa s[6:7], v6, s4 src0_sel:BYTE_0 src1_sel:DWORD
	s_mov_b64 s[4:5], 0
                                        ; implicit-def: $sgpr10
	s_and_saveexec_b64 s[8:9], s[6:7]
	s_xor_b64 s[6:7], exec, s[8:9]
	s_cbranch_execnz .LBB15_2861
; %bb.813:
	s_or_saveexec_b64 s[6:7], s[6:7]
	v_mov_b32_e32 v12, s10
	s_xor_b64 exec, exec, s[6:7]
	s_cbranch_execnz .LBB15_2864
.LBB15_814:
	s_or_b64 exec, exec, s[6:7]
	s_and_saveexec_b64 s[6:7], s[4:5]
	s_cbranch_execz .LBB15_816
.LBB15_815:
	v_bfe_u32 v12, v3, 8, 3
	v_ffbh_u32_e32 v14, v12
	v_min_u32_e32 v14, 32, v14
	v_lshrrev_b16_e32 v13, 3, v6
	v_subrev_u32_e32 v15, 28, v14
	v_and_b32_e32 v13, 15, v13
	v_lshlrev_b32_e32 v6, v15, v6
	v_sub_u32_e32 v14, 29, v14
	v_and_b32_e32 v6, 7, v6
	v_cmp_eq_u16_e32 vcc, 0, v13
	v_cndmask_b32_e32 v6, v12, v6, vcc
	v_cndmask_b32_e32 v12, v13, v14, vcc
	v_lshlrev_b32_e32 v13, 16, v3
	v_mov_b32_e32 v14, 0x3b800000
	v_lshlrev_b32_e32 v6, 20, v6
	v_and_b32_e32 v13, 0x80000000, v13
	v_lshl_add_u32 v12, v12, 23, v14
	v_or3_b32 v12, v13, v12, v6
.LBB15_816:
	s_or_b64 exec, exec, s[6:7]
	s_nop 0
	v_mfma_f32_16x16x4f32 a[0:3], v2, v12, a[0:3]
	s_movk_i32 s4, 0xff
	v_and_b32_sdwa v6, v7, s4 dst_sel:DWORD dst_unused:UNUSED_PAD src0_sel:WORD_1 src1_sel:DWORD
	s_movk_i32 s4, 0x7f
	v_cmp_lt_i16_e32 vcc, s4, v6
	s_mov_b64 s[4:5], 0
                                        ; implicit-def: $sgpr10
	s_and_saveexec_b64 s[6:7], vcc
	s_xor_b64 s[6:7], exec, s[6:7]
	s_cbranch_execnz .LBB15_2865
; %bb.817:
	s_or_saveexec_b64 s[6:7], s[6:7]
	v_mov_b32_e32 v2, s10
	s_xor_b64 exec, exec, s[6:7]
	s_cbranch_execnz .LBB15_2868
.LBB15_818:
	s_or_b64 exec, exec, s[6:7]
	s_and_saveexec_b64 s[6:7], s[4:5]
	s_cbranch_execz .LBB15_820
.LBB15_819:
	v_bfe_u32 v2, v7, 16, 3
	v_ffbh_u32_e32 v13, v2
	v_min_u32_e32 v13, 32, v13
	v_lshrrev_b32_e32 v6, 19, v7
	v_subrev_u32_e32 v14, 28, v13
	v_and_b32_e32 v6, 15, v6
	v_lshlrev_b32_sdwa v14, v14, v7 dst_sel:DWORD dst_unused:UNUSED_PAD src0_sel:DWORD src1_sel:WORD_1
	v_bfe_u32 v12, v7, 19, 4
	v_sub_u32_e32 v13, 29, v13
	v_and_b32_e32 v14, 7, v14
	v_cmp_eq_u16_e32 vcc, 0, v6
	v_cndmask_b32_e32 v2, v2, v14, vcc
	v_cndmask_b32_e32 v6, v12, v13, vcc
	v_lshlrev_b32_e32 v12, 8, v7
	v_mov_b32_e32 v13, 0x3b800000
	v_lshlrev_b32_e32 v2, 20, v2
	v_and_b32_e32 v12, 0x80000000, v12
	v_lshl_add_u32 v6, v6, 23, v13
	v_or3_b32 v2, v12, v6, v2
.LBB15_820:
	s_or_b64 exec, exec, s[6:7]
	s_movk_i32 s4, 0xff
	v_and_b32_sdwa v6, v3, s4 dst_sel:DWORD dst_unused:UNUSED_PAD src0_sel:WORD_1 src1_sel:DWORD
	s_movk_i32 s4, 0x7f
	v_cmp_lt_i16_e32 vcc, s4, v6
	s_mov_b64 s[4:5], 0
                                        ; implicit-def: $sgpr10
	s_and_saveexec_b64 s[6:7], vcc
	s_xor_b64 s[6:7], exec, s[6:7]
	s_cbranch_execnz .LBB15_2869
; %bb.821:
	s_or_saveexec_b64 s[6:7], s[6:7]
	v_mov_b32_e32 v12, s10
	s_xor_b64 exec, exec, s[6:7]
	s_cbranch_execnz .LBB15_2872
.LBB15_822:
	s_or_b64 exec, exec, s[6:7]
	s_and_saveexec_b64 s[6:7], s[4:5]
	s_cbranch_execz .LBB15_824
.LBB15_823:
	v_bfe_u32 v6, v3, 16, 3
	v_ffbh_u32_e32 v14, v6
	v_min_u32_e32 v14, 32, v14
	v_lshrrev_b32_e32 v12, 19, v3
	v_subrev_u32_e32 v15, 28, v14
	v_and_b32_e32 v12, 15, v12
	v_lshlrev_b32_sdwa v15, v15, v3 dst_sel:DWORD dst_unused:UNUSED_PAD src0_sel:DWORD src1_sel:WORD_1
	v_bfe_u32 v13, v3, 19, 4
	v_sub_u32_e32 v14, 29, v14
	v_and_b32_e32 v15, 7, v15
	v_cmp_eq_u16_e32 vcc, 0, v12
	v_cndmask_b32_e32 v6, v6, v15, vcc
	v_cndmask_b32_e32 v12, v13, v14, vcc
	v_lshlrev_b32_e32 v13, 8, v3
	v_mov_b32_e32 v14, 0x3b800000
	v_lshlrev_b32_e32 v6, 20, v6
	v_and_b32_e32 v13, 0x80000000, v13
	v_lshl_add_u32 v12, v12, 23, v14
	v_or3_b32 v12, v13, v12, v6
.LBB15_824:
	s_or_b64 exec, exec, s[6:7]
	s_nop 0
	v_mfma_f32_16x16x4f32 a[0:3], v2, v12, a[0:3]
	s_movk_i32 s4, 0x7f
	v_cmp_gt_i16_sdwa s[6:7], v7, s4 src0_sel:BYTE_3 src1_sel:DWORD
	s_mov_b64 s[4:5], 0
                                        ; implicit-def: $sgpr10
	s_and_saveexec_b64 s[8:9], s[6:7]
	s_xor_b64 s[6:7], exec, s[8:9]
	s_cbranch_execnz .LBB15_2873
; %bb.825:
	s_or_saveexec_b64 s[6:7], s[6:7]
	v_mov_b32_e32 v2, s10
	s_xor_b64 exec, exec, s[6:7]
	s_cbranch_execnz .LBB15_2876
.LBB15_826:
	s_or_b64 exec, exec, s[6:7]
	s_and_saveexec_b64 s[6:7], s[4:5]
	s_cbranch_execz .LBB15_828
.LBB15_827:
	v_bfe_u32 v2, v7, 24, 3
	v_ffbh_u32_e32 v14, v2
	v_min_u32_e32 v14, 32, v14
	v_lshrrev_b32_e32 v12, 27, v7
	v_subrev_u32_e32 v15, 28, v14
	v_and_b32_e32 v6, 0x80000000, v7
	v_and_b32_e32 v12, 15, v12
	v_bfe_u32 v13, v7, 27, 4
	v_lshlrev_b32_sdwa v7, v15, v7 dst_sel:DWORD dst_unused:UNUSED_PAD src0_sel:DWORD src1_sel:BYTE_3
	v_sub_u32_e32 v14, 29, v14
	v_and_b32_e32 v7, 7, v7
	v_cmp_eq_u16_e32 vcc, 0, v12
	v_cndmask_b32_e32 v2, v2, v7, vcc
	v_cndmask_b32_e32 v7, v13, v14, vcc
	v_mov_b32_e32 v12, 0x3b800000
	v_lshlrev_b32_e32 v2, 20, v2
	v_lshl_add_u32 v7, v7, 23, v12
	v_or3_b32 v2, v6, v7, v2
.LBB15_828:
	s_or_b64 exec, exec, s[6:7]
	s_movk_i32 s4, 0x7f
	v_cmp_gt_i16_sdwa s[6:7], v3, s4 src0_sel:BYTE_3 src1_sel:DWORD
	s_mov_b64 s[4:5], 0
                                        ; implicit-def: $sgpr10
	s_and_saveexec_b64 s[8:9], s[6:7]
	s_xor_b64 s[6:7], exec, s[8:9]
	s_cbranch_execnz .LBB15_2877
; %bb.829:
	s_or_saveexec_b64 s[6:7], s[6:7]
	v_mov_b32_e32 v6, s10
	s_xor_b64 exec, exec, s[6:7]
	s_cbranch_execnz .LBB15_2880
.LBB15_830:
	s_or_b64 exec, exec, s[6:7]
	s_and_saveexec_b64 s[6:7], s[4:5]
	s_cbranch_execz .LBB15_832
.LBB15_831:
	v_bfe_u32 v6, v3, 24, 3
	v_ffbh_u32_e32 v14, v6
	v_min_u32_e32 v14, 32, v14
	v_lshrrev_b32_e32 v12, 27, v3
	v_subrev_u32_e32 v15, 28, v14
	v_and_b32_e32 v7, 0x80000000, v3
	v_and_b32_e32 v12, 15, v12
	v_bfe_u32 v13, v3, 27, 4
	v_lshlrev_b32_sdwa v3, v15, v3 dst_sel:DWORD dst_unused:UNUSED_PAD src0_sel:DWORD src1_sel:BYTE_3
	v_sub_u32_e32 v14, 29, v14
	v_and_b32_e32 v3, 7, v3
	v_cmp_eq_u16_e32 vcc, 0, v12
	v_cndmask_b32_e32 v3, v6, v3, vcc
	v_cndmask_b32_e32 v6, v13, v14, vcc
	v_mov_b32_e32 v12, 0x3b800000
	v_lshlrev_b32_e32 v3, 20, v3
	v_lshl_add_u32 v6, v6, 23, v12
	v_or3_b32 v6, v7, v6, v3
.LBB15_832:
	s_or_b64 exec, exec, s[6:7]
	s_nop 0
	v_mfma_f32_16x16x4f32 a[0:3], v2, v6, a[0:3]
	s_movk_i32 s4, 0x7f
	v_cmp_gt_i16_sdwa s[6:7], v8, s4 src0_sel:BYTE_0 src1_sel:DWORD
	s_mov_b64 s[4:5], 0
                                        ; implicit-def: $sgpr10
	s_and_saveexec_b64 s[8:9], s[6:7]
	s_xor_b64 s[6:7], exec, s[8:9]
	s_cbranch_execnz .LBB15_2881
; %bb.833:
	s_or_saveexec_b64 s[6:7], s[6:7]
	v_mov_b32_e32 v2, s10
	s_xor_b64 exec, exec, s[6:7]
	s_cbranch_execnz .LBB15_2884
.LBB15_834:
	s_or_b64 exec, exec, s[6:7]
	s_and_saveexec_b64 s[6:7], s[4:5]
	s_cbranch_execz .LBB15_836
.LBB15_835:
	v_and_b32_e32 v2, 7, v8
	v_ffbh_u32_e32 v6, v2
	v_min_u32_e32 v6, 32, v6
	v_lshrrev_b16_e32 v3, 3, v8
	v_subrev_u32_e32 v7, 28, v6
	v_and_b32_e32 v3, 15, v3
	v_lshlrev_b32_e32 v7, v7, v8
	v_sub_u32_e32 v6, 29, v6
	v_and_b32_e32 v7, 7, v7
	v_cmp_eq_u16_e32 vcc, 0, v3
	v_cndmask_b32_e32 v2, v2, v7, vcc
	v_cndmask_b32_e32 v3, v3, v6, vcc
	v_lshlrev_b32_e32 v6, 24, v8
	v_mov_b32_e32 v7, 0x3b800000
	v_lshlrev_b32_e32 v2, 20, v2
	v_and_b32_e32 v6, 0x80000000, v6
	v_lshl_add_u32 v3, v3, 23, v7
	v_or3_b32 v2, v6, v3, v2
.LBB15_836:
	s_or_b64 exec, exec, s[6:7]
	s_movk_i32 s4, 0x7f
	v_cmp_gt_i16_sdwa s[6:7], v4, s4 src0_sel:BYTE_0 src1_sel:DWORD
	s_mov_b64 s[4:5], 0
                                        ; implicit-def: $sgpr10
	s_and_saveexec_b64 s[8:9], s[6:7]
	s_xor_b64 s[6:7], exec, s[8:9]
	s_cbranch_execnz .LBB15_2885
; %bb.837:
	s_or_saveexec_b64 s[6:7], s[6:7]
	v_mov_b32_e32 v3, s10
	s_xor_b64 exec, exec, s[6:7]
	s_cbranch_execnz .LBB15_2888
.LBB15_838:
	s_or_b64 exec, exec, s[6:7]
	s_and_saveexec_b64 s[6:7], s[4:5]
	s_cbranch_execz .LBB15_840
.LBB15_839:
	v_and_b32_e32 v3, 7, v4
	v_ffbh_u32_e32 v7, v3
	v_min_u32_e32 v7, 32, v7
	v_lshrrev_b16_e32 v6, 3, v4
	v_subrev_u32_e32 v12, 28, v7
	v_and_b32_e32 v6, 15, v6
	v_lshlrev_b32_e32 v12, v12, v4
	v_sub_u32_e32 v7, 29, v7
	v_and_b32_e32 v12, 7, v12
	v_cmp_eq_u16_e32 vcc, 0, v6
	v_cndmask_b32_e32 v3, v3, v12, vcc
	v_cndmask_b32_e32 v6, v6, v7, vcc
	v_lshlrev_b32_e32 v7, 24, v4
	v_mov_b32_e32 v12, 0x3b800000
	v_lshlrev_b32_e32 v3, 20, v3
	v_and_b32_e32 v7, 0x80000000, v7
	v_lshl_add_u32 v6, v6, 23, v12
	v_or3_b32 v3, v7, v6, v3
.LBB15_840:
	s_or_b64 exec, exec, s[6:7]
	s_nop 0
	v_mfma_f32_16x16x4f32 a[0:3], v2, v3, a[0:3]
	v_lshrrev_b32_e32 v3, 8, v8
	s_movk_i32 s4, 0x7f
	v_cmp_gt_i16_sdwa s[6:7], v3, s4 src0_sel:BYTE_0 src1_sel:DWORD
	s_mov_b64 s[4:5], 0
                                        ; implicit-def: $sgpr10
	s_and_saveexec_b64 s[8:9], s[6:7]
	s_xor_b64 s[6:7], exec, s[8:9]
	s_cbranch_execnz .LBB15_2889
; %bb.841:
	s_or_saveexec_b64 s[6:7], s[6:7]
	v_mov_b32_e32 v2, s10
	s_xor_b64 exec, exec, s[6:7]
	s_cbranch_execnz .LBB15_2892
.LBB15_842:
	s_or_b64 exec, exec, s[6:7]
	s_and_saveexec_b64 s[6:7], s[4:5]
	s_cbranch_execz .LBB15_844
.LBB15_843:
	v_bfe_u32 v2, v8, 8, 3
	v_ffbh_u32_e32 v7, v2
	v_min_u32_e32 v7, 32, v7
	v_lshrrev_b16_e32 v6, 3, v3
	v_subrev_u32_e32 v12, 28, v7
	v_and_b32_e32 v6, 15, v6
	v_lshlrev_b32_e32 v3, v12, v3
	v_sub_u32_e32 v7, 29, v7
	v_and_b32_e32 v3, 7, v3
	v_cmp_eq_u16_e32 vcc, 0, v6
	v_cndmask_b32_e32 v2, v2, v3, vcc
	v_cndmask_b32_e32 v3, v6, v7, vcc
	v_lshlrev_b32_e32 v6, 16, v8
	v_mov_b32_e32 v7, 0x3b800000
	v_lshlrev_b32_e32 v2, 20, v2
	v_and_b32_e32 v6, 0x80000000, v6
	v_lshl_add_u32 v3, v3, 23, v7
	v_or3_b32 v2, v6, v3, v2
.LBB15_844:
	s_or_b64 exec, exec, s[6:7]
	v_lshrrev_b32_e32 v3, 8, v4
	s_movk_i32 s4, 0x7f
	v_cmp_gt_i16_sdwa s[6:7], v3, s4 src0_sel:BYTE_0 src1_sel:DWORD
	s_mov_b64 s[4:5], 0
                                        ; implicit-def: $sgpr10
	s_and_saveexec_b64 s[8:9], s[6:7]
	s_xor_b64 s[6:7], exec, s[8:9]
	s_cbranch_execnz .LBB15_2893
; %bb.845:
	s_or_saveexec_b64 s[6:7], s[6:7]
	v_mov_b32_e32 v6, s10
	s_xor_b64 exec, exec, s[6:7]
	s_cbranch_execnz .LBB15_2896
.LBB15_846:
	s_or_b64 exec, exec, s[6:7]
	s_and_saveexec_b64 s[6:7], s[4:5]
	s_cbranch_execz .LBB15_848
.LBB15_847:
	v_bfe_u32 v6, v4, 8, 3
	v_ffbh_u32_e32 v12, v6
	v_min_u32_e32 v12, 32, v12
	v_lshrrev_b16_e32 v7, 3, v3
	v_subrev_u32_e32 v13, 28, v12
	v_and_b32_e32 v7, 15, v7
	v_lshlrev_b32_e32 v3, v13, v3
	v_sub_u32_e32 v12, 29, v12
	v_and_b32_e32 v3, 7, v3
	v_cmp_eq_u16_e32 vcc, 0, v7
	v_cndmask_b32_e32 v3, v6, v3, vcc
	v_cndmask_b32_e32 v6, v7, v12, vcc
	v_lshlrev_b32_e32 v7, 16, v4
	v_mov_b32_e32 v12, 0x3b800000
	v_lshlrev_b32_e32 v3, 20, v3
	v_and_b32_e32 v7, 0x80000000, v7
	v_lshl_add_u32 v6, v6, 23, v12
	v_or3_b32 v6, v7, v6, v3
.LBB15_848:
	s_or_b64 exec, exec, s[6:7]
	s_nop 0
	v_mfma_f32_16x16x4f32 a[0:3], v2, v6, a[0:3]
	s_movk_i32 s4, 0xff
	v_and_b32_sdwa v3, v8, s4 dst_sel:DWORD dst_unused:UNUSED_PAD src0_sel:WORD_1 src1_sel:DWORD
	s_movk_i32 s4, 0x7f
	v_cmp_lt_i16_e32 vcc, s4, v3
	s_mov_b64 s[4:5], 0
                                        ; implicit-def: $sgpr10
	s_and_saveexec_b64 s[6:7], vcc
	s_xor_b64 s[6:7], exec, s[6:7]
	s_cbranch_execnz .LBB15_2897
; %bb.849:
	s_or_saveexec_b64 s[6:7], s[6:7]
	v_mov_b32_e32 v2, s10
	s_xor_b64 exec, exec, s[6:7]
	s_cbranch_execnz .LBB15_2900
.LBB15_850:
	s_or_b64 exec, exec, s[6:7]
	s_and_saveexec_b64 s[6:7], s[4:5]
	s_cbranch_execz .LBB15_852
.LBB15_851:
	v_bfe_u32 v2, v8, 16, 3
	v_ffbh_u32_e32 v7, v2
	v_min_u32_e32 v7, 32, v7
	v_lshrrev_b32_e32 v3, 19, v8
	v_subrev_u32_e32 v12, 28, v7
	v_and_b32_e32 v3, 15, v3
	v_lshlrev_b32_sdwa v12, v12, v8 dst_sel:DWORD dst_unused:UNUSED_PAD src0_sel:DWORD src1_sel:WORD_1
	v_bfe_u32 v6, v8, 19, 4
	v_sub_u32_e32 v7, 29, v7
	v_and_b32_e32 v12, 7, v12
	v_cmp_eq_u16_e32 vcc, 0, v3
	v_cndmask_b32_e32 v2, v2, v12, vcc
	v_cndmask_b32_e32 v3, v6, v7, vcc
	v_lshlrev_b32_e32 v6, 8, v8
	v_mov_b32_e32 v7, 0x3b800000
	v_lshlrev_b32_e32 v2, 20, v2
	v_and_b32_e32 v6, 0x80000000, v6
	v_lshl_add_u32 v3, v3, 23, v7
	v_or3_b32 v2, v6, v3, v2
.LBB15_852:
	s_or_b64 exec, exec, s[6:7]
	s_movk_i32 s4, 0xff
	v_and_b32_sdwa v3, v4, s4 dst_sel:DWORD dst_unused:UNUSED_PAD src0_sel:WORD_1 src1_sel:DWORD
	s_movk_i32 s4, 0x7f
	v_cmp_lt_i16_e32 vcc, s4, v3
	s_mov_b64 s[4:5], 0
                                        ; implicit-def: $sgpr10
	s_and_saveexec_b64 s[6:7], vcc
	s_xor_b64 s[6:7], exec, s[6:7]
	s_cbranch_execnz .LBB15_2901
; %bb.853:
	s_or_saveexec_b64 s[6:7], s[6:7]
	v_mov_b32_e32 v6, s10
	s_xor_b64 exec, exec, s[6:7]
	s_cbranch_execnz .LBB15_2904
.LBB15_854:
	s_or_b64 exec, exec, s[6:7]
	s_and_saveexec_b64 s[6:7], s[4:5]
	s_cbranch_execz .LBB15_856
.LBB15_855:
	v_bfe_u32 v3, v4, 16, 3
	v_ffbh_u32_e32 v12, v3
	v_min_u32_e32 v12, 32, v12
	v_lshrrev_b32_e32 v6, 19, v4
	v_subrev_u32_e32 v13, 28, v12
	v_and_b32_e32 v6, 15, v6
	v_lshlrev_b32_sdwa v13, v13, v4 dst_sel:DWORD dst_unused:UNUSED_PAD src0_sel:DWORD src1_sel:WORD_1
	v_bfe_u32 v7, v4, 19, 4
	v_sub_u32_e32 v12, 29, v12
	v_and_b32_e32 v13, 7, v13
	v_cmp_eq_u16_e32 vcc, 0, v6
	v_cndmask_b32_e32 v3, v3, v13, vcc
	v_cndmask_b32_e32 v6, v7, v12, vcc
	v_lshlrev_b32_e32 v7, 8, v4
	v_mov_b32_e32 v12, 0x3b800000
	v_lshlrev_b32_e32 v3, 20, v3
	v_and_b32_e32 v7, 0x80000000, v7
	v_lshl_add_u32 v6, v6, 23, v12
	v_or3_b32 v6, v7, v6, v3
.LBB15_856:
	s_or_b64 exec, exec, s[6:7]
	s_nop 0
	v_mfma_f32_16x16x4f32 a[0:3], v2, v6, a[0:3]
	s_movk_i32 s4, 0x7f
	v_cmp_gt_i16_sdwa s[6:7], v8, s4 src0_sel:BYTE_3 src1_sel:DWORD
	s_mov_b64 s[4:5], 0
                                        ; implicit-def: $sgpr10
	s_and_saveexec_b64 s[8:9], s[6:7]
	s_xor_b64 s[6:7], exec, s[8:9]
	s_cbranch_execnz .LBB15_2905
; %bb.857:
	s_or_saveexec_b64 s[6:7], s[6:7]
	v_mov_b32_e32 v2, s10
	s_xor_b64 exec, exec, s[6:7]
	s_cbranch_execnz .LBB15_2908
.LBB15_858:
	s_or_b64 exec, exec, s[6:7]
	s_and_saveexec_b64 s[6:7], s[4:5]
	s_cbranch_execz .LBB15_860
.LBB15_859:
	v_bfe_u32 v2, v8, 24, 3
	v_ffbh_u32_e32 v12, v2
	v_min_u32_e32 v12, 32, v12
	v_lshrrev_b32_e32 v6, 27, v8
	v_subrev_u32_e32 v13, 28, v12
	v_and_b32_e32 v3, 0x80000000, v8
	v_and_b32_e32 v6, 15, v6
	v_bfe_u32 v7, v8, 27, 4
	v_lshlrev_b32_sdwa v8, v13, v8 dst_sel:DWORD dst_unused:UNUSED_PAD src0_sel:DWORD src1_sel:BYTE_3
	v_sub_u32_e32 v12, 29, v12
	v_and_b32_e32 v8, 7, v8
	v_cmp_eq_u16_e32 vcc, 0, v6
	v_cndmask_b32_e32 v2, v2, v8, vcc
	v_cndmask_b32_e32 v6, v7, v12, vcc
	v_mov_b32_e32 v7, 0x3b800000
	v_lshlrev_b32_e32 v2, 20, v2
	v_lshl_add_u32 v6, v6, 23, v7
	v_or3_b32 v2, v3, v6, v2
.LBB15_860:
	s_or_b64 exec, exec, s[6:7]
	s_movk_i32 s4, 0x7f
	v_cmp_gt_i16_sdwa s[6:7], v4, s4 src0_sel:BYTE_3 src1_sel:DWORD
	s_mov_b64 s[4:5], 0
                                        ; implicit-def: $sgpr10
	s_and_saveexec_b64 s[8:9], s[6:7]
	s_xor_b64 s[6:7], exec, s[8:9]
	s_cbranch_execnz .LBB15_2909
; %bb.861:
	s_or_saveexec_b64 s[6:7], s[6:7]
	v_mov_b32_e32 v3, s10
	s_xor_b64 exec, exec, s[6:7]
	s_cbranch_execnz .LBB15_2912
.LBB15_862:
	s_or_b64 exec, exec, s[6:7]
	s_and_saveexec_b64 s[6:7], s[4:5]
	s_cbranch_execz .LBB15_864
.LBB15_863:
	v_bfe_u32 v3, v4, 24, 3
	v_ffbh_u32_e32 v12, v3
	v_min_u32_e32 v12, 32, v12
	v_lshrrev_b32_e32 v7, 27, v4
	v_subrev_u32_e32 v13, 28, v12
	v_and_b32_e32 v6, 0x80000000, v4
	v_and_b32_e32 v7, 15, v7
	v_bfe_u32 v8, v4, 27, 4
	v_lshlrev_b32_sdwa v4, v13, v4 dst_sel:DWORD dst_unused:UNUSED_PAD src0_sel:DWORD src1_sel:BYTE_3
	v_sub_u32_e32 v12, 29, v12
	v_and_b32_e32 v4, 7, v4
	v_cmp_eq_u16_e32 vcc, 0, v7
	v_cndmask_b32_e32 v3, v3, v4, vcc
	v_cndmask_b32_e32 v4, v8, v12, vcc
	v_mov_b32_e32 v7, 0x3b800000
	v_lshlrev_b32_e32 v3, 20, v3
	v_lshl_add_u32 v4, v4, 23, v7
	v_or3_b32 v3, v6, v4, v3
.LBB15_864:
	s_or_b64 exec, exec, s[6:7]
	s_nop 0
	v_mfma_f32_16x16x4f32 a[0:3], v2, v3, a[0:3]
	s_movk_i32 s4, 0x7f
	v_cmp_gt_i16_sdwa s[6:7], v9, s4 src0_sel:BYTE_0 src1_sel:DWORD
	s_mov_b64 s[4:5], 0
                                        ; implicit-def: $sgpr10
	s_and_saveexec_b64 s[8:9], s[6:7]
	s_xor_b64 s[6:7], exec, s[8:9]
	s_cbranch_execnz .LBB15_2913
; %bb.865:
	s_or_saveexec_b64 s[6:7], s[6:7]
	v_mov_b32_e32 v2, s10
	s_xor_b64 exec, exec, s[6:7]
	s_cbranch_execnz .LBB15_2916
.LBB15_866:
	s_or_b64 exec, exec, s[6:7]
	s_and_saveexec_b64 s[6:7], s[4:5]
	s_cbranch_execz .LBB15_868
.LBB15_867:
	v_mov_b32_e32 v2, 8
	v_and_b32_e32 v3, 7, v9
	v_lshrrev_b32_sdwa v2, v2, v9 dst_sel:BYTE_1 dst_unused:UNUSED_PAD src0_sel:DWORD src1_sel:DWORD
	v_ffbh_u32_e32 v4, v3
	v_or_b32_sdwa v2, v9, v2 dst_sel:DWORD dst_unused:UNUSED_PAD src0_sel:BYTE_0 src1_sel:DWORD
	v_min_u32_e32 v4, 32, v4
	v_lshrrev_b16_e32 v2, 3, v2
	v_subrev_u32_e32 v6, 28, v4
	v_and_b32_e32 v2, 15, v2
	v_lshlrev_b32_e32 v6, v6, v9
	v_sub_u32_e32 v4, 29, v4
	v_and_b32_e32 v6, 7, v6
	v_cmp_eq_u16_e32 vcc, 0, v2
	v_cndmask_b32_e32 v3, v3, v6, vcc
	v_cndmask_b32_e32 v2, v2, v4, vcc
	v_lshlrev_b32_e32 v4, 24, v9
	v_mov_b32_e32 v6, 0x3b800000
	v_lshlrev_b32_e32 v3, 20, v3
	v_and_b32_e32 v4, 0x80000000, v4
	v_lshl_add_u32 v2, v2, 23, v6
	v_or3_b32 v2, v4, v2, v3
.LBB15_868:
	s_or_b64 exec, exec, s[6:7]
	s_movk_i32 s4, 0x7f
	v_cmp_gt_i16_sdwa s[6:7], v5, s4 src0_sel:BYTE_0 src1_sel:DWORD
	s_mov_b64 s[4:5], 0
                                        ; implicit-def: $sgpr10
	s_and_saveexec_b64 s[8:9], s[6:7]
	s_xor_b64 s[6:7], exec, s[8:9]
	s_cbranch_execnz .LBB15_2917
; %bb.869:
	s_or_saveexec_b64 s[6:7], s[6:7]
	v_mov_b32_e32 v3, s10
	s_xor_b64 exec, exec, s[6:7]
	s_cbranch_execnz .LBB15_2920
.LBB15_870:
	s_or_b64 exec, exec, s[6:7]
	s_and_saveexec_b64 s[6:7], s[4:5]
	s_cbranch_execz .LBB15_872
.LBB15_871:
	v_mov_b32_e32 v3, 8
	v_and_b32_e32 v4, 7, v5
	v_lshrrev_b32_sdwa v3, v3, v5 dst_sel:BYTE_1 dst_unused:UNUSED_PAD src0_sel:DWORD src1_sel:DWORD
	v_ffbh_u32_e32 v6, v4
	v_or_b32_sdwa v3, v5, v3 dst_sel:DWORD dst_unused:UNUSED_PAD src0_sel:BYTE_0 src1_sel:DWORD
	v_min_u32_e32 v6, 32, v6
	v_lshrrev_b16_e32 v3, 3, v3
	v_subrev_u32_e32 v7, 28, v6
	v_and_b32_e32 v3, 15, v3
	v_lshlrev_b32_e32 v7, v7, v5
	v_sub_u32_e32 v6, 29, v6
	v_and_b32_e32 v7, 7, v7
	v_cmp_eq_u16_e32 vcc, 0, v3
	v_cndmask_b32_e32 v4, v4, v7, vcc
	v_cndmask_b32_e32 v3, v3, v6, vcc
	v_lshlrev_b32_e32 v6, 24, v5
	v_mov_b32_e32 v7, 0x3b800000
	v_lshlrev_b32_e32 v4, 20, v4
	v_and_b32_e32 v6, 0x80000000, v6
	v_lshl_add_u32 v3, v3, 23, v7
	v_or3_b32 v3, v6, v3, v4
.LBB15_872:
	s_or_b64 exec, exec, s[6:7]
	s_nop 0
	v_mfma_f32_16x16x4f32 a[0:3], v2, v3, a[0:3]
	v_lshrrev_b32_e32 v3, 8, v9
	s_movk_i32 s4, 0x7f
	v_cmp_gt_i16_sdwa s[6:7], v3, s4 src0_sel:BYTE_0 src1_sel:DWORD
	s_mov_b64 s[4:5], 0
                                        ; implicit-def: $sgpr10
	s_and_saveexec_b64 s[8:9], s[6:7]
	s_xor_b64 s[6:7], exec, s[8:9]
	s_cbranch_execnz .LBB15_2921
; %bb.873:
	s_or_saveexec_b64 s[6:7], s[6:7]
	v_mov_b32_e32 v2, s10
	s_xor_b64 exec, exec, s[6:7]
	s_cbranch_execnz .LBB15_2924
.LBB15_874:
	s_or_b64 exec, exec, s[6:7]
	s_and_saveexec_b64 s[6:7], s[4:5]
	s_cbranch_execz .LBB15_876
.LBB15_875:
	v_bfe_u32 v2, v9, 8, 3
	v_ffbh_u32_e32 v6, v2
	v_min_u32_e32 v6, 32, v6
	v_lshrrev_b16_e32 v4, 3, v3
	v_subrev_u32_e32 v7, 28, v6
	v_and_b32_e32 v4, 15, v4
	v_lshlrev_b32_e32 v3, v7, v3
	v_sub_u32_e32 v6, 29, v6
	v_and_b32_e32 v3, 7, v3
	v_cmp_eq_u16_e32 vcc, 0, v4
	v_cndmask_b32_e32 v2, v2, v3, vcc
	v_cndmask_b32_e32 v3, v4, v6, vcc
	v_lshlrev_b32_e32 v4, 16, v9
	v_mov_b32_e32 v6, 0x3b800000
	v_lshlrev_b32_e32 v2, 20, v2
	v_and_b32_e32 v4, 0x80000000, v4
	v_lshl_add_u32 v3, v3, 23, v6
	v_or3_b32 v2, v4, v3, v2
.LBB15_876:
	s_or_b64 exec, exec, s[6:7]
	v_lshrrev_b32_e32 v3, 8, v5
	s_movk_i32 s4, 0x7f
	v_cmp_gt_i16_sdwa s[6:7], v3, s4 src0_sel:BYTE_0 src1_sel:DWORD
	s_mov_b64 s[4:5], 0
                                        ; implicit-def: $sgpr10
	s_and_saveexec_b64 s[8:9], s[6:7]
	s_xor_b64 s[6:7], exec, s[8:9]
	s_cbranch_execnz .LBB15_2925
; %bb.877:
	s_or_saveexec_b64 s[6:7], s[6:7]
	v_mov_b32_e32 v4, s10
	s_xor_b64 exec, exec, s[6:7]
	s_cbranch_execnz .LBB15_2928
.LBB15_878:
	s_or_b64 exec, exec, s[6:7]
	s_and_saveexec_b64 s[6:7], s[4:5]
	s_cbranch_execz .LBB15_880
.LBB15_879:
	v_bfe_u32 v4, v5, 8, 3
	v_ffbh_u32_e32 v7, v4
	v_min_u32_e32 v7, 32, v7
	v_lshrrev_b16_e32 v6, 3, v3
	v_subrev_u32_e32 v8, 28, v7
	v_and_b32_e32 v6, 15, v6
	v_lshlrev_b32_e32 v3, v8, v3
	v_sub_u32_e32 v7, 29, v7
	v_and_b32_e32 v3, 7, v3
	v_cmp_eq_u16_e32 vcc, 0, v6
	v_cndmask_b32_e32 v3, v4, v3, vcc
	v_cndmask_b32_e32 v4, v6, v7, vcc
	v_lshlrev_b32_e32 v6, 16, v5
	v_mov_b32_e32 v7, 0x3b800000
	v_lshlrev_b32_e32 v3, 20, v3
	v_and_b32_e32 v6, 0x80000000, v6
	v_lshl_add_u32 v4, v4, 23, v7
	v_or3_b32 v4, v6, v4, v3
.LBB15_880:
	s_or_b64 exec, exec, s[6:7]
	s_nop 0
	v_mfma_f32_16x16x4f32 a[0:3], v2, v4, a[0:3]
	s_movk_i32 s4, 0xff
	v_and_b32_sdwa v3, v9, s4 dst_sel:DWORD dst_unused:UNUSED_PAD src0_sel:WORD_1 src1_sel:DWORD
	s_movk_i32 s4, 0x7f
	v_cmp_lt_i16_e32 vcc, s4, v3
	s_mov_b64 s[4:5], 0
                                        ; implicit-def: $sgpr10
	s_and_saveexec_b64 s[6:7], vcc
	s_xor_b64 s[6:7], exec, s[6:7]
	s_cbranch_execnz .LBB15_2929
; %bb.881:
	s_or_saveexec_b64 s[6:7], s[6:7]
	v_mov_b32_e32 v2, s10
	s_xor_b64 exec, exec, s[6:7]
	s_cbranch_execnz .LBB15_2932
.LBB15_882:
	s_or_b64 exec, exec, s[6:7]
	s_and_saveexec_b64 s[6:7], s[4:5]
	s_cbranch_execz .LBB15_884
.LBB15_883:
	v_bfe_u32 v2, v9, 16, 3
	v_ffbh_u32_e32 v6, v2
	v_min_u32_e32 v6, 32, v6
	v_lshrrev_b32_e32 v3, 19, v9
	v_subrev_u32_e32 v7, 28, v6
	v_and_b32_e32 v3, 15, v3
	v_lshlrev_b32_sdwa v7, v7, v9 dst_sel:DWORD dst_unused:UNUSED_PAD src0_sel:DWORD src1_sel:WORD_1
	v_bfe_u32 v4, v9, 19, 4
	v_sub_u32_e32 v6, 29, v6
	v_and_b32_e32 v7, 7, v7
	v_cmp_eq_u16_e32 vcc, 0, v3
	v_cndmask_b32_e32 v2, v2, v7, vcc
	v_cndmask_b32_e32 v3, v4, v6, vcc
	v_lshlrev_b32_e32 v4, 8, v9
	v_mov_b32_e32 v6, 0x3b800000
	v_lshlrev_b32_e32 v2, 20, v2
	v_and_b32_e32 v4, 0x80000000, v4
	v_lshl_add_u32 v3, v3, 23, v6
	v_or3_b32 v2, v4, v3, v2
.LBB15_884:
	s_or_b64 exec, exec, s[6:7]
	s_movk_i32 s4, 0xff
	v_and_b32_sdwa v3, v5, s4 dst_sel:DWORD dst_unused:UNUSED_PAD src0_sel:WORD_1 src1_sel:DWORD
	s_movk_i32 s4, 0x7f
	v_cmp_lt_i16_e32 vcc, s4, v3
	s_mov_b64 s[4:5], 0
                                        ; implicit-def: $sgpr10
	s_and_saveexec_b64 s[6:7], vcc
	s_xor_b64 s[6:7], exec, s[6:7]
	s_cbranch_execnz .LBB15_2933
; %bb.885:
	s_or_saveexec_b64 s[6:7], s[6:7]
	v_mov_b32_e32 v4, s10
	s_xor_b64 exec, exec, s[6:7]
	s_cbranch_execnz .LBB15_2936
.LBB15_886:
	s_or_b64 exec, exec, s[6:7]
	s_and_saveexec_b64 s[6:7], s[4:5]
	s_cbranch_execz .LBB15_888
.LBB15_887:
	v_bfe_u32 v3, v5, 16, 3
	v_ffbh_u32_e32 v7, v3
	v_min_u32_e32 v7, 32, v7
	v_lshrrev_b32_e32 v4, 19, v5
	v_subrev_u32_e32 v8, 28, v7
	v_and_b32_e32 v4, 15, v4
	v_lshlrev_b32_sdwa v8, v8, v5 dst_sel:DWORD dst_unused:UNUSED_PAD src0_sel:DWORD src1_sel:WORD_1
	v_bfe_u32 v6, v5, 19, 4
	v_sub_u32_e32 v7, 29, v7
	v_and_b32_e32 v8, 7, v8
	v_cmp_eq_u16_e32 vcc, 0, v4
	v_cndmask_b32_e32 v3, v3, v8, vcc
	v_cndmask_b32_e32 v4, v6, v7, vcc
	v_lshlrev_b32_e32 v6, 8, v5
	v_mov_b32_e32 v7, 0x3b800000
	v_lshlrev_b32_e32 v3, 20, v3
	v_and_b32_e32 v6, 0x80000000, v6
	v_lshl_add_u32 v4, v4, 23, v7
	v_or3_b32 v4, v6, v4, v3
.LBB15_888:
	s_or_b64 exec, exec, s[6:7]
	s_nop 0
	v_mfma_f32_16x16x4f32 a[0:3], v2, v4, a[0:3]
	s_movk_i32 s4, 0x7f
	v_cmp_gt_i16_sdwa s[6:7], v9, s4 src0_sel:BYTE_3 src1_sel:DWORD
	s_mov_b64 s[4:5], 0
                                        ; implicit-def: $sgpr10
	s_and_saveexec_b64 s[8:9], s[6:7]
	s_xor_b64 s[6:7], exec, s[8:9]
	s_cbranch_execnz .LBB15_2937
; %bb.889:
	s_or_saveexec_b64 s[6:7], s[6:7]
	v_mov_b32_e32 v2, s10
	s_xor_b64 exec, exec, s[6:7]
	s_cbranch_execnz .LBB15_2940
.LBB15_890:
	s_or_b64 exec, exec, s[6:7]
	s_and_saveexec_b64 s[6:7], s[4:5]
	s_cbranch_execz .LBB15_892
.LBB15_891:
	v_bfe_u32 v2, v9, 24, 3
	v_ffbh_u32_e32 v7, v2
	v_min_u32_e32 v7, 32, v7
	v_lshrrev_b32_e32 v4, 27, v9
	v_subrev_u32_e32 v8, 28, v7
	v_and_b32_e32 v4, 15, v4
	v_lshlrev_b32_sdwa v8, v8, v9 dst_sel:DWORD dst_unused:UNUSED_PAD src0_sel:DWORD src1_sel:BYTE_3
	v_bfe_u32 v6, v9, 27, 4
	v_sub_u32_e32 v7, 29, v7
	v_and_b32_e32 v8, 7, v8
	v_cmp_eq_u16_e32 vcc, 0, v4
	v_cndmask_b32_e32 v2, v2, v8, vcc
	v_cndmask_b32_e32 v4, v6, v7, vcc
	v_mov_b32_e32 v6, 0x3b800000
	v_and_b32_e32 v3, 0x80000000, v9
	v_lshlrev_b32_e32 v2, 20, v2
	v_lshl_add_u32 v4, v4, 23, v6
	v_or3_b32 v2, v3, v4, v2
.LBB15_892:
	s_or_b64 exec, exec, s[6:7]
	s_movk_i32 s4, 0x7f
	v_cmp_gt_i16_sdwa s[6:7], v5, s4 src0_sel:BYTE_3 src1_sel:DWORD
	s_mov_b64 s[4:5], 0
                                        ; implicit-def: $sgpr10
	s_and_saveexec_b64 s[8:9], s[6:7]
	s_xor_b64 s[6:7], exec, s[8:9]
	s_cbranch_execnz .LBB15_2941
; %bb.893:
	s_or_saveexec_b64 s[6:7], s[6:7]
	v_mov_b32_e32 v3, s10
	s_xor_b64 exec, exec, s[6:7]
	s_cbranch_execnz .LBB15_2944
.LBB15_894:
	s_or_b64 exec, exec, s[6:7]
	s_and_saveexec_b64 s[6:7], s[4:5]
	s_cbranch_execz .LBB15_896
.LBB15_895:
	v_bfe_u32 v3, v5, 24, 3
	v_ffbh_u32_e32 v8, v3
	v_min_u32_e32 v8, 32, v8
	v_lshrrev_b32_e32 v6, 27, v5
	v_subrev_u32_e32 v9, 28, v8
	v_and_b32_e32 v4, 0x80000000, v5
	v_and_b32_e32 v6, 15, v6
	v_bfe_u32 v7, v5, 27, 4
	v_lshlrev_b32_sdwa v5, v9, v5 dst_sel:DWORD dst_unused:UNUSED_PAD src0_sel:DWORD src1_sel:BYTE_3
	v_sub_u32_e32 v8, 29, v8
	v_and_b32_e32 v5, 7, v5
	v_cmp_eq_u16_e32 vcc, 0, v6
	v_cndmask_b32_e32 v3, v3, v5, vcc
	v_cndmask_b32_e32 v5, v7, v8, vcc
	v_mov_b32_e32 v6, 0x3b800000
	v_lshlrev_b32_e32 v3, 20, v3
	v_lshl_add_u32 v5, v5, 23, v6
	v_or3_b32 v3, v4, v5, v3
.LBB15_896:
	s_or_b64 exec, exec, s[6:7]
	s_nop 0
	v_mfma_f32_16x16x4f32 a[0:3], v2, v3, a[0:3]
	s_movk_i32 s4, 0x7f
                                        ; implicit-def: $sgpr10
	s_nop 7
	s_nop 1
	flat_store_dwordx4 v[10:11], a[0:3] offset:96
	flat_load_dwordx4 v[12:15], v[0:1] offset:8
	s_nop 0
	flat_load_dwordx2 v[10:11], v[0:1] offset:32
	s_waitcnt vmcnt(0) lgkmcnt(0)
	flat_load_dwordx4 v[6:9], v[12:13] offset:48
	flat_load_dwordx4 v[2:5], v[14:15] offset:112
	s_waitcnt vmcnt(0) lgkmcnt(0)
	v_cmp_gt_i16_sdwa s[6:7], v6, s4 src0_sel:BYTE_0 src1_sel:DWORD
	s_mov_b64 s[4:5], 0
	s_and_saveexec_b64 s[8:9], s[6:7]
	s_xor_b64 s[6:7], exec, s[8:9]
	s_cbranch_execnz .LBB15_2945
; %bb.897:
	s_or_saveexec_b64 s[6:7], s[6:7]
	v_mov_b32_e32 v12, s10
	s_xor_b64 exec, exec, s[6:7]
	s_cbranch_execnz .LBB15_2948
.LBB15_898:
	s_or_b64 exec, exec, s[6:7]
	s_and_saveexec_b64 s[6:7], s[4:5]
	s_cbranch_execz .LBB15_900
.LBB15_899:
	v_and_b32_e32 v12, 7, v6
	v_ffbh_u32_e32 v14, v12
	v_min_u32_e32 v14, 32, v14
	v_lshrrev_b16_e32 v13, 3, v6
	v_subrev_u32_e32 v15, 28, v14
	v_and_b32_e32 v13, 15, v13
	v_lshlrev_b32_e32 v15, v15, v6
	v_sub_u32_e32 v14, 29, v14
	v_and_b32_e32 v15, 7, v15
	v_cmp_eq_u16_e32 vcc, 0, v13
	v_cndmask_b32_e32 v12, v12, v15, vcc
	v_cndmask_b32_e32 v13, v13, v14, vcc
	v_lshlrev_b32_e32 v14, 24, v6
	v_mov_b32_e32 v15, 0x3b800000
	v_lshlrev_b32_e32 v12, 20, v12
	v_and_b32_e32 v14, 0x80000000, v14
	v_lshl_add_u32 v13, v13, 23, v15
	v_or3_b32 v12, v14, v13, v12
.LBB15_900:
	s_or_b64 exec, exec, s[6:7]
	s_movk_i32 s4, 0x7f
	v_cmp_gt_i16_sdwa s[6:7], v2, s4 src0_sel:BYTE_0 src1_sel:DWORD
	s_mov_b64 s[4:5], 0
                                        ; implicit-def: $sgpr10
	s_and_saveexec_b64 s[8:9], s[6:7]
	s_xor_b64 s[6:7], exec, s[8:9]
	s_cbranch_execnz .LBB15_2949
; %bb.901:
	s_or_saveexec_b64 s[6:7], s[6:7]
	v_mov_b32_e32 v13, s10
	s_xor_b64 exec, exec, s[6:7]
	s_cbranch_execnz .LBB15_2952
.LBB15_902:
	s_or_b64 exec, exec, s[6:7]
	s_and_saveexec_b64 s[6:7], s[4:5]
	s_cbranch_execz .LBB15_904
.LBB15_903:
	v_and_b32_e32 v13, 7, v2
	v_ffbh_u32_e32 v15, v13
	v_min_u32_e32 v15, 32, v15
	v_lshrrev_b16_e32 v14, 3, v2
	v_subrev_u32_e32 v16, 28, v15
	v_and_b32_e32 v14, 15, v14
	v_lshlrev_b32_e32 v16, v16, v2
	v_sub_u32_e32 v15, 29, v15
	v_and_b32_e32 v16, 7, v16
	v_cmp_eq_u16_e32 vcc, 0, v14
	v_cndmask_b32_e32 v13, v13, v16, vcc
	v_cndmask_b32_e32 v14, v14, v15, vcc
	v_lshlrev_b32_e32 v15, 24, v2
	v_mov_b32_e32 v16, 0x3b800000
	v_lshlrev_b32_e32 v13, 20, v13
	v_and_b32_e32 v15, 0x80000000, v15
	v_lshl_add_u32 v14, v14, 23, v16
	v_or3_b32 v13, v15, v14, v13
.LBB15_904:
	s_or_b64 exec, exec, s[6:7]
	flat_load_dwordx4 a[0:3], v[10:11] offset:112
	s_movk_i32 s4, 0x7f
                                        ; implicit-def: $sgpr10
	s_waitcnt vmcnt(0) lgkmcnt(0)
	v_mfma_f32_16x16x4f32 a[0:3], v12, v13, a[0:3]
	v_lshrrev_b32_e32 v13, 8, v6
	v_cmp_gt_i16_sdwa s[6:7], v13, s4 src0_sel:BYTE_0 src1_sel:DWORD
	s_mov_b64 s[4:5], 0
	s_and_saveexec_b64 s[8:9], s[6:7]
	s_xor_b64 s[6:7], exec, s[8:9]
	s_cbranch_execnz .LBB15_2953
; %bb.905:
	s_or_saveexec_b64 s[6:7], s[6:7]
	v_mov_b32_e32 v12, s10
	s_xor_b64 exec, exec, s[6:7]
	s_cbranch_execnz .LBB15_2956
.LBB15_906:
	s_or_b64 exec, exec, s[6:7]
	s_and_saveexec_b64 s[6:7], s[4:5]
	s_cbranch_execz .LBB15_908
.LBB15_907:
	v_bfe_u32 v12, v6, 8, 3
	v_ffbh_u32_e32 v15, v12
	v_min_u32_e32 v15, 32, v15
	v_lshrrev_b16_e32 v14, 3, v13
	v_subrev_u32_e32 v16, 28, v15
	v_and_b32_e32 v14, 15, v14
	v_lshlrev_b32_e32 v13, v16, v13
	v_sub_u32_e32 v15, 29, v15
	v_and_b32_e32 v13, 7, v13
	v_cmp_eq_u16_e32 vcc, 0, v14
	v_cndmask_b32_e32 v12, v12, v13, vcc
	v_cndmask_b32_e32 v13, v14, v15, vcc
	v_lshlrev_b32_e32 v14, 16, v6
	v_mov_b32_e32 v15, 0x3b800000
	v_lshlrev_b32_e32 v12, 20, v12
	v_and_b32_e32 v14, 0x80000000, v14
	v_lshl_add_u32 v13, v13, 23, v15
	v_or3_b32 v12, v14, v13, v12
.LBB15_908:
	s_or_b64 exec, exec, s[6:7]
	v_lshrrev_b32_e32 v13, 8, v2
	s_movk_i32 s4, 0x7f
	v_cmp_gt_i16_sdwa s[6:7], v13, s4 src0_sel:BYTE_0 src1_sel:DWORD
	s_mov_b64 s[4:5], 0
                                        ; implicit-def: $sgpr10
	s_and_saveexec_b64 s[8:9], s[6:7]
	s_xor_b64 s[6:7], exec, s[8:9]
	s_cbranch_execnz .LBB15_2957
; %bb.909:
	s_or_saveexec_b64 s[6:7], s[6:7]
	v_mov_b32_e32 v14, s10
	s_xor_b64 exec, exec, s[6:7]
	s_cbranch_execnz .LBB15_2960
.LBB15_910:
	s_or_b64 exec, exec, s[6:7]
	s_and_saveexec_b64 s[6:7], s[4:5]
	s_cbranch_execz .LBB15_912
.LBB15_911:
	v_bfe_u32 v14, v2, 8, 3
	v_ffbh_u32_e32 v16, v14
	v_min_u32_e32 v16, 32, v16
	v_lshrrev_b16_e32 v15, 3, v13
	v_subrev_u32_e32 v17, 28, v16
	v_and_b32_e32 v15, 15, v15
	v_lshlrev_b32_e32 v13, v17, v13
	v_sub_u32_e32 v16, 29, v16
	v_and_b32_e32 v13, 7, v13
	v_cmp_eq_u16_e32 vcc, 0, v15
	v_cndmask_b32_e32 v13, v14, v13, vcc
	v_cndmask_b32_e32 v14, v15, v16, vcc
	v_lshlrev_b32_e32 v15, 16, v2
	v_mov_b32_e32 v16, 0x3b800000
	v_lshlrev_b32_e32 v13, 20, v13
	v_and_b32_e32 v15, 0x80000000, v15
	v_lshl_add_u32 v14, v14, 23, v16
	v_or3_b32 v14, v15, v14, v13
.LBB15_912:
	s_or_b64 exec, exec, s[6:7]
	s_nop 0
	v_mfma_f32_16x16x4f32 a[0:3], v12, v14, a[0:3]
	s_movk_i32 s4, 0xff
	v_and_b32_sdwa v13, v6, s4 dst_sel:DWORD dst_unused:UNUSED_PAD src0_sel:WORD_1 src1_sel:DWORD
	s_movk_i32 s4, 0x7f
	v_cmp_lt_i16_e32 vcc, s4, v13
	s_mov_b64 s[4:5], 0
                                        ; implicit-def: $sgpr10
	s_and_saveexec_b64 s[6:7], vcc
	s_xor_b64 s[6:7], exec, s[6:7]
	s_cbranch_execnz .LBB15_2961
; %bb.913:
	s_or_saveexec_b64 s[6:7], s[6:7]
	v_mov_b32_e32 v12, s10
	s_xor_b64 exec, exec, s[6:7]
	s_cbranch_execnz .LBB15_2964
.LBB15_914:
	s_or_b64 exec, exec, s[6:7]
	s_and_saveexec_b64 s[6:7], s[4:5]
	s_cbranch_execz .LBB15_916
.LBB15_915:
	v_bfe_u32 v12, v6, 16, 3
	v_ffbh_u32_e32 v15, v12
	v_min_u32_e32 v15, 32, v15
	v_lshrrev_b32_e32 v13, 19, v6
	v_subrev_u32_e32 v16, 28, v15
	v_and_b32_e32 v13, 15, v13
	v_lshlrev_b32_sdwa v16, v16, v6 dst_sel:DWORD dst_unused:UNUSED_PAD src0_sel:DWORD src1_sel:WORD_1
	v_bfe_u32 v14, v6, 19, 4
	v_sub_u32_e32 v15, 29, v15
	v_and_b32_e32 v16, 7, v16
	v_cmp_eq_u16_e32 vcc, 0, v13
	v_cndmask_b32_e32 v12, v12, v16, vcc
	v_cndmask_b32_e32 v13, v14, v15, vcc
	v_lshlrev_b32_e32 v14, 8, v6
	v_mov_b32_e32 v15, 0x3b800000
	v_lshlrev_b32_e32 v12, 20, v12
	v_and_b32_e32 v14, 0x80000000, v14
	v_lshl_add_u32 v13, v13, 23, v15
	v_or3_b32 v12, v14, v13, v12
.LBB15_916:
	s_or_b64 exec, exec, s[6:7]
	s_movk_i32 s4, 0xff
	v_and_b32_sdwa v13, v2, s4 dst_sel:DWORD dst_unused:UNUSED_PAD src0_sel:WORD_1 src1_sel:DWORD
	s_movk_i32 s4, 0x7f
	v_cmp_lt_i16_e32 vcc, s4, v13
	s_mov_b64 s[4:5], 0
                                        ; implicit-def: $sgpr10
	s_and_saveexec_b64 s[6:7], vcc
	s_xor_b64 s[6:7], exec, s[6:7]
	s_cbranch_execnz .LBB15_2965
; %bb.917:
	s_or_saveexec_b64 s[6:7], s[6:7]
	v_mov_b32_e32 v14, s10
	s_xor_b64 exec, exec, s[6:7]
	s_cbranch_execnz .LBB15_2968
.LBB15_918:
	s_or_b64 exec, exec, s[6:7]
	s_and_saveexec_b64 s[6:7], s[4:5]
	s_cbranch_execz .LBB15_920
.LBB15_919:
	v_bfe_u32 v13, v2, 16, 3
	v_ffbh_u32_e32 v16, v13
	v_min_u32_e32 v16, 32, v16
	v_lshrrev_b32_e32 v14, 19, v2
	v_subrev_u32_e32 v17, 28, v16
	v_and_b32_e32 v14, 15, v14
	v_lshlrev_b32_sdwa v17, v17, v2 dst_sel:DWORD dst_unused:UNUSED_PAD src0_sel:DWORD src1_sel:WORD_1
	v_bfe_u32 v15, v2, 19, 4
	v_sub_u32_e32 v16, 29, v16
	v_and_b32_e32 v17, 7, v17
	v_cmp_eq_u16_e32 vcc, 0, v14
	v_cndmask_b32_e32 v13, v13, v17, vcc
	v_cndmask_b32_e32 v14, v15, v16, vcc
	v_lshlrev_b32_e32 v15, 8, v2
	v_mov_b32_e32 v16, 0x3b800000
	v_lshlrev_b32_e32 v13, 20, v13
	v_and_b32_e32 v15, 0x80000000, v15
	v_lshl_add_u32 v14, v14, 23, v16
	v_or3_b32 v14, v15, v14, v13
.LBB15_920:
	s_or_b64 exec, exec, s[6:7]
	s_nop 0
	v_mfma_f32_16x16x4f32 a[0:3], v12, v14, a[0:3]
	s_movk_i32 s4, 0x7f
	v_cmp_gt_i16_sdwa s[6:7], v6, s4 src0_sel:BYTE_3 src1_sel:DWORD
	s_mov_b64 s[4:5], 0
                                        ; implicit-def: $sgpr10
	s_and_saveexec_b64 s[8:9], s[6:7]
	s_xor_b64 s[6:7], exec, s[8:9]
	s_cbranch_execnz .LBB15_2969
; %bb.921:
	s_or_saveexec_b64 s[6:7], s[6:7]
	v_mov_b32_e32 v12, s10
	s_xor_b64 exec, exec, s[6:7]
	s_cbranch_execnz .LBB15_2972
.LBB15_922:
	s_or_b64 exec, exec, s[6:7]
	s_and_saveexec_b64 s[6:7], s[4:5]
	s_cbranch_execz .LBB15_924
.LBB15_923:
	v_bfe_u32 v12, v6, 24, 3
	v_ffbh_u32_e32 v16, v12
	v_min_u32_e32 v16, 32, v16
	v_lshrrev_b32_e32 v14, 27, v6
	v_subrev_u32_e32 v17, 28, v16
	v_and_b32_e32 v13, 0x80000000, v6
	v_and_b32_e32 v14, 15, v14
	v_bfe_u32 v15, v6, 27, 4
	v_lshlrev_b32_sdwa v6, v17, v6 dst_sel:DWORD dst_unused:UNUSED_PAD src0_sel:DWORD src1_sel:BYTE_3
	v_sub_u32_e32 v16, 29, v16
	v_and_b32_e32 v6, 7, v6
	v_cmp_eq_u16_e32 vcc, 0, v14
	v_cndmask_b32_e32 v6, v12, v6, vcc
	v_cndmask_b32_e32 v12, v15, v16, vcc
	v_mov_b32_e32 v14, 0x3b800000
	v_lshlrev_b32_e32 v6, 20, v6
	v_lshl_add_u32 v12, v12, 23, v14
	v_or3_b32 v12, v13, v12, v6
.LBB15_924:
	s_or_b64 exec, exec, s[6:7]
	s_movk_i32 s4, 0x7f
	v_cmp_gt_i16_sdwa s[6:7], v2, s4 src0_sel:BYTE_3 src1_sel:DWORD
	s_mov_b64 s[4:5], 0
                                        ; implicit-def: $sgpr10
	s_and_saveexec_b64 s[8:9], s[6:7]
	s_xor_b64 s[6:7], exec, s[8:9]
	s_cbranch_execnz .LBB15_2973
; %bb.925:
	s_or_saveexec_b64 s[6:7], s[6:7]
	v_mov_b32_e32 v6, s10
	s_xor_b64 exec, exec, s[6:7]
	s_cbranch_execnz .LBB15_2976
.LBB15_926:
	s_or_b64 exec, exec, s[6:7]
	s_and_saveexec_b64 s[6:7], s[4:5]
	s_cbranch_execz .LBB15_928
.LBB15_927:
	v_bfe_u32 v6, v2, 24, 3
	v_ffbh_u32_e32 v16, v6
	v_min_u32_e32 v16, 32, v16
	v_lshrrev_b32_e32 v14, 27, v2
	v_subrev_u32_e32 v17, 28, v16
	v_and_b32_e32 v13, 0x80000000, v2
	v_and_b32_e32 v14, 15, v14
	v_bfe_u32 v15, v2, 27, 4
	v_lshlrev_b32_sdwa v2, v17, v2 dst_sel:DWORD dst_unused:UNUSED_PAD src0_sel:DWORD src1_sel:BYTE_3
	v_sub_u32_e32 v16, 29, v16
	v_and_b32_e32 v2, 7, v2
	v_cmp_eq_u16_e32 vcc, 0, v14
	v_cndmask_b32_e32 v2, v6, v2, vcc
	v_cndmask_b32_e32 v6, v15, v16, vcc
	v_mov_b32_e32 v14, 0x3b800000
	v_lshlrev_b32_e32 v2, 20, v2
	v_lshl_add_u32 v6, v6, 23, v14
	v_or3_b32 v6, v13, v6, v2
.LBB15_928:
	s_or_b64 exec, exec, s[6:7]
	s_nop 0
	v_mfma_f32_16x16x4f32 a[0:3], v12, v6, a[0:3]
	s_movk_i32 s4, 0x7f
	v_cmp_gt_i16_sdwa s[6:7], v7, s4 src0_sel:BYTE_0 src1_sel:DWORD
	s_mov_b64 s[4:5], 0
                                        ; implicit-def: $sgpr10
	s_and_saveexec_b64 s[8:9], s[6:7]
	s_xor_b64 s[6:7], exec, s[8:9]
	s_cbranch_execnz .LBB15_2977
; %bb.929:
	s_or_saveexec_b64 s[6:7], s[6:7]
	v_mov_b32_e32 v2, s10
	s_xor_b64 exec, exec, s[6:7]
	s_cbranch_execnz .LBB15_2980
.LBB15_930:
	s_or_b64 exec, exec, s[6:7]
	s_and_saveexec_b64 s[6:7], s[4:5]
	s_cbranch_execz .LBB15_932
.LBB15_931:
	v_and_b32_e32 v2, 7, v7
	v_ffbh_u32_e32 v12, v2
	v_min_u32_e32 v12, 32, v12
	v_lshrrev_b16_e32 v6, 3, v7
	v_subrev_u32_e32 v13, 28, v12
	v_and_b32_e32 v6, 15, v6
	v_lshlrev_b32_e32 v13, v13, v7
	v_sub_u32_e32 v12, 29, v12
	v_and_b32_e32 v13, 7, v13
	v_cmp_eq_u16_e32 vcc, 0, v6
	v_cndmask_b32_e32 v2, v2, v13, vcc
	v_cndmask_b32_e32 v6, v6, v12, vcc
	v_lshlrev_b32_e32 v12, 24, v7
	v_mov_b32_e32 v13, 0x3b800000
	v_lshlrev_b32_e32 v2, 20, v2
	v_and_b32_e32 v12, 0x80000000, v12
	v_lshl_add_u32 v6, v6, 23, v13
	v_or3_b32 v2, v12, v6, v2
.LBB15_932:
	s_or_b64 exec, exec, s[6:7]
	s_movk_i32 s4, 0x7f
	v_cmp_gt_i16_sdwa s[6:7], v3, s4 src0_sel:BYTE_0 src1_sel:DWORD
	s_mov_b64 s[4:5], 0
                                        ; implicit-def: $sgpr10
	s_and_saveexec_b64 s[8:9], s[6:7]
	s_xor_b64 s[6:7], exec, s[8:9]
	s_cbranch_execnz .LBB15_2981
; %bb.933:
	s_or_saveexec_b64 s[6:7], s[6:7]
	v_mov_b32_e32 v6, s10
	s_xor_b64 exec, exec, s[6:7]
	s_cbranch_execnz .LBB15_2984
.LBB15_934:
	s_or_b64 exec, exec, s[6:7]
	s_and_saveexec_b64 s[6:7], s[4:5]
	s_cbranch_execz .LBB15_936
.LBB15_935:
	v_and_b32_e32 v6, 7, v3
	v_ffbh_u32_e32 v13, v6
	v_min_u32_e32 v13, 32, v13
	v_lshrrev_b16_e32 v12, 3, v3
	v_subrev_u32_e32 v14, 28, v13
	v_and_b32_e32 v12, 15, v12
	v_lshlrev_b32_e32 v14, v14, v3
	v_sub_u32_e32 v13, 29, v13
	v_and_b32_e32 v14, 7, v14
	v_cmp_eq_u16_e32 vcc, 0, v12
	v_cndmask_b32_e32 v6, v6, v14, vcc
	v_cndmask_b32_e32 v12, v12, v13, vcc
	v_lshlrev_b32_e32 v13, 24, v3
	v_mov_b32_e32 v14, 0x3b800000
	v_lshlrev_b32_e32 v6, 20, v6
	v_and_b32_e32 v13, 0x80000000, v13
	v_lshl_add_u32 v12, v12, 23, v14
	v_or3_b32 v6, v13, v12, v6
.LBB15_936:
	s_or_b64 exec, exec, s[6:7]
	s_nop 0
	v_mfma_f32_16x16x4f32 a[0:3], v2, v6, a[0:3]
	v_lshrrev_b32_e32 v6, 8, v7
	s_movk_i32 s4, 0x7f
	v_cmp_gt_i16_sdwa s[6:7], v6, s4 src0_sel:BYTE_0 src1_sel:DWORD
	s_mov_b64 s[4:5], 0
                                        ; implicit-def: $sgpr10
	s_and_saveexec_b64 s[8:9], s[6:7]
	s_xor_b64 s[6:7], exec, s[8:9]
	s_cbranch_execnz .LBB15_2985
; %bb.937:
	s_or_saveexec_b64 s[6:7], s[6:7]
	v_mov_b32_e32 v2, s10
	s_xor_b64 exec, exec, s[6:7]
	s_cbranch_execnz .LBB15_2988
.LBB15_938:
	s_or_b64 exec, exec, s[6:7]
	s_and_saveexec_b64 s[6:7], s[4:5]
	s_cbranch_execz .LBB15_940
.LBB15_939:
	v_bfe_u32 v2, v7, 8, 3
	v_ffbh_u32_e32 v13, v2
	v_min_u32_e32 v13, 32, v13
	v_lshrrev_b16_e32 v12, 3, v6
	v_subrev_u32_e32 v14, 28, v13
	v_and_b32_e32 v12, 15, v12
	v_lshlrev_b32_e32 v6, v14, v6
	v_sub_u32_e32 v13, 29, v13
	v_and_b32_e32 v6, 7, v6
	v_cmp_eq_u16_e32 vcc, 0, v12
	v_cndmask_b32_e32 v2, v2, v6, vcc
	v_cndmask_b32_e32 v6, v12, v13, vcc
	v_lshlrev_b32_e32 v12, 16, v7
	v_mov_b32_e32 v13, 0x3b800000
	v_lshlrev_b32_e32 v2, 20, v2
	v_and_b32_e32 v12, 0x80000000, v12
	v_lshl_add_u32 v6, v6, 23, v13
	v_or3_b32 v2, v12, v6, v2
.LBB15_940:
	s_or_b64 exec, exec, s[6:7]
	v_lshrrev_b32_e32 v6, 8, v3
	s_movk_i32 s4, 0x7f
	v_cmp_gt_i16_sdwa s[6:7], v6, s4 src0_sel:BYTE_0 src1_sel:DWORD
	s_mov_b64 s[4:5], 0
                                        ; implicit-def: $sgpr10
	s_and_saveexec_b64 s[8:9], s[6:7]
	s_xor_b64 s[6:7], exec, s[8:9]
	s_cbranch_execnz .LBB15_2989
; %bb.941:
	s_or_saveexec_b64 s[6:7], s[6:7]
	v_mov_b32_e32 v12, s10
	s_xor_b64 exec, exec, s[6:7]
	s_cbranch_execnz .LBB15_2992
.LBB15_942:
	s_or_b64 exec, exec, s[6:7]
	s_and_saveexec_b64 s[6:7], s[4:5]
	s_cbranch_execz .LBB15_944
.LBB15_943:
	v_bfe_u32 v12, v3, 8, 3
	v_ffbh_u32_e32 v14, v12
	v_min_u32_e32 v14, 32, v14
	v_lshrrev_b16_e32 v13, 3, v6
	v_subrev_u32_e32 v15, 28, v14
	v_and_b32_e32 v13, 15, v13
	v_lshlrev_b32_e32 v6, v15, v6
	v_sub_u32_e32 v14, 29, v14
	v_and_b32_e32 v6, 7, v6
	v_cmp_eq_u16_e32 vcc, 0, v13
	v_cndmask_b32_e32 v6, v12, v6, vcc
	v_cndmask_b32_e32 v12, v13, v14, vcc
	v_lshlrev_b32_e32 v13, 16, v3
	v_mov_b32_e32 v14, 0x3b800000
	v_lshlrev_b32_e32 v6, 20, v6
	v_and_b32_e32 v13, 0x80000000, v13
	v_lshl_add_u32 v12, v12, 23, v14
	v_or3_b32 v12, v13, v12, v6
.LBB15_944:
	s_or_b64 exec, exec, s[6:7]
	s_nop 0
	v_mfma_f32_16x16x4f32 a[0:3], v2, v12, a[0:3]
	s_movk_i32 s4, 0xff
	v_and_b32_sdwa v6, v7, s4 dst_sel:DWORD dst_unused:UNUSED_PAD src0_sel:WORD_1 src1_sel:DWORD
	s_movk_i32 s4, 0x7f
	v_cmp_lt_i16_e32 vcc, s4, v6
	s_mov_b64 s[4:5], 0
                                        ; implicit-def: $sgpr10
	s_and_saveexec_b64 s[6:7], vcc
	s_xor_b64 s[6:7], exec, s[6:7]
	s_cbranch_execnz .LBB15_2993
; %bb.945:
	s_or_saveexec_b64 s[6:7], s[6:7]
	v_mov_b32_e32 v2, s10
	s_xor_b64 exec, exec, s[6:7]
	s_cbranch_execnz .LBB15_2996
.LBB15_946:
	s_or_b64 exec, exec, s[6:7]
	s_and_saveexec_b64 s[6:7], s[4:5]
	s_cbranch_execz .LBB15_948
.LBB15_947:
	v_bfe_u32 v2, v7, 16, 3
	v_ffbh_u32_e32 v13, v2
	v_min_u32_e32 v13, 32, v13
	v_lshrrev_b32_e32 v6, 19, v7
	v_subrev_u32_e32 v14, 28, v13
	v_and_b32_e32 v6, 15, v6
	v_lshlrev_b32_sdwa v14, v14, v7 dst_sel:DWORD dst_unused:UNUSED_PAD src0_sel:DWORD src1_sel:WORD_1
	v_bfe_u32 v12, v7, 19, 4
	v_sub_u32_e32 v13, 29, v13
	v_and_b32_e32 v14, 7, v14
	v_cmp_eq_u16_e32 vcc, 0, v6
	v_cndmask_b32_e32 v2, v2, v14, vcc
	v_cndmask_b32_e32 v6, v12, v13, vcc
	v_lshlrev_b32_e32 v12, 8, v7
	v_mov_b32_e32 v13, 0x3b800000
	v_lshlrev_b32_e32 v2, 20, v2
	v_and_b32_e32 v12, 0x80000000, v12
	v_lshl_add_u32 v6, v6, 23, v13
	v_or3_b32 v2, v12, v6, v2
.LBB15_948:
	s_or_b64 exec, exec, s[6:7]
	s_movk_i32 s4, 0xff
	v_and_b32_sdwa v6, v3, s4 dst_sel:DWORD dst_unused:UNUSED_PAD src0_sel:WORD_1 src1_sel:DWORD
	s_movk_i32 s4, 0x7f
	v_cmp_lt_i16_e32 vcc, s4, v6
	s_mov_b64 s[4:5], 0
                                        ; implicit-def: $sgpr10
	s_and_saveexec_b64 s[6:7], vcc
	s_xor_b64 s[6:7], exec, s[6:7]
	s_cbranch_execnz .LBB15_2997
; %bb.949:
	s_or_saveexec_b64 s[6:7], s[6:7]
	v_mov_b32_e32 v12, s10
	s_xor_b64 exec, exec, s[6:7]
	s_cbranch_execnz .LBB15_3000
.LBB15_950:
	s_or_b64 exec, exec, s[6:7]
	s_and_saveexec_b64 s[6:7], s[4:5]
	s_cbranch_execz .LBB15_952
.LBB15_951:
	v_bfe_u32 v6, v3, 16, 3
	v_ffbh_u32_e32 v14, v6
	v_min_u32_e32 v14, 32, v14
	v_lshrrev_b32_e32 v12, 19, v3
	v_subrev_u32_e32 v15, 28, v14
	v_and_b32_e32 v12, 15, v12
	v_lshlrev_b32_sdwa v15, v15, v3 dst_sel:DWORD dst_unused:UNUSED_PAD src0_sel:DWORD src1_sel:WORD_1
	v_bfe_u32 v13, v3, 19, 4
	v_sub_u32_e32 v14, 29, v14
	v_and_b32_e32 v15, 7, v15
	v_cmp_eq_u16_e32 vcc, 0, v12
	v_cndmask_b32_e32 v6, v6, v15, vcc
	v_cndmask_b32_e32 v12, v13, v14, vcc
	v_lshlrev_b32_e32 v13, 8, v3
	v_mov_b32_e32 v14, 0x3b800000
	v_lshlrev_b32_e32 v6, 20, v6
	v_and_b32_e32 v13, 0x80000000, v13
	v_lshl_add_u32 v12, v12, 23, v14
	v_or3_b32 v12, v13, v12, v6
.LBB15_952:
	s_or_b64 exec, exec, s[6:7]
	s_nop 0
	v_mfma_f32_16x16x4f32 a[0:3], v2, v12, a[0:3]
	s_movk_i32 s4, 0x7f
	v_cmp_gt_i16_sdwa s[6:7], v7, s4 src0_sel:BYTE_3 src1_sel:DWORD
	s_mov_b64 s[4:5], 0
                                        ; implicit-def: $sgpr10
	s_and_saveexec_b64 s[8:9], s[6:7]
	s_xor_b64 s[6:7], exec, s[8:9]
	s_cbranch_execnz .LBB15_3001
; %bb.953:
	s_or_saveexec_b64 s[6:7], s[6:7]
	v_mov_b32_e32 v2, s10
	s_xor_b64 exec, exec, s[6:7]
	s_cbranch_execnz .LBB15_3004
.LBB15_954:
	s_or_b64 exec, exec, s[6:7]
	s_and_saveexec_b64 s[6:7], s[4:5]
	s_cbranch_execz .LBB15_956
.LBB15_955:
	v_bfe_u32 v2, v7, 24, 3
	v_ffbh_u32_e32 v14, v2
	v_min_u32_e32 v14, 32, v14
	v_lshrrev_b32_e32 v12, 27, v7
	v_subrev_u32_e32 v15, 28, v14
	v_and_b32_e32 v6, 0x80000000, v7
	v_and_b32_e32 v12, 15, v12
	v_bfe_u32 v13, v7, 27, 4
	v_lshlrev_b32_sdwa v7, v15, v7 dst_sel:DWORD dst_unused:UNUSED_PAD src0_sel:DWORD src1_sel:BYTE_3
	v_sub_u32_e32 v14, 29, v14
	v_and_b32_e32 v7, 7, v7
	v_cmp_eq_u16_e32 vcc, 0, v12
	v_cndmask_b32_e32 v2, v2, v7, vcc
	v_cndmask_b32_e32 v7, v13, v14, vcc
	v_mov_b32_e32 v12, 0x3b800000
	v_lshlrev_b32_e32 v2, 20, v2
	v_lshl_add_u32 v7, v7, 23, v12
	v_or3_b32 v2, v6, v7, v2
.LBB15_956:
	s_or_b64 exec, exec, s[6:7]
	s_movk_i32 s4, 0x7f
	v_cmp_gt_i16_sdwa s[6:7], v3, s4 src0_sel:BYTE_3 src1_sel:DWORD
	s_mov_b64 s[4:5], 0
                                        ; implicit-def: $sgpr10
	s_and_saveexec_b64 s[8:9], s[6:7]
	s_xor_b64 s[6:7], exec, s[8:9]
	s_cbranch_execnz .LBB15_3005
; %bb.957:
	s_or_saveexec_b64 s[6:7], s[6:7]
	v_mov_b32_e32 v6, s10
	s_xor_b64 exec, exec, s[6:7]
	s_cbranch_execnz .LBB15_3008
.LBB15_958:
	s_or_b64 exec, exec, s[6:7]
	s_and_saveexec_b64 s[6:7], s[4:5]
	s_cbranch_execz .LBB15_960
.LBB15_959:
	v_bfe_u32 v6, v3, 24, 3
	v_ffbh_u32_e32 v14, v6
	v_min_u32_e32 v14, 32, v14
	v_lshrrev_b32_e32 v12, 27, v3
	v_subrev_u32_e32 v15, 28, v14
	v_and_b32_e32 v7, 0x80000000, v3
	v_and_b32_e32 v12, 15, v12
	v_bfe_u32 v13, v3, 27, 4
	v_lshlrev_b32_sdwa v3, v15, v3 dst_sel:DWORD dst_unused:UNUSED_PAD src0_sel:DWORD src1_sel:BYTE_3
	v_sub_u32_e32 v14, 29, v14
	v_and_b32_e32 v3, 7, v3
	v_cmp_eq_u16_e32 vcc, 0, v12
	v_cndmask_b32_e32 v3, v6, v3, vcc
	v_cndmask_b32_e32 v6, v13, v14, vcc
	v_mov_b32_e32 v12, 0x3b800000
	v_lshlrev_b32_e32 v3, 20, v3
	v_lshl_add_u32 v6, v6, 23, v12
	v_or3_b32 v6, v7, v6, v3
.LBB15_960:
	s_or_b64 exec, exec, s[6:7]
	s_nop 0
	v_mfma_f32_16x16x4f32 a[0:3], v2, v6, a[0:3]
	s_movk_i32 s4, 0x7f
	v_cmp_gt_i16_sdwa s[6:7], v8, s4 src0_sel:BYTE_0 src1_sel:DWORD
	s_mov_b64 s[4:5], 0
                                        ; implicit-def: $sgpr10
	s_and_saveexec_b64 s[8:9], s[6:7]
	s_xor_b64 s[6:7], exec, s[8:9]
	s_cbranch_execnz .LBB15_3009
; %bb.961:
	s_or_saveexec_b64 s[6:7], s[6:7]
	v_mov_b32_e32 v2, s10
	s_xor_b64 exec, exec, s[6:7]
	s_cbranch_execnz .LBB15_3012
.LBB15_962:
	s_or_b64 exec, exec, s[6:7]
	s_and_saveexec_b64 s[6:7], s[4:5]
	s_cbranch_execz .LBB15_964
.LBB15_963:
	v_and_b32_e32 v2, 7, v8
	v_ffbh_u32_e32 v6, v2
	v_min_u32_e32 v6, 32, v6
	v_lshrrev_b16_e32 v3, 3, v8
	v_subrev_u32_e32 v7, 28, v6
	v_and_b32_e32 v3, 15, v3
	v_lshlrev_b32_e32 v7, v7, v8
	v_sub_u32_e32 v6, 29, v6
	v_and_b32_e32 v7, 7, v7
	v_cmp_eq_u16_e32 vcc, 0, v3
	v_cndmask_b32_e32 v2, v2, v7, vcc
	v_cndmask_b32_e32 v3, v3, v6, vcc
	v_lshlrev_b32_e32 v6, 24, v8
	v_mov_b32_e32 v7, 0x3b800000
	v_lshlrev_b32_e32 v2, 20, v2
	v_and_b32_e32 v6, 0x80000000, v6
	v_lshl_add_u32 v3, v3, 23, v7
	v_or3_b32 v2, v6, v3, v2
.LBB15_964:
	s_or_b64 exec, exec, s[6:7]
	s_movk_i32 s4, 0x7f
	v_cmp_gt_i16_sdwa s[6:7], v4, s4 src0_sel:BYTE_0 src1_sel:DWORD
	s_mov_b64 s[4:5], 0
                                        ; implicit-def: $sgpr10
	s_and_saveexec_b64 s[8:9], s[6:7]
	s_xor_b64 s[6:7], exec, s[8:9]
	s_cbranch_execnz .LBB15_3013
; %bb.965:
	s_or_saveexec_b64 s[6:7], s[6:7]
	v_mov_b32_e32 v3, s10
	s_xor_b64 exec, exec, s[6:7]
	s_cbranch_execnz .LBB15_3016
.LBB15_966:
	s_or_b64 exec, exec, s[6:7]
	s_and_saveexec_b64 s[6:7], s[4:5]
	s_cbranch_execz .LBB15_968
.LBB15_967:
	v_and_b32_e32 v3, 7, v4
	v_ffbh_u32_e32 v7, v3
	v_min_u32_e32 v7, 32, v7
	v_lshrrev_b16_e32 v6, 3, v4
	v_subrev_u32_e32 v12, 28, v7
	v_and_b32_e32 v6, 15, v6
	v_lshlrev_b32_e32 v12, v12, v4
	v_sub_u32_e32 v7, 29, v7
	v_and_b32_e32 v12, 7, v12
	v_cmp_eq_u16_e32 vcc, 0, v6
	v_cndmask_b32_e32 v3, v3, v12, vcc
	v_cndmask_b32_e32 v6, v6, v7, vcc
	v_lshlrev_b32_e32 v7, 24, v4
	v_mov_b32_e32 v12, 0x3b800000
	v_lshlrev_b32_e32 v3, 20, v3
	v_and_b32_e32 v7, 0x80000000, v7
	v_lshl_add_u32 v6, v6, 23, v12
	v_or3_b32 v3, v7, v6, v3
.LBB15_968:
	s_or_b64 exec, exec, s[6:7]
	s_nop 0
	v_mfma_f32_16x16x4f32 a[0:3], v2, v3, a[0:3]
	v_lshrrev_b32_e32 v3, 8, v8
	s_movk_i32 s4, 0x7f
	v_cmp_gt_i16_sdwa s[6:7], v3, s4 src0_sel:BYTE_0 src1_sel:DWORD
	s_mov_b64 s[4:5], 0
                                        ; implicit-def: $sgpr10
	s_and_saveexec_b64 s[8:9], s[6:7]
	s_xor_b64 s[6:7], exec, s[8:9]
	s_cbranch_execnz .LBB15_3017
; %bb.969:
	s_or_saveexec_b64 s[6:7], s[6:7]
	v_mov_b32_e32 v2, s10
	s_xor_b64 exec, exec, s[6:7]
	s_cbranch_execnz .LBB15_3020
.LBB15_970:
	s_or_b64 exec, exec, s[6:7]
	s_and_saveexec_b64 s[6:7], s[4:5]
	s_cbranch_execz .LBB15_972
.LBB15_971:
	v_bfe_u32 v2, v8, 8, 3
	v_ffbh_u32_e32 v7, v2
	v_min_u32_e32 v7, 32, v7
	v_lshrrev_b16_e32 v6, 3, v3
	v_subrev_u32_e32 v12, 28, v7
	v_and_b32_e32 v6, 15, v6
	v_lshlrev_b32_e32 v3, v12, v3
	v_sub_u32_e32 v7, 29, v7
	v_and_b32_e32 v3, 7, v3
	v_cmp_eq_u16_e32 vcc, 0, v6
	v_cndmask_b32_e32 v2, v2, v3, vcc
	v_cndmask_b32_e32 v3, v6, v7, vcc
	v_lshlrev_b32_e32 v6, 16, v8
	v_mov_b32_e32 v7, 0x3b800000
	v_lshlrev_b32_e32 v2, 20, v2
	v_and_b32_e32 v6, 0x80000000, v6
	v_lshl_add_u32 v3, v3, 23, v7
	v_or3_b32 v2, v6, v3, v2
.LBB15_972:
	s_or_b64 exec, exec, s[6:7]
	v_lshrrev_b32_e32 v3, 8, v4
	s_movk_i32 s4, 0x7f
	v_cmp_gt_i16_sdwa s[6:7], v3, s4 src0_sel:BYTE_0 src1_sel:DWORD
	s_mov_b64 s[4:5], 0
                                        ; implicit-def: $sgpr10
	s_and_saveexec_b64 s[8:9], s[6:7]
	s_xor_b64 s[6:7], exec, s[8:9]
	s_cbranch_execnz .LBB15_3021
; %bb.973:
	s_or_saveexec_b64 s[6:7], s[6:7]
	v_mov_b32_e32 v6, s10
	s_xor_b64 exec, exec, s[6:7]
	s_cbranch_execnz .LBB15_3024
.LBB15_974:
	s_or_b64 exec, exec, s[6:7]
	s_and_saveexec_b64 s[6:7], s[4:5]
	s_cbranch_execz .LBB15_976
.LBB15_975:
	v_bfe_u32 v6, v4, 8, 3
	v_ffbh_u32_e32 v12, v6
	v_min_u32_e32 v12, 32, v12
	v_lshrrev_b16_e32 v7, 3, v3
	v_subrev_u32_e32 v13, 28, v12
	v_and_b32_e32 v7, 15, v7
	v_lshlrev_b32_e32 v3, v13, v3
	v_sub_u32_e32 v12, 29, v12
	v_and_b32_e32 v3, 7, v3
	v_cmp_eq_u16_e32 vcc, 0, v7
	v_cndmask_b32_e32 v3, v6, v3, vcc
	v_cndmask_b32_e32 v6, v7, v12, vcc
	v_lshlrev_b32_e32 v7, 16, v4
	v_mov_b32_e32 v12, 0x3b800000
	v_lshlrev_b32_e32 v3, 20, v3
	v_and_b32_e32 v7, 0x80000000, v7
	v_lshl_add_u32 v6, v6, 23, v12
	v_or3_b32 v6, v7, v6, v3
.LBB15_976:
	s_or_b64 exec, exec, s[6:7]
	s_nop 0
	v_mfma_f32_16x16x4f32 a[0:3], v2, v6, a[0:3]
	s_movk_i32 s4, 0xff
	v_and_b32_sdwa v3, v8, s4 dst_sel:DWORD dst_unused:UNUSED_PAD src0_sel:WORD_1 src1_sel:DWORD
	s_movk_i32 s4, 0x7f
	v_cmp_lt_i16_e32 vcc, s4, v3
	s_mov_b64 s[4:5], 0
                                        ; implicit-def: $sgpr10
	s_and_saveexec_b64 s[6:7], vcc
	s_xor_b64 s[6:7], exec, s[6:7]
	s_cbranch_execnz .LBB15_3025
; %bb.977:
	s_or_saveexec_b64 s[6:7], s[6:7]
	v_mov_b32_e32 v2, s10
	s_xor_b64 exec, exec, s[6:7]
	s_cbranch_execnz .LBB15_3028
.LBB15_978:
	s_or_b64 exec, exec, s[6:7]
	s_and_saveexec_b64 s[6:7], s[4:5]
	s_cbranch_execz .LBB15_980
.LBB15_979:
	v_bfe_u32 v2, v8, 16, 3
	v_ffbh_u32_e32 v7, v2
	v_min_u32_e32 v7, 32, v7
	v_lshrrev_b32_e32 v3, 19, v8
	v_subrev_u32_e32 v12, 28, v7
	v_and_b32_e32 v3, 15, v3
	v_lshlrev_b32_sdwa v12, v12, v8 dst_sel:DWORD dst_unused:UNUSED_PAD src0_sel:DWORD src1_sel:WORD_1
	v_bfe_u32 v6, v8, 19, 4
	v_sub_u32_e32 v7, 29, v7
	v_and_b32_e32 v12, 7, v12
	v_cmp_eq_u16_e32 vcc, 0, v3
	v_cndmask_b32_e32 v2, v2, v12, vcc
	v_cndmask_b32_e32 v3, v6, v7, vcc
	v_lshlrev_b32_e32 v6, 8, v8
	v_mov_b32_e32 v7, 0x3b800000
	v_lshlrev_b32_e32 v2, 20, v2
	v_and_b32_e32 v6, 0x80000000, v6
	v_lshl_add_u32 v3, v3, 23, v7
	v_or3_b32 v2, v6, v3, v2
.LBB15_980:
	s_or_b64 exec, exec, s[6:7]
	s_movk_i32 s4, 0xff
	v_and_b32_sdwa v3, v4, s4 dst_sel:DWORD dst_unused:UNUSED_PAD src0_sel:WORD_1 src1_sel:DWORD
	s_movk_i32 s4, 0x7f
	v_cmp_lt_i16_e32 vcc, s4, v3
	s_mov_b64 s[4:5], 0
                                        ; implicit-def: $sgpr10
	s_and_saveexec_b64 s[6:7], vcc
	s_xor_b64 s[6:7], exec, s[6:7]
	s_cbranch_execnz .LBB15_3029
; %bb.981:
	s_or_saveexec_b64 s[6:7], s[6:7]
	v_mov_b32_e32 v6, s10
	s_xor_b64 exec, exec, s[6:7]
	s_cbranch_execnz .LBB15_3032
.LBB15_982:
	s_or_b64 exec, exec, s[6:7]
	s_and_saveexec_b64 s[6:7], s[4:5]
	s_cbranch_execz .LBB15_984
.LBB15_983:
	v_bfe_u32 v3, v4, 16, 3
	v_ffbh_u32_e32 v12, v3
	v_min_u32_e32 v12, 32, v12
	v_lshrrev_b32_e32 v6, 19, v4
	v_subrev_u32_e32 v13, 28, v12
	v_and_b32_e32 v6, 15, v6
	v_lshlrev_b32_sdwa v13, v13, v4 dst_sel:DWORD dst_unused:UNUSED_PAD src0_sel:DWORD src1_sel:WORD_1
	v_bfe_u32 v7, v4, 19, 4
	v_sub_u32_e32 v12, 29, v12
	v_and_b32_e32 v13, 7, v13
	v_cmp_eq_u16_e32 vcc, 0, v6
	v_cndmask_b32_e32 v3, v3, v13, vcc
	v_cndmask_b32_e32 v6, v7, v12, vcc
	v_lshlrev_b32_e32 v7, 8, v4
	v_mov_b32_e32 v12, 0x3b800000
	v_lshlrev_b32_e32 v3, 20, v3
	v_and_b32_e32 v7, 0x80000000, v7
	v_lshl_add_u32 v6, v6, 23, v12
	v_or3_b32 v6, v7, v6, v3
.LBB15_984:
	s_or_b64 exec, exec, s[6:7]
	s_nop 0
	v_mfma_f32_16x16x4f32 a[0:3], v2, v6, a[0:3]
	s_movk_i32 s4, 0x7f
	v_cmp_gt_i16_sdwa s[6:7], v8, s4 src0_sel:BYTE_3 src1_sel:DWORD
	s_mov_b64 s[4:5], 0
                                        ; implicit-def: $sgpr10
	s_and_saveexec_b64 s[8:9], s[6:7]
	s_xor_b64 s[6:7], exec, s[8:9]
	s_cbranch_execnz .LBB15_3033
; %bb.985:
	s_or_saveexec_b64 s[6:7], s[6:7]
	v_mov_b32_e32 v2, s10
	s_xor_b64 exec, exec, s[6:7]
	s_cbranch_execnz .LBB15_3036
.LBB15_986:
	s_or_b64 exec, exec, s[6:7]
	s_and_saveexec_b64 s[6:7], s[4:5]
	s_cbranch_execz .LBB15_988
.LBB15_987:
	v_bfe_u32 v2, v8, 24, 3
	v_ffbh_u32_e32 v12, v2
	v_min_u32_e32 v12, 32, v12
	v_lshrrev_b32_e32 v6, 27, v8
	v_subrev_u32_e32 v13, 28, v12
	v_and_b32_e32 v3, 0x80000000, v8
	v_and_b32_e32 v6, 15, v6
	v_bfe_u32 v7, v8, 27, 4
	v_lshlrev_b32_sdwa v8, v13, v8 dst_sel:DWORD dst_unused:UNUSED_PAD src0_sel:DWORD src1_sel:BYTE_3
	v_sub_u32_e32 v12, 29, v12
	v_and_b32_e32 v8, 7, v8
	v_cmp_eq_u16_e32 vcc, 0, v6
	v_cndmask_b32_e32 v2, v2, v8, vcc
	v_cndmask_b32_e32 v6, v7, v12, vcc
	v_mov_b32_e32 v7, 0x3b800000
	v_lshlrev_b32_e32 v2, 20, v2
	v_lshl_add_u32 v6, v6, 23, v7
	v_or3_b32 v2, v3, v6, v2
.LBB15_988:
	s_or_b64 exec, exec, s[6:7]
	s_movk_i32 s4, 0x7f
	v_cmp_gt_i16_sdwa s[6:7], v4, s4 src0_sel:BYTE_3 src1_sel:DWORD
	s_mov_b64 s[4:5], 0
                                        ; implicit-def: $sgpr10
	s_and_saveexec_b64 s[8:9], s[6:7]
	s_xor_b64 s[6:7], exec, s[8:9]
	s_cbranch_execnz .LBB15_3037
; %bb.989:
	s_or_saveexec_b64 s[6:7], s[6:7]
	v_mov_b32_e32 v3, s10
	s_xor_b64 exec, exec, s[6:7]
	s_cbranch_execnz .LBB15_3040
.LBB15_990:
	s_or_b64 exec, exec, s[6:7]
	s_and_saveexec_b64 s[6:7], s[4:5]
	s_cbranch_execz .LBB15_992
.LBB15_991:
	v_bfe_u32 v3, v4, 24, 3
	v_ffbh_u32_e32 v12, v3
	v_min_u32_e32 v12, 32, v12
	v_lshrrev_b32_e32 v7, 27, v4
	v_subrev_u32_e32 v13, 28, v12
	v_and_b32_e32 v6, 0x80000000, v4
	v_and_b32_e32 v7, 15, v7
	v_bfe_u32 v8, v4, 27, 4
	v_lshlrev_b32_sdwa v4, v13, v4 dst_sel:DWORD dst_unused:UNUSED_PAD src0_sel:DWORD src1_sel:BYTE_3
	v_sub_u32_e32 v12, 29, v12
	v_and_b32_e32 v4, 7, v4
	v_cmp_eq_u16_e32 vcc, 0, v7
	v_cndmask_b32_e32 v3, v3, v4, vcc
	v_cndmask_b32_e32 v4, v8, v12, vcc
	v_mov_b32_e32 v7, 0x3b800000
	v_lshlrev_b32_e32 v3, 20, v3
	v_lshl_add_u32 v4, v4, 23, v7
	v_or3_b32 v3, v6, v4, v3
.LBB15_992:
	s_or_b64 exec, exec, s[6:7]
	s_nop 0
	v_mfma_f32_16x16x4f32 a[0:3], v2, v3, a[0:3]
	s_movk_i32 s4, 0x7f
	v_cmp_gt_i16_sdwa s[6:7], v9, s4 src0_sel:BYTE_0 src1_sel:DWORD
	s_mov_b64 s[4:5], 0
                                        ; implicit-def: $sgpr10
	s_and_saveexec_b64 s[8:9], s[6:7]
	s_xor_b64 s[6:7], exec, s[8:9]
	s_cbranch_execnz .LBB15_3041
; %bb.993:
	s_or_saveexec_b64 s[6:7], s[6:7]
	v_mov_b32_e32 v2, s10
	s_xor_b64 exec, exec, s[6:7]
	s_cbranch_execnz .LBB15_3044
.LBB15_994:
	s_or_b64 exec, exec, s[6:7]
	s_and_saveexec_b64 s[6:7], s[4:5]
	s_cbranch_execz .LBB15_996
.LBB15_995:
	v_mov_b32_e32 v2, 8
	v_and_b32_e32 v3, 7, v9
	v_lshrrev_b32_sdwa v2, v2, v9 dst_sel:BYTE_1 dst_unused:UNUSED_PAD src0_sel:DWORD src1_sel:DWORD
	v_ffbh_u32_e32 v4, v3
	v_or_b32_sdwa v2, v9, v2 dst_sel:DWORD dst_unused:UNUSED_PAD src0_sel:BYTE_0 src1_sel:DWORD
	v_min_u32_e32 v4, 32, v4
	v_lshrrev_b16_e32 v2, 3, v2
	v_subrev_u32_e32 v6, 28, v4
	v_and_b32_e32 v2, 15, v2
	v_lshlrev_b32_e32 v6, v6, v9
	v_sub_u32_e32 v4, 29, v4
	v_and_b32_e32 v6, 7, v6
	v_cmp_eq_u16_e32 vcc, 0, v2
	v_cndmask_b32_e32 v3, v3, v6, vcc
	v_cndmask_b32_e32 v2, v2, v4, vcc
	v_lshlrev_b32_e32 v4, 24, v9
	v_mov_b32_e32 v6, 0x3b800000
	v_lshlrev_b32_e32 v3, 20, v3
	v_and_b32_e32 v4, 0x80000000, v4
	v_lshl_add_u32 v2, v2, 23, v6
	v_or3_b32 v2, v4, v2, v3
.LBB15_996:
	s_or_b64 exec, exec, s[6:7]
	s_movk_i32 s4, 0x7f
	v_cmp_gt_i16_sdwa s[6:7], v5, s4 src0_sel:BYTE_0 src1_sel:DWORD
	s_mov_b64 s[4:5], 0
                                        ; implicit-def: $sgpr10
	s_and_saveexec_b64 s[8:9], s[6:7]
	s_xor_b64 s[6:7], exec, s[8:9]
	s_cbranch_execnz .LBB15_3045
; %bb.997:
	s_or_saveexec_b64 s[6:7], s[6:7]
	v_mov_b32_e32 v3, s10
	s_xor_b64 exec, exec, s[6:7]
	s_cbranch_execnz .LBB15_3048
.LBB15_998:
	s_or_b64 exec, exec, s[6:7]
	s_and_saveexec_b64 s[6:7], s[4:5]
	s_cbranch_execz .LBB15_1000
.LBB15_999:
	v_mov_b32_e32 v3, 8
	v_and_b32_e32 v4, 7, v5
	v_lshrrev_b32_sdwa v3, v3, v5 dst_sel:BYTE_1 dst_unused:UNUSED_PAD src0_sel:DWORD src1_sel:DWORD
	v_ffbh_u32_e32 v6, v4
	v_or_b32_sdwa v3, v5, v3 dst_sel:DWORD dst_unused:UNUSED_PAD src0_sel:BYTE_0 src1_sel:DWORD
	v_min_u32_e32 v6, 32, v6
	v_lshrrev_b16_e32 v3, 3, v3
	v_subrev_u32_e32 v7, 28, v6
	v_and_b32_e32 v3, 15, v3
	v_lshlrev_b32_e32 v7, v7, v5
	v_sub_u32_e32 v6, 29, v6
	v_and_b32_e32 v7, 7, v7
	v_cmp_eq_u16_e32 vcc, 0, v3
	v_cndmask_b32_e32 v4, v4, v7, vcc
	v_cndmask_b32_e32 v3, v3, v6, vcc
	v_lshlrev_b32_e32 v6, 24, v5
	v_mov_b32_e32 v7, 0x3b800000
	v_lshlrev_b32_e32 v4, 20, v4
	v_and_b32_e32 v6, 0x80000000, v6
	v_lshl_add_u32 v3, v3, 23, v7
	v_or3_b32 v3, v6, v3, v4
.LBB15_1000:
	s_or_b64 exec, exec, s[6:7]
	s_nop 0
	v_mfma_f32_16x16x4f32 a[0:3], v2, v3, a[0:3]
	v_lshrrev_b32_e32 v3, 8, v9
	s_movk_i32 s4, 0x7f
	v_cmp_gt_i16_sdwa s[6:7], v3, s4 src0_sel:BYTE_0 src1_sel:DWORD
	s_mov_b64 s[4:5], 0
                                        ; implicit-def: $sgpr10
	s_and_saveexec_b64 s[8:9], s[6:7]
	s_xor_b64 s[6:7], exec, s[8:9]
	s_cbranch_execnz .LBB15_3049
; %bb.1001:
	s_or_saveexec_b64 s[6:7], s[6:7]
	v_mov_b32_e32 v2, s10
	s_xor_b64 exec, exec, s[6:7]
	s_cbranch_execnz .LBB15_3052
.LBB15_1002:
	s_or_b64 exec, exec, s[6:7]
	s_and_saveexec_b64 s[6:7], s[4:5]
	s_cbranch_execz .LBB15_1004
.LBB15_1003:
	v_bfe_u32 v2, v9, 8, 3
	v_ffbh_u32_e32 v6, v2
	v_min_u32_e32 v6, 32, v6
	v_lshrrev_b16_e32 v4, 3, v3
	v_subrev_u32_e32 v7, 28, v6
	v_and_b32_e32 v4, 15, v4
	v_lshlrev_b32_e32 v3, v7, v3
	v_sub_u32_e32 v6, 29, v6
	v_and_b32_e32 v3, 7, v3
	v_cmp_eq_u16_e32 vcc, 0, v4
	v_cndmask_b32_e32 v2, v2, v3, vcc
	v_cndmask_b32_e32 v3, v4, v6, vcc
	v_lshlrev_b32_e32 v4, 16, v9
	v_mov_b32_e32 v6, 0x3b800000
	v_lshlrev_b32_e32 v2, 20, v2
	v_and_b32_e32 v4, 0x80000000, v4
	v_lshl_add_u32 v3, v3, 23, v6
	v_or3_b32 v2, v4, v3, v2
.LBB15_1004:
	s_or_b64 exec, exec, s[6:7]
	v_lshrrev_b32_e32 v3, 8, v5
	s_movk_i32 s4, 0x7f
	v_cmp_gt_i16_sdwa s[6:7], v3, s4 src0_sel:BYTE_0 src1_sel:DWORD
	s_mov_b64 s[4:5], 0
                                        ; implicit-def: $sgpr10
	s_and_saveexec_b64 s[8:9], s[6:7]
	s_xor_b64 s[6:7], exec, s[8:9]
	s_cbranch_execnz .LBB15_3053
; %bb.1005:
	s_or_saveexec_b64 s[6:7], s[6:7]
	v_mov_b32_e32 v4, s10
	s_xor_b64 exec, exec, s[6:7]
	s_cbranch_execnz .LBB15_3056
.LBB15_1006:
	s_or_b64 exec, exec, s[6:7]
	s_and_saveexec_b64 s[6:7], s[4:5]
	s_cbranch_execz .LBB15_1008
.LBB15_1007:
	v_bfe_u32 v4, v5, 8, 3
	v_ffbh_u32_e32 v7, v4
	v_min_u32_e32 v7, 32, v7
	v_lshrrev_b16_e32 v6, 3, v3
	v_subrev_u32_e32 v8, 28, v7
	v_and_b32_e32 v6, 15, v6
	v_lshlrev_b32_e32 v3, v8, v3
	v_sub_u32_e32 v7, 29, v7
	v_and_b32_e32 v3, 7, v3
	v_cmp_eq_u16_e32 vcc, 0, v6
	v_cndmask_b32_e32 v3, v4, v3, vcc
	v_cndmask_b32_e32 v4, v6, v7, vcc
	v_lshlrev_b32_e32 v6, 16, v5
	v_mov_b32_e32 v7, 0x3b800000
	v_lshlrev_b32_e32 v3, 20, v3
	v_and_b32_e32 v6, 0x80000000, v6
	v_lshl_add_u32 v4, v4, 23, v7
	v_or3_b32 v4, v6, v4, v3
.LBB15_1008:
	s_or_b64 exec, exec, s[6:7]
	s_nop 0
	v_mfma_f32_16x16x4f32 a[0:3], v2, v4, a[0:3]
	s_movk_i32 s4, 0xff
	v_and_b32_sdwa v3, v9, s4 dst_sel:DWORD dst_unused:UNUSED_PAD src0_sel:WORD_1 src1_sel:DWORD
	s_movk_i32 s4, 0x7f
	v_cmp_lt_i16_e32 vcc, s4, v3
	s_mov_b64 s[4:5], 0
                                        ; implicit-def: $sgpr10
	s_and_saveexec_b64 s[6:7], vcc
	s_xor_b64 s[6:7], exec, s[6:7]
	s_cbranch_execnz .LBB15_3057
; %bb.1009:
	s_or_saveexec_b64 s[6:7], s[6:7]
	v_mov_b32_e32 v2, s10
	s_xor_b64 exec, exec, s[6:7]
	s_cbranch_execnz .LBB15_3060
.LBB15_1010:
	s_or_b64 exec, exec, s[6:7]
	s_and_saveexec_b64 s[6:7], s[4:5]
	s_cbranch_execz .LBB15_1012
.LBB15_1011:
	v_bfe_u32 v2, v9, 16, 3
	v_ffbh_u32_e32 v6, v2
	v_min_u32_e32 v6, 32, v6
	v_lshrrev_b32_e32 v3, 19, v9
	v_subrev_u32_e32 v7, 28, v6
	v_and_b32_e32 v3, 15, v3
	v_lshlrev_b32_sdwa v7, v7, v9 dst_sel:DWORD dst_unused:UNUSED_PAD src0_sel:DWORD src1_sel:WORD_1
	v_bfe_u32 v4, v9, 19, 4
	v_sub_u32_e32 v6, 29, v6
	v_and_b32_e32 v7, 7, v7
	v_cmp_eq_u16_e32 vcc, 0, v3
	v_cndmask_b32_e32 v2, v2, v7, vcc
	v_cndmask_b32_e32 v3, v4, v6, vcc
	v_lshlrev_b32_e32 v4, 8, v9
	v_mov_b32_e32 v6, 0x3b800000
	v_lshlrev_b32_e32 v2, 20, v2
	v_and_b32_e32 v4, 0x80000000, v4
	v_lshl_add_u32 v3, v3, 23, v6
	v_or3_b32 v2, v4, v3, v2
.LBB15_1012:
	s_or_b64 exec, exec, s[6:7]
	s_movk_i32 s4, 0xff
	v_and_b32_sdwa v3, v5, s4 dst_sel:DWORD dst_unused:UNUSED_PAD src0_sel:WORD_1 src1_sel:DWORD
	s_movk_i32 s4, 0x7f
	v_cmp_lt_i16_e32 vcc, s4, v3
	s_mov_b64 s[4:5], 0
                                        ; implicit-def: $sgpr10
	s_and_saveexec_b64 s[6:7], vcc
	s_xor_b64 s[6:7], exec, s[6:7]
	s_cbranch_execnz .LBB15_3061
; %bb.1013:
	s_or_saveexec_b64 s[6:7], s[6:7]
	v_mov_b32_e32 v4, s10
	s_xor_b64 exec, exec, s[6:7]
	s_cbranch_execnz .LBB15_3064
.LBB15_1014:
	s_or_b64 exec, exec, s[6:7]
	s_and_saveexec_b64 s[6:7], s[4:5]
	s_cbranch_execz .LBB15_1016
.LBB15_1015:
	v_bfe_u32 v3, v5, 16, 3
	v_ffbh_u32_e32 v7, v3
	v_min_u32_e32 v7, 32, v7
	v_lshrrev_b32_e32 v4, 19, v5
	v_subrev_u32_e32 v8, 28, v7
	v_and_b32_e32 v4, 15, v4
	v_lshlrev_b32_sdwa v8, v8, v5 dst_sel:DWORD dst_unused:UNUSED_PAD src0_sel:DWORD src1_sel:WORD_1
	v_bfe_u32 v6, v5, 19, 4
	v_sub_u32_e32 v7, 29, v7
	v_and_b32_e32 v8, 7, v8
	v_cmp_eq_u16_e32 vcc, 0, v4
	v_cndmask_b32_e32 v3, v3, v8, vcc
	v_cndmask_b32_e32 v4, v6, v7, vcc
	v_lshlrev_b32_e32 v6, 8, v5
	v_mov_b32_e32 v7, 0x3b800000
	v_lshlrev_b32_e32 v3, 20, v3
	v_and_b32_e32 v6, 0x80000000, v6
	v_lshl_add_u32 v4, v4, 23, v7
	v_or3_b32 v4, v6, v4, v3
.LBB15_1016:
	s_or_b64 exec, exec, s[6:7]
	s_nop 0
	v_mfma_f32_16x16x4f32 a[0:3], v2, v4, a[0:3]
	s_movk_i32 s4, 0x7f
	v_cmp_gt_i16_sdwa s[6:7], v9, s4 src0_sel:BYTE_3 src1_sel:DWORD
	s_mov_b64 s[4:5], 0
                                        ; implicit-def: $sgpr10
	s_and_saveexec_b64 s[8:9], s[6:7]
	s_xor_b64 s[6:7], exec, s[8:9]
	s_cbranch_execnz .LBB15_3065
; %bb.1017:
	s_or_saveexec_b64 s[6:7], s[6:7]
	v_mov_b32_e32 v2, s10
	s_xor_b64 exec, exec, s[6:7]
	s_cbranch_execnz .LBB15_3068
.LBB15_1018:
	s_or_b64 exec, exec, s[6:7]
	s_and_saveexec_b64 s[6:7], s[4:5]
	s_cbranch_execz .LBB15_1020
.LBB15_1019:
	v_bfe_u32 v2, v9, 24, 3
	v_ffbh_u32_e32 v7, v2
	v_min_u32_e32 v7, 32, v7
	v_lshrrev_b32_e32 v4, 27, v9
	v_subrev_u32_e32 v8, 28, v7
	v_and_b32_e32 v4, 15, v4
	v_lshlrev_b32_sdwa v8, v8, v9 dst_sel:DWORD dst_unused:UNUSED_PAD src0_sel:DWORD src1_sel:BYTE_3
	v_bfe_u32 v6, v9, 27, 4
	v_sub_u32_e32 v7, 29, v7
	v_and_b32_e32 v8, 7, v8
	v_cmp_eq_u16_e32 vcc, 0, v4
	v_cndmask_b32_e32 v2, v2, v8, vcc
	v_cndmask_b32_e32 v4, v6, v7, vcc
	v_mov_b32_e32 v6, 0x3b800000
	v_and_b32_e32 v3, 0x80000000, v9
	v_lshlrev_b32_e32 v2, 20, v2
	v_lshl_add_u32 v4, v4, 23, v6
	v_or3_b32 v2, v3, v4, v2
.LBB15_1020:
	s_or_b64 exec, exec, s[6:7]
	s_movk_i32 s4, 0x7f
	v_cmp_gt_i16_sdwa s[6:7], v5, s4 src0_sel:BYTE_3 src1_sel:DWORD
	s_mov_b64 s[4:5], 0
                                        ; implicit-def: $sgpr10
	s_and_saveexec_b64 s[8:9], s[6:7]
	s_xor_b64 s[6:7], exec, s[8:9]
	s_cbranch_execnz .LBB15_3069
; %bb.1021:
	s_or_saveexec_b64 s[6:7], s[6:7]
	v_mov_b32_e32 v3, s10
	s_xor_b64 exec, exec, s[6:7]
	s_cbranch_execnz .LBB15_3072
.LBB15_1022:
	s_or_b64 exec, exec, s[6:7]
	s_and_saveexec_b64 s[6:7], s[4:5]
	s_cbranch_execz .LBB15_1024
.LBB15_1023:
	v_bfe_u32 v3, v5, 24, 3
	v_ffbh_u32_e32 v8, v3
	v_min_u32_e32 v8, 32, v8
	v_lshrrev_b32_e32 v6, 27, v5
	v_subrev_u32_e32 v9, 28, v8
	v_and_b32_e32 v4, 0x80000000, v5
	v_and_b32_e32 v6, 15, v6
	v_bfe_u32 v7, v5, 27, 4
	v_lshlrev_b32_sdwa v5, v9, v5 dst_sel:DWORD dst_unused:UNUSED_PAD src0_sel:DWORD src1_sel:BYTE_3
	v_sub_u32_e32 v8, 29, v8
	v_and_b32_e32 v5, 7, v5
	v_cmp_eq_u16_e32 vcc, 0, v6
	v_cndmask_b32_e32 v3, v3, v5, vcc
	v_cndmask_b32_e32 v5, v7, v8, vcc
	v_mov_b32_e32 v6, 0x3b800000
	v_lshlrev_b32_e32 v3, 20, v3
	v_lshl_add_u32 v5, v5, 23, v6
	v_or3_b32 v3, v4, v5, v3
.LBB15_1024:
	s_or_b64 exec, exec, s[6:7]
	s_nop 0
	v_mfma_f32_16x16x4f32 a[0:3], v2, v3, a[0:3]
	s_movk_i32 s4, 0x7f
                                        ; implicit-def: $sgpr10
	s_nop 7
	s_nop 1
	flat_store_dwordx4 v[10:11], a[0:3] offset:112
	flat_load_dwordx4 v[12:15], v[0:1] offset:8
	s_nop 0
	flat_load_dwordx2 v[10:11], v[0:1] offset:32
	s_waitcnt vmcnt(0) lgkmcnt(0)
	flat_load_dwordx4 v[6:9], v[12:13] offset:80
	flat_load_dwordx4 v[2:5], v[14:15] offset:16
	s_waitcnt vmcnt(0) lgkmcnt(0)
	v_cmp_gt_i16_sdwa s[6:7], v6, s4 src0_sel:BYTE_0 src1_sel:DWORD
	s_mov_b64 s[4:5], 0
	s_and_saveexec_b64 s[8:9], s[6:7]
	s_xor_b64 s[6:7], exec, s[8:9]
	s_cbranch_execnz .LBB15_3073
; %bb.1025:
	s_or_saveexec_b64 s[6:7], s[6:7]
	v_mov_b32_e32 v12, s10
	s_xor_b64 exec, exec, s[6:7]
	s_cbranch_execnz .LBB15_3076
.LBB15_1026:
	s_or_b64 exec, exec, s[6:7]
	s_and_saveexec_b64 s[6:7], s[4:5]
	s_cbranch_execz .LBB15_1028
.LBB15_1027:
	v_and_b32_e32 v12, 7, v6
	v_ffbh_u32_e32 v14, v12
	v_min_u32_e32 v14, 32, v14
	v_lshrrev_b16_e32 v13, 3, v6
	v_subrev_u32_e32 v15, 28, v14
	v_and_b32_e32 v13, 15, v13
	v_lshlrev_b32_e32 v15, v15, v6
	v_sub_u32_e32 v14, 29, v14
	v_and_b32_e32 v15, 7, v15
	v_cmp_eq_u16_e32 vcc, 0, v13
	v_cndmask_b32_e32 v12, v12, v15, vcc
	v_cndmask_b32_e32 v13, v13, v14, vcc
	v_lshlrev_b32_e32 v14, 24, v6
	v_mov_b32_e32 v15, 0x3b800000
	v_lshlrev_b32_e32 v12, 20, v12
	v_and_b32_e32 v14, 0x80000000, v14
	v_lshl_add_u32 v13, v13, 23, v15
	v_or3_b32 v12, v14, v13, v12
.LBB15_1028:
	s_or_b64 exec, exec, s[6:7]
	s_movk_i32 s4, 0x7f
	v_cmp_gt_i16_sdwa s[6:7], v2, s4 src0_sel:BYTE_0 src1_sel:DWORD
	s_mov_b64 s[4:5], 0
                                        ; implicit-def: $sgpr10
	s_and_saveexec_b64 s[8:9], s[6:7]
	s_xor_b64 s[6:7], exec, s[8:9]
	s_cbranch_execnz .LBB15_3077
; %bb.1029:
	s_or_saveexec_b64 s[6:7], s[6:7]
	v_mov_b32_e32 v13, s10
	s_xor_b64 exec, exec, s[6:7]
	s_cbranch_execnz .LBB15_3080
.LBB15_1030:
	s_or_b64 exec, exec, s[6:7]
	s_and_saveexec_b64 s[6:7], s[4:5]
	s_cbranch_execz .LBB15_1032
.LBB15_1031:
	v_and_b32_e32 v13, 7, v2
	v_ffbh_u32_e32 v15, v13
	v_min_u32_e32 v15, 32, v15
	v_lshrrev_b16_e32 v14, 3, v2
	v_subrev_u32_e32 v16, 28, v15
	v_and_b32_e32 v14, 15, v14
	v_lshlrev_b32_e32 v16, v16, v2
	v_sub_u32_e32 v15, 29, v15
	v_and_b32_e32 v16, 7, v16
	v_cmp_eq_u16_e32 vcc, 0, v14
	v_cndmask_b32_e32 v13, v13, v16, vcc
	v_cndmask_b32_e32 v14, v14, v15, vcc
	v_lshlrev_b32_e32 v15, 24, v2
	v_mov_b32_e32 v16, 0x3b800000
	v_lshlrev_b32_e32 v13, 20, v13
	v_and_b32_e32 v15, 0x80000000, v15
	v_lshl_add_u32 v14, v14, 23, v16
	v_or3_b32 v13, v15, v14, v13
.LBB15_1032:
	s_or_b64 exec, exec, s[6:7]
	flat_load_dwordx4 a[0:3], v[10:11] offset:128
	s_movk_i32 s4, 0x7f
                                        ; implicit-def: $sgpr10
	s_waitcnt vmcnt(0) lgkmcnt(0)
	v_mfma_f32_16x16x4f32 a[0:3], v12, v13, a[0:3]
	v_lshrrev_b32_e32 v13, 8, v6
	v_cmp_gt_i16_sdwa s[6:7], v13, s4 src0_sel:BYTE_0 src1_sel:DWORD
	s_mov_b64 s[4:5], 0
	s_and_saveexec_b64 s[8:9], s[6:7]
	s_xor_b64 s[6:7], exec, s[8:9]
	s_cbranch_execnz .LBB15_3081
; %bb.1033:
	s_or_saveexec_b64 s[6:7], s[6:7]
	v_mov_b32_e32 v12, s10
	s_xor_b64 exec, exec, s[6:7]
	s_cbranch_execnz .LBB15_3084
.LBB15_1034:
	s_or_b64 exec, exec, s[6:7]
	s_and_saveexec_b64 s[6:7], s[4:5]
	s_cbranch_execz .LBB15_1036
.LBB15_1035:
	v_bfe_u32 v12, v6, 8, 3
	v_ffbh_u32_e32 v15, v12
	v_min_u32_e32 v15, 32, v15
	v_lshrrev_b16_e32 v14, 3, v13
	v_subrev_u32_e32 v16, 28, v15
	v_and_b32_e32 v14, 15, v14
	v_lshlrev_b32_e32 v13, v16, v13
	v_sub_u32_e32 v15, 29, v15
	v_and_b32_e32 v13, 7, v13
	v_cmp_eq_u16_e32 vcc, 0, v14
	v_cndmask_b32_e32 v12, v12, v13, vcc
	v_cndmask_b32_e32 v13, v14, v15, vcc
	v_lshlrev_b32_e32 v14, 16, v6
	v_mov_b32_e32 v15, 0x3b800000
	v_lshlrev_b32_e32 v12, 20, v12
	v_and_b32_e32 v14, 0x80000000, v14
	v_lshl_add_u32 v13, v13, 23, v15
	v_or3_b32 v12, v14, v13, v12
.LBB15_1036:
	s_or_b64 exec, exec, s[6:7]
	v_lshrrev_b32_e32 v13, 8, v2
	s_movk_i32 s4, 0x7f
	v_cmp_gt_i16_sdwa s[6:7], v13, s4 src0_sel:BYTE_0 src1_sel:DWORD
	s_mov_b64 s[4:5], 0
                                        ; implicit-def: $sgpr10
	s_and_saveexec_b64 s[8:9], s[6:7]
	s_xor_b64 s[6:7], exec, s[8:9]
	s_cbranch_execnz .LBB15_3085
; %bb.1037:
	s_or_saveexec_b64 s[6:7], s[6:7]
	v_mov_b32_e32 v14, s10
	s_xor_b64 exec, exec, s[6:7]
	s_cbranch_execnz .LBB15_3088
.LBB15_1038:
	s_or_b64 exec, exec, s[6:7]
	s_and_saveexec_b64 s[6:7], s[4:5]
	s_cbranch_execz .LBB15_1040
.LBB15_1039:
	v_bfe_u32 v14, v2, 8, 3
	v_ffbh_u32_e32 v16, v14
	v_min_u32_e32 v16, 32, v16
	v_lshrrev_b16_e32 v15, 3, v13
	v_subrev_u32_e32 v17, 28, v16
	v_and_b32_e32 v15, 15, v15
	v_lshlrev_b32_e32 v13, v17, v13
	v_sub_u32_e32 v16, 29, v16
	v_and_b32_e32 v13, 7, v13
	v_cmp_eq_u16_e32 vcc, 0, v15
	v_cndmask_b32_e32 v13, v14, v13, vcc
	v_cndmask_b32_e32 v14, v15, v16, vcc
	v_lshlrev_b32_e32 v15, 16, v2
	v_mov_b32_e32 v16, 0x3b800000
	v_lshlrev_b32_e32 v13, 20, v13
	v_and_b32_e32 v15, 0x80000000, v15
	v_lshl_add_u32 v14, v14, 23, v16
	v_or3_b32 v14, v15, v14, v13
.LBB15_1040:
	s_or_b64 exec, exec, s[6:7]
	s_nop 0
	v_mfma_f32_16x16x4f32 a[0:3], v12, v14, a[0:3]
	s_movk_i32 s4, 0xff
	v_and_b32_sdwa v13, v6, s4 dst_sel:DWORD dst_unused:UNUSED_PAD src0_sel:WORD_1 src1_sel:DWORD
	s_movk_i32 s4, 0x7f
	v_cmp_lt_i16_e32 vcc, s4, v13
	s_mov_b64 s[4:5], 0
                                        ; implicit-def: $sgpr10
	s_and_saveexec_b64 s[6:7], vcc
	s_xor_b64 s[6:7], exec, s[6:7]
	s_cbranch_execnz .LBB15_3089
; %bb.1041:
	s_or_saveexec_b64 s[6:7], s[6:7]
	v_mov_b32_e32 v12, s10
	s_xor_b64 exec, exec, s[6:7]
	s_cbranch_execnz .LBB15_3092
.LBB15_1042:
	s_or_b64 exec, exec, s[6:7]
	s_and_saveexec_b64 s[6:7], s[4:5]
	s_cbranch_execz .LBB15_1044
.LBB15_1043:
	v_bfe_u32 v12, v6, 16, 3
	v_ffbh_u32_e32 v15, v12
	v_min_u32_e32 v15, 32, v15
	v_lshrrev_b32_e32 v13, 19, v6
	v_subrev_u32_e32 v16, 28, v15
	v_and_b32_e32 v13, 15, v13
	v_lshlrev_b32_sdwa v16, v16, v6 dst_sel:DWORD dst_unused:UNUSED_PAD src0_sel:DWORD src1_sel:WORD_1
	v_bfe_u32 v14, v6, 19, 4
	v_sub_u32_e32 v15, 29, v15
	v_and_b32_e32 v16, 7, v16
	v_cmp_eq_u16_e32 vcc, 0, v13
	v_cndmask_b32_e32 v12, v12, v16, vcc
	v_cndmask_b32_e32 v13, v14, v15, vcc
	v_lshlrev_b32_e32 v14, 8, v6
	v_mov_b32_e32 v15, 0x3b800000
	v_lshlrev_b32_e32 v12, 20, v12
	v_and_b32_e32 v14, 0x80000000, v14
	v_lshl_add_u32 v13, v13, 23, v15
	v_or3_b32 v12, v14, v13, v12
.LBB15_1044:
	s_or_b64 exec, exec, s[6:7]
	s_movk_i32 s4, 0xff
	v_and_b32_sdwa v13, v2, s4 dst_sel:DWORD dst_unused:UNUSED_PAD src0_sel:WORD_1 src1_sel:DWORD
	s_movk_i32 s4, 0x7f
	v_cmp_lt_i16_e32 vcc, s4, v13
	s_mov_b64 s[4:5], 0
                                        ; implicit-def: $sgpr10
	s_and_saveexec_b64 s[6:7], vcc
	s_xor_b64 s[6:7], exec, s[6:7]
	s_cbranch_execnz .LBB15_3093
; %bb.1045:
	s_or_saveexec_b64 s[6:7], s[6:7]
	v_mov_b32_e32 v14, s10
	s_xor_b64 exec, exec, s[6:7]
	s_cbranch_execnz .LBB15_3096
.LBB15_1046:
	s_or_b64 exec, exec, s[6:7]
	s_and_saveexec_b64 s[6:7], s[4:5]
	s_cbranch_execz .LBB15_1048
.LBB15_1047:
	v_bfe_u32 v13, v2, 16, 3
	v_ffbh_u32_e32 v16, v13
	v_min_u32_e32 v16, 32, v16
	v_lshrrev_b32_e32 v14, 19, v2
	v_subrev_u32_e32 v17, 28, v16
	v_and_b32_e32 v14, 15, v14
	v_lshlrev_b32_sdwa v17, v17, v2 dst_sel:DWORD dst_unused:UNUSED_PAD src0_sel:DWORD src1_sel:WORD_1
	v_bfe_u32 v15, v2, 19, 4
	v_sub_u32_e32 v16, 29, v16
	v_and_b32_e32 v17, 7, v17
	v_cmp_eq_u16_e32 vcc, 0, v14
	v_cndmask_b32_e32 v13, v13, v17, vcc
	v_cndmask_b32_e32 v14, v15, v16, vcc
	v_lshlrev_b32_e32 v15, 8, v2
	v_mov_b32_e32 v16, 0x3b800000
	v_lshlrev_b32_e32 v13, 20, v13
	v_and_b32_e32 v15, 0x80000000, v15
	v_lshl_add_u32 v14, v14, 23, v16
	v_or3_b32 v14, v15, v14, v13
.LBB15_1048:
	s_or_b64 exec, exec, s[6:7]
	s_nop 0
	v_mfma_f32_16x16x4f32 a[0:3], v12, v14, a[0:3]
	s_movk_i32 s4, 0x7f
	v_cmp_gt_i16_sdwa s[6:7], v6, s4 src0_sel:BYTE_3 src1_sel:DWORD
	s_mov_b64 s[4:5], 0
                                        ; implicit-def: $sgpr10
	s_and_saveexec_b64 s[8:9], s[6:7]
	s_xor_b64 s[6:7], exec, s[8:9]
	s_cbranch_execnz .LBB15_3097
; %bb.1049:
	s_or_saveexec_b64 s[6:7], s[6:7]
	v_mov_b32_e32 v12, s10
	s_xor_b64 exec, exec, s[6:7]
	s_cbranch_execnz .LBB15_3100
.LBB15_1050:
	s_or_b64 exec, exec, s[6:7]
	s_and_saveexec_b64 s[6:7], s[4:5]
	s_cbranch_execz .LBB15_1052
.LBB15_1051:
	v_bfe_u32 v12, v6, 24, 3
	v_ffbh_u32_e32 v16, v12
	v_min_u32_e32 v16, 32, v16
	v_lshrrev_b32_e32 v14, 27, v6
	v_subrev_u32_e32 v17, 28, v16
	v_and_b32_e32 v13, 0x80000000, v6
	v_and_b32_e32 v14, 15, v14
	v_bfe_u32 v15, v6, 27, 4
	v_lshlrev_b32_sdwa v6, v17, v6 dst_sel:DWORD dst_unused:UNUSED_PAD src0_sel:DWORD src1_sel:BYTE_3
	v_sub_u32_e32 v16, 29, v16
	v_and_b32_e32 v6, 7, v6
	v_cmp_eq_u16_e32 vcc, 0, v14
	v_cndmask_b32_e32 v6, v12, v6, vcc
	v_cndmask_b32_e32 v12, v15, v16, vcc
	v_mov_b32_e32 v14, 0x3b800000
	v_lshlrev_b32_e32 v6, 20, v6
	v_lshl_add_u32 v12, v12, 23, v14
	v_or3_b32 v12, v13, v12, v6
.LBB15_1052:
	s_or_b64 exec, exec, s[6:7]
	s_movk_i32 s4, 0x7f
	v_cmp_gt_i16_sdwa s[6:7], v2, s4 src0_sel:BYTE_3 src1_sel:DWORD
	s_mov_b64 s[4:5], 0
                                        ; implicit-def: $sgpr10
	s_and_saveexec_b64 s[8:9], s[6:7]
	s_xor_b64 s[6:7], exec, s[8:9]
	s_cbranch_execnz .LBB15_3101
; %bb.1053:
	s_or_saveexec_b64 s[6:7], s[6:7]
	v_mov_b32_e32 v6, s10
	s_xor_b64 exec, exec, s[6:7]
	s_cbranch_execnz .LBB15_3104
.LBB15_1054:
	s_or_b64 exec, exec, s[6:7]
	s_and_saveexec_b64 s[6:7], s[4:5]
	s_cbranch_execz .LBB15_1056
.LBB15_1055:
	v_bfe_u32 v6, v2, 24, 3
	v_ffbh_u32_e32 v16, v6
	v_min_u32_e32 v16, 32, v16
	v_lshrrev_b32_e32 v14, 27, v2
	v_subrev_u32_e32 v17, 28, v16
	v_and_b32_e32 v13, 0x80000000, v2
	v_and_b32_e32 v14, 15, v14
	v_bfe_u32 v15, v2, 27, 4
	v_lshlrev_b32_sdwa v2, v17, v2 dst_sel:DWORD dst_unused:UNUSED_PAD src0_sel:DWORD src1_sel:BYTE_3
	v_sub_u32_e32 v16, 29, v16
	v_and_b32_e32 v2, 7, v2
	v_cmp_eq_u16_e32 vcc, 0, v14
	v_cndmask_b32_e32 v2, v6, v2, vcc
	v_cndmask_b32_e32 v6, v15, v16, vcc
	v_mov_b32_e32 v14, 0x3b800000
	v_lshlrev_b32_e32 v2, 20, v2
	v_lshl_add_u32 v6, v6, 23, v14
	v_or3_b32 v6, v13, v6, v2
.LBB15_1056:
	s_or_b64 exec, exec, s[6:7]
	s_nop 0
	v_mfma_f32_16x16x4f32 a[0:3], v12, v6, a[0:3]
	s_movk_i32 s4, 0x7f
	v_cmp_gt_i16_sdwa s[6:7], v7, s4 src0_sel:BYTE_0 src1_sel:DWORD
	s_mov_b64 s[4:5], 0
                                        ; implicit-def: $sgpr10
	s_and_saveexec_b64 s[8:9], s[6:7]
	s_xor_b64 s[6:7], exec, s[8:9]
	s_cbranch_execnz .LBB15_3105
; %bb.1057:
	s_or_saveexec_b64 s[6:7], s[6:7]
	v_mov_b32_e32 v2, s10
	s_xor_b64 exec, exec, s[6:7]
	s_cbranch_execnz .LBB15_3108
.LBB15_1058:
	s_or_b64 exec, exec, s[6:7]
	s_and_saveexec_b64 s[6:7], s[4:5]
	s_cbranch_execz .LBB15_1060
.LBB15_1059:
	v_and_b32_e32 v2, 7, v7
	v_ffbh_u32_e32 v12, v2
	v_min_u32_e32 v12, 32, v12
	v_lshrrev_b16_e32 v6, 3, v7
	v_subrev_u32_e32 v13, 28, v12
	v_and_b32_e32 v6, 15, v6
	v_lshlrev_b32_e32 v13, v13, v7
	v_sub_u32_e32 v12, 29, v12
	v_and_b32_e32 v13, 7, v13
	v_cmp_eq_u16_e32 vcc, 0, v6
	v_cndmask_b32_e32 v2, v2, v13, vcc
	v_cndmask_b32_e32 v6, v6, v12, vcc
	v_lshlrev_b32_e32 v12, 24, v7
	v_mov_b32_e32 v13, 0x3b800000
	v_lshlrev_b32_e32 v2, 20, v2
	v_and_b32_e32 v12, 0x80000000, v12
	v_lshl_add_u32 v6, v6, 23, v13
	v_or3_b32 v2, v12, v6, v2
.LBB15_1060:
	s_or_b64 exec, exec, s[6:7]
	s_movk_i32 s4, 0x7f
	v_cmp_gt_i16_sdwa s[6:7], v3, s4 src0_sel:BYTE_0 src1_sel:DWORD
	s_mov_b64 s[4:5], 0
                                        ; implicit-def: $sgpr10
	s_and_saveexec_b64 s[8:9], s[6:7]
	s_xor_b64 s[6:7], exec, s[8:9]
	s_cbranch_execnz .LBB15_3109
; %bb.1061:
	s_or_saveexec_b64 s[6:7], s[6:7]
	v_mov_b32_e32 v6, s10
	s_xor_b64 exec, exec, s[6:7]
	s_cbranch_execnz .LBB15_3112
.LBB15_1062:
	s_or_b64 exec, exec, s[6:7]
	s_and_saveexec_b64 s[6:7], s[4:5]
	s_cbranch_execz .LBB15_1064
.LBB15_1063:
	v_and_b32_e32 v6, 7, v3
	v_ffbh_u32_e32 v13, v6
	v_min_u32_e32 v13, 32, v13
	v_lshrrev_b16_e32 v12, 3, v3
	v_subrev_u32_e32 v14, 28, v13
	v_and_b32_e32 v12, 15, v12
	v_lshlrev_b32_e32 v14, v14, v3
	v_sub_u32_e32 v13, 29, v13
	v_and_b32_e32 v14, 7, v14
	v_cmp_eq_u16_e32 vcc, 0, v12
	v_cndmask_b32_e32 v6, v6, v14, vcc
	v_cndmask_b32_e32 v12, v12, v13, vcc
	v_lshlrev_b32_e32 v13, 24, v3
	v_mov_b32_e32 v14, 0x3b800000
	v_lshlrev_b32_e32 v6, 20, v6
	v_and_b32_e32 v13, 0x80000000, v13
	v_lshl_add_u32 v12, v12, 23, v14
	v_or3_b32 v6, v13, v12, v6
.LBB15_1064:
	s_or_b64 exec, exec, s[6:7]
	s_nop 0
	v_mfma_f32_16x16x4f32 a[0:3], v2, v6, a[0:3]
	v_lshrrev_b32_e32 v6, 8, v7
	s_movk_i32 s4, 0x7f
	v_cmp_gt_i16_sdwa s[6:7], v6, s4 src0_sel:BYTE_0 src1_sel:DWORD
	s_mov_b64 s[4:5], 0
                                        ; implicit-def: $sgpr10
	s_and_saveexec_b64 s[8:9], s[6:7]
	s_xor_b64 s[6:7], exec, s[8:9]
	s_cbranch_execnz .LBB15_3113
; %bb.1065:
	s_or_saveexec_b64 s[6:7], s[6:7]
	v_mov_b32_e32 v2, s10
	s_xor_b64 exec, exec, s[6:7]
	s_cbranch_execnz .LBB15_3116
.LBB15_1066:
	s_or_b64 exec, exec, s[6:7]
	s_and_saveexec_b64 s[6:7], s[4:5]
	s_cbranch_execz .LBB15_1068
.LBB15_1067:
	v_bfe_u32 v2, v7, 8, 3
	v_ffbh_u32_e32 v13, v2
	v_min_u32_e32 v13, 32, v13
	v_lshrrev_b16_e32 v12, 3, v6
	v_subrev_u32_e32 v14, 28, v13
	v_and_b32_e32 v12, 15, v12
	v_lshlrev_b32_e32 v6, v14, v6
	v_sub_u32_e32 v13, 29, v13
	v_and_b32_e32 v6, 7, v6
	v_cmp_eq_u16_e32 vcc, 0, v12
	v_cndmask_b32_e32 v2, v2, v6, vcc
	v_cndmask_b32_e32 v6, v12, v13, vcc
	v_lshlrev_b32_e32 v12, 16, v7
	v_mov_b32_e32 v13, 0x3b800000
	v_lshlrev_b32_e32 v2, 20, v2
	v_and_b32_e32 v12, 0x80000000, v12
	v_lshl_add_u32 v6, v6, 23, v13
	v_or3_b32 v2, v12, v6, v2
.LBB15_1068:
	s_or_b64 exec, exec, s[6:7]
	v_lshrrev_b32_e32 v6, 8, v3
	s_movk_i32 s4, 0x7f
	v_cmp_gt_i16_sdwa s[6:7], v6, s4 src0_sel:BYTE_0 src1_sel:DWORD
	s_mov_b64 s[4:5], 0
                                        ; implicit-def: $sgpr10
	s_and_saveexec_b64 s[8:9], s[6:7]
	s_xor_b64 s[6:7], exec, s[8:9]
	s_cbranch_execnz .LBB15_3117
; %bb.1069:
	s_or_saveexec_b64 s[6:7], s[6:7]
	v_mov_b32_e32 v12, s10
	s_xor_b64 exec, exec, s[6:7]
	s_cbranch_execnz .LBB15_3120
.LBB15_1070:
	s_or_b64 exec, exec, s[6:7]
	s_and_saveexec_b64 s[6:7], s[4:5]
	s_cbranch_execz .LBB15_1072
.LBB15_1071:
	v_bfe_u32 v12, v3, 8, 3
	v_ffbh_u32_e32 v14, v12
	v_min_u32_e32 v14, 32, v14
	v_lshrrev_b16_e32 v13, 3, v6
	v_subrev_u32_e32 v15, 28, v14
	v_and_b32_e32 v13, 15, v13
	v_lshlrev_b32_e32 v6, v15, v6
	v_sub_u32_e32 v14, 29, v14
	v_and_b32_e32 v6, 7, v6
	v_cmp_eq_u16_e32 vcc, 0, v13
	v_cndmask_b32_e32 v6, v12, v6, vcc
	v_cndmask_b32_e32 v12, v13, v14, vcc
	v_lshlrev_b32_e32 v13, 16, v3
	v_mov_b32_e32 v14, 0x3b800000
	v_lshlrev_b32_e32 v6, 20, v6
	v_and_b32_e32 v13, 0x80000000, v13
	v_lshl_add_u32 v12, v12, 23, v14
	v_or3_b32 v12, v13, v12, v6
.LBB15_1072:
	s_or_b64 exec, exec, s[6:7]
	s_nop 0
	v_mfma_f32_16x16x4f32 a[0:3], v2, v12, a[0:3]
	s_movk_i32 s4, 0xff
	v_and_b32_sdwa v6, v7, s4 dst_sel:DWORD dst_unused:UNUSED_PAD src0_sel:WORD_1 src1_sel:DWORD
	s_movk_i32 s4, 0x7f
	v_cmp_lt_i16_e32 vcc, s4, v6
	s_mov_b64 s[4:5], 0
                                        ; implicit-def: $sgpr10
	s_and_saveexec_b64 s[6:7], vcc
	s_xor_b64 s[6:7], exec, s[6:7]
	s_cbranch_execnz .LBB15_3121
; %bb.1073:
	s_or_saveexec_b64 s[6:7], s[6:7]
	v_mov_b32_e32 v2, s10
	s_xor_b64 exec, exec, s[6:7]
	s_cbranch_execnz .LBB15_3124
.LBB15_1074:
	s_or_b64 exec, exec, s[6:7]
	s_and_saveexec_b64 s[6:7], s[4:5]
	s_cbranch_execz .LBB15_1076
.LBB15_1075:
	v_bfe_u32 v2, v7, 16, 3
	v_ffbh_u32_e32 v13, v2
	v_min_u32_e32 v13, 32, v13
	v_lshrrev_b32_e32 v6, 19, v7
	v_subrev_u32_e32 v14, 28, v13
	v_and_b32_e32 v6, 15, v6
	v_lshlrev_b32_sdwa v14, v14, v7 dst_sel:DWORD dst_unused:UNUSED_PAD src0_sel:DWORD src1_sel:WORD_1
	v_bfe_u32 v12, v7, 19, 4
	v_sub_u32_e32 v13, 29, v13
	v_and_b32_e32 v14, 7, v14
	v_cmp_eq_u16_e32 vcc, 0, v6
	v_cndmask_b32_e32 v2, v2, v14, vcc
	v_cndmask_b32_e32 v6, v12, v13, vcc
	v_lshlrev_b32_e32 v12, 8, v7
	v_mov_b32_e32 v13, 0x3b800000
	v_lshlrev_b32_e32 v2, 20, v2
	v_and_b32_e32 v12, 0x80000000, v12
	v_lshl_add_u32 v6, v6, 23, v13
	v_or3_b32 v2, v12, v6, v2
.LBB15_1076:
	s_or_b64 exec, exec, s[6:7]
	s_movk_i32 s4, 0xff
	v_and_b32_sdwa v6, v3, s4 dst_sel:DWORD dst_unused:UNUSED_PAD src0_sel:WORD_1 src1_sel:DWORD
	s_movk_i32 s4, 0x7f
	v_cmp_lt_i16_e32 vcc, s4, v6
	s_mov_b64 s[4:5], 0
                                        ; implicit-def: $sgpr10
	s_and_saveexec_b64 s[6:7], vcc
	s_xor_b64 s[6:7], exec, s[6:7]
	s_cbranch_execnz .LBB15_3125
; %bb.1077:
	s_or_saveexec_b64 s[6:7], s[6:7]
	v_mov_b32_e32 v12, s10
	s_xor_b64 exec, exec, s[6:7]
	s_cbranch_execnz .LBB15_3128
.LBB15_1078:
	s_or_b64 exec, exec, s[6:7]
	s_and_saveexec_b64 s[6:7], s[4:5]
	s_cbranch_execz .LBB15_1080
.LBB15_1079:
	v_bfe_u32 v6, v3, 16, 3
	v_ffbh_u32_e32 v14, v6
	v_min_u32_e32 v14, 32, v14
	v_lshrrev_b32_e32 v12, 19, v3
	v_subrev_u32_e32 v15, 28, v14
	v_and_b32_e32 v12, 15, v12
	v_lshlrev_b32_sdwa v15, v15, v3 dst_sel:DWORD dst_unused:UNUSED_PAD src0_sel:DWORD src1_sel:WORD_1
	v_bfe_u32 v13, v3, 19, 4
	v_sub_u32_e32 v14, 29, v14
	v_and_b32_e32 v15, 7, v15
	v_cmp_eq_u16_e32 vcc, 0, v12
	v_cndmask_b32_e32 v6, v6, v15, vcc
	v_cndmask_b32_e32 v12, v13, v14, vcc
	v_lshlrev_b32_e32 v13, 8, v3
	v_mov_b32_e32 v14, 0x3b800000
	v_lshlrev_b32_e32 v6, 20, v6
	v_and_b32_e32 v13, 0x80000000, v13
	v_lshl_add_u32 v12, v12, 23, v14
	v_or3_b32 v12, v13, v12, v6
.LBB15_1080:
	s_or_b64 exec, exec, s[6:7]
	s_nop 0
	v_mfma_f32_16x16x4f32 a[0:3], v2, v12, a[0:3]
	s_movk_i32 s4, 0x7f
	v_cmp_gt_i16_sdwa s[6:7], v7, s4 src0_sel:BYTE_3 src1_sel:DWORD
	s_mov_b64 s[4:5], 0
                                        ; implicit-def: $sgpr10
	s_and_saveexec_b64 s[8:9], s[6:7]
	s_xor_b64 s[6:7], exec, s[8:9]
	s_cbranch_execnz .LBB15_3129
; %bb.1081:
	s_or_saveexec_b64 s[6:7], s[6:7]
	v_mov_b32_e32 v2, s10
	s_xor_b64 exec, exec, s[6:7]
	s_cbranch_execnz .LBB15_3132
.LBB15_1082:
	s_or_b64 exec, exec, s[6:7]
	s_and_saveexec_b64 s[6:7], s[4:5]
	s_cbranch_execz .LBB15_1084
.LBB15_1083:
	v_bfe_u32 v2, v7, 24, 3
	v_ffbh_u32_e32 v14, v2
	v_min_u32_e32 v14, 32, v14
	v_lshrrev_b32_e32 v12, 27, v7
	v_subrev_u32_e32 v15, 28, v14
	v_and_b32_e32 v6, 0x80000000, v7
	v_and_b32_e32 v12, 15, v12
	v_bfe_u32 v13, v7, 27, 4
	v_lshlrev_b32_sdwa v7, v15, v7 dst_sel:DWORD dst_unused:UNUSED_PAD src0_sel:DWORD src1_sel:BYTE_3
	v_sub_u32_e32 v14, 29, v14
	v_and_b32_e32 v7, 7, v7
	v_cmp_eq_u16_e32 vcc, 0, v12
	v_cndmask_b32_e32 v2, v2, v7, vcc
	v_cndmask_b32_e32 v7, v13, v14, vcc
	v_mov_b32_e32 v12, 0x3b800000
	v_lshlrev_b32_e32 v2, 20, v2
	v_lshl_add_u32 v7, v7, 23, v12
	v_or3_b32 v2, v6, v7, v2
.LBB15_1084:
	s_or_b64 exec, exec, s[6:7]
	s_movk_i32 s4, 0x7f
	v_cmp_gt_i16_sdwa s[6:7], v3, s4 src0_sel:BYTE_3 src1_sel:DWORD
	s_mov_b64 s[4:5], 0
                                        ; implicit-def: $sgpr10
	s_and_saveexec_b64 s[8:9], s[6:7]
	s_xor_b64 s[6:7], exec, s[8:9]
	s_cbranch_execnz .LBB15_3133
; %bb.1085:
	s_or_saveexec_b64 s[6:7], s[6:7]
	v_mov_b32_e32 v6, s10
	s_xor_b64 exec, exec, s[6:7]
	s_cbranch_execnz .LBB15_3136
.LBB15_1086:
	s_or_b64 exec, exec, s[6:7]
	s_and_saveexec_b64 s[6:7], s[4:5]
	s_cbranch_execz .LBB15_1088
.LBB15_1087:
	v_bfe_u32 v6, v3, 24, 3
	v_ffbh_u32_e32 v14, v6
	v_min_u32_e32 v14, 32, v14
	v_lshrrev_b32_e32 v12, 27, v3
	v_subrev_u32_e32 v15, 28, v14
	v_and_b32_e32 v7, 0x80000000, v3
	v_and_b32_e32 v12, 15, v12
	v_bfe_u32 v13, v3, 27, 4
	v_lshlrev_b32_sdwa v3, v15, v3 dst_sel:DWORD dst_unused:UNUSED_PAD src0_sel:DWORD src1_sel:BYTE_3
	v_sub_u32_e32 v14, 29, v14
	v_and_b32_e32 v3, 7, v3
	v_cmp_eq_u16_e32 vcc, 0, v12
	v_cndmask_b32_e32 v3, v6, v3, vcc
	v_cndmask_b32_e32 v6, v13, v14, vcc
	v_mov_b32_e32 v12, 0x3b800000
	v_lshlrev_b32_e32 v3, 20, v3
	v_lshl_add_u32 v6, v6, 23, v12
	v_or3_b32 v6, v7, v6, v3
.LBB15_1088:
	s_or_b64 exec, exec, s[6:7]
	s_nop 0
	v_mfma_f32_16x16x4f32 a[0:3], v2, v6, a[0:3]
	s_movk_i32 s4, 0x7f
	v_cmp_gt_i16_sdwa s[6:7], v8, s4 src0_sel:BYTE_0 src1_sel:DWORD
	s_mov_b64 s[4:5], 0
                                        ; implicit-def: $sgpr10
	s_and_saveexec_b64 s[8:9], s[6:7]
	s_xor_b64 s[6:7], exec, s[8:9]
	s_cbranch_execnz .LBB15_3137
; %bb.1089:
	s_or_saveexec_b64 s[6:7], s[6:7]
	v_mov_b32_e32 v2, s10
	s_xor_b64 exec, exec, s[6:7]
	s_cbranch_execnz .LBB15_3140
.LBB15_1090:
	s_or_b64 exec, exec, s[6:7]
	s_and_saveexec_b64 s[6:7], s[4:5]
	s_cbranch_execz .LBB15_1092
.LBB15_1091:
	v_and_b32_e32 v2, 7, v8
	v_ffbh_u32_e32 v6, v2
	v_min_u32_e32 v6, 32, v6
	v_lshrrev_b16_e32 v3, 3, v8
	v_subrev_u32_e32 v7, 28, v6
	v_and_b32_e32 v3, 15, v3
	v_lshlrev_b32_e32 v7, v7, v8
	v_sub_u32_e32 v6, 29, v6
	v_and_b32_e32 v7, 7, v7
	v_cmp_eq_u16_e32 vcc, 0, v3
	v_cndmask_b32_e32 v2, v2, v7, vcc
	v_cndmask_b32_e32 v3, v3, v6, vcc
	v_lshlrev_b32_e32 v6, 24, v8
	v_mov_b32_e32 v7, 0x3b800000
	v_lshlrev_b32_e32 v2, 20, v2
	v_and_b32_e32 v6, 0x80000000, v6
	v_lshl_add_u32 v3, v3, 23, v7
	v_or3_b32 v2, v6, v3, v2
.LBB15_1092:
	s_or_b64 exec, exec, s[6:7]
	s_movk_i32 s4, 0x7f
	v_cmp_gt_i16_sdwa s[6:7], v4, s4 src0_sel:BYTE_0 src1_sel:DWORD
	s_mov_b64 s[4:5], 0
                                        ; implicit-def: $sgpr10
	s_and_saveexec_b64 s[8:9], s[6:7]
	s_xor_b64 s[6:7], exec, s[8:9]
	s_cbranch_execnz .LBB15_3141
; %bb.1093:
	s_or_saveexec_b64 s[6:7], s[6:7]
	v_mov_b32_e32 v3, s10
	s_xor_b64 exec, exec, s[6:7]
	s_cbranch_execnz .LBB15_3144
.LBB15_1094:
	s_or_b64 exec, exec, s[6:7]
	s_and_saveexec_b64 s[6:7], s[4:5]
	s_cbranch_execz .LBB15_1096
.LBB15_1095:
	v_and_b32_e32 v3, 7, v4
	v_ffbh_u32_e32 v7, v3
	v_min_u32_e32 v7, 32, v7
	v_lshrrev_b16_e32 v6, 3, v4
	v_subrev_u32_e32 v12, 28, v7
	v_and_b32_e32 v6, 15, v6
	v_lshlrev_b32_e32 v12, v12, v4
	v_sub_u32_e32 v7, 29, v7
	v_and_b32_e32 v12, 7, v12
	v_cmp_eq_u16_e32 vcc, 0, v6
	v_cndmask_b32_e32 v3, v3, v12, vcc
	v_cndmask_b32_e32 v6, v6, v7, vcc
	v_lshlrev_b32_e32 v7, 24, v4
	v_mov_b32_e32 v12, 0x3b800000
	v_lshlrev_b32_e32 v3, 20, v3
	v_and_b32_e32 v7, 0x80000000, v7
	v_lshl_add_u32 v6, v6, 23, v12
	v_or3_b32 v3, v7, v6, v3
.LBB15_1096:
	s_or_b64 exec, exec, s[6:7]
	s_nop 0
	v_mfma_f32_16x16x4f32 a[0:3], v2, v3, a[0:3]
	v_lshrrev_b32_e32 v3, 8, v8
	s_movk_i32 s4, 0x7f
	v_cmp_gt_i16_sdwa s[6:7], v3, s4 src0_sel:BYTE_0 src1_sel:DWORD
	s_mov_b64 s[4:5], 0
                                        ; implicit-def: $sgpr10
	s_and_saveexec_b64 s[8:9], s[6:7]
	s_xor_b64 s[6:7], exec, s[8:9]
	s_cbranch_execnz .LBB15_3145
; %bb.1097:
	s_or_saveexec_b64 s[6:7], s[6:7]
	v_mov_b32_e32 v2, s10
	s_xor_b64 exec, exec, s[6:7]
	s_cbranch_execnz .LBB15_3148
.LBB15_1098:
	s_or_b64 exec, exec, s[6:7]
	s_and_saveexec_b64 s[6:7], s[4:5]
	s_cbranch_execz .LBB15_1100
.LBB15_1099:
	v_bfe_u32 v2, v8, 8, 3
	v_ffbh_u32_e32 v7, v2
	v_min_u32_e32 v7, 32, v7
	v_lshrrev_b16_e32 v6, 3, v3
	v_subrev_u32_e32 v12, 28, v7
	v_and_b32_e32 v6, 15, v6
	v_lshlrev_b32_e32 v3, v12, v3
	v_sub_u32_e32 v7, 29, v7
	v_and_b32_e32 v3, 7, v3
	v_cmp_eq_u16_e32 vcc, 0, v6
	v_cndmask_b32_e32 v2, v2, v3, vcc
	v_cndmask_b32_e32 v3, v6, v7, vcc
	v_lshlrev_b32_e32 v6, 16, v8
	v_mov_b32_e32 v7, 0x3b800000
	v_lshlrev_b32_e32 v2, 20, v2
	v_and_b32_e32 v6, 0x80000000, v6
	v_lshl_add_u32 v3, v3, 23, v7
	v_or3_b32 v2, v6, v3, v2
.LBB15_1100:
	s_or_b64 exec, exec, s[6:7]
	v_lshrrev_b32_e32 v3, 8, v4
	s_movk_i32 s4, 0x7f
	v_cmp_gt_i16_sdwa s[6:7], v3, s4 src0_sel:BYTE_0 src1_sel:DWORD
	s_mov_b64 s[4:5], 0
                                        ; implicit-def: $sgpr10
	s_and_saveexec_b64 s[8:9], s[6:7]
	s_xor_b64 s[6:7], exec, s[8:9]
	s_cbranch_execnz .LBB15_3149
; %bb.1101:
	s_or_saveexec_b64 s[6:7], s[6:7]
	v_mov_b32_e32 v6, s10
	s_xor_b64 exec, exec, s[6:7]
	s_cbranch_execnz .LBB15_3152
.LBB15_1102:
	s_or_b64 exec, exec, s[6:7]
	s_and_saveexec_b64 s[6:7], s[4:5]
	s_cbranch_execz .LBB15_1104
.LBB15_1103:
	v_bfe_u32 v6, v4, 8, 3
	v_ffbh_u32_e32 v12, v6
	v_min_u32_e32 v12, 32, v12
	v_lshrrev_b16_e32 v7, 3, v3
	v_subrev_u32_e32 v13, 28, v12
	v_and_b32_e32 v7, 15, v7
	v_lshlrev_b32_e32 v3, v13, v3
	v_sub_u32_e32 v12, 29, v12
	v_and_b32_e32 v3, 7, v3
	v_cmp_eq_u16_e32 vcc, 0, v7
	v_cndmask_b32_e32 v3, v6, v3, vcc
	v_cndmask_b32_e32 v6, v7, v12, vcc
	v_lshlrev_b32_e32 v7, 16, v4
	v_mov_b32_e32 v12, 0x3b800000
	v_lshlrev_b32_e32 v3, 20, v3
	v_and_b32_e32 v7, 0x80000000, v7
	v_lshl_add_u32 v6, v6, 23, v12
	v_or3_b32 v6, v7, v6, v3
.LBB15_1104:
	s_or_b64 exec, exec, s[6:7]
	s_nop 0
	v_mfma_f32_16x16x4f32 a[0:3], v2, v6, a[0:3]
	s_movk_i32 s4, 0xff
	v_and_b32_sdwa v3, v8, s4 dst_sel:DWORD dst_unused:UNUSED_PAD src0_sel:WORD_1 src1_sel:DWORD
	s_movk_i32 s4, 0x7f
	v_cmp_lt_i16_e32 vcc, s4, v3
	s_mov_b64 s[4:5], 0
                                        ; implicit-def: $sgpr10
	s_and_saveexec_b64 s[6:7], vcc
	s_xor_b64 s[6:7], exec, s[6:7]
	s_cbranch_execnz .LBB15_3153
; %bb.1105:
	s_or_saveexec_b64 s[6:7], s[6:7]
	v_mov_b32_e32 v2, s10
	s_xor_b64 exec, exec, s[6:7]
	s_cbranch_execnz .LBB15_3156
.LBB15_1106:
	s_or_b64 exec, exec, s[6:7]
	s_and_saveexec_b64 s[6:7], s[4:5]
	s_cbranch_execz .LBB15_1108
.LBB15_1107:
	v_bfe_u32 v2, v8, 16, 3
	v_ffbh_u32_e32 v7, v2
	v_min_u32_e32 v7, 32, v7
	v_lshrrev_b32_e32 v3, 19, v8
	v_subrev_u32_e32 v12, 28, v7
	v_and_b32_e32 v3, 15, v3
	v_lshlrev_b32_sdwa v12, v12, v8 dst_sel:DWORD dst_unused:UNUSED_PAD src0_sel:DWORD src1_sel:WORD_1
	v_bfe_u32 v6, v8, 19, 4
	v_sub_u32_e32 v7, 29, v7
	v_and_b32_e32 v12, 7, v12
	v_cmp_eq_u16_e32 vcc, 0, v3
	v_cndmask_b32_e32 v2, v2, v12, vcc
	v_cndmask_b32_e32 v3, v6, v7, vcc
	v_lshlrev_b32_e32 v6, 8, v8
	v_mov_b32_e32 v7, 0x3b800000
	v_lshlrev_b32_e32 v2, 20, v2
	v_and_b32_e32 v6, 0x80000000, v6
	v_lshl_add_u32 v3, v3, 23, v7
	v_or3_b32 v2, v6, v3, v2
.LBB15_1108:
	s_or_b64 exec, exec, s[6:7]
	s_movk_i32 s4, 0xff
	v_and_b32_sdwa v3, v4, s4 dst_sel:DWORD dst_unused:UNUSED_PAD src0_sel:WORD_1 src1_sel:DWORD
	s_movk_i32 s4, 0x7f
	v_cmp_lt_i16_e32 vcc, s4, v3
	s_mov_b64 s[4:5], 0
                                        ; implicit-def: $sgpr10
	s_and_saveexec_b64 s[6:7], vcc
	s_xor_b64 s[6:7], exec, s[6:7]
	s_cbranch_execnz .LBB15_3157
; %bb.1109:
	s_or_saveexec_b64 s[6:7], s[6:7]
	v_mov_b32_e32 v6, s10
	s_xor_b64 exec, exec, s[6:7]
	s_cbranch_execnz .LBB15_3160
.LBB15_1110:
	s_or_b64 exec, exec, s[6:7]
	s_and_saveexec_b64 s[6:7], s[4:5]
	s_cbranch_execz .LBB15_1112
.LBB15_1111:
	v_bfe_u32 v3, v4, 16, 3
	v_ffbh_u32_e32 v12, v3
	v_min_u32_e32 v12, 32, v12
	v_lshrrev_b32_e32 v6, 19, v4
	v_subrev_u32_e32 v13, 28, v12
	v_and_b32_e32 v6, 15, v6
	v_lshlrev_b32_sdwa v13, v13, v4 dst_sel:DWORD dst_unused:UNUSED_PAD src0_sel:DWORD src1_sel:WORD_1
	v_bfe_u32 v7, v4, 19, 4
	v_sub_u32_e32 v12, 29, v12
	v_and_b32_e32 v13, 7, v13
	v_cmp_eq_u16_e32 vcc, 0, v6
	v_cndmask_b32_e32 v3, v3, v13, vcc
	v_cndmask_b32_e32 v6, v7, v12, vcc
	v_lshlrev_b32_e32 v7, 8, v4
	v_mov_b32_e32 v12, 0x3b800000
	v_lshlrev_b32_e32 v3, 20, v3
	v_and_b32_e32 v7, 0x80000000, v7
	v_lshl_add_u32 v6, v6, 23, v12
	v_or3_b32 v6, v7, v6, v3
.LBB15_1112:
	s_or_b64 exec, exec, s[6:7]
	s_nop 0
	v_mfma_f32_16x16x4f32 a[0:3], v2, v6, a[0:3]
	s_movk_i32 s4, 0x7f
	v_cmp_gt_i16_sdwa s[6:7], v8, s4 src0_sel:BYTE_3 src1_sel:DWORD
	s_mov_b64 s[4:5], 0
                                        ; implicit-def: $sgpr10
	s_and_saveexec_b64 s[8:9], s[6:7]
	s_xor_b64 s[6:7], exec, s[8:9]
	s_cbranch_execnz .LBB15_3161
; %bb.1113:
	s_or_saveexec_b64 s[6:7], s[6:7]
	v_mov_b32_e32 v2, s10
	s_xor_b64 exec, exec, s[6:7]
	s_cbranch_execnz .LBB15_3164
.LBB15_1114:
	s_or_b64 exec, exec, s[6:7]
	s_and_saveexec_b64 s[6:7], s[4:5]
	s_cbranch_execz .LBB15_1116
.LBB15_1115:
	v_bfe_u32 v2, v8, 24, 3
	v_ffbh_u32_e32 v12, v2
	v_min_u32_e32 v12, 32, v12
	v_lshrrev_b32_e32 v6, 27, v8
	v_subrev_u32_e32 v13, 28, v12
	v_and_b32_e32 v3, 0x80000000, v8
	v_and_b32_e32 v6, 15, v6
	v_bfe_u32 v7, v8, 27, 4
	v_lshlrev_b32_sdwa v8, v13, v8 dst_sel:DWORD dst_unused:UNUSED_PAD src0_sel:DWORD src1_sel:BYTE_3
	v_sub_u32_e32 v12, 29, v12
	v_and_b32_e32 v8, 7, v8
	v_cmp_eq_u16_e32 vcc, 0, v6
	v_cndmask_b32_e32 v2, v2, v8, vcc
	v_cndmask_b32_e32 v6, v7, v12, vcc
	v_mov_b32_e32 v7, 0x3b800000
	v_lshlrev_b32_e32 v2, 20, v2
	v_lshl_add_u32 v6, v6, 23, v7
	v_or3_b32 v2, v3, v6, v2
.LBB15_1116:
	s_or_b64 exec, exec, s[6:7]
	s_movk_i32 s4, 0x7f
	v_cmp_gt_i16_sdwa s[6:7], v4, s4 src0_sel:BYTE_3 src1_sel:DWORD
	s_mov_b64 s[4:5], 0
                                        ; implicit-def: $sgpr10
	s_and_saveexec_b64 s[8:9], s[6:7]
	s_xor_b64 s[6:7], exec, s[8:9]
	s_cbranch_execnz .LBB15_3165
; %bb.1117:
	s_or_saveexec_b64 s[6:7], s[6:7]
	v_mov_b32_e32 v3, s10
	s_xor_b64 exec, exec, s[6:7]
	s_cbranch_execnz .LBB15_3168
.LBB15_1118:
	s_or_b64 exec, exec, s[6:7]
	s_and_saveexec_b64 s[6:7], s[4:5]
	s_cbranch_execz .LBB15_1120
.LBB15_1119:
	v_bfe_u32 v3, v4, 24, 3
	v_ffbh_u32_e32 v12, v3
	v_min_u32_e32 v12, 32, v12
	v_lshrrev_b32_e32 v7, 27, v4
	v_subrev_u32_e32 v13, 28, v12
	v_and_b32_e32 v6, 0x80000000, v4
	v_and_b32_e32 v7, 15, v7
	v_bfe_u32 v8, v4, 27, 4
	v_lshlrev_b32_sdwa v4, v13, v4 dst_sel:DWORD dst_unused:UNUSED_PAD src0_sel:DWORD src1_sel:BYTE_3
	v_sub_u32_e32 v12, 29, v12
	v_and_b32_e32 v4, 7, v4
	v_cmp_eq_u16_e32 vcc, 0, v7
	v_cndmask_b32_e32 v3, v3, v4, vcc
	v_cndmask_b32_e32 v4, v8, v12, vcc
	v_mov_b32_e32 v7, 0x3b800000
	v_lshlrev_b32_e32 v3, 20, v3
	v_lshl_add_u32 v4, v4, 23, v7
	v_or3_b32 v3, v6, v4, v3
.LBB15_1120:
	s_or_b64 exec, exec, s[6:7]
	s_nop 0
	v_mfma_f32_16x16x4f32 a[0:3], v2, v3, a[0:3]
	s_movk_i32 s4, 0x7f
	v_cmp_gt_i16_sdwa s[6:7], v9, s4 src0_sel:BYTE_0 src1_sel:DWORD
	s_mov_b64 s[4:5], 0
                                        ; implicit-def: $sgpr10
	s_and_saveexec_b64 s[8:9], s[6:7]
	s_xor_b64 s[6:7], exec, s[8:9]
	s_cbranch_execnz .LBB15_3169
; %bb.1121:
	s_or_saveexec_b64 s[6:7], s[6:7]
	v_mov_b32_e32 v2, s10
	s_xor_b64 exec, exec, s[6:7]
	s_cbranch_execnz .LBB15_3172
.LBB15_1122:
	s_or_b64 exec, exec, s[6:7]
	s_and_saveexec_b64 s[6:7], s[4:5]
	s_cbranch_execz .LBB15_1124
.LBB15_1123:
	v_mov_b32_e32 v2, 8
	v_and_b32_e32 v3, 7, v9
	v_lshrrev_b32_sdwa v2, v2, v9 dst_sel:BYTE_1 dst_unused:UNUSED_PAD src0_sel:DWORD src1_sel:DWORD
	v_ffbh_u32_e32 v4, v3
	v_or_b32_sdwa v2, v9, v2 dst_sel:DWORD dst_unused:UNUSED_PAD src0_sel:BYTE_0 src1_sel:DWORD
	v_min_u32_e32 v4, 32, v4
	v_lshrrev_b16_e32 v2, 3, v2
	v_subrev_u32_e32 v6, 28, v4
	v_and_b32_e32 v2, 15, v2
	v_lshlrev_b32_e32 v6, v6, v9
	v_sub_u32_e32 v4, 29, v4
	v_and_b32_e32 v6, 7, v6
	v_cmp_eq_u16_e32 vcc, 0, v2
	v_cndmask_b32_e32 v3, v3, v6, vcc
	v_cndmask_b32_e32 v2, v2, v4, vcc
	v_lshlrev_b32_e32 v4, 24, v9
	v_mov_b32_e32 v6, 0x3b800000
	v_lshlrev_b32_e32 v3, 20, v3
	v_and_b32_e32 v4, 0x80000000, v4
	v_lshl_add_u32 v2, v2, 23, v6
	v_or3_b32 v2, v4, v2, v3
.LBB15_1124:
	s_or_b64 exec, exec, s[6:7]
	s_movk_i32 s4, 0x7f
	v_cmp_gt_i16_sdwa s[6:7], v5, s4 src0_sel:BYTE_0 src1_sel:DWORD
	s_mov_b64 s[4:5], 0
                                        ; implicit-def: $sgpr10
	s_and_saveexec_b64 s[8:9], s[6:7]
	s_xor_b64 s[6:7], exec, s[8:9]
	s_cbranch_execnz .LBB15_3173
; %bb.1125:
	s_or_saveexec_b64 s[6:7], s[6:7]
	v_mov_b32_e32 v3, s10
	s_xor_b64 exec, exec, s[6:7]
	s_cbranch_execnz .LBB15_3176
.LBB15_1126:
	s_or_b64 exec, exec, s[6:7]
	s_and_saveexec_b64 s[6:7], s[4:5]
	s_cbranch_execz .LBB15_1128
.LBB15_1127:
	v_mov_b32_e32 v3, 8
	v_and_b32_e32 v4, 7, v5
	v_lshrrev_b32_sdwa v3, v3, v5 dst_sel:BYTE_1 dst_unused:UNUSED_PAD src0_sel:DWORD src1_sel:DWORD
	v_ffbh_u32_e32 v6, v4
	v_or_b32_sdwa v3, v5, v3 dst_sel:DWORD dst_unused:UNUSED_PAD src0_sel:BYTE_0 src1_sel:DWORD
	v_min_u32_e32 v6, 32, v6
	v_lshrrev_b16_e32 v3, 3, v3
	v_subrev_u32_e32 v7, 28, v6
	v_and_b32_e32 v3, 15, v3
	v_lshlrev_b32_e32 v7, v7, v5
	v_sub_u32_e32 v6, 29, v6
	v_and_b32_e32 v7, 7, v7
	v_cmp_eq_u16_e32 vcc, 0, v3
	v_cndmask_b32_e32 v4, v4, v7, vcc
	v_cndmask_b32_e32 v3, v3, v6, vcc
	v_lshlrev_b32_e32 v6, 24, v5
	v_mov_b32_e32 v7, 0x3b800000
	v_lshlrev_b32_e32 v4, 20, v4
	v_and_b32_e32 v6, 0x80000000, v6
	v_lshl_add_u32 v3, v3, 23, v7
	v_or3_b32 v3, v6, v3, v4
.LBB15_1128:
	s_or_b64 exec, exec, s[6:7]
	s_nop 0
	v_mfma_f32_16x16x4f32 a[0:3], v2, v3, a[0:3]
	v_lshrrev_b32_e32 v3, 8, v9
	s_movk_i32 s4, 0x7f
	v_cmp_gt_i16_sdwa s[6:7], v3, s4 src0_sel:BYTE_0 src1_sel:DWORD
	s_mov_b64 s[4:5], 0
                                        ; implicit-def: $sgpr10
	s_and_saveexec_b64 s[8:9], s[6:7]
	s_xor_b64 s[6:7], exec, s[8:9]
	s_cbranch_execnz .LBB15_3177
; %bb.1129:
	s_or_saveexec_b64 s[6:7], s[6:7]
	v_mov_b32_e32 v2, s10
	s_xor_b64 exec, exec, s[6:7]
	s_cbranch_execnz .LBB15_3180
.LBB15_1130:
	s_or_b64 exec, exec, s[6:7]
	s_and_saveexec_b64 s[6:7], s[4:5]
	s_cbranch_execz .LBB15_1132
.LBB15_1131:
	v_bfe_u32 v2, v9, 8, 3
	v_ffbh_u32_e32 v6, v2
	v_min_u32_e32 v6, 32, v6
	v_lshrrev_b16_e32 v4, 3, v3
	v_subrev_u32_e32 v7, 28, v6
	v_and_b32_e32 v4, 15, v4
	v_lshlrev_b32_e32 v3, v7, v3
	v_sub_u32_e32 v6, 29, v6
	v_and_b32_e32 v3, 7, v3
	v_cmp_eq_u16_e32 vcc, 0, v4
	v_cndmask_b32_e32 v2, v2, v3, vcc
	v_cndmask_b32_e32 v3, v4, v6, vcc
	v_lshlrev_b32_e32 v4, 16, v9
	v_mov_b32_e32 v6, 0x3b800000
	v_lshlrev_b32_e32 v2, 20, v2
	v_and_b32_e32 v4, 0x80000000, v4
	v_lshl_add_u32 v3, v3, 23, v6
	v_or3_b32 v2, v4, v3, v2
.LBB15_1132:
	s_or_b64 exec, exec, s[6:7]
	v_lshrrev_b32_e32 v3, 8, v5
	s_movk_i32 s4, 0x7f
	v_cmp_gt_i16_sdwa s[6:7], v3, s4 src0_sel:BYTE_0 src1_sel:DWORD
	s_mov_b64 s[4:5], 0
                                        ; implicit-def: $sgpr10
	s_and_saveexec_b64 s[8:9], s[6:7]
	s_xor_b64 s[6:7], exec, s[8:9]
	s_cbranch_execnz .LBB15_3181
; %bb.1133:
	s_or_saveexec_b64 s[6:7], s[6:7]
	v_mov_b32_e32 v4, s10
	s_xor_b64 exec, exec, s[6:7]
	s_cbranch_execnz .LBB15_3184
.LBB15_1134:
	s_or_b64 exec, exec, s[6:7]
	s_and_saveexec_b64 s[6:7], s[4:5]
	s_cbranch_execz .LBB15_1136
.LBB15_1135:
	v_bfe_u32 v4, v5, 8, 3
	v_ffbh_u32_e32 v7, v4
	v_min_u32_e32 v7, 32, v7
	v_lshrrev_b16_e32 v6, 3, v3
	v_subrev_u32_e32 v8, 28, v7
	v_and_b32_e32 v6, 15, v6
	v_lshlrev_b32_e32 v3, v8, v3
	v_sub_u32_e32 v7, 29, v7
	v_and_b32_e32 v3, 7, v3
	v_cmp_eq_u16_e32 vcc, 0, v6
	v_cndmask_b32_e32 v3, v4, v3, vcc
	v_cndmask_b32_e32 v4, v6, v7, vcc
	v_lshlrev_b32_e32 v6, 16, v5
	v_mov_b32_e32 v7, 0x3b800000
	v_lshlrev_b32_e32 v3, 20, v3
	v_and_b32_e32 v6, 0x80000000, v6
	v_lshl_add_u32 v4, v4, 23, v7
	v_or3_b32 v4, v6, v4, v3
.LBB15_1136:
	s_or_b64 exec, exec, s[6:7]
	s_nop 0
	v_mfma_f32_16x16x4f32 a[0:3], v2, v4, a[0:3]
	s_movk_i32 s4, 0xff
	v_and_b32_sdwa v3, v9, s4 dst_sel:DWORD dst_unused:UNUSED_PAD src0_sel:WORD_1 src1_sel:DWORD
	s_movk_i32 s4, 0x7f
	v_cmp_lt_i16_e32 vcc, s4, v3
	s_mov_b64 s[4:5], 0
                                        ; implicit-def: $sgpr10
	s_and_saveexec_b64 s[6:7], vcc
	s_xor_b64 s[6:7], exec, s[6:7]
	s_cbranch_execnz .LBB15_3185
; %bb.1137:
	s_or_saveexec_b64 s[6:7], s[6:7]
	v_mov_b32_e32 v2, s10
	s_xor_b64 exec, exec, s[6:7]
	s_cbranch_execnz .LBB15_3188
.LBB15_1138:
	s_or_b64 exec, exec, s[6:7]
	s_and_saveexec_b64 s[6:7], s[4:5]
	s_cbranch_execz .LBB15_1140
.LBB15_1139:
	v_bfe_u32 v2, v9, 16, 3
	v_ffbh_u32_e32 v6, v2
	v_min_u32_e32 v6, 32, v6
	v_lshrrev_b32_e32 v3, 19, v9
	v_subrev_u32_e32 v7, 28, v6
	v_and_b32_e32 v3, 15, v3
	v_lshlrev_b32_sdwa v7, v7, v9 dst_sel:DWORD dst_unused:UNUSED_PAD src0_sel:DWORD src1_sel:WORD_1
	v_bfe_u32 v4, v9, 19, 4
	v_sub_u32_e32 v6, 29, v6
	v_and_b32_e32 v7, 7, v7
	v_cmp_eq_u16_e32 vcc, 0, v3
	v_cndmask_b32_e32 v2, v2, v7, vcc
	v_cndmask_b32_e32 v3, v4, v6, vcc
	v_lshlrev_b32_e32 v4, 8, v9
	v_mov_b32_e32 v6, 0x3b800000
	v_lshlrev_b32_e32 v2, 20, v2
	v_and_b32_e32 v4, 0x80000000, v4
	v_lshl_add_u32 v3, v3, 23, v6
	v_or3_b32 v2, v4, v3, v2
.LBB15_1140:
	s_or_b64 exec, exec, s[6:7]
	s_movk_i32 s4, 0xff
	v_and_b32_sdwa v3, v5, s4 dst_sel:DWORD dst_unused:UNUSED_PAD src0_sel:WORD_1 src1_sel:DWORD
	s_movk_i32 s4, 0x7f
	v_cmp_lt_i16_e32 vcc, s4, v3
	s_mov_b64 s[4:5], 0
                                        ; implicit-def: $sgpr10
	s_and_saveexec_b64 s[6:7], vcc
	s_xor_b64 s[6:7], exec, s[6:7]
	s_cbranch_execnz .LBB15_3189
; %bb.1141:
	s_or_saveexec_b64 s[6:7], s[6:7]
	v_mov_b32_e32 v4, s10
	s_xor_b64 exec, exec, s[6:7]
	s_cbranch_execnz .LBB15_3192
.LBB15_1142:
	s_or_b64 exec, exec, s[6:7]
	s_and_saveexec_b64 s[6:7], s[4:5]
	s_cbranch_execz .LBB15_1144
.LBB15_1143:
	v_bfe_u32 v3, v5, 16, 3
	v_ffbh_u32_e32 v7, v3
	v_min_u32_e32 v7, 32, v7
	v_lshrrev_b32_e32 v4, 19, v5
	v_subrev_u32_e32 v8, 28, v7
	v_and_b32_e32 v4, 15, v4
	v_lshlrev_b32_sdwa v8, v8, v5 dst_sel:DWORD dst_unused:UNUSED_PAD src0_sel:DWORD src1_sel:WORD_1
	v_bfe_u32 v6, v5, 19, 4
	v_sub_u32_e32 v7, 29, v7
	v_and_b32_e32 v8, 7, v8
	v_cmp_eq_u16_e32 vcc, 0, v4
	v_cndmask_b32_e32 v3, v3, v8, vcc
	v_cndmask_b32_e32 v4, v6, v7, vcc
	v_lshlrev_b32_e32 v6, 8, v5
	v_mov_b32_e32 v7, 0x3b800000
	v_lshlrev_b32_e32 v3, 20, v3
	v_and_b32_e32 v6, 0x80000000, v6
	v_lshl_add_u32 v4, v4, 23, v7
	v_or3_b32 v4, v6, v4, v3
.LBB15_1144:
	s_or_b64 exec, exec, s[6:7]
	s_nop 0
	v_mfma_f32_16x16x4f32 a[0:3], v2, v4, a[0:3]
	s_movk_i32 s4, 0x7f
	v_cmp_gt_i16_sdwa s[6:7], v9, s4 src0_sel:BYTE_3 src1_sel:DWORD
	s_mov_b64 s[4:5], 0
                                        ; implicit-def: $sgpr10
	s_and_saveexec_b64 s[8:9], s[6:7]
	s_xor_b64 s[6:7], exec, s[8:9]
	s_cbranch_execnz .LBB15_3193
; %bb.1145:
	s_or_saveexec_b64 s[6:7], s[6:7]
	v_mov_b32_e32 v2, s10
	s_xor_b64 exec, exec, s[6:7]
	s_cbranch_execnz .LBB15_3196
.LBB15_1146:
	s_or_b64 exec, exec, s[6:7]
	s_and_saveexec_b64 s[6:7], s[4:5]
	s_cbranch_execz .LBB15_1148
.LBB15_1147:
	v_bfe_u32 v2, v9, 24, 3
	v_ffbh_u32_e32 v7, v2
	v_min_u32_e32 v7, 32, v7
	v_lshrrev_b32_e32 v4, 27, v9
	v_subrev_u32_e32 v8, 28, v7
	v_and_b32_e32 v4, 15, v4
	v_lshlrev_b32_sdwa v8, v8, v9 dst_sel:DWORD dst_unused:UNUSED_PAD src0_sel:DWORD src1_sel:BYTE_3
	v_bfe_u32 v6, v9, 27, 4
	v_sub_u32_e32 v7, 29, v7
	v_and_b32_e32 v8, 7, v8
	v_cmp_eq_u16_e32 vcc, 0, v4
	v_cndmask_b32_e32 v2, v2, v8, vcc
	v_cndmask_b32_e32 v4, v6, v7, vcc
	v_mov_b32_e32 v6, 0x3b800000
	v_and_b32_e32 v3, 0x80000000, v9
	v_lshlrev_b32_e32 v2, 20, v2
	v_lshl_add_u32 v4, v4, 23, v6
	v_or3_b32 v2, v3, v4, v2
.LBB15_1148:
	s_or_b64 exec, exec, s[6:7]
	s_movk_i32 s4, 0x7f
	v_cmp_gt_i16_sdwa s[6:7], v5, s4 src0_sel:BYTE_3 src1_sel:DWORD
	s_mov_b64 s[4:5], 0
                                        ; implicit-def: $sgpr10
	s_and_saveexec_b64 s[8:9], s[6:7]
	s_xor_b64 s[6:7], exec, s[8:9]
	s_cbranch_execnz .LBB15_3197
; %bb.1149:
	s_or_saveexec_b64 s[6:7], s[6:7]
	v_mov_b32_e32 v3, s10
	s_xor_b64 exec, exec, s[6:7]
	s_cbranch_execnz .LBB15_3200
.LBB15_1150:
	s_or_b64 exec, exec, s[6:7]
	s_and_saveexec_b64 s[6:7], s[4:5]
	s_cbranch_execz .LBB15_1152
.LBB15_1151:
	v_bfe_u32 v3, v5, 24, 3
	v_ffbh_u32_e32 v8, v3
	v_min_u32_e32 v8, 32, v8
	v_lshrrev_b32_e32 v6, 27, v5
	v_subrev_u32_e32 v9, 28, v8
	v_and_b32_e32 v4, 0x80000000, v5
	v_and_b32_e32 v6, 15, v6
	v_bfe_u32 v7, v5, 27, 4
	v_lshlrev_b32_sdwa v5, v9, v5 dst_sel:DWORD dst_unused:UNUSED_PAD src0_sel:DWORD src1_sel:BYTE_3
	v_sub_u32_e32 v8, 29, v8
	v_and_b32_e32 v5, 7, v5
	v_cmp_eq_u16_e32 vcc, 0, v6
	v_cndmask_b32_e32 v3, v3, v5, vcc
	v_cndmask_b32_e32 v5, v7, v8, vcc
	v_mov_b32_e32 v6, 0x3b800000
	v_lshlrev_b32_e32 v3, 20, v3
	v_lshl_add_u32 v5, v5, 23, v6
	v_or3_b32 v3, v4, v5, v3
.LBB15_1152:
	s_or_b64 exec, exec, s[6:7]
	s_nop 0
	v_mfma_f32_16x16x4f32 a[0:3], v2, v3, a[0:3]
	s_movk_i32 s4, 0x7f
                                        ; implicit-def: $sgpr10
	s_nop 7
	s_nop 1
	flat_store_dwordx4 v[10:11], a[0:3] offset:128
	flat_load_dwordx4 v[12:15], v[0:1] offset:8
	s_nop 0
	flat_load_dwordx2 v[10:11], v[0:1] offset:32
	s_waitcnt vmcnt(0) lgkmcnt(0)
	flat_load_dwordx4 v[6:9], v[12:13] offset:80
	flat_load_dwordx4 v[2:5], v[14:15] offset:48
	s_waitcnt vmcnt(0) lgkmcnt(0)
	v_cmp_gt_i16_sdwa s[6:7], v6, s4 src0_sel:BYTE_0 src1_sel:DWORD
	s_mov_b64 s[4:5], 0
	s_and_saveexec_b64 s[8:9], s[6:7]
	s_xor_b64 s[6:7], exec, s[8:9]
	s_cbranch_execnz .LBB15_3201
; %bb.1153:
	s_or_saveexec_b64 s[6:7], s[6:7]
	v_mov_b32_e32 v12, s10
	s_xor_b64 exec, exec, s[6:7]
	s_cbranch_execnz .LBB15_3204
.LBB15_1154:
	s_or_b64 exec, exec, s[6:7]
	s_and_saveexec_b64 s[6:7], s[4:5]
	s_cbranch_execz .LBB15_1156
.LBB15_1155:
	v_and_b32_e32 v12, 7, v6
	v_ffbh_u32_e32 v14, v12
	v_min_u32_e32 v14, 32, v14
	v_lshrrev_b16_e32 v13, 3, v6
	v_subrev_u32_e32 v15, 28, v14
	v_and_b32_e32 v13, 15, v13
	v_lshlrev_b32_e32 v15, v15, v6
	v_sub_u32_e32 v14, 29, v14
	v_and_b32_e32 v15, 7, v15
	v_cmp_eq_u16_e32 vcc, 0, v13
	v_cndmask_b32_e32 v12, v12, v15, vcc
	v_cndmask_b32_e32 v13, v13, v14, vcc
	v_lshlrev_b32_e32 v14, 24, v6
	v_mov_b32_e32 v15, 0x3b800000
	v_lshlrev_b32_e32 v12, 20, v12
	v_and_b32_e32 v14, 0x80000000, v14
	v_lshl_add_u32 v13, v13, 23, v15
	v_or3_b32 v12, v14, v13, v12
.LBB15_1156:
	s_or_b64 exec, exec, s[6:7]
	s_movk_i32 s4, 0x7f
	v_cmp_gt_i16_sdwa s[6:7], v2, s4 src0_sel:BYTE_0 src1_sel:DWORD
	s_mov_b64 s[4:5], 0
                                        ; implicit-def: $sgpr10
	s_and_saveexec_b64 s[8:9], s[6:7]
	s_xor_b64 s[6:7], exec, s[8:9]
	s_cbranch_execnz .LBB15_3205
; %bb.1157:
	s_or_saveexec_b64 s[6:7], s[6:7]
	v_mov_b32_e32 v13, s10
	s_xor_b64 exec, exec, s[6:7]
	s_cbranch_execnz .LBB15_3208
.LBB15_1158:
	s_or_b64 exec, exec, s[6:7]
	s_and_saveexec_b64 s[6:7], s[4:5]
	s_cbranch_execz .LBB15_1160
.LBB15_1159:
	v_and_b32_e32 v13, 7, v2
	v_ffbh_u32_e32 v15, v13
	v_min_u32_e32 v15, 32, v15
	v_lshrrev_b16_e32 v14, 3, v2
	v_subrev_u32_e32 v16, 28, v15
	v_and_b32_e32 v14, 15, v14
	v_lshlrev_b32_e32 v16, v16, v2
	v_sub_u32_e32 v15, 29, v15
	v_and_b32_e32 v16, 7, v16
	v_cmp_eq_u16_e32 vcc, 0, v14
	v_cndmask_b32_e32 v13, v13, v16, vcc
	v_cndmask_b32_e32 v14, v14, v15, vcc
	v_lshlrev_b32_e32 v15, 24, v2
	v_mov_b32_e32 v16, 0x3b800000
	v_lshlrev_b32_e32 v13, 20, v13
	v_and_b32_e32 v15, 0x80000000, v15
	v_lshl_add_u32 v14, v14, 23, v16
	v_or3_b32 v13, v15, v14, v13
.LBB15_1160:
	s_or_b64 exec, exec, s[6:7]
	flat_load_dwordx4 a[0:3], v[10:11] offset:144
	s_movk_i32 s4, 0x7f
                                        ; implicit-def: $sgpr10
	s_waitcnt vmcnt(0) lgkmcnt(0)
	v_mfma_f32_16x16x4f32 a[0:3], v12, v13, a[0:3]
	v_lshrrev_b32_e32 v13, 8, v6
	v_cmp_gt_i16_sdwa s[6:7], v13, s4 src0_sel:BYTE_0 src1_sel:DWORD
	s_mov_b64 s[4:5], 0
	s_and_saveexec_b64 s[8:9], s[6:7]
	s_xor_b64 s[6:7], exec, s[8:9]
	s_cbranch_execnz .LBB15_3209
; %bb.1161:
	s_or_saveexec_b64 s[6:7], s[6:7]
	v_mov_b32_e32 v12, s10
	s_xor_b64 exec, exec, s[6:7]
	s_cbranch_execnz .LBB15_3212
.LBB15_1162:
	s_or_b64 exec, exec, s[6:7]
	s_and_saveexec_b64 s[6:7], s[4:5]
	s_cbranch_execz .LBB15_1164
.LBB15_1163:
	v_bfe_u32 v12, v6, 8, 3
	v_ffbh_u32_e32 v15, v12
	v_min_u32_e32 v15, 32, v15
	v_lshrrev_b16_e32 v14, 3, v13
	v_subrev_u32_e32 v16, 28, v15
	v_and_b32_e32 v14, 15, v14
	v_lshlrev_b32_e32 v13, v16, v13
	v_sub_u32_e32 v15, 29, v15
	v_and_b32_e32 v13, 7, v13
	v_cmp_eq_u16_e32 vcc, 0, v14
	v_cndmask_b32_e32 v12, v12, v13, vcc
	v_cndmask_b32_e32 v13, v14, v15, vcc
	v_lshlrev_b32_e32 v14, 16, v6
	v_mov_b32_e32 v15, 0x3b800000
	v_lshlrev_b32_e32 v12, 20, v12
	v_and_b32_e32 v14, 0x80000000, v14
	v_lshl_add_u32 v13, v13, 23, v15
	v_or3_b32 v12, v14, v13, v12
.LBB15_1164:
	s_or_b64 exec, exec, s[6:7]
	v_lshrrev_b32_e32 v13, 8, v2
	s_movk_i32 s4, 0x7f
	v_cmp_gt_i16_sdwa s[6:7], v13, s4 src0_sel:BYTE_0 src1_sel:DWORD
	s_mov_b64 s[4:5], 0
                                        ; implicit-def: $sgpr10
	s_and_saveexec_b64 s[8:9], s[6:7]
	s_xor_b64 s[6:7], exec, s[8:9]
	s_cbranch_execnz .LBB15_3213
; %bb.1165:
	s_or_saveexec_b64 s[6:7], s[6:7]
	v_mov_b32_e32 v14, s10
	s_xor_b64 exec, exec, s[6:7]
	s_cbranch_execnz .LBB15_3216
.LBB15_1166:
	s_or_b64 exec, exec, s[6:7]
	s_and_saveexec_b64 s[6:7], s[4:5]
	s_cbranch_execz .LBB15_1168
.LBB15_1167:
	v_bfe_u32 v14, v2, 8, 3
	v_ffbh_u32_e32 v16, v14
	v_min_u32_e32 v16, 32, v16
	v_lshrrev_b16_e32 v15, 3, v13
	v_subrev_u32_e32 v17, 28, v16
	v_and_b32_e32 v15, 15, v15
	v_lshlrev_b32_e32 v13, v17, v13
	v_sub_u32_e32 v16, 29, v16
	v_and_b32_e32 v13, 7, v13
	v_cmp_eq_u16_e32 vcc, 0, v15
	v_cndmask_b32_e32 v13, v14, v13, vcc
	v_cndmask_b32_e32 v14, v15, v16, vcc
	v_lshlrev_b32_e32 v15, 16, v2
	v_mov_b32_e32 v16, 0x3b800000
	v_lshlrev_b32_e32 v13, 20, v13
	v_and_b32_e32 v15, 0x80000000, v15
	v_lshl_add_u32 v14, v14, 23, v16
	v_or3_b32 v14, v15, v14, v13
.LBB15_1168:
	s_or_b64 exec, exec, s[6:7]
	s_nop 0
	v_mfma_f32_16x16x4f32 a[0:3], v12, v14, a[0:3]
	s_movk_i32 s4, 0xff
	v_and_b32_sdwa v13, v6, s4 dst_sel:DWORD dst_unused:UNUSED_PAD src0_sel:WORD_1 src1_sel:DWORD
	s_movk_i32 s4, 0x7f
	v_cmp_lt_i16_e32 vcc, s4, v13
	s_mov_b64 s[4:5], 0
                                        ; implicit-def: $sgpr10
	s_and_saveexec_b64 s[6:7], vcc
	s_xor_b64 s[6:7], exec, s[6:7]
	s_cbranch_execnz .LBB15_3217
; %bb.1169:
	s_or_saveexec_b64 s[6:7], s[6:7]
	v_mov_b32_e32 v12, s10
	s_xor_b64 exec, exec, s[6:7]
	s_cbranch_execnz .LBB15_3220
.LBB15_1170:
	s_or_b64 exec, exec, s[6:7]
	s_and_saveexec_b64 s[6:7], s[4:5]
	s_cbranch_execz .LBB15_1172
.LBB15_1171:
	v_bfe_u32 v12, v6, 16, 3
	v_ffbh_u32_e32 v15, v12
	v_min_u32_e32 v15, 32, v15
	v_lshrrev_b32_e32 v13, 19, v6
	v_subrev_u32_e32 v16, 28, v15
	v_and_b32_e32 v13, 15, v13
	v_lshlrev_b32_sdwa v16, v16, v6 dst_sel:DWORD dst_unused:UNUSED_PAD src0_sel:DWORD src1_sel:WORD_1
	v_bfe_u32 v14, v6, 19, 4
	v_sub_u32_e32 v15, 29, v15
	v_and_b32_e32 v16, 7, v16
	v_cmp_eq_u16_e32 vcc, 0, v13
	v_cndmask_b32_e32 v12, v12, v16, vcc
	v_cndmask_b32_e32 v13, v14, v15, vcc
	v_lshlrev_b32_e32 v14, 8, v6
	v_mov_b32_e32 v15, 0x3b800000
	v_lshlrev_b32_e32 v12, 20, v12
	v_and_b32_e32 v14, 0x80000000, v14
	v_lshl_add_u32 v13, v13, 23, v15
	v_or3_b32 v12, v14, v13, v12
.LBB15_1172:
	s_or_b64 exec, exec, s[6:7]
	s_movk_i32 s4, 0xff
	v_and_b32_sdwa v13, v2, s4 dst_sel:DWORD dst_unused:UNUSED_PAD src0_sel:WORD_1 src1_sel:DWORD
	s_movk_i32 s4, 0x7f
	v_cmp_lt_i16_e32 vcc, s4, v13
	s_mov_b64 s[4:5], 0
                                        ; implicit-def: $sgpr10
	s_and_saveexec_b64 s[6:7], vcc
	s_xor_b64 s[6:7], exec, s[6:7]
	s_cbranch_execnz .LBB15_3221
; %bb.1173:
	s_or_saveexec_b64 s[6:7], s[6:7]
	v_mov_b32_e32 v14, s10
	s_xor_b64 exec, exec, s[6:7]
	s_cbranch_execnz .LBB15_3224
.LBB15_1174:
	s_or_b64 exec, exec, s[6:7]
	s_and_saveexec_b64 s[6:7], s[4:5]
	s_cbranch_execz .LBB15_1176
.LBB15_1175:
	v_bfe_u32 v13, v2, 16, 3
	v_ffbh_u32_e32 v16, v13
	v_min_u32_e32 v16, 32, v16
	v_lshrrev_b32_e32 v14, 19, v2
	v_subrev_u32_e32 v17, 28, v16
	v_and_b32_e32 v14, 15, v14
	v_lshlrev_b32_sdwa v17, v17, v2 dst_sel:DWORD dst_unused:UNUSED_PAD src0_sel:DWORD src1_sel:WORD_1
	v_bfe_u32 v15, v2, 19, 4
	v_sub_u32_e32 v16, 29, v16
	v_and_b32_e32 v17, 7, v17
	v_cmp_eq_u16_e32 vcc, 0, v14
	v_cndmask_b32_e32 v13, v13, v17, vcc
	v_cndmask_b32_e32 v14, v15, v16, vcc
	v_lshlrev_b32_e32 v15, 8, v2
	v_mov_b32_e32 v16, 0x3b800000
	v_lshlrev_b32_e32 v13, 20, v13
	v_and_b32_e32 v15, 0x80000000, v15
	v_lshl_add_u32 v14, v14, 23, v16
	v_or3_b32 v14, v15, v14, v13
.LBB15_1176:
	s_or_b64 exec, exec, s[6:7]
	s_nop 0
	v_mfma_f32_16x16x4f32 a[0:3], v12, v14, a[0:3]
	s_movk_i32 s4, 0x7f
	v_cmp_gt_i16_sdwa s[6:7], v6, s4 src0_sel:BYTE_3 src1_sel:DWORD
	s_mov_b64 s[4:5], 0
                                        ; implicit-def: $sgpr10
	s_and_saveexec_b64 s[8:9], s[6:7]
	s_xor_b64 s[6:7], exec, s[8:9]
	s_cbranch_execnz .LBB15_3225
; %bb.1177:
	s_or_saveexec_b64 s[6:7], s[6:7]
	v_mov_b32_e32 v12, s10
	s_xor_b64 exec, exec, s[6:7]
	s_cbranch_execnz .LBB15_3228
.LBB15_1178:
	s_or_b64 exec, exec, s[6:7]
	s_and_saveexec_b64 s[6:7], s[4:5]
	s_cbranch_execz .LBB15_1180
.LBB15_1179:
	v_bfe_u32 v12, v6, 24, 3
	v_ffbh_u32_e32 v16, v12
	v_min_u32_e32 v16, 32, v16
	v_lshrrev_b32_e32 v14, 27, v6
	v_subrev_u32_e32 v17, 28, v16
	v_and_b32_e32 v13, 0x80000000, v6
	v_and_b32_e32 v14, 15, v14
	v_bfe_u32 v15, v6, 27, 4
	v_lshlrev_b32_sdwa v6, v17, v6 dst_sel:DWORD dst_unused:UNUSED_PAD src0_sel:DWORD src1_sel:BYTE_3
	v_sub_u32_e32 v16, 29, v16
	v_and_b32_e32 v6, 7, v6
	v_cmp_eq_u16_e32 vcc, 0, v14
	v_cndmask_b32_e32 v6, v12, v6, vcc
	v_cndmask_b32_e32 v12, v15, v16, vcc
	v_mov_b32_e32 v14, 0x3b800000
	v_lshlrev_b32_e32 v6, 20, v6
	v_lshl_add_u32 v12, v12, 23, v14
	v_or3_b32 v12, v13, v12, v6
.LBB15_1180:
	s_or_b64 exec, exec, s[6:7]
	s_movk_i32 s4, 0x7f
	v_cmp_gt_i16_sdwa s[6:7], v2, s4 src0_sel:BYTE_3 src1_sel:DWORD
	s_mov_b64 s[4:5], 0
                                        ; implicit-def: $sgpr10
	s_and_saveexec_b64 s[8:9], s[6:7]
	s_xor_b64 s[6:7], exec, s[8:9]
	s_cbranch_execnz .LBB15_3229
; %bb.1181:
	s_or_saveexec_b64 s[6:7], s[6:7]
	v_mov_b32_e32 v6, s10
	s_xor_b64 exec, exec, s[6:7]
	s_cbranch_execnz .LBB15_3232
.LBB15_1182:
	s_or_b64 exec, exec, s[6:7]
	s_and_saveexec_b64 s[6:7], s[4:5]
	s_cbranch_execz .LBB15_1184
.LBB15_1183:
	v_bfe_u32 v6, v2, 24, 3
	v_ffbh_u32_e32 v16, v6
	v_min_u32_e32 v16, 32, v16
	v_lshrrev_b32_e32 v14, 27, v2
	v_subrev_u32_e32 v17, 28, v16
	v_and_b32_e32 v13, 0x80000000, v2
	v_and_b32_e32 v14, 15, v14
	v_bfe_u32 v15, v2, 27, 4
	v_lshlrev_b32_sdwa v2, v17, v2 dst_sel:DWORD dst_unused:UNUSED_PAD src0_sel:DWORD src1_sel:BYTE_3
	v_sub_u32_e32 v16, 29, v16
	v_and_b32_e32 v2, 7, v2
	v_cmp_eq_u16_e32 vcc, 0, v14
	v_cndmask_b32_e32 v2, v6, v2, vcc
	v_cndmask_b32_e32 v6, v15, v16, vcc
	v_mov_b32_e32 v14, 0x3b800000
	v_lshlrev_b32_e32 v2, 20, v2
	v_lshl_add_u32 v6, v6, 23, v14
	v_or3_b32 v6, v13, v6, v2
.LBB15_1184:
	s_or_b64 exec, exec, s[6:7]
	s_nop 0
	v_mfma_f32_16x16x4f32 a[0:3], v12, v6, a[0:3]
	s_movk_i32 s4, 0x7f
	v_cmp_gt_i16_sdwa s[6:7], v7, s4 src0_sel:BYTE_0 src1_sel:DWORD
	s_mov_b64 s[4:5], 0
                                        ; implicit-def: $sgpr10
	s_and_saveexec_b64 s[8:9], s[6:7]
	s_xor_b64 s[6:7], exec, s[8:9]
	s_cbranch_execnz .LBB15_3233
; %bb.1185:
	s_or_saveexec_b64 s[6:7], s[6:7]
	v_mov_b32_e32 v2, s10
	s_xor_b64 exec, exec, s[6:7]
	s_cbranch_execnz .LBB15_3236
.LBB15_1186:
	s_or_b64 exec, exec, s[6:7]
	s_and_saveexec_b64 s[6:7], s[4:5]
	s_cbranch_execz .LBB15_1188
.LBB15_1187:
	v_and_b32_e32 v2, 7, v7
	v_ffbh_u32_e32 v12, v2
	v_min_u32_e32 v12, 32, v12
	v_lshrrev_b16_e32 v6, 3, v7
	v_subrev_u32_e32 v13, 28, v12
	v_and_b32_e32 v6, 15, v6
	v_lshlrev_b32_e32 v13, v13, v7
	v_sub_u32_e32 v12, 29, v12
	v_and_b32_e32 v13, 7, v13
	v_cmp_eq_u16_e32 vcc, 0, v6
	v_cndmask_b32_e32 v2, v2, v13, vcc
	v_cndmask_b32_e32 v6, v6, v12, vcc
	v_lshlrev_b32_e32 v12, 24, v7
	v_mov_b32_e32 v13, 0x3b800000
	v_lshlrev_b32_e32 v2, 20, v2
	v_and_b32_e32 v12, 0x80000000, v12
	v_lshl_add_u32 v6, v6, 23, v13
	v_or3_b32 v2, v12, v6, v2
.LBB15_1188:
	s_or_b64 exec, exec, s[6:7]
	s_movk_i32 s4, 0x7f
	v_cmp_gt_i16_sdwa s[6:7], v3, s4 src0_sel:BYTE_0 src1_sel:DWORD
	s_mov_b64 s[4:5], 0
                                        ; implicit-def: $sgpr10
	s_and_saveexec_b64 s[8:9], s[6:7]
	s_xor_b64 s[6:7], exec, s[8:9]
	s_cbranch_execnz .LBB15_3237
; %bb.1189:
	s_or_saveexec_b64 s[6:7], s[6:7]
	v_mov_b32_e32 v6, s10
	s_xor_b64 exec, exec, s[6:7]
	s_cbranch_execnz .LBB15_3240
.LBB15_1190:
	s_or_b64 exec, exec, s[6:7]
	s_and_saveexec_b64 s[6:7], s[4:5]
	s_cbranch_execz .LBB15_1192
.LBB15_1191:
	v_and_b32_e32 v6, 7, v3
	v_ffbh_u32_e32 v13, v6
	v_min_u32_e32 v13, 32, v13
	v_lshrrev_b16_e32 v12, 3, v3
	v_subrev_u32_e32 v14, 28, v13
	v_and_b32_e32 v12, 15, v12
	v_lshlrev_b32_e32 v14, v14, v3
	v_sub_u32_e32 v13, 29, v13
	v_and_b32_e32 v14, 7, v14
	v_cmp_eq_u16_e32 vcc, 0, v12
	v_cndmask_b32_e32 v6, v6, v14, vcc
	v_cndmask_b32_e32 v12, v12, v13, vcc
	v_lshlrev_b32_e32 v13, 24, v3
	v_mov_b32_e32 v14, 0x3b800000
	v_lshlrev_b32_e32 v6, 20, v6
	v_and_b32_e32 v13, 0x80000000, v13
	v_lshl_add_u32 v12, v12, 23, v14
	v_or3_b32 v6, v13, v12, v6
.LBB15_1192:
	s_or_b64 exec, exec, s[6:7]
	s_nop 0
	v_mfma_f32_16x16x4f32 a[0:3], v2, v6, a[0:3]
	v_lshrrev_b32_e32 v6, 8, v7
	s_movk_i32 s4, 0x7f
	v_cmp_gt_i16_sdwa s[6:7], v6, s4 src0_sel:BYTE_0 src1_sel:DWORD
	s_mov_b64 s[4:5], 0
                                        ; implicit-def: $sgpr10
	s_and_saveexec_b64 s[8:9], s[6:7]
	s_xor_b64 s[6:7], exec, s[8:9]
	s_cbranch_execnz .LBB15_3241
; %bb.1193:
	s_or_saveexec_b64 s[6:7], s[6:7]
	v_mov_b32_e32 v2, s10
	s_xor_b64 exec, exec, s[6:7]
	s_cbranch_execnz .LBB15_3244
.LBB15_1194:
	s_or_b64 exec, exec, s[6:7]
	s_and_saveexec_b64 s[6:7], s[4:5]
	s_cbranch_execz .LBB15_1196
.LBB15_1195:
	v_bfe_u32 v2, v7, 8, 3
	v_ffbh_u32_e32 v13, v2
	v_min_u32_e32 v13, 32, v13
	v_lshrrev_b16_e32 v12, 3, v6
	v_subrev_u32_e32 v14, 28, v13
	v_and_b32_e32 v12, 15, v12
	v_lshlrev_b32_e32 v6, v14, v6
	v_sub_u32_e32 v13, 29, v13
	v_and_b32_e32 v6, 7, v6
	v_cmp_eq_u16_e32 vcc, 0, v12
	v_cndmask_b32_e32 v2, v2, v6, vcc
	v_cndmask_b32_e32 v6, v12, v13, vcc
	v_lshlrev_b32_e32 v12, 16, v7
	v_mov_b32_e32 v13, 0x3b800000
	v_lshlrev_b32_e32 v2, 20, v2
	v_and_b32_e32 v12, 0x80000000, v12
	v_lshl_add_u32 v6, v6, 23, v13
	v_or3_b32 v2, v12, v6, v2
.LBB15_1196:
	s_or_b64 exec, exec, s[6:7]
	v_lshrrev_b32_e32 v6, 8, v3
	s_movk_i32 s4, 0x7f
	v_cmp_gt_i16_sdwa s[6:7], v6, s4 src0_sel:BYTE_0 src1_sel:DWORD
	s_mov_b64 s[4:5], 0
                                        ; implicit-def: $sgpr10
	s_and_saveexec_b64 s[8:9], s[6:7]
	s_xor_b64 s[6:7], exec, s[8:9]
	s_cbranch_execnz .LBB15_3245
; %bb.1197:
	s_or_saveexec_b64 s[6:7], s[6:7]
	v_mov_b32_e32 v12, s10
	s_xor_b64 exec, exec, s[6:7]
	s_cbranch_execnz .LBB15_3248
.LBB15_1198:
	s_or_b64 exec, exec, s[6:7]
	s_and_saveexec_b64 s[6:7], s[4:5]
	s_cbranch_execz .LBB15_1200
.LBB15_1199:
	v_bfe_u32 v12, v3, 8, 3
	v_ffbh_u32_e32 v14, v12
	v_min_u32_e32 v14, 32, v14
	v_lshrrev_b16_e32 v13, 3, v6
	v_subrev_u32_e32 v15, 28, v14
	v_and_b32_e32 v13, 15, v13
	v_lshlrev_b32_e32 v6, v15, v6
	v_sub_u32_e32 v14, 29, v14
	v_and_b32_e32 v6, 7, v6
	v_cmp_eq_u16_e32 vcc, 0, v13
	v_cndmask_b32_e32 v6, v12, v6, vcc
	v_cndmask_b32_e32 v12, v13, v14, vcc
	v_lshlrev_b32_e32 v13, 16, v3
	v_mov_b32_e32 v14, 0x3b800000
	v_lshlrev_b32_e32 v6, 20, v6
	v_and_b32_e32 v13, 0x80000000, v13
	v_lshl_add_u32 v12, v12, 23, v14
	v_or3_b32 v12, v13, v12, v6
.LBB15_1200:
	s_or_b64 exec, exec, s[6:7]
	s_nop 0
	v_mfma_f32_16x16x4f32 a[0:3], v2, v12, a[0:3]
	s_movk_i32 s4, 0xff
	v_and_b32_sdwa v6, v7, s4 dst_sel:DWORD dst_unused:UNUSED_PAD src0_sel:WORD_1 src1_sel:DWORD
	s_movk_i32 s4, 0x7f
	v_cmp_lt_i16_e32 vcc, s4, v6
	s_mov_b64 s[4:5], 0
                                        ; implicit-def: $sgpr10
	s_and_saveexec_b64 s[6:7], vcc
	s_xor_b64 s[6:7], exec, s[6:7]
	s_cbranch_execnz .LBB15_3249
; %bb.1201:
	s_or_saveexec_b64 s[6:7], s[6:7]
	v_mov_b32_e32 v2, s10
	s_xor_b64 exec, exec, s[6:7]
	s_cbranch_execnz .LBB15_3252
.LBB15_1202:
	s_or_b64 exec, exec, s[6:7]
	s_and_saveexec_b64 s[6:7], s[4:5]
	s_cbranch_execz .LBB15_1204
.LBB15_1203:
	v_bfe_u32 v2, v7, 16, 3
	v_ffbh_u32_e32 v13, v2
	v_min_u32_e32 v13, 32, v13
	v_lshrrev_b32_e32 v6, 19, v7
	v_subrev_u32_e32 v14, 28, v13
	v_and_b32_e32 v6, 15, v6
	v_lshlrev_b32_sdwa v14, v14, v7 dst_sel:DWORD dst_unused:UNUSED_PAD src0_sel:DWORD src1_sel:WORD_1
	v_bfe_u32 v12, v7, 19, 4
	v_sub_u32_e32 v13, 29, v13
	v_and_b32_e32 v14, 7, v14
	v_cmp_eq_u16_e32 vcc, 0, v6
	v_cndmask_b32_e32 v2, v2, v14, vcc
	v_cndmask_b32_e32 v6, v12, v13, vcc
	v_lshlrev_b32_e32 v12, 8, v7
	v_mov_b32_e32 v13, 0x3b800000
	v_lshlrev_b32_e32 v2, 20, v2
	v_and_b32_e32 v12, 0x80000000, v12
	v_lshl_add_u32 v6, v6, 23, v13
	v_or3_b32 v2, v12, v6, v2
.LBB15_1204:
	s_or_b64 exec, exec, s[6:7]
	s_movk_i32 s4, 0xff
	v_and_b32_sdwa v6, v3, s4 dst_sel:DWORD dst_unused:UNUSED_PAD src0_sel:WORD_1 src1_sel:DWORD
	s_movk_i32 s4, 0x7f
	v_cmp_lt_i16_e32 vcc, s4, v6
	s_mov_b64 s[4:5], 0
                                        ; implicit-def: $sgpr10
	s_and_saveexec_b64 s[6:7], vcc
	s_xor_b64 s[6:7], exec, s[6:7]
	s_cbranch_execnz .LBB15_3253
; %bb.1205:
	s_or_saveexec_b64 s[6:7], s[6:7]
	v_mov_b32_e32 v12, s10
	s_xor_b64 exec, exec, s[6:7]
	s_cbranch_execnz .LBB15_3256
.LBB15_1206:
	s_or_b64 exec, exec, s[6:7]
	s_and_saveexec_b64 s[6:7], s[4:5]
	s_cbranch_execz .LBB15_1208
.LBB15_1207:
	v_bfe_u32 v6, v3, 16, 3
	v_ffbh_u32_e32 v14, v6
	v_min_u32_e32 v14, 32, v14
	v_lshrrev_b32_e32 v12, 19, v3
	v_subrev_u32_e32 v15, 28, v14
	v_and_b32_e32 v12, 15, v12
	v_lshlrev_b32_sdwa v15, v15, v3 dst_sel:DWORD dst_unused:UNUSED_PAD src0_sel:DWORD src1_sel:WORD_1
	v_bfe_u32 v13, v3, 19, 4
	v_sub_u32_e32 v14, 29, v14
	v_and_b32_e32 v15, 7, v15
	v_cmp_eq_u16_e32 vcc, 0, v12
	v_cndmask_b32_e32 v6, v6, v15, vcc
	v_cndmask_b32_e32 v12, v13, v14, vcc
	v_lshlrev_b32_e32 v13, 8, v3
	v_mov_b32_e32 v14, 0x3b800000
	v_lshlrev_b32_e32 v6, 20, v6
	v_and_b32_e32 v13, 0x80000000, v13
	v_lshl_add_u32 v12, v12, 23, v14
	v_or3_b32 v12, v13, v12, v6
.LBB15_1208:
	s_or_b64 exec, exec, s[6:7]
	s_nop 0
	v_mfma_f32_16x16x4f32 a[0:3], v2, v12, a[0:3]
	s_movk_i32 s4, 0x7f
	v_cmp_gt_i16_sdwa s[6:7], v7, s4 src0_sel:BYTE_3 src1_sel:DWORD
	s_mov_b64 s[4:5], 0
                                        ; implicit-def: $sgpr10
	s_and_saveexec_b64 s[8:9], s[6:7]
	s_xor_b64 s[6:7], exec, s[8:9]
	s_cbranch_execnz .LBB15_3257
; %bb.1209:
	s_or_saveexec_b64 s[6:7], s[6:7]
	v_mov_b32_e32 v2, s10
	s_xor_b64 exec, exec, s[6:7]
	s_cbranch_execnz .LBB15_3260
.LBB15_1210:
	s_or_b64 exec, exec, s[6:7]
	s_and_saveexec_b64 s[6:7], s[4:5]
	s_cbranch_execz .LBB15_1212
.LBB15_1211:
	v_bfe_u32 v2, v7, 24, 3
	v_ffbh_u32_e32 v14, v2
	v_min_u32_e32 v14, 32, v14
	v_lshrrev_b32_e32 v12, 27, v7
	v_subrev_u32_e32 v15, 28, v14
	v_and_b32_e32 v6, 0x80000000, v7
	v_and_b32_e32 v12, 15, v12
	v_bfe_u32 v13, v7, 27, 4
	v_lshlrev_b32_sdwa v7, v15, v7 dst_sel:DWORD dst_unused:UNUSED_PAD src0_sel:DWORD src1_sel:BYTE_3
	v_sub_u32_e32 v14, 29, v14
	v_and_b32_e32 v7, 7, v7
	v_cmp_eq_u16_e32 vcc, 0, v12
	v_cndmask_b32_e32 v2, v2, v7, vcc
	v_cndmask_b32_e32 v7, v13, v14, vcc
	v_mov_b32_e32 v12, 0x3b800000
	v_lshlrev_b32_e32 v2, 20, v2
	v_lshl_add_u32 v7, v7, 23, v12
	v_or3_b32 v2, v6, v7, v2
.LBB15_1212:
	s_or_b64 exec, exec, s[6:7]
	s_movk_i32 s4, 0x7f
	v_cmp_gt_i16_sdwa s[6:7], v3, s4 src0_sel:BYTE_3 src1_sel:DWORD
	s_mov_b64 s[4:5], 0
                                        ; implicit-def: $sgpr10
	s_and_saveexec_b64 s[8:9], s[6:7]
	s_xor_b64 s[6:7], exec, s[8:9]
	s_cbranch_execnz .LBB15_3261
; %bb.1213:
	s_or_saveexec_b64 s[6:7], s[6:7]
	v_mov_b32_e32 v6, s10
	s_xor_b64 exec, exec, s[6:7]
	s_cbranch_execnz .LBB15_3264
.LBB15_1214:
	s_or_b64 exec, exec, s[6:7]
	s_and_saveexec_b64 s[6:7], s[4:5]
	s_cbranch_execz .LBB15_1216
.LBB15_1215:
	v_bfe_u32 v6, v3, 24, 3
	v_ffbh_u32_e32 v14, v6
	v_min_u32_e32 v14, 32, v14
	v_lshrrev_b32_e32 v12, 27, v3
	v_subrev_u32_e32 v15, 28, v14
	v_and_b32_e32 v7, 0x80000000, v3
	v_and_b32_e32 v12, 15, v12
	v_bfe_u32 v13, v3, 27, 4
	v_lshlrev_b32_sdwa v3, v15, v3 dst_sel:DWORD dst_unused:UNUSED_PAD src0_sel:DWORD src1_sel:BYTE_3
	v_sub_u32_e32 v14, 29, v14
	v_and_b32_e32 v3, 7, v3
	v_cmp_eq_u16_e32 vcc, 0, v12
	v_cndmask_b32_e32 v3, v6, v3, vcc
	v_cndmask_b32_e32 v6, v13, v14, vcc
	v_mov_b32_e32 v12, 0x3b800000
	v_lshlrev_b32_e32 v3, 20, v3
	v_lshl_add_u32 v6, v6, 23, v12
	v_or3_b32 v6, v7, v6, v3
.LBB15_1216:
	s_or_b64 exec, exec, s[6:7]
	s_nop 0
	v_mfma_f32_16x16x4f32 a[0:3], v2, v6, a[0:3]
	s_movk_i32 s4, 0x7f
	v_cmp_gt_i16_sdwa s[6:7], v8, s4 src0_sel:BYTE_0 src1_sel:DWORD
	s_mov_b64 s[4:5], 0
                                        ; implicit-def: $sgpr10
	s_and_saveexec_b64 s[8:9], s[6:7]
	s_xor_b64 s[6:7], exec, s[8:9]
	s_cbranch_execnz .LBB15_3265
; %bb.1217:
	s_or_saveexec_b64 s[6:7], s[6:7]
	v_mov_b32_e32 v2, s10
	s_xor_b64 exec, exec, s[6:7]
	s_cbranch_execnz .LBB15_3268
.LBB15_1218:
	s_or_b64 exec, exec, s[6:7]
	s_and_saveexec_b64 s[6:7], s[4:5]
	s_cbranch_execz .LBB15_1220
.LBB15_1219:
	v_and_b32_e32 v2, 7, v8
	v_ffbh_u32_e32 v6, v2
	v_min_u32_e32 v6, 32, v6
	v_lshrrev_b16_e32 v3, 3, v8
	v_subrev_u32_e32 v7, 28, v6
	v_and_b32_e32 v3, 15, v3
	v_lshlrev_b32_e32 v7, v7, v8
	v_sub_u32_e32 v6, 29, v6
	v_and_b32_e32 v7, 7, v7
	v_cmp_eq_u16_e32 vcc, 0, v3
	v_cndmask_b32_e32 v2, v2, v7, vcc
	v_cndmask_b32_e32 v3, v3, v6, vcc
	v_lshlrev_b32_e32 v6, 24, v8
	v_mov_b32_e32 v7, 0x3b800000
	v_lshlrev_b32_e32 v2, 20, v2
	v_and_b32_e32 v6, 0x80000000, v6
	v_lshl_add_u32 v3, v3, 23, v7
	v_or3_b32 v2, v6, v3, v2
.LBB15_1220:
	s_or_b64 exec, exec, s[6:7]
	s_movk_i32 s4, 0x7f
	v_cmp_gt_i16_sdwa s[6:7], v4, s4 src0_sel:BYTE_0 src1_sel:DWORD
	s_mov_b64 s[4:5], 0
                                        ; implicit-def: $sgpr10
	s_and_saveexec_b64 s[8:9], s[6:7]
	s_xor_b64 s[6:7], exec, s[8:9]
	s_cbranch_execnz .LBB15_3269
; %bb.1221:
	s_or_saveexec_b64 s[6:7], s[6:7]
	v_mov_b32_e32 v3, s10
	s_xor_b64 exec, exec, s[6:7]
	s_cbranch_execnz .LBB15_3272
.LBB15_1222:
	s_or_b64 exec, exec, s[6:7]
	s_and_saveexec_b64 s[6:7], s[4:5]
	s_cbranch_execz .LBB15_1224
.LBB15_1223:
	v_and_b32_e32 v3, 7, v4
	v_ffbh_u32_e32 v7, v3
	v_min_u32_e32 v7, 32, v7
	v_lshrrev_b16_e32 v6, 3, v4
	v_subrev_u32_e32 v12, 28, v7
	v_and_b32_e32 v6, 15, v6
	v_lshlrev_b32_e32 v12, v12, v4
	v_sub_u32_e32 v7, 29, v7
	v_and_b32_e32 v12, 7, v12
	v_cmp_eq_u16_e32 vcc, 0, v6
	v_cndmask_b32_e32 v3, v3, v12, vcc
	v_cndmask_b32_e32 v6, v6, v7, vcc
	v_lshlrev_b32_e32 v7, 24, v4
	v_mov_b32_e32 v12, 0x3b800000
	v_lshlrev_b32_e32 v3, 20, v3
	v_and_b32_e32 v7, 0x80000000, v7
	v_lshl_add_u32 v6, v6, 23, v12
	v_or3_b32 v3, v7, v6, v3
.LBB15_1224:
	s_or_b64 exec, exec, s[6:7]
	s_nop 0
	v_mfma_f32_16x16x4f32 a[0:3], v2, v3, a[0:3]
	v_lshrrev_b32_e32 v3, 8, v8
	s_movk_i32 s4, 0x7f
	v_cmp_gt_i16_sdwa s[6:7], v3, s4 src0_sel:BYTE_0 src1_sel:DWORD
	s_mov_b64 s[4:5], 0
                                        ; implicit-def: $sgpr10
	s_and_saveexec_b64 s[8:9], s[6:7]
	s_xor_b64 s[6:7], exec, s[8:9]
	s_cbranch_execnz .LBB15_3273
; %bb.1225:
	s_or_saveexec_b64 s[6:7], s[6:7]
	v_mov_b32_e32 v2, s10
	s_xor_b64 exec, exec, s[6:7]
	s_cbranch_execnz .LBB15_3276
.LBB15_1226:
	s_or_b64 exec, exec, s[6:7]
	s_and_saveexec_b64 s[6:7], s[4:5]
	s_cbranch_execz .LBB15_1228
.LBB15_1227:
	v_bfe_u32 v2, v8, 8, 3
	v_ffbh_u32_e32 v7, v2
	v_min_u32_e32 v7, 32, v7
	v_lshrrev_b16_e32 v6, 3, v3
	v_subrev_u32_e32 v12, 28, v7
	v_and_b32_e32 v6, 15, v6
	v_lshlrev_b32_e32 v3, v12, v3
	v_sub_u32_e32 v7, 29, v7
	v_and_b32_e32 v3, 7, v3
	v_cmp_eq_u16_e32 vcc, 0, v6
	v_cndmask_b32_e32 v2, v2, v3, vcc
	v_cndmask_b32_e32 v3, v6, v7, vcc
	v_lshlrev_b32_e32 v6, 16, v8
	v_mov_b32_e32 v7, 0x3b800000
	v_lshlrev_b32_e32 v2, 20, v2
	v_and_b32_e32 v6, 0x80000000, v6
	v_lshl_add_u32 v3, v3, 23, v7
	v_or3_b32 v2, v6, v3, v2
.LBB15_1228:
	s_or_b64 exec, exec, s[6:7]
	v_lshrrev_b32_e32 v3, 8, v4
	s_movk_i32 s4, 0x7f
	v_cmp_gt_i16_sdwa s[6:7], v3, s4 src0_sel:BYTE_0 src1_sel:DWORD
	s_mov_b64 s[4:5], 0
                                        ; implicit-def: $sgpr10
	s_and_saveexec_b64 s[8:9], s[6:7]
	s_xor_b64 s[6:7], exec, s[8:9]
	s_cbranch_execnz .LBB15_3277
; %bb.1229:
	s_or_saveexec_b64 s[6:7], s[6:7]
	v_mov_b32_e32 v6, s10
	s_xor_b64 exec, exec, s[6:7]
	s_cbranch_execnz .LBB15_3280
.LBB15_1230:
	s_or_b64 exec, exec, s[6:7]
	s_and_saveexec_b64 s[6:7], s[4:5]
	s_cbranch_execz .LBB15_1232
.LBB15_1231:
	v_bfe_u32 v6, v4, 8, 3
	v_ffbh_u32_e32 v12, v6
	v_min_u32_e32 v12, 32, v12
	v_lshrrev_b16_e32 v7, 3, v3
	v_subrev_u32_e32 v13, 28, v12
	v_and_b32_e32 v7, 15, v7
	v_lshlrev_b32_e32 v3, v13, v3
	v_sub_u32_e32 v12, 29, v12
	v_and_b32_e32 v3, 7, v3
	v_cmp_eq_u16_e32 vcc, 0, v7
	v_cndmask_b32_e32 v3, v6, v3, vcc
	v_cndmask_b32_e32 v6, v7, v12, vcc
	v_lshlrev_b32_e32 v7, 16, v4
	v_mov_b32_e32 v12, 0x3b800000
	v_lshlrev_b32_e32 v3, 20, v3
	v_and_b32_e32 v7, 0x80000000, v7
	v_lshl_add_u32 v6, v6, 23, v12
	v_or3_b32 v6, v7, v6, v3
.LBB15_1232:
	s_or_b64 exec, exec, s[6:7]
	s_nop 0
	v_mfma_f32_16x16x4f32 a[0:3], v2, v6, a[0:3]
	s_movk_i32 s4, 0xff
	v_and_b32_sdwa v3, v8, s4 dst_sel:DWORD dst_unused:UNUSED_PAD src0_sel:WORD_1 src1_sel:DWORD
	s_movk_i32 s4, 0x7f
	v_cmp_lt_i16_e32 vcc, s4, v3
	s_mov_b64 s[4:5], 0
                                        ; implicit-def: $sgpr10
	s_and_saveexec_b64 s[6:7], vcc
	s_xor_b64 s[6:7], exec, s[6:7]
	s_cbranch_execnz .LBB15_3281
; %bb.1233:
	s_or_saveexec_b64 s[6:7], s[6:7]
	v_mov_b32_e32 v2, s10
	s_xor_b64 exec, exec, s[6:7]
	s_cbranch_execnz .LBB15_3284
.LBB15_1234:
	s_or_b64 exec, exec, s[6:7]
	s_and_saveexec_b64 s[6:7], s[4:5]
	s_cbranch_execz .LBB15_1236
.LBB15_1235:
	v_bfe_u32 v2, v8, 16, 3
	v_ffbh_u32_e32 v7, v2
	v_min_u32_e32 v7, 32, v7
	v_lshrrev_b32_e32 v3, 19, v8
	v_subrev_u32_e32 v12, 28, v7
	v_and_b32_e32 v3, 15, v3
	v_lshlrev_b32_sdwa v12, v12, v8 dst_sel:DWORD dst_unused:UNUSED_PAD src0_sel:DWORD src1_sel:WORD_1
	v_bfe_u32 v6, v8, 19, 4
	v_sub_u32_e32 v7, 29, v7
	v_and_b32_e32 v12, 7, v12
	v_cmp_eq_u16_e32 vcc, 0, v3
	v_cndmask_b32_e32 v2, v2, v12, vcc
	v_cndmask_b32_e32 v3, v6, v7, vcc
	v_lshlrev_b32_e32 v6, 8, v8
	v_mov_b32_e32 v7, 0x3b800000
	v_lshlrev_b32_e32 v2, 20, v2
	v_and_b32_e32 v6, 0x80000000, v6
	v_lshl_add_u32 v3, v3, 23, v7
	v_or3_b32 v2, v6, v3, v2
.LBB15_1236:
	s_or_b64 exec, exec, s[6:7]
	s_movk_i32 s4, 0xff
	v_and_b32_sdwa v3, v4, s4 dst_sel:DWORD dst_unused:UNUSED_PAD src0_sel:WORD_1 src1_sel:DWORD
	s_movk_i32 s4, 0x7f
	v_cmp_lt_i16_e32 vcc, s4, v3
	s_mov_b64 s[4:5], 0
                                        ; implicit-def: $sgpr10
	s_and_saveexec_b64 s[6:7], vcc
	s_xor_b64 s[6:7], exec, s[6:7]
	s_cbranch_execnz .LBB15_3285
; %bb.1237:
	s_or_saveexec_b64 s[6:7], s[6:7]
	v_mov_b32_e32 v6, s10
	s_xor_b64 exec, exec, s[6:7]
	s_cbranch_execnz .LBB15_3288
.LBB15_1238:
	s_or_b64 exec, exec, s[6:7]
	s_and_saveexec_b64 s[6:7], s[4:5]
	s_cbranch_execz .LBB15_1240
.LBB15_1239:
	v_bfe_u32 v3, v4, 16, 3
	v_ffbh_u32_e32 v12, v3
	v_min_u32_e32 v12, 32, v12
	v_lshrrev_b32_e32 v6, 19, v4
	v_subrev_u32_e32 v13, 28, v12
	v_and_b32_e32 v6, 15, v6
	v_lshlrev_b32_sdwa v13, v13, v4 dst_sel:DWORD dst_unused:UNUSED_PAD src0_sel:DWORD src1_sel:WORD_1
	v_bfe_u32 v7, v4, 19, 4
	v_sub_u32_e32 v12, 29, v12
	v_and_b32_e32 v13, 7, v13
	v_cmp_eq_u16_e32 vcc, 0, v6
	v_cndmask_b32_e32 v3, v3, v13, vcc
	v_cndmask_b32_e32 v6, v7, v12, vcc
	v_lshlrev_b32_e32 v7, 8, v4
	v_mov_b32_e32 v12, 0x3b800000
	v_lshlrev_b32_e32 v3, 20, v3
	v_and_b32_e32 v7, 0x80000000, v7
	v_lshl_add_u32 v6, v6, 23, v12
	v_or3_b32 v6, v7, v6, v3
.LBB15_1240:
	s_or_b64 exec, exec, s[6:7]
	s_nop 0
	v_mfma_f32_16x16x4f32 a[0:3], v2, v6, a[0:3]
	s_movk_i32 s4, 0x7f
	v_cmp_gt_i16_sdwa s[6:7], v8, s4 src0_sel:BYTE_3 src1_sel:DWORD
	s_mov_b64 s[4:5], 0
                                        ; implicit-def: $sgpr10
	s_and_saveexec_b64 s[8:9], s[6:7]
	s_xor_b64 s[6:7], exec, s[8:9]
	s_cbranch_execnz .LBB15_3289
; %bb.1241:
	s_or_saveexec_b64 s[6:7], s[6:7]
	v_mov_b32_e32 v2, s10
	s_xor_b64 exec, exec, s[6:7]
	s_cbranch_execnz .LBB15_3292
.LBB15_1242:
	s_or_b64 exec, exec, s[6:7]
	s_and_saveexec_b64 s[6:7], s[4:5]
	s_cbranch_execz .LBB15_1244
.LBB15_1243:
	v_bfe_u32 v2, v8, 24, 3
	v_ffbh_u32_e32 v12, v2
	v_min_u32_e32 v12, 32, v12
	v_lshrrev_b32_e32 v6, 27, v8
	v_subrev_u32_e32 v13, 28, v12
	v_and_b32_e32 v3, 0x80000000, v8
	v_and_b32_e32 v6, 15, v6
	v_bfe_u32 v7, v8, 27, 4
	v_lshlrev_b32_sdwa v8, v13, v8 dst_sel:DWORD dst_unused:UNUSED_PAD src0_sel:DWORD src1_sel:BYTE_3
	v_sub_u32_e32 v12, 29, v12
	v_and_b32_e32 v8, 7, v8
	v_cmp_eq_u16_e32 vcc, 0, v6
	v_cndmask_b32_e32 v2, v2, v8, vcc
	v_cndmask_b32_e32 v6, v7, v12, vcc
	v_mov_b32_e32 v7, 0x3b800000
	v_lshlrev_b32_e32 v2, 20, v2
	v_lshl_add_u32 v6, v6, 23, v7
	v_or3_b32 v2, v3, v6, v2
.LBB15_1244:
	s_or_b64 exec, exec, s[6:7]
	s_movk_i32 s4, 0x7f
	v_cmp_gt_i16_sdwa s[6:7], v4, s4 src0_sel:BYTE_3 src1_sel:DWORD
	s_mov_b64 s[4:5], 0
                                        ; implicit-def: $sgpr10
	s_and_saveexec_b64 s[8:9], s[6:7]
	s_xor_b64 s[6:7], exec, s[8:9]
	s_cbranch_execnz .LBB15_3293
; %bb.1245:
	s_or_saveexec_b64 s[6:7], s[6:7]
	v_mov_b32_e32 v3, s10
	s_xor_b64 exec, exec, s[6:7]
	s_cbranch_execnz .LBB15_3296
.LBB15_1246:
	s_or_b64 exec, exec, s[6:7]
	s_and_saveexec_b64 s[6:7], s[4:5]
	s_cbranch_execz .LBB15_1248
.LBB15_1247:
	v_bfe_u32 v3, v4, 24, 3
	v_ffbh_u32_e32 v12, v3
	v_min_u32_e32 v12, 32, v12
	v_lshrrev_b32_e32 v7, 27, v4
	v_subrev_u32_e32 v13, 28, v12
	v_and_b32_e32 v6, 0x80000000, v4
	v_and_b32_e32 v7, 15, v7
	v_bfe_u32 v8, v4, 27, 4
	v_lshlrev_b32_sdwa v4, v13, v4 dst_sel:DWORD dst_unused:UNUSED_PAD src0_sel:DWORD src1_sel:BYTE_3
	v_sub_u32_e32 v12, 29, v12
	v_and_b32_e32 v4, 7, v4
	v_cmp_eq_u16_e32 vcc, 0, v7
	v_cndmask_b32_e32 v3, v3, v4, vcc
	v_cndmask_b32_e32 v4, v8, v12, vcc
	v_mov_b32_e32 v7, 0x3b800000
	v_lshlrev_b32_e32 v3, 20, v3
	v_lshl_add_u32 v4, v4, 23, v7
	v_or3_b32 v3, v6, v4, v3
.LBB15_1248:
	s_or_b64 exec, exec, s[6:7]
	s_nop 0
	v_mfma_f32_16x16x4f32 a[0:3], v2, v3, a[0:3]
	s_movk_i32 s4, 0x7f
	v_cmp_gt_i16_sdwa s[6:7], v9, s4 src0_sel:BYTE_0 src1_sel:DWORD
	s_mov_b64 s[4:5], 0
                                        ; implicit-def: $sgpr10
	s_and_saveexec_b64 s[8:9], s[6:7]
	s_xor_b64 s[6:7], exec, s[8:9]
	s_cbranch_execnz .LBB15_3297
; %bb.1249:
	s_or_saveexec_b64 s[6:7], s[6:7]
	v_mov_b32_e32 v2, s10
	s_xor_b64 exec, exec, s[6:7]
	s_cbranch_execnz .LBB15_3300
.LBB15_1250:
	s_or_b64 exec, exec, s[6:7]
	s_and_saveexec_b64 s[6:7], s[4:5]
	s_cbranch_execz .LBB15_1252
.LBB15_1251:
	v_mov_b32_e32 v2, 8
	v_and_b32_e32 v3, 7, v9
	v_lshrrev_b32_sdwa v2, v2, v9 dst_sel:BYTE_1 dst_unused:UNUSED_PAD src0_sel:DWORD src1_sel:DWORD
	v_ffbh_u32_e32 v4, v3
	v_or_b32_sdwa v2, v9, v2 dst_sel:DWORD dst_unused:UNUSED_PAD src0_sel:BYTE_0 src1_sel:DWORD
	v_min_u32_e32 v4, 32, v4
	v_lshrrev_b16_e32 v2, 3, v2
	v_subrev_u32_e32 v6, 28, v4
	v_and_b32_e32 v2, 15, v2
	v_lshlrev_b32_e32 v6, v6, v9
	v_sub_u32_e32 v4, 29, v4
	v_and_b32_e32 v6, 7, v6
	v_cmp_eq_u16_e32 vcc, 0, v2
	v_cndmask_b32_e32 v3, v3, v6, vcc
	v_cndmask_b32_e32 v2, v2, v4, vcc
	v_lshlrev_b32_e32 v4, 24, v9
	v_mov_b32_e32 v6, 0x3b800000
	v_lshlrev_b32_e32 v3, 20, v3
	v_and_b32_e32 v4, 0x80000000, v4
	v_lshl_add_u32 v2, v2, 23, v6
	v_or3_b32 v2, v4, v2, v3
.LBB15_1252:
	s_or_b64 exec, exec, s[6:7]
	s_movk_i32 s4, 0x7f
	v_cmp_gt_i16_sdwa s[6:7], v5, s4 src0_sel:BYTE_0 src1_sel:DWORD
	s_mov_b64 s[4:5], 0
                                        ; implicit-def: $sgpr10
	s_and_saveexec_b64 s[8:9], s[6:7]
	s_xor_b64 s[6:7], exec, s[8:9]
	s_cbranch_execnz .LBB15_3301
; %bb.1253:
	s_or_saveexec_b64 s[6:7], s[6:7]
	v_mov_b32_e32 v3, s10
	s_xor_b64 exec, exec, s[6:7]
	s_cbranch_execnz .LBB15_3304
.LBB15_1254:
	s_or_b64 exec, exec, s[6:7]
	s_and_saveexec_b64 s[6:7], s[4:5]
	s_cbranch_execz .LBB15_1256
.LBB15_1255:
	v_mov_b32_e32 v3, 8
	v_and_b32_e32 v4, 7, v5
	v_lshrrev_b32_sdwa v3, v3, v5 dst_sel:BYTE_1 dst_unused:UNUSED_PAD src0_sel:DWORD src1_sel:DWORD
	v_ffbh_u32_e32 v6, v4
	v_or_b32_sdwa v3, v5, v3 dst_sel:DWORD dst_unused:UNUSED_PAD src0_sel:BYTE_0 src1_sel:DWORD
	v_min_u32_e32 v6, 32, v6
	v_lshrrev_b16_e32 v3, 3, v3
	v_subrev_u32_e32 v7, 28, v6
	v_and_b32_e32 v3, 15, v3
	v_lshlrev_b32_e32 v7, v7, v5
	v_sub_u32_e32 v6, 29, v6
	v_and_b32_e32 v7, 7, v7
	v_cmp_eq_u16_e32 vcc, 0, v3
	v_cndmask_b32_e32 v4, v4, v7, vcc
	v_cndmask_b32_e32 v3, v3, v6, vcc
	v_lshlrev_b32_e32 v6, 24, v5
	v_mov_b32_e32 v7, 0x3b800000
	v_lshlrev_b32_e32 v4, 20, v4
	v_and_b32_e32 v6, 0x80000000, v6
	v_lshl_add_u32 v3, v3, 23, v7
	v_or3_b32 v3, v6, v3, v4
.LBB15_1256:
	s_or_b64 exec, exec, s[6:7]
	s_nop 0
	v_mfma_f32_16x16x4f32 a[0:3], v2, v3, a[0:3]
	v_lshrrev_b32_e32 v3, 8, v9
	s_movk_i32 s4, 0x7f
	v_cmp_gt_i16_sdwa s[6:7], v3, s4 src0_sel:BYTE_0 src1_sel:DWORD
	s_mov_b64 s[4:5], 0
                                        ; implicit-def: $sgpr10
	s_and_saveexec_b64 s[8:9], s[6:7]
	s_xor_b64 s[6:7], exec, s[8:9]
	s_cbranch_execnz .LBB15_3305
; %bb.1257:
	s_or_saveexec_b64 s[6:7], s[6:7]
	v_mov_b32_e32 v2, s10
	s_xor_b64 exec, exec, s[6:7]
	s_cbranch_execnz .LBB15_3308
.LBB15_1258:
	s_or_b64 exec, exec, s[6:7]
	s_and_saveexec_b64 s[6:7], s[4:5]
	s_cbranch_execz .LBB15_1260
.LBB15_1259:
	v_bfe_u32 v2, v9, 8, 3
	v_ffbh_u32_e32 v6, v2
	v_min_u32_e32 v6, 32, v6
	v_lshrrev_b16_e32 v4, 3, v3
	v_subrev_u32_e32 v7, 28, v6
	v_and_b32_e32 v4, 15, v4
	v_lshlrev_b32_e32 v3, v7, v3
	v_sub_u32_e32 v6, 29, v6
	v_and_b32_e32 v3, 7, v3
	v_cmp_eq_u16_e32 vcc, 0, v4
	v_cndmask_b32_e32 v2, v2, v3, vcc
	v_cndmask_b32_e32 v3, v4, v6, vcc
	v_lshlrev_b32_e32 v4, 16, v9
	v_mov_b32_e32 v6, 0x3b800000
	v_lshlrev_b32_e32 v2, 20, v2
	v_and_b32_e32 v4, 0x80000000, v4
	v_lshl_add_u32 v3, v3, 23, v6
	v_or3_b32 v2, v4, v3, v2
.LBB15_1260:
	s_or_b64 exec, exec, s[6:7]
	v_lshrrev_b32_e32 v3, 8, v5
	s_movk_i32 s4, 0x7f
	v_cmp_gt_i16_sdwa s[6:7], v3, s4 src0_sel:BYTE_0 src1_sel:DWORD
	s_mov_b64 s[4:5], 0
                                        ; implicit-def: $sgpr10
	s_and_saveexec_b64 s[8:9], s[6:7]
	s_xor_b64 s[6:7], exec, s[8:9]
	s_cbranch_execnz .LBB15_3309
; %bb.1261:
	s_or_saveexec_b64 s[6:7], s[6:7]
	v_mov_b32_e32 v4, s10
	s_xor_b64 exec, exec, s[6:7]
	s_cbranch_execnz .LBB15_3312
.LBB15_1262:
	s_or_b64 exec, exec, s[6:7]
	s_and_saveexec_b64 s[6:7], s[4:5]
	s_cbranch_execz .LBB15_1264
.LBB15_1263:
	v_bfe_u32 v4, v5, 8, 3
	v_ffbh_u32_e32 v7, v4
	v_min_u32_e32 v7, 32, v7
	v_lshrrev_b16_e32 v6, 3, v3
	v_subrev_u32_e32 v8, 28, v7
	v_and_b32_e32 v6, 15, v6
	v_lshlrev_b32_e32 v3, v8, v3
	v_sub_u32_e32 v7, 29, v7
	v_and_b32_e32 v3, 7, v3
	v_cmp_eq_u16_e32 vcc, 0, v6
	v_cndmask_b32_e32 v3, v4, v3, vcc
	v_cndmask_b32_e32 v4, v6, v7, vcc
	v_lshlrev_b32_e32 v6, 16, v5
	v_mov_b32_e32 v7, 0x3b800000
	v_lshlrev_b32_e32 v3, 20, v3
	v_and_b32_e32 v6, 0x80000000, v6
	v_lshl_add_u32 v4, v4, 23, v7
	v_or3_b32 v4, v6, v4, v3
.LBB15_1264:
	s_or_b64 exec, exec, s[6:7]
	s_nop 0
	v_mfma_f32_16x16x4f32 a[0:3], v2, v4, a[0:3]
	s_movk_i32 s4, 0xff
	v_and_b32_sdwa v3, v9, s4 dst_sel:DWORD dst_unused:UNUSED_PAD src0_sel:WORD_1 src1_sel:DWORD
	s_movk_i32 s4, 0x7f
	v_cmp_lt_i16_e32 vcc, s4, v3
	s_mov_b64 s[4:5], 0
                                        ; implicit-def: $sgpr10
	s_and_saveexec_b64 s[6:7], vcc
	s_xor_b64 s[6:7], exec, s[6:7]
	s_cbranch_execnz .LBB15_3313
; %bb.1265:
	s_or_saveexec_b64 s[6:7], s[6:7]
	v_mov_b32_e32 v2, s10
	s_xor_b64 exec, exec, s[6:7]
	s_cbranch_execnz .LBB15_3316
.LBB15_1266:
	s_or_b64 exec, exec, s[6:7]
	s_and_saveexec_b64 s[6:7], s[4:5]
	s_cbranch_execz .LBB15_1268
.LBB15_1267:
	v_bfe_u32 v2, v9, 16, 3
	v_ffbh_u32_e32 v6, v2
	v_min_u32_e32 v6, 32, v6
	v_lshrrev_b32_e32 v3, 19, v9
	v_subrev_u32_e32 v7, 28, v6
	v_and_b32_e32 v3, 15, v3
	v_lshlrev_b32_sdwa v7, v7, v9 dst_sel:DWORD dst_unused:UNUSED_PAD src0_sel:DWORD src1_sel:WORD_1
	v_bfe_u32 v4, v9, 19, 4
	v_sub_u32_e32 v6, 29, v6
	v_and_b32_e32 v7, 7, v7
	v_cmp_eq_u16_e32 vcc, 0, v3
	v_cndmask_b32_e32 v2, v2, v7, vcc
	v_cndmask_b32_e32 v3, v4, v6, vcc
	v_lshlrev_b32_e32 v4, 8, v9
	v_mov_b32_e32 v6, 0x3b800000
	v_lshlrev_b32_e32 v2, 20, v2
	v_and_b32_e32 v4, 0x80000000, v4
	v_lshl_add_u32 v3, v3, 23, v6
	v_or3_b32 v2, v4, v3, v2
.LBB15_1268:
	s_or_b64 exec, exec, s[6:7]
	s_movk_i32 s4, 0xff
	v_and_b32_sdwa v3, v5, s4 dst_sel:DWORD dst_unused:UNUSED_PAD src0_sel:WORD_1 src1_sel:DWORD
	s_movk_i32 s4, 0x7f
	v_cmp_lt_i16_e32 vcc, s4, v3
	s_mov_b64 s[4:5], 0
                                        ; implicit-def: $sgpr10
	s_and_saveexec_b64 s[6:7], vcc
	s_xor_b64 s[6:7], exec, s[6:7]
	s_cbranch_execnz .LBB15_3317
; %bb.1269:
	s_or_saveexec_b64 s[6:7], s[6:7]
	v_mov_b32_e32 v4, s10
	s_xor_b64 exec, exec, s[6:7]
	s_cbranch_execnz .LBB15_3320
.LBB15_1270:
	s_or_b64 exec, exec, s[6:7]
	s_and_saveexec_b64 s[6:7], s[4:5]
	s_cbranch_execz .LBB15_1272
.LBB15_1271:
	v_bfe_u32 v3, v5, 16, 3
	v_ffbh_u32_e32 v7, v3
	v_min_u32_e32 v7, 32, v7
	v_lshrrev_b32_e32 v4, 19, v5
	v_subrev_u32_e32 v8, 28, v7
	v_and_b32_e32 v4, 15, v4
	v_lshlrev_b32_sdwa v8, v8, v5 dst_sel:DWORD dst_unused:UNUSED_PAD src0_sel:DWORD src1_sel:WORD_1
	v_bfe_u32 v6, v5, 19, 4
	v_sub_u32_e32 v7, 29, v7
	v_and_b32_e32 v8, 7, v8
	v_cmp_eq_u16_e32 vcc, 0, v4
	v_cndmask_b32_e32 v3, v3, v8, vcc
	v_cndmask_b32_e32 v4, v6, v7, vcc
	v_lshlrev_b32_e32 v6, 8, v5
	v_mov_b32_e32 v7, 0x3b800000
	v_lshlrev_b32_e32 v3, 20, v3
	v_and_b32_e32 v6, 0x80000000, v6
	v_lshl_add_u32 v4, v4, 23, v7
	v_or3_b32 v4, v6, v4, v3
.LBB15_1272:
	s_or_b64 exec, exec, s[6:7]
	s_nop 0
	v_mfma_f32_16x16x4f32 a[0:3], v2, v4, a[0:3]
	s_movk_i32 s4, 0x7f
	v_cmp_gt_i16_sdwa s[6:7], v9, s4 src0_sel:BYTE_3 src1_sel:DWORD
	s_mov_b64 s[4:5], 0
                                        ; implicit-def: $sgpr10
	s_and_saveexec_b64 s[8:9], s[6:7]
	s_xor_b64 s[6:7], exec, s[8:9]
	s_cbranch_execnz .LBB15_3321
; %bb.1273:
	s_or_saveexec_b64 s[6:7], s[6:7]
	v_mov_b32_e32 v2, s10
	s_xor_b64 exec, exec, s[6:7]
	s_cbranch_execnz .LBB15_3324
.LBB15_1274:
	s_or_b64 exec, exec, s[6:7]
	s_and_saveexec_b64 s[6:7], s[4:5]
	s_cbranch_execz .LBB15_1276
.LBB15_1275:
	v_bfe_u32 v2, v9, 24, 3
	v_ffbh_u32_e32 v7, v2
	v_min_u32_e32 v7, 32, v7
	v_lshrrev_b32_e32 v4, 27, v9
	v_subrev_u32_e32 v8, 28, v7
	v_and_b32_e32 v4, 15, v4
	v_lshlrev_b32_sdwa v8, v8, v9 dst_sel:DWORD dst_unused:UNUSED_PAD src0_sel:DWORD src1_sel:BYTE_3
	v_bfe_u32 v6, v9, 27, 4
	v_sub_u32_e32 v7, 29, v7
	v_and_b32_e32 v8, 7, v8
	v_cmp_eq_u16_e32 vcc, 0, v4
	v_cndmask_b32_e32 v2, v2, v8, vcc
	v_cndmask_b32_e32 v4, v6, v7, vcc
	v_mov_b32_e32 v6, 0x3b800000
	v_and_b32_e32 v3, 0x80000000, v9
	v_lshlrev_b32_e32 v2, 20, v2
	v_lshl_add_u32 v4, v4, 23, v6
	v_or3_b32 v2, v3, v4, v2
.LBB15_1276:
	s_or_b64 exec, exec, s[6:7]
	s_movk_i32 s4, 0x7f
	v_cmp_gt_i16_sdwa s[6:7], v5, s4 src0_sel:BYTE_3 src1_sel:DWORD
	s_mov_b64 s[4:5], 0
                                        ; implicit-def: $sgpr10
	s_and_saveexec_b64 s[8:9], s[6:7]
	s_xor_b64 s[6:7], exec, s[8:9]
	s_cbranch_execnz .LBB15_3325
; %bb.1277:
	s_or_saveexec_b64 s[6:7], s[6:7]
	v_mov_b32_e32 v3, s10
	s_xor_b64 exec, exec, s[6:7]
	s_cbranch_execnz .LBB15_3328
.LBB15_1278:
	s_or_b64 exec, exec, s[6:7]
	s_and_saveexec_b64 s[6:7], s[4:5]
	s_cbranch_execz .LBB15_1280
.LBB15_1279:
	v_bfe_u32 v3, v5, 24, 3
	v_ffbh_u32_e32 v8, v3
	v_min_u32_e32 v8, 32, v8
	v_lshrrev_b32_e32 v6, 27, v5
	v_subrev_u32_e32 v9, 28, v8
	v_and_b32_e32 v4, 0x80000000, v5
	v_and_b32_e32 v6, 15, v6
	v_bfe_u32 v7, v5, 27, 4
	v_lshlrev_b32_sdwa v5, v9, v5 dst_sel:DWORD dst_unused:UNUSED_PAD src0_sel:DWORD src1_sel:BYTE_3
	v_sub_u32_e32 v8, 29, v8
	v_and_b32_e32 v5, 7, v5
	v_cmp_eq_u16_e32 vcc, 0, v6
	v_cndmask_b32_e32 v3, v3, v5, vcc
	v_cndmask_b32_e32 v5, v7, v8, vcc
	v_mov_b32_e32 v6, 0x3b800000
	v_lshlrev_b32_e32 v3, 20, v3
	v_lshl_add_u32 v5, v5, 23, v6
	v_or3_b32 v3, v4, v5, v3
.LBB15_1280:
	s_or_b64 exec, exec, s[6:7]
	s_nop 0
	v_mfma_f32_16x16x4f32 a[0:3], v2, v3, a[0:3]
	s_movk_i32 s4, 0x7f
                                        ; implicit-def: $sgpr10
	s_nop 7
	s_nop 1
	flat_store_dwordx4 v[10:11], a[0:3] offset:144
	flat_load_dwordx4 v[12:15], v[0:1] offset:8
	s_nop 0
	flat_load_dwordx2 v[10:11], v[0:1] offset:32
	s_waitcnt vmcnt(0) lgkmcnt(0)
	flat_load_dwordx4 v[6:9], v[12:13] offset:80
	flat_load_dwordx4 v[2:5], v[14:15] offset:80
	s_waitcnt vmcnt(0) lgkmcnt(0)
	v_cmp_gt_i16_sdwa s[6:7], v6, s4 src0_sel:BYTE_0 src1_sel:DWORD
	s_mov_b64 s[4:5], 0
	s_and_saveexec_b64 s[8:9], s[6:7]
	s_xor_b64 s[6:7], exec, s[8:9]
	s_cbranch_execnz .LBB15_3329
; %bb.1281:
	s_or_saveexec_b64 s[6:7], s[6:7]
	v_mov_b32_e32 v12, s10
	s_xor_b64 exec, exec, s[6:7]
	s_cbranch_execnz .LBB15_3332
.LBB15_1282:
	s_or_b64 exec, exec, s[6:7]
	s_and_saveexec_b64 s[6:7], s[4:5]
	s_cbranch_execz .LBB15_1284
.LBB15_1283:
	v_and_b32_e32 v12, 7, v6
	v_ffbh_u32_e32 v14, v12
	v_min_u32_e32 v14, 32, v14
	v_lshrrev_b16_e32 v13, 3, v6
	v_subrev_u32_e32 v15, 28, v14
	v_and_b32_e32 v13, 15, v13
	v_lshlrev_b32_e32 v15, v15, v6
	v_sub_u32_e32 v14, 29, v14
	v_and_b32_e32 v15, 7, v15
	v_cmp_eq_u16_e32 vcc, 0, v13
	v_cndmask_b32_e32 v12, v12, v15, vcc
	v_cndmask_b32_e32 v13, v13, v14, vcc
	v_lshlrev_b32_e32 v14, 24, v6
	v_mov_b32_e32 v15, 0x3b800000
	v_lshlrev_b32_e32 v12, 20, v12
	v_and_b32_e32 v14, 0x80000000, v14
	v_lshl_add_u32 v13, v13, 23, v15
	v_or3_b32 v12, v14, v13, v12
.LBB15_1284:
	s_or_b64 exec, exec, s[6:7]
	s_movk_i32 s4, 0x7f
	v_cmp_gt_i16_sdwa s[6:7], v2, s4 src0_sel:BYTE_0 src1_sel:DWORD
	s_mov_b64 s[4:5], 0
                                        ; implicit-def: $sgpr10
	s_and_saveexec_b64 s[8:9], s[6:7]
	s_xor_b64 s[6:7], exec, s[8:9]
	s_cbranch_execnz .LBB15_3333
; %bb.1285:
	s_or_saveexec_b64 s[6:7], s[6:7]
	v_mov_b32_e32 v13, s10
	s_xor_b64 exec, exec, s[6:7]
	s_cbranch_execnz .LBB15_3336
.LBB15_1286:
	s_or_b64 exec, exec, s[6:7]
	s_and_saveexec_b64 s[6:7], s[4:5]
	s_cbranch_execz .LBB15_1288
.LBB15_1287:
	v_and_b32_e32 v13, 7, v2
	v_ffbh_u32_e32 v15, v13
	v_min_u32_e32 v15, 32, v15
	v_lshrrev_b16_e32 v14, 3, v2
	v_subrev_u32_e32 v16, 28, v15
	v_and_b32_e32 v14, 15, v14
	v_lshlrev_b32_e32 v16, v16, v2
	v_sub_u32_e32 v15, 29, v15
	v_and_b32_e32 v16, 7, v16
	v_cmp_eq_u16_e32 vcc, 0, v14
	v_cndmask_b32_e32 v13, v13, v16, vcc
	v_cndmask_b32_e32 v14, v14, v15, vcc
	v_lshlrev_b32_e32 v15, 24, v2
	v_mov_b32_e32 v16, 0x3b800000
	v_lshlrev_b32_e32 v13, 20, v13
	v_and_b32_e32 v15, 0x80000000, v15
	v_lshl_add_u32 v14, v14, 23, v16
	v_or3_b32 v13, v15, v14, v13
.LBB15_1288:
	s_or_b64 exec, exec, s[6:7]
	flat_load_dwordx4 a[0:3], v[10:11] offset:160
	s_movk_i32 s4, 0x7f
                                        ; implicit-def: $sgpr10
	s_waitcnt vmcnt(0) lgkmcnt(0)
	v_mfma_f32_16x16x4f32 a[0:3], v12, v13, a[0:3]
	v_lshrrev_b32_e32 v13, 8, v6
	v_cmp_gt_i16_sdwa s[6:7], v13, s4 src0_sel:BYTE_0 src1_sel:DWORD
	s_mov_b64 s[4:5], 0
	s_and_saveexec_b64 s[8:9], s[6:7]
	s_xor_b64 s[6:7], exec, s[8:9]
	s_cbranch_execnz .LBB15_3337
; %bb.1289:
	s_or_saveexec_b64 s[6:7], s[6:7]
	v_mov_b32_e32 v12, s10
	s_xor_b64 exec, exec, s[6:7]
	s_cbranch_execnz .LBB15_3340
.LBB15_1290:
	s_or_b64 exec, exec, s[6:7]
	s_and_saveexec_b64 s[6:7], s[4:5]
	s_cbranch_execz .LBB15_1292
.LBB15_1291:
	v_bfe_u32 v12, v6, 8, 3
	v_ffbh_u32_e32 v15, v12
	v_min_u32_e32 v15, 32, v15
	v_lshrrev_b16_e32 v14, 3, v13
	v_subrev_u32_e32 v16, 28, v15
	v_and_b32_e32 v14, 15, v14
	v_lshlrev_b32_e32 v13, v16, v13
	v_sub_u32_e32 v15, 29, v15
	v_and_b32_e32 v13, 7, v13
	v_cmp_eq_u16_e32 vcc, 0, v14
	v_cndmask_b32_e32 v12, v12, v13, vcc
	v_cndmask_b32_e32 v13, v14, v15, vcc
	v_lshlrev_b32_e32 v14, 16, v6
	v_mov_b32_e32 v15, 0x3b800000
	v_lshlrev_b32_e32 v12, 20, v12
	v_and_b32_e32 v14, 0x80000000, v14
	v_lshl_add_u32 v13, v13, 23, v15
	v_or3_b32 v12, v14, v13, v12
.LBB15_1292:
	s_or_b64 exec, exec, s[6:7]
	v_lshrrev_b32_e32 v13, 8, v2
	s_movk_i32 s4, 0x7f
	v_cmp_gt_i16_sdwa s[6:7], v13, s4 src0_sel:BYTE_0 src1_sel:DWORD
	s_mov_b64 s[4:5], 0
                                        ; implicit-def: $sgpr10
	s_and_saveexec_b64 s[8:9], s[6:7]
	s_xor_b64 s[6:7], exec, s[8:9]
	s_cbranch_execnz .LBB15_3341
; %bb.1293:
	s_or_saveexec_b64 s[6:7], s[6:7]
	v_mov_b32_e32 v14, s10
	s_xor_b64 exec, exec, s[6:7]
	s_cbranch_execnz .LBB15_3344
.LBB15_1294:
	s_or_b64 exec, exec, s[6:7]
	s_and_saveexec_b64 s[6:7], s[4:5]
	s_cbranch_execz .LBB15_1296
.LBB15_1295:
	v_bfe_u32 v14, v2, 8, 3
	v_ffbh_u32_e32 v16, v14
	v_min_u32_e32 v16, 32, v16
	v_lshrrev_b16_e32 v15, 3, v13
	v_subrev_u32_e32 v17, 28, v16
	v_and_b32_e32 v15, 15, v15
	v_lshlrev_b32_e32 v13, v17, v13
	v_sub_u32_e32 v16, 29, v16
	v_and_b32_e32 v13, 7, v13
	v_cmp_eq_u16_e32 vcc, 0, v15
	v_cndmask_b32_e32 v13, v14, v13, vcc
	v_cndmask_b32_e32 v14, v15, v16, vcc
	v_lshlrev_b32_e32 v15, 16, v2
	v_mov_b32_e32 v16, 0x3b800000
	v_lshlrev_b32_e32 v13, 20, v13
	v_and_b32_e32 v15, 0x80000000, v15
	v_lshl_add_u32 v14, v14, 23, v16
	v_or3_b32 v14, v15, v14, v13
.LBB15_1296:
	s_or_b64 exec, exec, s[6:7]
	s_nop 0
	v_mfma_f32_16x16x4f32 a[0:3], v12, v14, a[0:3]
	s_movk_i32 s4, 0xff
	v_and_b32_sdwa v13, v6, s4 dst_sel:DWORD dst_unused:UNUSED_PAD src0_sel:WORD_1 src1_sel:DWORD
	s_movk_i32 s4, 0x7f
	v_cmp_lt_i16_e32 vcc, s4, v13
	s_mov_b64 s[4:5], 0
                                        ; implicit-def: $sgpr10
	s_and_saveexec_b64 s[6:7], vcc
	s_xor_b64 s[6:7], exec, s[6:7]
	s_cbranch_execnz .LBB15_3345
; %bb.1297:
	s_or_saveexec_b64 s[6:7], s[6:7]
	v_mov_b32_e32 v12, s10
	s_xor_b64 exec, exec, s[6:7]
	s_cbranch_execnz .LBB15_3348
.LBB15_1298:
	s_or_b64 exec, exec, s[6:7]
	s_and_saveexec_b64 s[6:7], s[4:5]
	s_cbranch_execz .LBB15_1300
.LBB15_1299:
	v_bfe_u32 v12, v6, 16, 3
	v_ffbh_u32_e32 v15, v12
	v_min_u32_e32 v15, 32, v15
	v_lshrrev_b32_e32 v13, 19, v6
	v_subrev_u32_e32 v16, 28, v15
	v_and_b32_e32 v13, 15, v13
	v_lshlrev_b32_sdwa v16, v16, v6 dst_sel:DWORD dst_unused:UNUSED_PAD src0_sel:DWORD src1_sel:WORD_1
	v_bfe_u32 v14, v6, 19, 4
	v_sub_u32_e32 v15, 29, v15
	v_and_b32_e32 v16, 7, v16
	v_cmp_eq_u16_e32 vcc, 0, v13
	v_cndmask_b32_e32 v12, v12, v16, vcc
	v_cndmask_b32_e32 v13, v14, v15, vcc
	v_lshlrev_b32_e32 v14, 8, v6
	v_mov_b32_e32 v15, 0x3b800000
	v_lshlrev_b32_e32 v12, 20, v12
	v_and_b32_e32 v14, 0x80000000, v14
	v_lshl_add_u32 v13, v13, 23, v15
	v_or3_b32 v12, v14, v13, v12
.LBB15_1300:
	s_or_b64 exec, exec, s[6:7]
	s_movk_i32 s4, 0xff
	v_and_b32_sdwa v13, v2, s4 dst_sel:DWORD dst_unused:UNUSED_PAD src0_sel:WORD_1 src1_sel:DWORD
	s_movk_i32 s4, 0x7f
	v_cmp_lt_i16_e32 vcc, s4, v13
	s_mov_b64 s[4:5], 0
                                        ; implicit-def: $sgpr10
	s_and_saveexec_b64 s[6:7], vcc
	s_xor_b64 s[6:7], exec, s[6:7]
	s_cbranch_execnz .LBB15_3349
; %bb.1301:
	s_or_saveexec_b64 s[6:7], s[6:7]
	v_mov_b32_e32 v14, s10
	s_xor_b64 exec, exec, s[6:7]
	s_cbranch_execnz .LBB15_3352
.LBB15_1302:
	s_or_b64 exec, exec, s[6:7]
	s_and_saveexec_b64 s[6:7], s[4:5]
	s_cbranch_execz .LBB15_1304
.LBB15_1303:
	v_bfe_u32 v13, v2, 16, 3
	v_ffbh_u32_e32 v16, v13
	v_min_u32_e32 v16, 32, v16
	v_lshrrev_b32_e32 v14, 19, v2
	v_subrev_u32_e32 v17, 28, v16
	v_and_b32_e32 v14, 15, v14
	v_lshlrev_b32_sdwa v17, v17, v2 dst_sel:DWORD dst_unused:UNUSED_PAD src0_sel:DWORD src1_sel:WORD_1
	v_bfe_u32 v15, v2, 19, 4
	v_sub_u32_e32 v16, 29, v16
	v_and_b32_e32 v17, 7, v17
	v_cmp_eq_u16_e32 vcc, 0, v14
	v_cndmask_b32_e32 v13, v13, v17, vcc
	v_cndmask_b32_e32 v14, v15, v16, vcc
	v_lshlrev_b32_e32 v15, 8, v2
	v_mov_b32_e32 v16, 0x3b800000
	v_lshlrev_b32_e32 v13, 20, v13
	v_and_b32_e32 v15, 0x80000000, v15
	v_lshl_add_u32 v14, v14, 23, v16
	v_or3_b32 v14, v15, v14, v13
.LBB15_1304:
	s_or_b64 exec, exec, s[6:7]
	s_nop 0
	v_mfma_f32_16x16x4f32 a[0:3], v12, v14, a[0:3]
	s_movk_i32 s4, 0x7f
	v_cmp_gt_i16_sdwa s[6:7], v6, s4 src0_sel:BYTE_3 src1_sel:DWORD
	s_mov_b64 s[4:5], 0
                                        ; implicit-def: $sgpr10
	s_and_saveexec_b64 s[8:9], s[6:7]
	s_xor_b64 s[6:7], exec, s[8:9]
	s_cbranch_execnz .LBB15_3353
; %bb.1305:
	s_or_saveexec_b64 s[6:7], s[6:7]
	v_mov_b32_e32 v12, s10
	s_xor_b64 exec, exec, s[6:7]
	s_cbranch_execnz .LBB15_3356
.LBB15_1306:
	s_or_b64 exec, exec, s[6:7]
	s_and_saveexec_b64 s[6:7], s[4:5]
	s_cbranch_execz .LBB15_1308
.LBB15_1307:
	v_bfe_u32 v12, v6, 24, 3
	v_ffbh_u32_e32 v16, v12
	v_min_u32_e32 v16, 32, v16
	v_lshrrev_b32_e32 v14, 27, v6
	v_subrev_u32_e32 v17, 28, v16
	v_and_b32_e32 v13, 0x80000000, v6
	v_and_b32_e32 v14, 15, v14
	v_bfe_u32 v15, v6, 27, 4
	v_lshlrev_b32_sdwa v6, v17, v6 dst_sel:DWORD dst_unused:UNUSED_PAD src0_sel:DWORD src1_sel:BYTE_3
	v_sub_u32_e32 v16, 29, v16
	v_and_b32_e32 v6, 7, v6
	v_cmp_eq_u16_e32 vcc, 0, v14
	v_cndmask_b32_e32 v6, v12, v6, vcc
	v_cndmask_b32_e32 v12, v15, v16, vcc
	v_mov_b32_e32 v14, 0x3b800000
	v_lshlrev_b32_e32 v6, 20, v6
	v_lshl_add_u32 v12, v12, 23, v14
	v_or3_b32 v12, v13, v12, v6
.LBB15_1308:
	s_or_b64 exec, exec, s[6:7]
	s_movk_i32 s4, 0x7f
	v_cmp_gt_i16_sdwa s[6:7], v2, s4 src0_sel:BYTE_3 src1_sel:DWORD
	s_mov_b64 s[4:5], 0
                                        ; implicit-def: $sgpr10
	s_and_saveexec_b64 s[8:9], s[6:7]
	s_xor_b64 s[6:7], exec, s[8:9]
	s_cbranch_execnz .LBB15_3357
; %bb.1309:
	s_or_saveexec_b64 s[6:7], s[6:7]
	v_mov_b32_e32 v6, s10
	s_xor_b64 exec, exec, s[6:7]
	s_cbranch_execnz .LBB15_3360
.LBB15_1310:
	s_or_b64 exec, exec, s[6:7]
	s_and_saveexec_b64 s[6:7], s[4:5]
	s_cbranch_execz .LBB15_1312
.LBB15_1311:
	v_bfe_u32 v6, v2, 24, 3
	v_ffbh_u32_e32 v16, v6
	v_min_u32_e32 v16, 32, v16
	v_lshrrev_b32_e32 v14, 27, v2
	v_subrev_u32_e32 v17, 28, v16
	v_and_b32_e32 v13, 0x80000000, v2
	v_and_b32_e32 v14, 15, v14
	v_bfe_u32 v15, v2, 27, 4
	v_lshlrev_b32_sdwa v2, v17, v2 dst_sel:DWORD dst_unused:UNUSED_PAD src0_sel:DWORD src1_sel:BYTE_3
	v_sub_u32_e32 v16, 29, v16
	v_and_b32_e32 v2, 7, v2
	v_cmp_eq_u16_e32 vcc, 0, v14
	v_cndmask_b32_e32 v2, v6, v2, vcc
	v_cndmask_b32_e32 v6, v15, v16, vcc
	v_mov_b32_e32 v14, 0x3b800000
	v_lshlrev_b32_e32 v2, 20, v2
	v_lshl_add_u32 v6, v6, 23, v14
	v_or3_b32 v6, v13, v6, v2
.LBB15_1312:
	s_or_b64 exec, exec, s[6:7]
	s_nop 0
	v_mfma_f32_16x16x4f32 a[0:3], v12, v6, a[0:3]
	s_movk_i32 s4, 0x7f
	v_cmp_gt_i16_sdwa s[6:7], v7, s4 src0_sel:BYTE_0 src1_sel:DWORD
	s_mov_b64 s[4:5], 0
                                        ; implicit-def: $sgpr10
	s_and_saveexec_b64 s[8:9], s[6:7]
	s_xor_b64 s[6:7], exec, s[8:9]
	s_cbranch_execnz .LBB15_3361
; %bb.1313:
	s_or_saveexec_b64 s[6:7], s[6:7]
	v_mov_b32_e32 v2, s10
	s_xor_b64 exec, exec, s[6:7]
	s_cbranch_execnz .LBB15_3364
.LBB15_1314:
	s_or_b64 exec, exec, s[6:7]
	s_and_saveexec_b64 s[6:7], s[4:5]
	s_cbranch_execz .LBB15_1316
.LBB15_1315:
	v_and_b32_e32 v2, 7, v7
	v_ffbh_u32_e32 v12, v2
	v_min_u32_e32 v12, 32, v12
	v_lshrrev_b16_e32 v6, 3, v7
	v_subrev_u32_e32 v13, 28, v12
	v_and_b32_e32 v6, 15, v6
	v_lshlrev_b32_e32 v13, v13, v7
	v_sub_u32_e32 v12, 29, v12
	v_and_b32_e32 v13, 7, v13
	v_cmp_eq_u16_e32 vcc, 0, v6
	v_cndmask_b32_e32 v2, v2, v13, vcc
	v_cndmask_b32_e32 v6, v6, v12, vcc
	v_lshlrev_b32_e32 v12, 24, v7
	v_mov_b32_e32 v13, 0x3b800000
	v_lshlrev_b32_e32 v2, 20, v2
	v_and_b32_e32 v12, 0x80000000, v12
	v_lshl_add_u32 v6, v6, 23, v13
	v_or3_b32 v2, v12, v6, v2
.LBB15_1316:
	s_or_b64 exec, exec, s[6:7]
	s_movk_i32 s4, 0x7f
	v_cmp_gt_i16_sdwa s[6:7], v3, s4 src0_sel:BYTE_0 src1_sel:DWORD
	s_mov_b64 s[4:5], 0
                                        ; implicit-def: $sgpr10
	s_and_saveexec_b64 s[8:9], s[6:7]
	s_xor_b64 s[6:7], exec, s[8:9]
	s_cbranch_execnz .LBB15_3365
; %bb.1317:
	s_or_saveexec_b64 s[6:7], s[6:7]
	v_mov_b32_e32 v6, s10
	s_xor_b64 exec, exec, s[6:7]
	s_cbranch_execnz .LBB15_3368
.LBB15_1318:
	s_or_b64 exec, exec, s[6:7]
	s_and_saveexec_b64 s[6:7], s[4:5]
	s_cbranch_execz .LBB15_1320
.LBB15_1319:
	v_and_b32_e32 v6, 7, v3
	v_ffbh_u32_e32 v13, v6
	v_min_u32_e32 v13, 32, v13
	v_lshrrev_b16_e32 v12, 3, v3
	v_subrev_u32_e32 v14, 28, v13
	v_and_b32_e32 v12, 15, v12
	v_lshlrev_b32_e32 v14, v14, v3
	v_sub_u32_e32 v13, 29, v13
	v_and_b32_e32 v14, 7, v14
	v_cmp_eq_u16_e32 vcc, 0, v12
	v_cndmask_b32_e32 v6, v6, v14, vcc
	v_cndmask_b32_e32 v12, v12, v13, vcc
	v_lshlrev_b32_e32 v13, 24, v3
	v_mov_b32_e32 v14, 0x3b800000
	v_lshlrev_b32_e32 v6, 20, v6
	v_and_b32_e32 v13, 0x80000000, v13
	v_lshl_add_u32 v12, v12, 23, v14
	v_or3_b32 v6, v13, v12, v6
.LBB15_1320:
	s_or_b64 exec, exec, s[6:7]
	s_nop 0
	v_mfma_f32_16x16x4f32 a[0:3], v2, v6, a[0:3]
	v_lshrrev_b32_e32 v6, 8, v7
	s_movk_i32 s4, 0x7f
	v_cmp_gt_i16_sdwa s[6:7], v6, s4 src0_sel:BYTE_0 src1_sel:DWORD
	s_mov_b64 s[4:5], 0
                                        ; implicit-def: $sgpr10
	s_and_saveexec_b64 s[8:9], s[6:7]
	s_xor_b64 s[6:7], exec, s[8:9]
	s_cbranch_execnz .LBB15_3369
; %bb.1321:
	s_or_saveexec_b64 s[6:7], s[6:7]
	v_mov_b32_e32 v2, s10
	s_xor_b64 exec, exec, s[6:7]
	s_cbranch_execnz .LBB15_3372
.LBB15_1322:
	s_or_b64 exec, exec, s[6:7]
	s_and_saveexec_b64 s[6:7], s[4:5]
	s_cbranch_execz .LBB15_1324
.LBB15_1323:
	v_bfe_u32 v2, v7, 8, 3
	v_ffbh_u32_e32 v13, v2
	v_min_u32_e32 v13, 32, v13
	v_lshrrev_b16_e32 v12, 3, v6
	v_subrev_u32_e32 v14, 28, v13
	v_and_b32_e32 v12, 15, v12
	v_lshlrev_b32_e32 v6, v14, v6
	v_sub_u32_e32 v13, 29, v13
	v_and_b32_e32 v6, 7, v6
	v_cmp_eq_u16_e32 vcc, 0, v12
	v_cndmask_b32_e32 v2, v2, v6, vcc
	v_cndmask_b32_e32 v6, v12, v13, vcc
	v_lshlrev_b32_e32 v12, 16, v7
	v_mov_b32_e32 v13, 0x3b800000
	v_lshlrev_b32_e32 v2, 20, v2
	v_and_b32_e32 v12, 0x80000000, v12
	v_lshl_add_u32 v6, v6, 23, v13
	v_or3_b32 v2, v12, v6, v2
.LBB15_1324:
	s_or_b64 exec, exec, s[6:7]
	v_lshrrev_b32_e32 v6, 8, v3
	s_movk_i32 s4, 0x7f
	v_cmp_gt_i16_sdwa s[6:7], v6, s4 src0_sel:BYTE_0 src1_sel:DWORD
	s_mov_b64 s[4:5], 0
                                        ; implicit-def: $sgpr10
	s_and_saveexec_b64 s[8:9], s[6:7]
	s_xor_b64 s[6:7], exec, s[8:9]
	s_cbranch_execnz .LBB15_3373
; %bb.1325:
	s_or_saveexec_b64 s[6:7], s[6:7]
	v_mov_b32_e32 v12, s10
	s_xor_b64 exec, exec, s[6:7]
	s_cbranch_execnz .LBB15_3376
.LBB15_1326:
	s_or_b64 exec, exec, s[6:7]
	s_and_saveexec_b64 s[6:7], s[4:5]
	s_cbranch_execz .LBB15_1328
.LBB15_1327:
	v_bfe_u32 v12, v3, 8, 3
	v_ffbh_u32_e32 v14, v12
	v_min_u32_e32 v14, 32, v14
	v_lshrrev_b16_e32 v13, 3, v6
	v_subrev_u32_e32 v15, 28, v14
	v_and_b32_e32 v13, 15, v13
	v_lshlrev_b32_e32 v6, v15, v6
	v_sub_u32_e32 v14, 29, v14
	v_and_b32_e32 v6, 7, v6
	v_cmp_eq_u16_e32 vcc, 0, v13
	v_cndmask_b32_e32 v6, v12, v6, vcc
	v_cndmask_b32_e32 v12, v13, v14, vcc
	v_lshlrev_b32_e32 v13, 16, v3
	v_mov_b32_e32 v14, 0x3b800000
	v_lshlrev_b32_e32 v6, 20, v6
	v_and_b32_e32 v13, 0x80000000, v13
	v_lshl_add_u32 v12, v12, 23, v14
	v_or3_b32 v12, v13, v12, v6
.LBB15_1328:
	s_or_b64 exec, exec, s[6:7]
	s_nop 0
	v_mfma_f32_16x16x4f32 a[0:3], v2, v12, a[0:3]
	s_movk_i32 s4, 0xff
	v_and_b32_sdwa v6, v7, s4 dst_sel:DWORD dst_unused:UNUSED_PAD src0_sel:WORD_1 src1_sel:DWORD
	s_movk_i32 s4, 0x7f
	v_cmp_lt_i16_e32 vcc, s4, v6
	s_mov_b64 s[4:5], 0
                                        ; implicit-def: $sgpr10
	s_and_saveexec_b64 s[6:7], vcc
	s_xor_b64 s[6:7], exec, s[6:7]
	s_cbranch_execnz .LBB15_3377
; %bb.1329:
	s_or_saveexec_b64 s[6:7], s[6:7]
	v_mov_b32_e32 v2, s10
	s_xor_b64 exec, exec, s[6:7]
	s_cbranch_execnz .LBB15_3380
.LBB15_1330:
	s_or_b64 exec, exec, s[6:7]
	s_and_saveexec_b64 s[6:7], s[4:5]
	s_cbranch_execz .LBB15_1332
.LBB15_1331:
	v_bfe_u32 v2, v7, 16, 3
	v_ffbh_u32_e32 v13, v2
	v_min_u32_e32 v13, 32, v13
	v_lshrrev_b32_e32 v6, 19, v7
	v_subrev_u32_e32 v14, 28, v13
	v_and_b32_e32 v6, 15, v6
	v_lshlrev_b32_sdwa v14, v14, v7 dst_sel:DWORD dst_unused:UNUSED_PAD src0_sel:DWORD src1_sel:WORD_1
	v_bfe_u32 v12, v7, 19, 4
	v_sub_u32_e32 v13, 29, v13
	v_and_b32_e32 v14, 7, v14
	v_cmp_eq_u16_e32 vcc, 0, v6
	v_cndmask_b32_e32 v2, v2, v14, vcc
	v_cndmask_b32_e32 v6, v12, v13, vcc
	v_lshlrev_b32_e32 v12, 8, v7
	v_mov_b32_e32 v13, 0x3b800000
	v_lshlrev_b32_e32 v2, 20, v2
	v_and_b32_e32 v12, 0x80000000, v12
	v_lshl_add_u32 v6, v6, 23, v13
	v_or3_b32 v2, v12, v6, v2
.LBB15_1332:
	s_or_b64 exec, exec, s[6:7]
	s_movk_i32 s4, 0xff
	v_and_b32_sdwa v6, v3, s4 dst_sel:DWORD dst_unused:UNUSED_PAD src0_sel:WORD_1 src1_sel:DWORD
	s_movk_i32 s4, 0x7f
	v_cmp_lt_i16_e32 vcc, s4, v6
	s_mov_b64 s[4:5], 0
                                        ; implicit-def: $sgpr10
	s_and_saveexec_b64 s[6:7], vcc
	s_xor_b64 s[6:7], exec, s[6:7]
	s_cbranch_execnz .LBB15_3381
; %bb.1333:
	s_or_saveexec_b64 s[6:7], s[6:7]
	v_mov_b32_e32 v12, s10
	s_xor_b64 exec, exec, s[6:7]
	s_cbranch_execnz .LBB15_3384
.LBB15_1334:
	s_or_b64 exec, exec, s[6:7]
	s_and_saveexec_b64 s[6:7], s[4:5]
	s_cbranch_execz .LBB15_1336
.LBB15_1335:
	v_bfe_u32 v6, v3, 16, 3
	v_ffbh_u32_e32 v14, v6
	v_min_u32_e32 v14, 32, v14
	v_lshrrev_b32_e32 v12, 19, v3
	v_subrev_u32_e32 v15, 28, v14
	v_and_b32_e32 v12, 15, v12
	v_lshlrev_b32_sdwa v15, v15, v3 dst_sel:DWORD dst_unused:UNUSED_PAD src0_sel:DWORD src1_sel:WORD_1
	v_bfe_u32 v13, v3, 19, 4
	v_sub_u32_e32 v14, 29, v14
	v_and_b32_e32 v15, 7, v15
	v_cmp_eq_u16_e32 vcc, 0, v12
	v_cndmask_b32_e32 v6, v6, v15, vcc
	v_cndmask_b32_e32 v12, v13, v14, vcc
	v_lshlrev_b32_e32 v13, 8, v3
	v_mov_b32_e32 v14, 0x3b800000
	v_lshlrev_b32_e32 v6, 20, v6
	v_and_b32_e32 v13, 0x80000000, v13
	v_lshl_add_u32 v12, v12, 23, v14
	v_or3_b32 v12, v13, v12, v6
.LBB15_1336:
	s_or_b64 exec, exec, s[6:7]
	s_nop 0
	v_mfma_f32_16x16x4f32 a[0:3], v2, v12, a[0:3]
	s_movk_i32 s4, 0x7f
	v_cmp_gt_i16_sdwa s[6:7], v7, s4 src0_sel:BYTE_3 src1_sel:DWORD
	s_mov_b64 s[4:5], 0
                                        ; implicit-def: $sgpr10
	s_and_saveexec_b64 s[8:9], s[6:7]
	s_xor_b64 s[6:7], exec, s[8:9]
	s_cbranch_execnz .LBB15_3385
; %bb.1337:
	s_or_saveexec_b64 s[6:7], s[6:7]
	v_mov_b32_e32 v2, s10
	s_xor_b64 exec, exec, s[6:7]
	s_cbranch_execnz .LBB15_3388
.LBB15_1338:
	s_or_b64 exec, exec, s[6:7]
	s_and_saveexec_b64 s[6:7], s[4:5]
	s_cbranch_execz .LBB15_1340
.LBB15_1339:
	v_bfe_u32 v2, v7, 24, 3
	v_ffbh_u32_e32 v14, v2
	v_min_u32_e32 v14, 32, v14
	v_lshrrev_b32_e32 v12, 27, v7
	v_subrev_u32_e32 v15, 28, v14
	v_and_b32_e32 v6, 0x80000000, v7
	v_and_b32_e32 v12, 15, v12
	v_bfe_u32 v13, v7, 27, 4
	v_lshlrev_b32_sdwa v7, v15, v7 dst_sel:DWORD dst_unused:UNUSED_PAD src0_sel:DWORD src1_sel:BYTE_3
	v_sub_u32_e32 v14, 29, v14
	v_and_b32_e32 v7, 7, v7
	v_cmp_eq_u16_e32 vcc, 0, v12
	v_cndmask_b32_e32 v2, v2, v7, vcc
	v_cndmask_b32_e32 v7, v13, v14, vcc
	v_mov_b32_e32 v12, 0x3b800000
	v_lshlrev_b32_e32 v2, 20, v2
	v_lshl_add_u32 v7, v7, 23, v12
	v_or3_b32 v2, v6, v7, v2
.LBB15_1340:
	s_or_b64 exec, exec, s[6:7]
	s_movk_i32 s4, 0x7f
	v_cmp_gt_i16_sdwa s[6:7], v3, s4 src0_sel:BYTE_3 src1_sel:DWORD
	s_mov_b64 s[4:5], 0
                                        ; implicit-def: $sgpr10
	s_and_saveexec_b64 s[8:9], s[6:7]
	s_xor_b64 s[6:7], exec, s[8:9]
	s_cbranch_execnz .LBB15_3389
; %bb.1341:
	s_or_saveexec_b64 s[6:7], s[6:7]
	v_mov_b32_e32 v6, s10
	s_xor_b64 exec, exec, s[6:7]
	s_cbranch_execnz .LBB15_3392
.LBB15_1342:
	s_or_b64 exec, exec, s[6:7]
	s_and_saveexec_b64 s[6:7], s[4:5]
	s_cbranch_execz .LBB15_1344
.LBB15_1343:
	v_bfe_u32 v6, v3, 24, 3
	v_ffbh_u32_e32 v14, v6
	v_min_u32_e32 v14, 32, v14
	v_lshrrev_b32_e32 v12, 27, v3
	v_subrev_u32_e32 v15, 28, v14
	v_and_b32_e32 v7, 0x80000000, v3
	v_and_b32_e32 v12, 15, v12
	v_bfe_u32 v13, v3, 27, 4
	v_lshlrev_b32_sdwa v3, v15, v3 dst_sel:DWORD dst_unused:UNUSED_PAD src0_sel:DWORD src1_sel:BYTE_3
	v_sub_u32_e32 v14, 29, v14
	v_and_b32_e32 v3, 7, v3
	v_cmp_eq_u16_e32 vcc, 0, v12
	v_cndmask_b32_e32 v3, v6, v3, vcc
	v_cndmask_b32_e32 v6, v13, v14, vcc
	v_mov_b32_e32 v12, 0x3b800000
	v_lshlrev_b32_e32 v3, 20, v3
	v_lshl_add_u32 v6, v6, 23, v12
	v_or3_b32 v6, v7, v6, v3
.LBB15_1344:
	s_or_b64 exec, exec, s[6:7]
	s_nop 0
	v_mfma_f32_16x16x4f32 a[0:3], v2, v6, a[0:3]
	s_movk_i32 s4, 0x7f
	v_cmp_gt_i16_sdwa s[6:7], v8, s4 src0_sel:BYTE_0 src1_sel:DWORD
	s_mov_b64 s[4:5], 0
                                        ; implicit-def: $sgpr10
	s_and_saveexec_b64 s[8:9], s[6:7]
	s_xor_b64 s[6:7], exec, s[8:9]
	s_cbranch_execnz .LBB15_3393
; %bb.1345:
	s_or_saveexec_b64 s[6:7], s[6:7]
	v_mov_b32_e32 v2, s10
	s_xor_b64 exec, exec, s[6:7]
	s_cbranch_execnz .LBB15_3396
.LBB15_1346:
	s_or_b64 exec, exec, s[6:7]
	s_and_saveexec_b64 s[6:7], s[4:5]
	s_cbranch_execz .LBB15_1348
.LBB15_1347:
	v_and_b32_e32 v2, 7, v8
	v_ffbh_u32_e32 v6, v2
	v_min_u32_e32 v6, 32, v6
	v_lshrrev_b16_e32 v3, 3, v8
	v_subrev_u32_e32 v7, 28, v6
	v_and_b32_e32 v3, 15, v3
	v_lshlrev_b32_e32 v7, v7, v8
	v_sub_u32_e32 v6, 29, v6
	v_and_b32_e32 v7, 7, v7
	v_cmp_eq_u16_e32 vcc, 0, v3
	v_cndmask_b32_e32 v2, v2, v7, vcc
	v_cndmask_b32_e32 v3, v3, v6, vcc
	v_lshlrev_b32_e32 v6, 24, v8
	v_mov_b32_e32 v7, 0x3b800000
	v_lshlrev_b32_e32 v2, 20, v2
	v_and_b32_e32 v6, 0x80000000, v6
	v_lshl_add_u32 v3, v3, 23, v7
	v_or3_b32 v2, v6, v3, v2
.LBB15_1348:
	s_or_b64 exec, exec, s[6:7]
	s_movk_i32 s4, 0x7f
	v_cmp_gt_i16_sdwa s[6:7], v4, s4 src0_sel:BYTE_0 src1_sel:DWORD
	s_mov_b64 s[4:5], 0
                                        ; implicit-def: $sgpr10
	s_and_saveexec_b64 s[8:9], s[6:7]
	s_xor_b64 s[6:7], exec, s[8:9]
	s_cbranch_execnz .LBB15_3397
; %bb.1349:
	s_or_saveexec_b64 s[6:7], s[6:7]
	v_mov_b32_e32 v3, s10
	s_xor_b64 exec, exec, s[6:7]
	s_cbranch_execnz .LBB15_3400
.LBB15_1350:
	s_or_b64 exec, exec, s[6:7]
	s_and_saveexec_b64 s[6:7], s[4:5]
	s_cbranch_execz .LBB15_1352
.LBB15_1351:
	v_and_b32_e32 v3, 7, v4
	v_ffbh_u32_e32 v7, v3
	v_min_u32_e32 v7, 32, v7
	v_lshrrev_b16_e32 v6, 3, v4
	v_subrev_u32_e32 v12, 28, v7
	v_and_b32_e32 v6, 15, v6
	v_lshlrev_b32_e32 v12, v12, v4
	v_sub_u32_e32 v7, 29, v7
	v_and_b32_e32 v12, 7, v12
	v_cmp_eq_u16_e32 vcc, 0, v6
	v_cndmask_b32_e32 v3, v3, v12, vcc
	v_cndmask_b32_e32 v6, v6, v7, vcc
	v_lshlrev_b32_e32 v7, 24, v4
	v_mov_b32_e32 v12, 0x3b800000
	v_lshlrev_b32_e32 v3, 20, v3
	v_and_b32_e32 v7, 0x80000000, v7
	v_lshl_add_u32 v6, v6, 23, v12
	v_or3_b32 v3, v7, v6, v3
.LBB15_1352:
	s_or_b64 exec, exec, s[6:7]
	s_nop 0
	v_mfma_f32_16x16x4f32 a[0:3], v2, v3, a[0:3]
	v_lshrrev_b32_e32 v3, 8, v8
	s_movk_i32 s4, 0x7f
	v_cmp_gt_i16_sdwa s[6:7], v3, s4 src0_sel:BYTE_0 src1_sel:DWORD
	s_mov_b64 s[4:5], 0
                                        ; implicit-def: $sgpr10
	s_and_saveexec_b64 s[8:9], s[6:7]
	s_xor_b64 s[6:7], exec, s[8:9]
	s_cbranch_execnz .LBB15_3401
; %bb.1353:
	s_or_saveexec_b64 s[6:7], s[6:7]
	v_mov_b32_e32 v2, s10
	s_xor_b64 exec, exec, s[6:7]
	s_cbranch_execnz .LBB15_3404
.LBB15_1354:
	s_or_b64 exec, exec, s[6:7]
	s_and_saveexec_b64 s[6:7], s[4:5]
	s_cbranch_execz .LBB15_1356
.LBB15_1355:
	v_bfe_u32 v2, v8, 8, 3
	v_ffbh_u32_e32 v7, v2
	v_min_u32_e32 v7, 32, v7
	v_lshrrev_b16_e32 v6, 3, v3
	v_subrev_u32_e32 v12, 28, v7
	v_and_b32_e32 v6, 15, v6
	v_lshlrev_b32_e32 v3, v12, v3
	v_sub_u32_e32 v7, 29, v7
	v_and_b32_e32 v3, 7, v3
	v_cmp_eq_u16_e32 vcc, 0, v6
	v_cndmask_b32_e32 v2, v2, v3, vcc
	v_cndmask_b32_e32 v3, v6, v7, vcc
	v_lshlrev_b32_e32 v6, 16, v8
	v_mov_b32_e32 v7, 0x3b800000
	v_lshlrev_b32_e32 v2, 20, v2
	v_and_b32_e32 v6, 0x80000000, v6
	v_lshl_add_u32 v3, v3, 23, v7
	v_or3_b32 v2, v6, v3, v2
.LBB15_1356:
	s_or_b64 exec, exec, s[6:7]
	v_lshrrev_b32_e32 v3, 8, v4
	s_movk_i32 s4, 0x7f
	v_cmp_gt_i16_sdwa s[6:7], v3, s4 src0_sel:BYTE_0 src1_sel:DWORD
	s_mov_b64 s[4:5], 0
                                        ; implicit-def: $sgpr10
	s_and_saveexec_b64 s[8:9], s[6:7]
	s_xor_b64 s[6:7], exec, s[8:9]
	s_cbranch_execnz .LBB15_3405
; %bb.1357:
	s_or_saveexec_b64 s[6:7], s[6:7]
	v_mov_b32_e32 v6, s10
	s_xor_b64 exec, exec, s[6:7]
	s_cbranch_execnz .LBB15_3408
.LBB15_1358:
	s_or_b64 exec, exec, s[6:7]
	s_and_saveexec_b64 s[6:7], s[4:5]
	s_cbranch_execz .LBB15_1360
.LBB15_1359:
	v_bfe_u32 v6, v4, 8, 3
	v_ffbh_u32_e32 v12, v6
	v_min_u32_e32 v12, 32, v12
	v_lshrrev_b16_e32 v7, 3, v3
	v_subrev_u32_e32 v13, 28, v12
	v_and_b32_e32 v7, 15, v7
	v_lshlrev_b32_e32 v3, v13, v3
	v_sub_u32_e32 v12, 29, v12
	v_and_b32_e32 v3, 7, v3
	v_cmp_eq_u16_e32 vcc, 0, v7
	v_cndmask_b32_e32 v3, v6, v3, vcc
	v_cndmask_b32_e32 v6, v7, v12, vcc
	v_lshlrev_b32_e32 v7, 16, v4
	v_mov_b32_e32 v12, 0x3b800000
	v_lshlrev_b32_e32 v3, 20, v3
	v_and_b32_e32 v7, 0x80000000, v7
	v_lshl_add_u32 v6, v6, 23, v12
	v_or3_b32 v6, v7, v6, v3
.LBB15_1360:
	s_or_b64 exec, exec, s[6:7]
	s_nop 0
	v_mfma_f32_16x16x4f32 a[0:3], v2, v6, a[0:3]
	s_movk_i32 s4, 0xff
	v_and_b32_sdwa v3, v8, s4 dst_sel:DWORD dst_unused:UNUSED_PAD src0_sel:WORD_1 src1_sel:DWORD
	s_movk_i32 s4, 0x7f
	v_cmp_lt_i16_e32 vcc, s4, v3
	s_mov_b64 s[4:5], 0
                                        ; implicit-def: $sgpr10
	s_and_saveexec_b64 s[6:7], vcc
	s_xor_b64 s[6:7], exec, s[6:7]
	s_cbranch_execnz .LBB15_3409
; %bb.1361:
	s_or_saveexec_b64 s[6:7], s[6:7]
	v_mov_b32_e32 v2, s10
	s_xor_b64 exec, exec, s[6:7]
	s_cbranch_execnz .LBB15_3412
.LBB15_1362:
	s_or_b64 exec, exec, s[6:7]
	s_and_saveexec_b64 s[6:7], s[4:5]
	s_cbranch_execz .LBB15_1364
.LBB15_1363:
	v_bfe_u32 v2, v8, 16, 3
	v_ffbh_u32_e32 v7, v2
	v_min_u32_e32 v7, 32, v7
	v_lshrrev_b32_e32 v3, 19, v8
	v_subrev_u32_e32 v12, 28, v7
	v_and_b32_e32 v3, 15, v3
	v_lshlrev_b32_sdwa v12, v12, v8 dst_sel:DWORD dst_unused:UNUSED_PAD src0_sel:DWORD src1_sel:WORD_1
	v_bfe_u32 v6, v8, 19, 4
	v_sub_u32_e32 v7, 29, v7
	v_and_b32_e32 v12, 7, v12
	v_cmp_eq_u16_e32 vcc, 0, v3
	v_cndmask_b32_e32 v2, v2, v12, vcc
	v_cndmask_b32_e32 v3, v6, v7, vcc
	v_lshlrev_b32_e32 v6, 8, v8
	v_mov_b32_e32 v7, 0x3b800000
	v_lshlrev_b32_e32 v2, 20, v2
	v_and_b32_e32 v6, 0x80000000, v6
	v_lshl_add_u32 v3, v3, 23, v7
	v_or3_b32 v2, v6, v3, v2
.LBB15_1364:
	s_or_b64 exec, exec, s[6:7]
	s_movk_i32 s4, 0xff
	v_and_b32_sdwa v3, v4, s4 dst_sel:DWORD dst_unused:UNUSED_PAD src0_sel:WORD_1 src1_sel:DWORD
	s_movk_i32 s4, 0x7f
	v_cmp_lt_i16_e32 vcc, s4, v3
	s_mov_b64 s[4:5], 0
                                        ; implicit-def: $sgpr10
	s_and_saveexec_b64 s[6:7], vcc
	s_xor_b64 s[6:7], exec, s[6:7]
	s_cbranch_execnz .LBB15_3413
; %bb.1365:
	s_or_saveexec_b64 s[6:7], s[6:7]
	v_mov_b32_e32 v6, s10
	s_xor_b64 exec, exec, s[6:7]
	s_cbranch_execnz .LBB15_3416
.LBB15_1366:
	s_or_b64 exec, exec, s[6:7]
	s_and_saveexec_b64 s[6:7], s[4:5]
	s_cbranch_execz .LBB15_1368
.LBB15_1367:
	v_bfe_u32 v3, v4, 16, 3
	v_ffbh_u32_e32 v12, v3
	v_min_u32_e32 v12, 32, v12
	v_lshrrev_b32_e32 v6, 19, v4
	v_subrev_u32_e32 v13, 28, v12
	v_and_b32_e32 v6, 15, v6
	v_lshlrev_b32_sdwa v13, v13, v4 dst_sel:DWORD dst_unused:UNUSED_PAD src0_sel:DWORD src1_sel:WORD_1
	v_bfe_u32 v7, v4, 19, 4
	v_sub_u32_e32 v12, 29, v12
	v_and_b32_e32 v13, 7, v13
	v_cmp_eq_u16_e32 vcc, 0, v6
	v_cndmask_b32_e32 v3, v3, v13, vcc
	v_cndmask_b32_e32 v6, v7, v12, vcc
	v_lshlrev_b32_e32 v7, 8, v4
	v_mov_b32_e32 v12, 0x3b800000
	v_lshlrev_b32_e32 v3, 20, v3
	v_and_b32_e32 v7, 0x80000000, v7
	v_lshl_add_u32 v6, v6, 23, v12
	v_or3_b32 v6, v7, v6, v3
.LBB15_1368:
	s_or_b64 exec, exec, s[6:7]
	s_nop 0
	v_mfma_f32_16x16x4f32 a[0:3], v2, v6, a[0:3]
	s_movk_i32 s4, 0x7f
	v_cmp_gt_i16_sdwa s[6:7], v8, s4 src0_sel:BYTE_3 src1_sel:DWORD
	s_mov_b64 s[4:5], 0
                                        ; implicit-def: $sgpr10
	s_and_saveexec_b64 s[8:9], s[6:7]
	s_xor_b64 s[6:7], exec, s[8:9]
	s_cbranch_execnz .LBB15_3417
; %bb.1369:
	s_or_saveexec_b64 s[6:7], s[6:7]
	v_mov_b32_e32 v2, s10
	s_xor_b64 exec, exec, s[6:7]
	s_cbranch_execnz .LBB15_3420
.LBB15_1370:
	s_or_b64 exec, exec, s[6:7]
	s_and_saveexec_b64 s[6:7], s[4:5]
	s_cbranch_execz .LBB15_1372
.LBB15_1371:
	v_bfe_u32 v2, v8, 24, 3
	v_ffbh_u32_e32 v12, v2
	v_min_u32_e32 v12, 32, v12
	v_lshrrev_b32_e32 v6, 27, v8
	v_subrev_u32_e32 v13, 28, v12
	v_and_b32_e32 v3, 0x80000000, v8
	v_and_b32_e32 v6, 15, v6
	v_bfe_u32 v7, v8, 27, 4
	v_lshlrev_b32_sdwa v8, v13, v8 dst_sel:DWORD dst_unused:UNUSED_PAD src0_sel:DWORD src1_sel:BYTE_3
	v_sub_u32_e32 v12, 29, v12
	v_and_b32_e32 v8, 7, v8
	v_cmp_eq_u16_e32 vcc, 0, v6
	v_cndmask_b32_e32 v2, v2, v8, vcc
	v_cndmask_b32_e32 v6, v7, v12, vcc
	v_mov_b32_e32 v7, 0x3b800000
	v_lshlrev_b32_e32 v2, 20, v2
	v_lshl_add_u32 v6, v6, 23, v7
	v_or3_b32 v2, v3, v6, v2
.LBB15_1372:
	s_or_b64 exec, exec, s[6:7]
	s_movk_i32 s4, 0x7f
	v_cmp_gt_i16_sdwa s[6:7], v4, s4 src0_sel:BYTE_3 src1_sel:DWORD
	s_mov_b64 s[4:5], 0
                                        ; implicit-def: $sgpr10
	s_and_saveexec_b64 s[8:9], s[6:7]
	s_xor_b64 s[6:7], exec, s[8:9]
	s_cbranch_execnz .LBB15_3421
; %bb.1373:
	s_or_saveexec_b64 s[6:7], s[6:7]
	v_mov_b32_e32 v3, s10
	s_xor_b64 exec, exec, s[6:7]
	s_cbranch_execnz .LBB15_3424
.LBB15_1374:
	s_or_b64 exec, exec, s[6:7]
	s_and_saveexec_b64 s[6:7], s[4:5]
	s_cbranch_execz .LBB15_1376
.LBB15_1375:
	v_bfe_u32 v3, v4, 24, 3
	v_ffbh_u32_e32 v12, v3
	v_min_u32_e32 v12, 32, v12
	v_lshrrev_b32_e32 v7, 27, v4
	v_subrev_u32_e32 v13, 28, v12
	v_and_b32_e32 v6, 0x80000000, v4
	v_and_b32_e32 v7, 15, v7
	v_bfe_u32 v8, v4, 27, 4
	v_lshlrev_b32_sdwa v4, v13, v4 dst_sel:DWORD dst_unused:UNUSED_PAD src0_sel:DWORD src1_sel:BYTE_3
	v_sub_u32_e32 v12, 29, v12
	v_and_b32_e32 v4, 7, v4
	v_cmp_eq_u16_e32 vcc, 0, v7
	v_cndmask_b32_e32 v3, v3, v4, vcc
	v_cndmask_b32_e32 v4, v8, v12, vcc
	v_mov_b32_e32 v7, 0x3b800000
	v_lshlrev_b32_e32 v3, 20, v3
	v_lshl_add_u32 v4, v4, 23, v7
	v_or3_b32 v3, v6, v4, v3
.LBB15_1376:
	s_or_b64 exec, exec, s[6:7]
	s_nop 0
	v_mfma_f32_16x16x4f32 a[0:3], v2, v3, a[0:3]
	s_movk_i32 s4, 0x7f
	v_cmp_gt_i16_sdwa s[6:7], v9, s4 src0_sel:BYTE_0 src1_sel:DWORD
	s_mov_b64 s[4:5], 0
                                        ; implicit-def: $sgpr10
	s_and_saveexec_b64 s[8:9], s[6:7]
	s_xor_b64 s[6:7], exec, s[8:9]
	s_cbranch_execnz .LBB15_3425
; %bb.1377:
	s_or_saveexec_b64 s[6:7], s[6:7]
	v_mov_b32_e32 v2, s10
	s_xor_b64 exec, exec, s[6:7]
	s_cbranch_execnz .LBB15_3428
.LBB15_1378:
	s_or_b64 exec, exec, s[6:7]
	s_and_saveexec_b64 s[6:7], s[4:5]
	s_cbranch_execz .LBB15_1380
.LBB15_1379:
	v_mov_b32_e32 v2, 8
	v_and_b32_e32 v3, 7, v9
	v_lshrrev_b32_sdwa v2, v2, v9 dst_sel:BYTE_1 dst_unused:UNUSED_PAD src0_sel:DWORD src1_sel:DWORD
	v_ffbh_u32_e32 v4, v3
	v_or_b32_sdwa v2, v9, v2 dst_sel:DWORD dst_unused:UNUSED_PAD src0_sel:BYTE_0 src1_sel:DWORD
	v_min_u32_e32 v4, 32, v4
	v_lshrrev_b16_e32 v2, 3, v2
	v_subrev_u32_e32 v6, 28, v4
	v_and_b32_e32 v2, 15, v2
	v_lshlrev_b32_e32 v6, v6, v9
	v_sub_u32_e32 v4, 29, v4
	v_and_b32_e32 v6, 7, v6
	v_cmp_eq_u16_e32 vcc, 0, v2
	v_cndmask_b32_e32 v3, v3, v6, vcc
	v_cndmask_b32_e32 v2, v2, v4, vcc
	v_lshlrev_b32_e32 v4, 24, v9
	v_mov_b32_e32 v6, 0x3b800000
	v_lshlrev_b32_e32 v3, 20, v3
	v_and_b32_e32 v4, 0x80000000, v4
	v_lshl_add_u32 v2, v2, 23, v6
	v_or3_b32 v2, v4, v2, v3
.LBB15_1380:
	s_or_b64 exec, exec, s[6:7]
	s_movk_i32 s4, 0x7f
	v_cmp_gt_i16_sdwa s[6:7], v5, s4 src0_sel:BYTE_0 src1_sel:DWORD
	s_mov_b64 s[4:5], 0
                                        ; implicit-def: $sgpr10
	s_and_saveexec_b64 s[8:9], s[6:7]
	s_xor_b64 s[6:7], exec, s[8:9]
	s_cbranch_execnz .LBB15_3429
; %bb.1381:
	s_or_saveexec_b64 s[6:7], s[6:7]
	v_mov_b32_e32 v3, s10
	s_xor_b64 exec, exec, s[6:7]
	s_cbranch_execnz .LBB15_3432
.LBB15_1382:
	s_or_b64 exec, exec, s[6:7]
	s_and_saveexec_b64 s[6:7], s[4:5]
	s_cbranch_execz .LBB15_1384
.LBB15_1383:
	v_mov_b32_e32 v3, 8
	v_and_b32_e32 v4, 7, v5
	v_lshrrev_b32_sdwa v3, v3, v5 dst_sel:BYTE_1 dst_unused:UNUSED_PAD src0_sel:DWORD src1_sel:DWORD
	v_ffbh_u32_e32 v6, v4
	v_or_b32_sdwa v3, v5, v3 dst_sel:DWORD dst_unused:UNUSED_PAD src0_sel:BYTE_0 src1_sel:DWORD
	v_min_u32_e32 v6, 32, v6
	v_lshrrev_b16_e32 v3, 3, v3
	v_subrev_u32_e32 v7, 28, v6
	v_and_b32_e32 v3, 15, v3
	v_lshlrev_b32_e32 v7, v7, v5
	v_sub_u32_e32 v6, 29, v6
	v_and_b32_e32 v7, 7, v7
	v_cmp_eq_u16_e32 vcc, 0, v3
	v_cndmask_b32_e32 v4, v4, v7, vcc
	v_cndmask_b32_e32 v3, v3, v6, vcc
	v_lshlrev_b32_e32 v6, 24, v5
	v_mov_b32_e32 v7, 0x3b800000
	v_lshlrev_b32_e32 v4, 20, v4
	v_and_b32_e32 v6, 0x80000000, v6
	v_lshl_add_u32 v3, v3, 23, v7
	v_or3_b32 v3, v6, v3, v4
.LBB15_1384:
	s_or_b64 exec, exec, s[6:7]
	s_nop 0
	v_mfma_f32_16x16x4f32 a[0:3], v2, v3, a[0:3]
	v_lshrrev_b32_e32 v3, 8, v9
	s_movk_i32 s4, 0x7f
	v_cmp_gt_i16_sdwa s[6:7], v3, s4 src0_sel:BYTE_0 src1_sel:DWORD
	s_mov_b64 s[4:5], 0
                                        ; implicit-def: $sgpr10
	s_and_saveexec_b64 s[8:9], s[6:7]
	s_xor_b64 s[6:7], exec, s[8:9]
	s_cbranch_execnz .LBB15_3433
; %bb.1385:
	s_or_saveexec_b64 s[6:7], s[6:7]
	v_mov_b32_e32 v2, s10
	s_xor_b64 exec, exec, s[6:7]
	s_cbranch_execnz .LBB15_3436
.LBB15_1386:
	s_or_b64 exec, exec, s[6:7]
	s_and_saveexec_b64 s[6:7], s[4:5]
	s_cbranch_execz .LBB15_1388
.LBB15_1387:
	v_bfe_u32 v2, v9, 8, 3
	v_ffbh_u32_e32 v6, v2
	v_min_u32_e32 v6, 32, v6
	v_lshrrev_b16_e32 v4, 3, v3
	v_subrev_u32_e32 v7, 28, v6
	v_and_b32_e32 v4, 15, v4
	v_lshlrev_b32_e32 v3, v7, v3
	v_sub_u32_e32 v6, 29, v6
	v_and_b32_e32 v3, 7, v3
	v_cmp_eq_u16_e32 vcc, 0, v4
	v_cndmask_b32_e32 v2, v2, v3, vcc
	v_cndmask_b32_e32 v3, v4, v6, vcc
	v_lshlrev_b32_e32 v4, 16, v9
	v_mov_b32_e32 v6, 0x3b800000
	v_lshlrev_b32_e32 v2, 20, v2
	v_and_b32_e32 v4, 0x80000000, v4
	v_lshl_add_u32 v3, v3, 23, v6
	v_or3_b32 v2, v4, v3, v2
.LBB15_1388:
	s_or_b64 exec, exec, s[6:7]
	v_lshrrev_b32_e32 v3, 8, v5
	s_movk_i32 s4, 0x7f
	v_cmp_gt_i16_sdwa s[6:7], v3, s4 src0_sel:BYTE_0 src1_sel:DWORD
	s_mov_b64 s[4:5], 0
                                        ; implicit-def: $sgpr10
	s_and_saveexec_b64 s[8:9], s[6:7]
	s_xor_b64 s[6:7], exec, s[8:9]
	s_cbranch_execnz .LBB15_3437
; %bb.1389:
	s_or_saveexec_b64 s[6:7], s[6:7]
	v_mov_b32_e32 v4, s10
	s_xor_b64 exec, exec, s[6:7]
	s_cbranch_execnz .LBB15_3440
.LBB15_1390:
	s_or_b64 exec, exec, s[6:7]
	s_and_saveexec_b64 s[6:7], s[4:5]
	s_cbranch_execz .LBB15_1392
.LBB15_1391:
	v_bfe_u32 v4, v5, 8, 3
	v_ffbh_u32_e32 v7, v4
	v_min_u32_e32 v7, 32, v7
	v_lshrrev_b16_e32 v6, 3, v3
	v_subrev_u32_e32 v8, 28, v7
	v_and_b32_e32 v6, 15, v6
	v_lshlrev_b32_e32 v3, v8, v3
	v_sub_u32_e32 v7, 29, v7
	v_and_b32_e32 v3, 7, v3
	v_cmp_eq_u16_e32 vcc, 0, v6
	v_cndmask_b32_e32 v3, v4, v3, vcc
	v_cndmask_b32_e32 v4, v6, v7, vcc
	v_lshlrev_b32_e32 v6, 16, v5
	v_mov_b32_e32 v7, 0x3b800000
	v_lshlrev_b32_e32 v3, 20, v3
	v_and_b32_e32 v6, 0x80000000, v6
	v_lshl_add_u32 v4, v4, 23, v7
	v_or3_b32 v4, v6, v4, v3
.LBB15_1392:
	s_or_b64 exec, exec, s[6:7]
	s_nop 0
	v_mfma_f32_16x16x4f32 a[0:3], v2, v4, a[0:3]
	s_movk_i32 s4, 0xff
	v_and_b32_sdwa v3, v9, s4 dst_sel:DWORD dst_unused:UNUSED_PAD src0_sel:WORD_1 src1_sel:DWORD
	s_movk_i32 s4, 0x7f
	v_cmp_lt_i16_e32 vcc, s4, v3
	s_mov_b64 s[4:5], 0
                                        ; implicit-def: $sgpr10
	s_and_saveexec_b64 s[6:7], vcc
	s_xor_b64 s[6:7], exec, s[6:7]
	s_cbranch_execnz .LBB15_3441
; %bb.1393:
	s_or_saveexec_b64 s[6:7], s[6:7]
	v_mov_b32_e32 v2, s10
	s_xor_b64 exec, exec, s[6:7]
	s_cbranch_execnz .LBB15_3444
.LBB15_1394:
	s_or_b64 exec, exec, s[6:7]
	s_and_saveexec_b64 s[6:7], s[4:5]
	s_cbranch_execz .LBB15_1396
.LBB15_1395:
	v_bfe_u32 v2, v9, 16, 3
	v_ffbh_u32_e32 v6, v2
	v_min_u32_e32 v6, 32, v6
	v_lshrrev_b32_e32 v3, 19, v9
	v_subrev_u32_e32 v7, 28, v6
	v_and_b32_e32 v3, 15, v3
	v_lshlrev_b32_sdwa v7, v7, v9 dst_sel:DWORD dst_unused:UNUSED_PAD src0_sel:DWORD src1_sel:WORD_1
	v_bfe_u32 v4, v9, 19, 4
	v_sub_u32_e32 v6, 29, v6
	v_and_b32_e32 v7, 7, v7
	v_cmp_eq_u16_e32 vcc, 0, v3
	v_cndmask_b32_e32 v2, v2, v7, vcc
	v_cndmask_b32_e32 v3, v4, v6, vcc
	v_lshlrev_b32_e32 v4, 8, v9
	v_mov_b32_e32 v6, 0x3b800000
	v_lshlrev_b32_e32 v2, 20, v2
	v_and_b32_e32 v4, 0x80000000, v4
	v_lshl_add_u32 v3, v3, 23, v6
	v_or3_b32 v2, v4, v3, v2
.LBB15_1396:
	s_or_b64 exec, exec, s[6:7]
	s_movk_i32 s4, 0xff
	v_and_b32_sdwa v3, v5, s4 dst_sel:DWORD dst_unused:UNUSED_PAD src0_sel:WORD_1 src1_sel:DWORD
	s_movk_i32 s4, 0x7f
	v_cmp_lt_i16_e32 vcc, s4, v3
	s_mov_b64 s[4:5], 0
                                        ; implicit-def: $sgpr10
	s_and_saveexec_b64 s[6:7], vcc
	s_xor_b64 s[6:7], exec, s[6:7]
	s_cbranch_execnz .LBB15_3445
; %bb.1397:
	s_or_saveexec_b64 s[6:7], s[6:7]
	v_mov_b32_e32 v4, s10
	s_xor_b64 exec, exec, s[6:7]
	s_cbranch_execnz .LBB15_3448
.LBB15_1398:
	s_or_b64 exec, exec, s[6:7]
	s_and_saveexec_b64 s[6:7], s[4:5]
	s_cbranch_execz .LBB15_1400
.LBB15_1399:
	v_bfe_u32 v3, v5, 16, 3
	v_ffbh_u32_e32 v7, v3
	v_min_u32_e32 v7, 32, v7
	v_lshrrev_b32_e32 v4, 19, v5
	v_subrev_u32_e32 v8, 28, v7
	v_and_b32_e32 v4, 15, v4
	v_lshlrev_b32_sdwa v8, v8, v5 dst_sel:DWORD dst_unused:UNUSED_PAD src0_sel:DWORD src1_sel:WORD_1
	v_bfe_u32 v6, v5, 19, 4
	v_sub_u32_e32 v7, 29, v7
	v_and_b32_e32 v8, 7, v8
	v_cmp_eq_u16_e32 vcc, 0, v4
	v_cndmask_b32_e32 v3, v3, v8, vcc
	v_cndmask_b32_e32 v4, v6, v7, vcc
	v_lshlrev_b32_e32 v6, 8, v5
	v_mov_b32_e32 v7, 0x3b800000
	v_lshlrev_b32_e32 v3, 20, v3
	v_and_b32_e32 v6, 0x80000000, v6
	v_lshl_add_u32 v4, v4, 23, v7
	v_or3_b32 v4, v6, v4, v3
.LBB15_1400:
	s_or_b64 exec, exec, s[6:7]
	s_nop 0
	v_mfma_f32_16x16x4f32 a[0:3], v2, v4, a[0:3]
	s_movk_i32 s4, 0x7f
	v_cmp_gt_i16_sdwa s[6:7], v9, s4 src0_sel:BYTE_3 src1_sel:DWORD
	s_mov_b64 s[4:5], 0
                                        ; implicit-def: $sgpr10
	s_and_saveexec_b64 s[8:9], s[6:7]
	s_xor_b64 s[6:7], exec, s[8:9]
	s_cbranch_execnz .LBB15_3449
; %bb.1401:
	s_or_saveexec_b64 s[6:7], s[6:7]
	v_mov_b32_e32 v2, s10
	s_xor_b64 exec, exec, s[6:7]
	s_cbranch_execnz .LBB15_3452
.LBB15_1402:
	s_or_b64 exec, exec, s[6:7]
	s_and_saveexec_b64 s[6:7], s[4:5]
	s_cbranch_execz .LBB15_1404
.LBB15_1403:
	v_bfe_u32 v2, v9, 24, 3
	v_ffbh_u32_e32 v7, v2
	v_min_u32_e32 v7, 32, v7
	v_lshrrev_b32_e32 v4, 27, v9
	v_subrev_u32_e32 v8, 28, v7
	v_and_b32_e32 v4, 15, v4
	v_lshlrev_b32_sdwa v8, v8, v9 dst_sel:DWORD dst_unused:UNUSED_PAD src0_sel:DWORD src1_sel:BYTE_3
	v_bfe_u32 v6, v9, 27, 4
	v_sub_u32_e32 v7, 29, v7
	v_and_b32_e32 v8, 7, v8
	v_cmp_eq_u16_e32 vcc, 0, v4
	v_cndmask_b32_e32 v2, v2, v8, vcc
	v_cndmask_b32_e32 v4, v6, v7, vcc
	v_mov_b32_e32 v6, 0x3b800000
	v_and_b32_e32 v3, 0x80000000, v9
	v_lshlrev_b32_e32 v2, 20, v2
	v_lshl_add_u32 v4, v4, 23, v6
	v_or3_b32 v2, v3, v4, v2
.LBB15_1404:
	s_or_b64 exec, exec, s[6:7]
	s_movk_i32 s4, 0x7f
	v_cmp_gt_i16_sdwa s[6:7], v5, s4 src0_sel:BYTE_3 src1_sel:DWORD
	s_mov_b64 s[4:5], 0
                                        ; implicit-def: $sgpr10
	s_and_saveexec_b64 s[8:9], s[6:7]
	s_xor_b64 s[6:7], exec, s[8:9]
	s_cbranch_execnz .LBB15_3453
; %bb.1405:
	s_or_saveexec_b64 s[6:7], s[6:7]
	v_mov_b32_e32 v3, s10
	s_xor_b64 exec, exec, s[6:7]
	s_cbranch_execnz .LBB15_3456
.LBB15_1406:
	s_or_b64 exec, exec, s[6:7]
	s_and_saveexec_b64 s[6:7], s[4:5]
	s_cbranch_execz .LBB15_1408
.LBB15_1407:
	v_bfe_u32 v3, v5, 24, 3
	v_ffbh_u32_e32 v8, v3
	v_min_u32_e32 v8, 32, v8
	v_lshrrev_b32_e32 v6, 27, v5
	v_subrev_u32_e32 v9, 28, v8
	v_and_b32_e32 v4, 0x80000000, v5
	v_and_b32_e32 v6, 15, v6
	v_bfe_u32 v7, v5, 27, 4
	v_lshlrev_b32_sdwa v5, v9, v5 dst_sel:DWORD dst_unused:UNUSED_PAD src0_sel:DWORD src1_sel:BYTE_3
	v_sub_u32_e32 v8, 29, v8
	v_and_b32_e32 v5, 7, v5
	v_cmp_eq_u16_e32 vcc, 0, v6
	v_cndmask_b32_e32 v3, v3, v5, vcc
	v_cndmask_b32_e32 v5, v7, v8, vcc
	v_mov_b32_e32 v6, 0x3b800000
	v_lshlrev_b32_e32 v3, 20, v3
	v_lshl_add_u32 v5, v5, 23, v6
	v_or3_b32 v3, v4, v5, v3
.LBB15_1408:
	s_or_b64 exec, exec, s[6:7]
	s_nop 0
	v_mfma_f32_16x16x4f32 a[0:3], v2, v3, a[0:3]
	s_movk_i32 s4, 0x7f
                                        ; implicit-def: $sgpr10
	s_nop 7
	s_nop 1
	flat_store_dwordx4 v[10:11], a[0:3] offset:160
	flat_load_dwordx4 v[12:15], v[0:1] offset:8
	s_nop 0
	flat_load_dwordx2 v[10:11], v[0:1] offset:32
	s_waitcnt vmcnt(0) lgkmcnt(0)
	flat_load_dwordx4 v[6:9], v[12:13] offset:80
	flat_load_dwordx4 v[2:5], v[14:15] offset:112
	s_waitcnt vmcnt(0) lgkmcnt(0)
	v_cmp_gt_i16_sdwa s[6:7], v6, s4 src0_sel:BYTE_0 src1_sel:DWORD
	s_mov_b64 s[4:5], 0
	s_and_saveexec_b64 s[8:9], s[6:7]
	s_xor_b64 s[6:7], exec, s[8:9]
	s_cbranch_execnz .LBB15_3457
; %bb.1409:
	s_or_saveexec_b64 s[6:7], s[6:7]
	v_mov_b32_e32 v12, s10
	s_xor_b64 exec, exec, s[6:7]
	s_cbranch_execnz .LBB15_3460
.LBB15_1410:
	s_or_b64 exec, exec, s[6:7]
	s_and_saveexec_b64 s[6:7], s[4:5]
	s_cbranch_execz .LBB15_1412
.LBB15_1411:
	v_and_b32_e32 v12, 7, v6
	v_ffbh_u32_e32 v14, v12
	v_min_u32_e32 v14, 32, v14
	v_lshrrev_b16_e32 v13, 3, v6
	v_subrev_u32_e32 v15, 28, v14
	v_and_b32_e32 v13, 15, v13
	v_lshlrev_b32_e32 v15, v15, v6
	v_sub_u32_e32 v14, 29, v14
	v_and_b32_e32 v15, 7, v15
	v_cmp_eq_u16_e32 vcc, 0, v13
	v_cndmask_b32_e32 v12, v12, v15, vcc
	v_cndmask_b32_e32 v13, v13, v14, vcc
	v_lshlrev_b32_e32 v14, 24, v6
	v_mov_b32_e32 v15, 0x3b800000
	v_lshlrev_b32_e32 v12, 20, v12
	v_and_b32_e32 v14, 0x80000000, v14
	v_lshl_add_u32 v13, v13, 23, v15
	v_or3_b32 v12, v14, v13, v12
.LBB15_1412:
	s_or_b64 exec, exec, s[6:7]
	s_movk_i32 s4, 0x7f
	v_cmp_gt_i16_sdwa s[6:7], v2, s4 src0_sel:BYTE_0 src1_sel:DWORD
	s_mov_b64 s[4:5], 0
                                        ; implicit-def: $sgpr10
	s_and_saveexec_b64 s[8:9], s[6:7]
	s_xor_b64 s[6:7], exec, s[8:9]
	s_cbranch_execnz .LBB15_3461
; %bb.1413:
	s_or_saveexec_b64 s[6:7], s[6:7]
	v_mov_b32_e32 v13, s10
	s_xor_b64 exec, exec, s[6:7]
	s_cbranch_execnz .LBB15_3464
.LBB15_1414:
	s_or_b64 exec, exec, s[6:7]
	s_and_saveexec_b64 s[6:7], s[4:5]
	s_cbranch_execz .LBB15_1416
.LBB15_1415:
	v_and_b32_e32 v13, 7, v2
	v_ffbh_u32_e32 v15, v13
	v_min_u32_e32 v15, 32, v15
	v_lshrrev_b16_e32 v14, 3, v2
	v_subrev_u32_e32 v16, 28, v15
	v_and_b32_e32 v14, 15, v14
	v_lshlrev_b32_e32 v16, v16, v2
	v_sub_u32_e32 v15, 29, v15
	v_and_b32_e32 v16, 7, v16
	v_cmp_eq_u16_e32 vcc, 0, v14
	v_cndmask_b32_e32 v13, v13, v16, vcc
	v_cndmask_b32_e32 v14, v14, v15, vcc
	v_lshlrev_b32_e32 v15, 24, v2
	v_mov_b32_e32 v16, 0x3b800000
	v_lshlrev_b32_e32 v13, 20, v13
	v_and_b32_e32 v15, 0x80000000, v15
	v_lshl_add_u32 v14, v14, 23, v16
	v_or3_b32 v13, v15, v14, v13
.LBB15_1416:
	s_or_b64 exec, exec, s[6:7]
	flat_load_dwordx4 a[0:3], v[10:11] offset:176
	s_movk_i32 s4, 0x7f
                                        ; implicit-def: $sgpr10
	s_waitcnt vmcnt(0) lgkmcnt(0)
	v_mfma_f32_16x16x4f32 a[0:3], v12, v13, a[0:3]
	v_lshrrev_b32_e32 v13, 8, v6
	v_cmp_gt_i16_sdwa s[6:7], v13, s4 src0_sel:BYTE_0 src1_sel:DWORD
	s_mov_b64 s[4:5], 0
	s_and_saveexec_b64 s[8:9], s[6:7]
	s_xor_b64 s[6:7], exec, s[8:9]
	s_cbranch_execnz .LBB15_3465
; %bb.1417:
	s_or_saveexec_b64 s[6:7], s[6:7]
	v_mov_b32_e32 v12, s10
	s_xor_b64 exec, exec, s[6:7]
	s_cbranch_execnz .LBB15_3468
.LBB15_1418:
	s_or_b64 exec, exec, s[6:7]
	s_and_saveexec_b64 s[6:7], s[4:5]
	s_cbranch_execz .LBB15_1420
.LBB15_1419:
	v_bfe_u32 v12, v6, 8, 3
	v_ffbh_u32_e32 v15, v12
	v_min_u32_e32 v15, 32, v15
	v_lshrrev_b16_e32 v14, 3, v13
	v_subrev_u32_e32 v16, 28, v15
	v_and_b32_e32 v14, 15, v14
	v_lshlrev_b32_e32 v13, v16, v13
	v_sub_u32_e32 v15, 29, v15
	v_and_b32_e32 v13, 7, v13
	v_cmp_eq_u16_e32 vcc, 0, v14
	v_cndmask_b32_e32 v12, v12, v13, vcc
	v_cndmask_b32_e32 v13, v14, v15, vcc
	v_lshlrev_b32_e32 v14, 16, v6
	v_mov_b32_e32 v15, 0x3b800000
	v_lshlrev_b32_e32 v12, 20, v12
	v_and_b32_e32 v14, 0x80000000, v14
	v_lshl_add_u32 v13, v13, 23, v15
	v_or3_b32 v12, v14, v13, v12
.LBB15_1420:
	s_or_b64 exec, exec, s[6:7]
	v_lshrrev_b32_e32 v13, 8, v2
	s_movk_i32 s4, 0x7f
	v_cmp_gt_i16_sdwa s[6:7], v13, s4 src0_sel:BYTE_0 src1_sel:DWORD
	s_mov_b64 s[4:5], 0
                                        ; implicit-def: $sgpr10
	s_and_saveexec_b64 s[8:9], s[6:7]
	s_xor_b64 s[6:7], exec, s[8:9]
	s_cbranch_execnz .LBB15_3469
; %bb.1421:
	s_or_saveexec_b64 s[6:7], s[6:7]
	v_mov_b32_e32 v14, s10
	s_xor_b64 exec, exec, s[6:7]
	s_cbranch_execnz .LBB15_3472
.LBB15_1422:
	s_or_b64 exec, exec, s[6:7]
	s_and_saveexec_b64 s[6:7], s[4:5]
	s_cbranch_execz .LBB15_1424
.LBB15_1423:
	v_bfe_u32 v14, v2, 8, 3
	v_ffbh_u32_e32 v16, v14
	v_min_u32_e32 v16, 32, v16
	v_lshrrev_b16_e32 v15, 3, v13
	v_subrev_u32_e32 v17, 28, v16
	v_and_b32_e32 v15, 15, v15
	v_lshlrev_b32_e32 v13, v17, v13
	v_sub_u32_e32 v16, 29, v16
	v_and_b32_e32 v13, 7, v13
	v_cmp_eq_u16_e32 vcc, 0, v15
	v_cndmask_b32_e32 v13, v14, v13, vcc
	v_cndmask_b32_e32 v14, v15, v16, vcc
	v_lshlrev_b32_e32 v15, 16, v2
	v_mov_b32_e32 v16, 0x3b800000
	v_lshlrev_b32_e32 v13, 20, v13
	v_and_b32_e32 v15, 0x80000000, v15
	v_lshl_add_u32 v14, v14, 23, v16
	v_or3_b32 v14, v15, v14, v13
.LBB15_1424:
	s_or_b64 exec, exec, s[6:7]
	s_nop 0
	v_mfma_f32_16x16x4f32 a[0:3], v12, v14, a[0:3]
	s_movk_i32 s4, 0xff
	v_and_b32_sdwa v13, v6, s4 dst_sel:DWORD dst_unused:UNUSED_PAD src0_sel:WORD_1 src1_sel:DWORD
	s_movk_i32 s4, 0x7f
	v_cmp_lt_i16_e32 vcc, s4, v13
	s_mov_b64 s[4:5], 0
                                        ; implicit-def: $sgpr10
	s_and_saveexec_b64 s[6:7], vcc
	s_xor_b64 s[6:7], exec, s[6:7]
	s_cbranch_execnz .LBB15_3473
; %bb.1425:
	s_or_saveexec_b64 s[6:7], s[6:7]
	v_mov_b32_e32 v12, s10
	s_xor_b64 exec, exec, s[6:7]
	s_cbranch_execnz .LBB15_3476
.LBB15_1426:
	s_or_b64 exec, exec, s[6:7]
	s_and_saveexec_b64 s[6:7], s[4:5]
	s_cbranch_execz .LBB15_1428
.LBB15_1427:
	v_bfe_u32 v12, v6, 16, 3
	v_ffbh_u32_e32 v15, v12
	v_min_u32_e32 v15, 32, v15
	v_lshrrev_b32_e32 v13, 19, v6
	v_subrev_u32_e32 v16, 28, v15
	v_and_b32_e32 v13, 15, v13
	v_lshlrev_b32_sdwa v16, v16, v6 dst_sel:DWORD dst_unused:UNUSED_PAD src0_sel:DWORD src1_sel:WORD_1
	v_bfe_u32 v14, v6, 19, 4
	v_sub_u32_e32 v15, 29, v15
	v_and_b32_e32 v16, 7, v16
	v_cmp_eq_u16_e32 vcc, 0, v13
	v_cndmask_b32_e32 v12, v12, v16, vcc
	v_cndmask_b32_e32 v13, v14, v15, vcc
	v_lshlrev_b32_e32 v14, 8, v6
	v_mov_b32_e32 v15, 0x3b800000
	v_lshlrev_b32_e32 v12, 20, v12
	v_and_b32_e32 v14, 0x80000000, v14
	v_lshl_add_u32 v13, v13, 23, v15
	v_or3_b32 v12, v14, v13, v12
.LBB15_1428:
	s_or_b64 exec, exec, s[6:7]
	s_movk_i32 s4, 0xff
	v_and_b32_sdwa v13, v2, s4 dst_sel:DWORD dst_unused:UNUSED_PAD src0_sel:WORD_1 src1_sel:DWORD
	s_movk_i32 s4, 0x7f
	v_cmp_lt_i16_e32 vcc, s4, v13
	s_mov_b64 s[4:5], 0
                                        ; implicit-def: $sgpr10
	s_and_saveexec_b64 s[6:7], vcc
	s_xor_b64 s[6:7], exec, s[6:7]
	s_cbranch_execnz .LBB15_3477
; %bb.1429:
	s_or_saveexec_b64 s[6:7], s[6:7]
	v_mov_b32_e32 v14, s10
	s_xor_b64 exec, exec, s[6:7]
	s_cbranch_execnz .LBB15_3480
.LBB15_1430:
	s_or_b64 exec, exec, s[6:7]
	s_and_saveexec_b64 s[6:7], s[4:5]
	s_cbranch_execz .LBB15_1432
.LBB15_1431:
	v_bfe_u32 v13, v2, 16, 3
	v_ffbh_u32_e32 v16, v13
	v_min_u32_e32 v16, 32, v16
	v_lshrrev_b32_e32 v14, 19, v2
	v_subrev_u32_e32 v17, 28, v16
	v_and_b32_e32 v14, 15, v14
	v_lshlrev_b32_sdwa v17, v17, v2 dst_sel:DWORD dst_unused:UNUSED_PAD src0_sel:DWORD src1_sel:WORD_1
	v_bfe_u32 v15, v2, 19, 4
	v_sub_u32_e32 v16, 29, v16
	v_and_b32_e32 v17, 7, v17
	v_cmp_eq_u16_e32 vcc, 0, v14
	v_cndmask_b32_e32 v13, v13, v17, vcc
	v_cndmask_b32_e32 v14, v15, v16, vcc
	v_lshlrev_b32_e32 v15, 8, v2
	v_mov_b32_e32 v16, 0x3b800000
	v_lshlrev_b32_e32 v13, 20, v13
	v_and_b32_e32 v15, 0x80000000, v15
	v_lshl_add_u32 v14, v14, 23, v16
	v_or3_b32 v14, v15, v14, v13
.LBB15_1432:
	s_or_b64 exec, exec, s[6:7]
	s_nop 0
	v_mfma_f32_16x16x4f32 a[0:3], v12, v14, a[0:3]
	s_movk_i32 s4, 0x7f
	v_cmp_gt_i16_sdwa s[6:7], v6, s4 src0_sel:BYTE_3 src1_sel:DWORD
	s_mov_b64 s[4:5], 0
                                        ; implicit-def: $sgpr10
	s_and_saveexec_b64 s[8:9], s[6:7]
	s_xor_b64 s[6:7], exec, s[8:9]
	s_cbranch_execnz .LBB15_3481
; %bb.1433:
	s_or_saveexec_b64 s[6:7], s[6:7]
	v_mov_b32_e32 v12, s10
	s_xor_b64 exec, exec, s[6:7]
	s_cbranch_execnz .LBB15_3484
.LBB15_1434:
	s_or_b64 exec, exec, s[6:7]
	s_and_saveexec_b64 s[6:7], s[4:5]
	s_cbranch_execz .LBB15_1436
.LBB15_1435:
	v_bfe_u32 v12, v6, 24, 3
	v_ffbh_u32_e32 v16, v12
	v_min_u32_e32 v16, 32, v16
	v_lshrrev_b32_e32 v14, 27, v6
	v_subrev_u32_e32 v17, 28, v16
	v_and_b32_e32 v13, 0x80000000, v6
	v_and_b32_e32 v14, 15, v14
	v_bfe_u32 v15, v6, 27, 4
	v_lshlrev_b32_sdwa v6, v17, v6 dst_sel:DWORD dst_unused:UNUSED_PAD src0_sel:DWORD src1_sel:BYTE_3
	v_sub_u32_e32 v16, 29, v16
	v_and_b32_e32 v6, 7, v6
	v_cmp_eq_u16_e32 vcc, 0, v14
	v_cndmask_b32_e32 v6, v12, v6, vcc
	v_cndmask_b32_e32 v12, v15, v16, vcc
	v_mov_b32_e32 v14, 0x3b800000
	v_lshlrev_b32_e32 v6, 20, v6
	v_lshl_add_u32 v12, v12, 23, v14
	v_or3_b32 v12, v13, v12, v6
.LBB15_1436:
	s_or_b64 exec, exec, s[6:7]
	s_movk_i32 s4, 0x7f
	v_cmp_gt_i16_sdwa s[6:7], v2, s4 src0_sel:BYTE_3 src1_sel:DWORD
	s_mov_b64 s[4:5], 0
                                        ; implicit-def: $sgpr10
	s_and_saveexec_b64 s[8:9], s[6:7]
	s_xor_b64 s[6:7], exec, s[8:9]
	s_cbranch_execnz .LBB15_3485
; %bb.1437:
	s_or_saveexec_b64 s[6:7], s[6:7]
	v_mov_b32_e32 v6, s10
	s_xor_b64 exec, exec, s[6:7]
	s_cbranch_execnz .LBB15_3488
.LBB15_1438:
	s_or_b64 exec, exec, s[6:7]
	s_and_saveexec_b64 s[6:7], s[4:5]
	s_cbranch_execz .LBB15_1440
.LBB15_1439:
	v_bfe_u32 v6, v2, 24, 3
	v_ffbh_u32_e32 v16, v6
	v_min_u32_e32 v16, 32, v16
	v_lshrrev_b32_e32 v14, 27, v2
	v_subrev_u32_e32 v17, 28, v16
	v_and_b32_e32 v13, 0x80000000, v2
	v_and_b32_e32 v14, 15, v14
	v_bfe_u32 v15, v2, 27, 4
	v_lshlrev_b32_sdwa v2, v17, v2 dst_sel:DWORD dst_unused:UNUSED_PAD src0_sel:DWORD src1_sel:BYTE_3
	v_sub_u32_e32 v16, 29, v16
	v_and_b32_e32 v2, 7, v2
	v_cmp_eq_u16_e32 vcc, 0, v14
	v_cndmask_b32_e32 v2, v6, v2, vcc
	v_cndmask_b32_e32 v6, v15, v16, vcc
	v_mov_b32_e32 v14, 0x3b800000
	v_lshlrev_b32_e32 v2, 20, v2
	v_lshl_add_u32 v6, v6, 23, v14
	v_or3_b32 v6, v13, v6, v2
.LBB15_1440:
	s_or_b64 exec, exec, s[6:7]
	s_nop 0
	v_mfma_f32_16x16x4f32 a[0:3], v12, v6, a[0:3]
	s_movk_i32 s4, 0x7f
	v_cmp_gt_i16_sdwa s[6:7], v7, s4 src0_sel:BYTE_0 src1_sel:DWORD
	s_mov_b64 s[4:5], 0
                                        ; implicit-def: $sgpr10
	s_and_saveexec_b64 s[8:9], s[6:7]
	s_xor_b64 s[6:7], exec, s[8:9]
	s_cbranch_execnz .LBB15_3489
; %bb.1441:
	s_or_saveexec_b64 s[6:7], s[6:7]
	v_mov_b32_e32 v2, s10
	s_xor_b64 exec, exec, s[6:7]
	s_cbranch_execnz .LBB15_3492
.LBB15_1442:
	s_or_b64 exec, exec, s[6:7]
	s_and_saveexec_b64 s[6:7], s[4:5]
	s_cbranch_execz .LBB15_1444
.LBB15_1443:
	v_and_b32_e32 v2, 7, v7
	v_ffbh_u32_e32 v12, v2
	v_min_u32_e32 v12, 32, v12
	v_lshrrev_b16_e32 v6, 3, v7
	v_subrev_u32_e32 v13, 28, v12
	v_and_b32_e32 v6, 15, v6
	v_lshlrev_b32_e32 v13, v13, v7
	v_sub_u32_e32 v12, 29, v12
	v_and_b32_e32 v13, 7, v13
	v_cmp_eq_u16_e32 vcc, 0, v6
	v_cndmask_b32_e32 v2, v2, v13, vcc
	v_cndmask_b32_e32 v6, v6, v12, vcc
	v_lshlrev_b32_e32 v12, 24, v7
	v_mov_b32_e32 v13, 0x3b800000
	v_lshlrev_b32_e32 v2, 20, v2
	v_and_b32_e32 v12, 0x80000000, v12
	v_lshl_add_u32 v6, v6, 23, v13
	v_or3_b32 v2, v12, v6, v2
.LBB15_1444:
	s_or_b64 exec, exec, s[6:7]
	s_movk_i32 s4, 0x7f
	v_cmp_gt_i16_sdwa s[6:7], v3, s4 src0_sel:BYTE_0 src1_sel:DWORD
	s_mov_b64 s[4:5], 0
                                        ; implicit-def: $sgpr10
	s_and_saveexec_b64 s[8:9], s[6:7]
	s_xor_b64 s[6:7], exec, s[8:9]
	s_cbranch_execnz .LBB15_3493
; %bb.1445:
	s_or_saveexec_b64 s[6:7], s[6:7]
	v_mov_b32_e32 v6, s10
	s_xor_b64 exec, exec, s[6:7]
	s_cbranch_execnz .LBB15_3496
.LBB15_1446:
	s_or_b64 exec, exec, s[6:7]
	s_and_saveexec_b64 s[6:7], s[4:5]
	s_cbranch_execz .LBB15_1448
.LBB15_1447:
	v_and_b32_e32 v6, 7, v3
	v_ffbh_u32_e32 v13, v6
	v_min_u32_e32 v13, 32, v13
	v_lshrrev_b16_e32 v12, 3, v3
	v_subrev_u32_e32 v14, 28, v13
	v_and_b32_e32 v12, 15, v12
	v_lshlrev_b32_e32 v14, v14, v3
	v_sub_u32_e32 v13, 29, v13
	v_and_b32_e32 v14, 7, v14
	v_cmp_eq_u16_e32 vcc, 0, v12
	v_cndmask_b32_e32 v6, v6, v14, vcc
	v_cndmask_b32_e32 v12, v12, v13, vcc
	v_lshlrev_b32_e32 v13, 24, v3
	v_mov_b32_e32 v14, 0x3b800000
	v_lshlrev_b32_e32 v6, 20, v6
	v_and_b32_e32 v13, 0x80000000, v13
	v_lshl_add_u32 v12, v12, 23, v14
	v_or3_b32 v6, v13, v12, v6
.LBB15_1448:
	s_or_b64 exec, exec, s[6:7]
	s_nop 0
	v_mfma_f32_16x16x4f32 a[0:3], v2, v6, a[0:3]
	v_lshrrev_b32_e32 v6, 8, v7
	s_movk_i32 s4, 0x7f
	v_cmp_gt_i16_sdwa s[6:7], v6, s4 src0_sel:BYTE_0 src1_sel:DWORD
	s_mov_b64 s[4:5], 0
                                        ; implicit-def: $sgpr10
	s_and_saveexec_b64 s[8:9], s[6:7]
	s_xor_b64 s[6:7], exec, s[8:9]
	s_cbranch_execnz .LBB15_3497
; %bb.1449:
	s_or_saveexec_b64 s[6:7], s[6:7]
	v_mov_b32_e32 v2, s10
	s_xor_b64 exec, exec, s[6:7]
	s_cbranch_execnz .LBB15_3500
.LBB15_1450:
	s_or_b64 exec, exec, s[6:7]
	s_and_saveexec_b64 s[6:7], s[4:5]
	s_cbranch_execz .LBB15_1452
.LBB15_1451:
	v_bfe_u32 v2, v7, 8, 3
	v_ffbh_u32_e32 v13, v2
	v_min_u32_e32 v13, 32, v13
	v_lshrrev_b16_e32 v12, 3, v6
	v_subrev_u32_e32 v14, 28, v13
	v_and_b32_e32 v12, 15, v12
	v_lshlrev_b32_e32 v6, v14, v6
	v_sub_u32_e32 v13, 29, v13
	v_and_b32_e32 v6, 7, v6
	v_cmp_eq_u16_e32 vcc, 0, v12
	v_cndmask_b32_e32 v2, v2, v6, vcc
	v_cndmask_b32_e32 v6, v12, v13, vcc
	v_lshlrev_b32_e32 v12, 16, v7
	v_mov_b32_e32 v13, 0x3b800000
	v_lshlrev_b32_e32 v2, 20, v2
	v_and_b32_e32 v12, 0x80000000, v12
	v_lshl_add_u32 v6, v6, 23, v13
	v_or3_b32 v2, v12, v6, v2
.LBB15_1452:
	s_or_b64 exec, exec, s[6:7]
	v_lshrrev_b32_e32 v6, 8, v3
	s_movk_i32 s4, 0x7f
	v_cmp_gt_i16_sdwa s[6:7], v6, s4 src0_sel:BYTE_0 src1_sel:DWORD
	s_mov_b64 s[4:5], 0
                                        ; implicit-def: $sgpr10
	s_and_saveexec_b64 s[8:9], s[6:7]
	s_xor_b64 s[6:7], exec, s[8:9]
	s_cbranch_execnz .LBB15_3501
; %bb.1453:
	s_or_saveexec_b64 s[6:7], s[6:7]
	v_mov_b32_e32 v12, s10
	s_xor_b64 exec, exec, s[6:7]
	s_cbranch_execnz .LBB15_3504
.LBB15_1454:
	s_or_b64 exec, exec, s[6:7]
	s_and_saveexec_b64 s[6:7], s[4:5]
	s_cbranch_execz .LBB15_1456
.LBB15_1455:
	v_bfe_u32 v12, v3, 8, 3
	v_ffbh_u32_e32 v14, v12
	v_min_u32_e32 v14, 32, v14
	v_lshrrev_b16_e32 v13, 3, v6
	v_subrev_u32_e32 v15, 28, v14
	v_and_b32_e32 v13, 15, v13
	v_lshlrev_b32_e32 v6, v15, v6
	v_sub_u32_e32 v14, 29, v14
	v_and_b32_e32 v6, 7, v6
	v_cmp_eq_u16_e32 vcc, 0, v13
	v_cndmask_b32_e32 v6, v12, v6, vcc
	v_cndmask_b32_e32 v12, v13, v14, vcc
	v_lshlrev_b32_e32 v13, 16, v3
	v_mov_b32_e32 v14, 0x3b800000
	v_lshlrev_b32_e32 v6, 20, v6
	v_and_b32_e32 v13, 0x80000000, v13
	v_lshl_add_u32 v12, v12, 23, v14
	v_or3_b32 v12, v13, v12, v6
.LBB15_1456:
	s_or_b64 exec, exec, s[6:7]
	s_nop 0
	v_mfma_f32_16x16x4f32 a[0:3], v2, v12, a[0:3]
	s_movk_i32 s4, 0xff
	v_and_b32_sdwa v6, v7, s4 dst_sel:DWORD dst_unused:UNUSED_PAD src0_sel:WORD_1 src1_sel:DWORD
	s_movk_i32 s4, 0x7f
	v_cmp_lt_i16_e32 vcc, s4, v6
	s_mov_b64 s[4:5], 0
                                        ; implicit-def: $sgpr10
	s_and_saveexec_b64 s[6:7], vcc
	s_xor_b64 s[6:7], exec, s[6:7]
	s_cbranch_execnz .LBB15_3505
; %bb.1457:
	s_or_saveexec_b64 s[6:7], s[6:7]
	v_mov_b32_e32 v2, s10
	s_xor_b64 exec, exec, s[6:7]
	s_cbranch_execnz .LBB15_3508
.LBB15_1458:
	s_or_b64 exec, exec, s[6:7]
	s_and_saveexec_b64 s[6:7], s[4:5]
	s_cbranch_execz .LBB15_1460
.LBB15_1459:
	v_bfe_u32 v2, v7, 16, 3
	v_ffbh_u32_e32 v13, v2
	v_min_u32_e32 v13, 32, v13
	v_lshrrev_b32_e32 v6, 19, v7
	v_subrev_u32_e32 v14, 28, v13
	v_and_b32_e32 v6, 15, v6
	v_lshlrev_b32_sdwa v14, v14, v7 dst_sel:DWORD dst_unused:UNUSED_PAD src0_sel:DWORD src1_sel:WORD_1
	v_bfe_u32 v12, v7, 19, 4
	v_sub_u32_e32 v13, 29, v13
	v_and_b32_e32 v14, 7, v14
	v_cmp_eq_u16_e32 vcc, 0, v6
	v_cndmask_b32_e32 v2, v2, v14, vcc
	v_cndmask_b32_e32 v6, v12, v13, vcc
	v_lshlrev_b32_e32 v12, 8, v7
	v_mov_b32_e32 v13, 0x3b800000
	v_lshlrev_b32_e32 v2, 20, v2
	v_and_b32_e32 v12, 0x80000000, v12
	v_lshl_add_u32 v6, v6, 23, v13
	v_or3_b32 v2, v12, v6, v2
.LBB15_1460:
	s_or_b64 exec, exec, s[6:7]
	s_movk_i32 s4, 0xff
	v_and_b32_sdwa v6, v3, s4 dst_sel:DWORD dst_unused:UNUSED_PAD src0_sel:WORD_1 src1_sel:DWORD
	s_movk_i32 s4, 0x7f
	v_cmp_lt_i16_e32 vcc, s4, v6
	s_mov_b64 s[4:5], 0
                                        ; implicit-def: $sgpr10
	s_and_saveexec_b64 s[6:7], vcc
	s_xor_b64 s[6:7], exec, s[6:7]
	s_cbranch_execnz .LBB15_3509
; %bb.1461:
	s_or_saveexec_b64 s[6:7], s[6:7]
	v_mov_b32_e32 v12, s10
	s_xor_b64 exec, exec, s[6:7]
	s_cbranch_execnz .LBB15_3512
.LBB15_1462:
	s_or_b64 exec, exec, s[6:7]
	s_and_saveexec_b64 s[6:7], s[4:5]
	s_cbranch_execz .LBB15_1464
.LBB15_1463:
	v_bfe_u32 v6, v3, 16, 3
	v_ffbh_u32_e32 v14, v6
	v_min_u32_e32 v14, 32, v14
	v_lshrrev_b32_e32 v12, 19, v3
	v_subrev_u32_e32 v15, 28, v14
	v_and_b32_e32 v12, 15, v12
	v_lshlrev_b32_sdwa v15, v15, v3 dst_sel:DWORD dst_unused:UNUSED_PAD src0_sel:DWORD src1_sel:WORD_1
	v_bfe_u32 v13, v3, 19, 4
	v_sub_u32_e32 v14, 29, v14
	v_and_b32_e32 v15, 7, v15
	v_cmp_eq_u16_e32 vcc, 0, v12
	v_cndmask_b32_e32 v6, v6, v15, vcc
	v_cndmask_b32_e32 v12, v13, v14, vcc
	v_lshlrev_b32_e32 v13, 8, v3
	v_mov_b32_e32 v14, 0x3b800000
	v_lshlrev_b32_e32 v6, 20, v6
	v_and_b32_e32 v13, 0x80000000, v13
	v_lshl_add_u32 v12, v12, 23, v14
	v_or3_b32 v12, v13, v12, v6
.LBB15_1464:
	s_or_b64 exec, exec, s[6:7]
	s_nop 0
	v_mfma_f32_16x16x4f32 a[0:3], v2, v12, a[0:3]
	s_movk_i32 s4, 0x7f
	v_cmp_gt_i16_sdwa s[6:7], v7, s4 src0_sel:BYTE_3 src1_sel:DWORD
	s_mov_b64 s[4:5], 0
                                        ; implicit-def: $sgpr10
	s_and_saveexec_b64 s[8:9], s[6:7]
	s_xor_b64 s[6:7], exec, s[8:9]
	s_cbranch_execnz .LBB15_3513
; %bb.1465:
	s_or_saveexec_b64 s[6:7], s[6:7]
	v_mov_b32_e32 v2, s10
	s_xor_b64 exec, exec, s[6:7]
	s_cbranch_execnz .LBB15_3516
.LBB15_1466:
	s_or_b64 exec, exec, s[6:7]
	s_and_saveexec_b64 s[6:7], s[4:5]
	s_cbranch_execz .LBB15_1468
.LBB15_1467:
	v_bfe_u32 v2, v7, 24, 3
	v_ffbh_u32_e32 v14, v2
	v_min_u32_e32 v14, 32, v14
	v_lshrrev_b32_e32 v12, 27, v7
	v_subrev_u32_e32 v15, 28, v14
	v_and_b32_e32 v6, 0x80000000, v7
	v_and_b32_e32 v12, 15, v12
	v_bfe_u32 v13, v7, 27, 4
	v_lshlrev_b32_sdwa v7, v15, v7 dst_sel:DWORD dst_unused:UNUSED_PAD src0_sel:DWORD src1_sel:BYTE_3
	v_sub_u32_e32 v14, 29, v14
	v_and_b32_e32 v7, 7, v7
	v_cmp_eq_u16_e32 vcc, 0, v12
	v_cndmask_b32_e32 v2, v2, v7, vcc
	v_cndmask_b32_e32 v7, v13, v14, vcc
	v_mov_b32_e32 v12, 0x3b800000
	v_lshlrev_b32_e32 v2, 20, v2
	v_lshl_add_u32 v7, v7, 23, v12
	v_or3_b32 v2, v6, v7, v2
.LBB15_1468:
	s_or_b64 exec, exec, s[6:7]
	s_movk_i32 s4, 0x7f
	v_cmp_gt_i16_sdwa s[6:7], v3, s4 src0_sel:BYTE_3 src1_sel:DWORD
	s_mov_b64 s[4:5], 0
                                        ; implicit-def: $sgpr10
	s_and_saveexec_b64 s[8:9], s[6:7]
	s_xor_b64 s[6:7], exec, s[8:9]
	s_cbranch_execnz .LBB15_3517
; %bb.1469:
	s_or_saveexec_b64 s[6:7], s[6:7]
	v_mov_b32_e32 v6, s10
	s_xor_b64 exec, exec, s[6:7]
	s_cbranch_execnz .LBB15_3520
.LBB15_1470:
	s_or_b64 exec, exec, s[6:7]
	s_and_saveexec_b64 s[6:7], s[4:5]
	s_cbranch_execz .LBB15_1472
.LBB15_1471:
	v_bfe_u32 v6, v3, 24, 3
	v_ffbh_u32_e32 v14, v6
	v_min_u32_e32 v14, 32, v14
	v_lshrrev_b32_e32 v12, 27, v3
	v_subrev_u32_e32 v15, 28, v14
	v_and_b32_e32 v7, 0x80000000, v3
	v_and_b32_e32 v12, 15, v12
	v_bfe_u32 v13, v3, 27, 4
	v_lshlrev_b32_sdwa v3, v15, v3 dst_sel:DWORD dst_unused:UNUSED_PAD src0_sel:DWORD src1_sel:BYTE_3
	v_sub_u32_e32 v14, 29, v14
	v_and_b32_e32 v3, 7, v3
	v_cmp_eq_u16_e32 vcc, 0, v12
	v_cndmask_b32_e32 v3, v6, v3, vcc
	v_cndmask_b32_e32 v6, v13, v14, vcc
	v_mov_b32_e32 v12, 0x3b800000
	v_lshlrev_b32_e32 v3, 20, v3
	v_lshl_add_u32 v6, v6, 23, v12
	v_or3_b32 v6, v7, v6, v3
.LBB15_1472:
	s_or_b64 exec, exec, s[6:7]
	s_nop 0
	v_mfma_f32_16x16x4f32 a[0:3], v2, v6, a[0:3]
	s_movk_i32 s4, 0x7f
	v_cmp_gt_i16_sdwa s[6:7], v8, s4 src0_sel:BYTE_0 src1_sel:DWORD
	s_mov_b64 s[4:5], 0
                                        ; implicit-def: $sgpr10
	s_and_saveexec_b64 s[8:9], s[6:7]
	s_xor_b64 s[6:7], exec, s[8:9]
	s_cbranch_execnz .LBB15_3521
; %bb.1473:
	s_or_saveexec_b64 s[6:7], s[6:7]
	v_mov_b32_e32 v2, s10
	s_xor_b64 exec, exec, s[6:7]
	s_cbranch_execnz .LBB15_3524
.LBB15_1474:
	s_or_b64 exec, exec, s[6:7]
	s_and_saveexec_b64 s[6:7], s[4:5]
	s_cbranch_execz .LBB15_1476
.LBB15_1475:
	v_and_b32_e32 v2, 7, v8
	v_ffbh_u32_e32 v6, v2
	v_min_u32_e32 v6, 32, v6
	v_lshrrev_b16_e32 v3, 3, v8
	v_subrev_u32_e32 v7, 28, v6
	v_and_b32_e32 v3, 15, v3
	v_lshlrev_b32_e32 v7, v7, v8
	v_sub_u32_e32 v6, 29, v6
	v_and_b32_e32 v7, 7, v7
	v_cmp_eq_u16_e32 vcc, 0, v3
	v_cndmask_b32_e32 v2, v2, v7, vcc
	v_cndmask_b32_e32 v3, v3, v6, vcc
	v_lshlrev_b32_e32 v6, 24, v8
	v_mov_b32_e32 v7, 0x3b800000
	v_lshlrev_b32_e32 v2, 20, v2
	v_and_b32_e32 v6, 0x80000000, v6
	v_lshl_add_u32 v3, v3, 23, v7
	v_or3_b32 v2, v6, v3, v2
.LBB15_1476:
	s_or_b64 exec, exec, s[6:7]
	s_movk_i32 s4, 0x7f
	v_cmp_gt_i16_sdwa s[6:7], v4, s4 src0_sel:BYTE_0 src1_sel:DWORD
	s_mov_b64 s[4:5], 0
                                        ; implicit-def: $sgpr10
	s_and_saveexec_b64 s[8:9], s[6:7]
	s_xor_b64 s[6:7], exec, s[8:9]
	s_cbranch_execnz .LBB15_3525
; %bb.1477:
	s_or_saveexec_b64 s[6:7], s[6:7]
	v_mov_b32_e32 v3, s10
	s_xor_b64 exec, exec, s[6:7]
	s_cbranch_execnz .LBB15_3528
.LBB15_1478:
	s_or_b64 exec, exec, s[6:7]
	s_and_saveexec_b64 s[6:7], s[4:5]
	s_cbranch_execz .LBB15_1480
.LBB15_1479:
	v_and_b32_e32 v3, 7, v4
	v_ffbh_u32_e32 v7, v3
	v_min_u32_e32 v7, 32, v7
	v_lshrrev_b16_e32 v6, 3, v4
	v_subrev_u32_e32 v12, 28, v7
	v_and_b32_e32 v6, 15, v6
	v_lshlrev_b32_e32 v12, v12, v4
	v_sub_u32_e32 v7, 29, v7
	v_and_b32_e32 v12, 7, v12
	v_cmp_eq_u16_e32 vcc, 0, v6
	v_cndmask_b32_e32 v3, v3, v12, vcc
	v_cndmask_b32_e32 v6, v6, v7, vcc
	v_lshlrev_b32_e32 v7, 24, v4
	v_mov_b32_e32 v12, 0x3b800000
	v_lshlrev_b32_e32 v3, 20, v3
	v_and_b32_e32 v7, 0x80000000, v7
	v_lshl_add_u32 v6, v6, 23, v12
	v_or3_b32 v3, v7, v6, v3
.LBB15_1480:
	s_or_b64 exec, exec, s[6:7]
	s_nop 0
	v_mfma_f32_16x16x4f32 a[0:3], v2, v3, a[0:3]
	v_lshrrev_b32_e32 v3, 8, v8
	s_movk_i32 s4, 0x7f
	v_cmp_gt_i16_sdwa s[6:7], v3, s4 src0_sel:BYTE_0 src1_sel:DWORD
	s_mov_b64 s[4:5], 0
                                        ; implicit-def: $sgpr10
	s_and_saveexec_b64 s[8:9], s[6:7]
	s_xor_b64 s[6:7], exec, s[8:9]
	s_cbranch_execnz .LBB15_3529
; %bb.1481:
	s_or_saveexec_b64 s[6:7], s[6:7]
	v_mov_b32_e32 v2, s10
	s_xor_b64 exec, exec, s[6:7]
	s_cbranch_execnz .LBB15_3532
.LBB15_1482:
	s_or_b64 exec, exec, s[6:7]
	s_and_saveexec_b64 s[6:7], s[4:5]
	s_cbranch_execz .LBB15_1484
.LBB15_1483:
	v_bfe_u32 v2, v8, 8, 3
	v_ffbh_u32_e32 v7, v2
	v_min_u32_e32 v7, 32, v7
	v_lshrrev_b16_e32 v6, 3, v3
	v_subrev_u32_e32 v12, 28, v7
	v_and_b32_e32 v6, 15, v6
	v_lshlrev_b32_e32 v3, v12, v3
	v_sub_u32_e32 v7, 29, v7
	v_and_b32_e32 v3, 7, v3
	v_cmp_eq_u16_e32 vcc, 0, v6
	v_cndmask_b32_e32 v2, v2, v3, vcc
	v_cndmask_b32_e32 v3, v6, v7, vcc
	v_lshlrev_b32_e32 v6, 16, v8
	v_mov_b32_e32 v7, 0x3b800000
	v_lshlrev_b32_e32 v2, 20, v2
	v_and_b32_e32 v6, 0x80000000, v6
	v_lshl_add_u32 v3, v3, 23, v7
	v_or3_b32 v2, v6, v3, v2
.LBB15_1484:
	s_or_b64 exec, exec, s[6:7]
	v_lshrrev_b32_e32 v3, 8, v4
	s_movk_i32 s4, 0x7f
	v_cmp_gt_i16_sdwa s[6:7], v3, s4 src0_sel:BYTE_0 src1_sel:DWORD
	s_mov_b64 s[4:5], 0
                                        ; implicit-def: $sgpr10
	s_and_saveexec_b64 s[8:9], s[6:7]
	s_xor_b64 s[6:7], exec, s[8:9]
	s_cbranch_execnz .LBB15_3533
; %bb.1485:
	s_or_saveexec_b64 s[6:7], s[6:7]
	v_mov_b32_e32 v6, s10
	s_xor_b64 exec, exec, s[6:7]
	s_cbranch_execnz .LBB15_3536
.LBB15_1486:
	s_or_b64 exec, exec, s[6:7]
	s_and_saveexec_b64 s[6:7], s[4:5]
	s_cbranch_execz .LBB15_1488
.LBB15_1487:
	v_bfe_u32 v6, v4, 8, 3
	v_ffbh_u32_e32 v12, v6
	v_min_u32_e32 v12, 32, v12
	v_lshrrev_b16_e32 v7, 3, v3
	v_subrev_u32_e32 v13, 28, v12
	v_and_b32_e32 v7, 15, v7
	v_lshlrev_b32_e32 v3, v13, v3
	v_sub_u32_e32 v12, 29, v12
	v_and_b32_e32 v3, 7, v3
	v_cmp_eq_u16_e32 vcc, 0, v7
	v_cndmask_b32_e32 v3, v6, v3, vcc
	v_cndmask_b32_e32 v6, v7, v12, vcc
	v_lshlrev_b32_e32 v7, 16, v4
	v_mov_b32_e32 v12, 0x3b800000
	v_lshlrev_b32_e32 v3, 20, v3
	v_and_b32_e32 v7, 0x80000000, v7
	v_lshl_add_u32 v6, v6, 23, v12
	v_or3_b32 v6, v7, v6, v3
.LBB15_1488:
	s_or_b64 exec, exec, s[6:7]
	s_nop 0
	v_mfma_f32_16x16x4f32 a[0:3], v2, v6, a[0:3]
	s_movk_i32 s4, 0xff
	v_and_b32_sdwa v3, v8, s4 dst_sel:DWORD dst_unused:UNUSED_PAD src0_sel:WORD_1 src1_sel:DWORD
	s_movk_i32 s4, 0x7f
	v_cmp_lt_i16_e32 vcc, s4, v3
	s_mov_b64 s[4:5], 0
                                        ; implicit-def: $sgpr10
	s_and_saveexec_b64 s[6:7], vcc
	s_xor_b64 s[6:7], exec, s[6:7]
	s_cbranch_execnz .LBB15_3537
; %bb.1489:
	s_or_saveexec_b64 s[6:7], s[6:7]
	v_mov_b32_e32 v2, s10
	s_xor_b64 exec, exec, s[6:7]
	s_cbranch_execnz .LBB15_3540
.LBB15_1490:
	s_or_b64 exec, exec, s[6:7]
	s_and_saveexec_b64 s[6:7], s[4:5]
	s_cbranch_execz .LBB15_1492
.LBB15_1491:
	v_bfe_u32 v2, v8, 16, 3
	v_ffbh_u32_e32 v7, v2
	v_min_u32_e32 v7, 32, v7
	v_lshrrev_b32_e32 v3, 19, v8
	v_subrev_u32_e32 v12, 28, v7
	v_and_b32_e32 v3, 15, v3
	v_lshlrev_b32_sdwa v12, v12, v8 dst_sel:DWORD dst_unused:UNUSED_PAD src0_sel:DWORD src1_sel:WORD_1
	v_bfe_u32 v6, v8, 19, 4
	v_sub_u32_e32 v7, 29, v7
	v_and_b32_e32 v12, 7, v12
	v_cmp_eq_u16_e32 vcc, 0, v3
	v_cndmask_b32_e32 v2, v2, v12, vcc
	v_cndmask_b32_e32 v3, v6, v7, vcc
	v_lshlrev_b32_e32 v6, 8, v8
	v_mov_b32_e32 v7, 0x3b800000
	v_lshlrev_b32_e32 v2, 20, v2
	v_and_b32_e32 v6, 0x80000000, v6
	v_lshl_add_u32 v3, v3, 23, v7
	v_or3_b32 v2, v6, v3, v2
.LBB15_1492:
	s_or_b64 exec, exec, s[6:7]
	s_movk_i32 s4, 0xff
	v_and_b32_sdwa v3, v4, s4 dst_sel:DWORD dst_unused:UNUSED_PAD src0_sel:WORD_1 src1_sel:DWORD
	s_movk_i32 s4, 0x7f
	v_cmp_lt_i16_e32 vcc, s4, v3
	s_mov_b64 s[4:5], 0
                                        ; implicit-def: $sgpr10
	s_and_saveexec_b64 s[6:7], vcc
	s_xor_b64 s[6:7], exec, s[6:7]
	s_cbranch_execnz .LBB15_3541
; %bb.1493:
	s_or_saveexec_b64 s[6:7], s[6:7]
	v_mov_b32_e32 v6, s10
	s_xor_b64 exec, exec, s[6:7]
	s_cbranch_execnz .LBB15_3544
.LBB15_1494:
	s_or_b64 exec, exec, s[6:7]
	s_and_saveexec_b64 s[6:7], s[4:5]
	s_cbranch_execz .LBB15_1496
.LBB15_1495:
	v_bfe_u32 v3, v4, 16, 3
	v_ffbh_u32_e32 v12, v3
	v_min_u32_e32 v12, 32, v12
	v_lshrrev_b32_e32 v6, 19, v4
	v_subrev_u32_e32 v13, 28, v12
	v_and_b32_e32 v6, 15, v6
	v_lshlrev_b32_sdwa v13, v13, v4 dst_sel:DWORD dst_unused:UNUSED_PAD src0_sel:DWORD src1_sel:WORD_1
	v_bfe_u32 v7, v4, 19, 4
	v_sub_u32_e32 v12, 29, v12
	v_and_b32_e32 v13, 7, v13
	v_cmp_eq_u16_e32 vcc, 0, v6
	v_cndmask_b32_e32 v3, v3, v13, vcc
	v_cndmask_b32_e32 v6, v7, v12, vcc
	v_lshlrev_b32_e32 v7, 8, v4
	v_mov_b32_e32 v12, 0x3b800000
	v_lshlrev_b32_e32 v3, 20, v3
	v_and_b32_e32 v7, 0x80000000, v7
	v_lshl_add_u32 v6, v6, 23, v12
	v_or3_b32 v6, v7, v6, v3
.LBB15_1496:
	s_or_b64 exec, exec, s[6:7]
	s_nop 0
	v_mfma_f32_16x16x4f32 a[0:3], v2, v6, a[0:3]
	s_movk_i32 s4, 0x7f
	v_cmp_gt_i16_sdwa s[6:7], v8, s4 src0_sel:BYTE_3 src1_sel:DWORD
	s_mov_b64 s[4:5], 0
                                        ; implicit-def: $sgpr10
	s_and_saveexec_b64 s[8:9], s[6:7]
	s_xor_b64 s[6:7], exec, s[8:9]
	s_cbranch_execnz .LBB15_3545
; %bb.1497:
	s_or_saveexec_b64 s[6:7], s[6:7]
	v_mov_b32_e32 v2, s10
	s_xor_b64 exec, exec, s[6:7]
	s_cbranch_execnz .LBB15_3548
.LBB15_1498:
	s_or_b64 exec, exec, s[6:7]
	s_and_saveexec_b64 s[6:7], s[4:5]
	s_cbranch_execz .LBB15_1500
.LBB15_1499:
	v_bfe_u32 v2, v8, 24, 3
	v_ffbh_u32_e32 v12, v2
	v_min_u32_e32 v12, 32, v12
	v_lshrrev_b32_e32 v6, 27, v8
	v_subrev_u32_e32 v13, 28, v12
	v_and_b32_e32 v3, 0x80000000, v8
	v_and_b32_e32 v6, 15, v6
	v_bfe_u32 v7, v8, 27, 4
	v_lshlrev_b32_sdwa v8, v13, v8 dst_sel:DWORD dst_unused:UNUSED_PAD src0_sel:DWORD src1_sel:BYTE_3
	v_sub_u32_e32 v12, 29, v12
	v_and_b32_e32 v8, 7, v8
	v_cmp_eq_u16_e32 vcc, 0, v6
	v_cndmask_b32_e32 v2, v2, v8, vcc
	v_cndmask_b32_e32 v6, v7, v12, vcc
	v_mov_b32_e32 v7, 0x3b800000
	v_lshlrev_b32_e32 v2, 20, v2
	v_lshl_add_u32 v6, v6, 23, v7
	v_or3_b32 v2, v3, v6, v2
.LBB15_1500:
	s_or_b64 exec, exec, s[6:7]
	s_movk_i32 s4, 0x7f
	v_cmp_gt_i16_sdwa s[6:7], v4, s4 src0_sel:BYTE_3 src1_sel:DWORD
	s_mov_b64 s[4:5], 0
                                        ; implicit-def: $sgpr10
	s_and_saveexec_b64 s[8:9], s[6:7]
	s_xor_b64 s[6:7], exec, s[8:9]
	s_cbranch_execnz .LBB15_3549
; %bb.1501:
	s_or_saveexec_b64 s[6:7], s[6:7]
	v_mov_b32_e32 v3, s10
	s_xor_b64 exec, exec, s[6:7]
	s_cbranch_execnz .LBB15_3552
.LBB15_1502:
	s_or_b64 exec, exec, s[6:7]
	s_and_saveexec_b64 s[6:7], s[4:5]
	s_cbranch_execz .LBB15_1504
.LBB15_1503:
	v_bfe_u32 v3, v4, 24, 3
	v_ffbh_u32_e32 v12, v3
	v_min_u32_e32 v12, 32, v12
	v_lshrrev_b32_e32 v7, 27, v4
	v_subrev_u32_e32 v13, 28, v12
	v_and_b32_e32 v6, 0x80000000, v4
	v_and_b32_e32 v7, 15, v7
	v_bfe_u32 v8, v4, 27, 4
	v_lshlrev_b32_sdwa v4, v13, v4 dst_sel:DWORD dst_unused:UNUSED_PAD src0_sel:DWORD src1_sel:BYTE_3
	v_sub_u32_e32 v12, 29, v12
	v_and_b32_e32 v4, 7, v4
	v_cmp_eq_u16_e32 vcc, 0, v7
	v_cndmask_b32_e32 v3, v3, v4, vcc
	v_cndmask_b32_e32 v4, v8, v12, vcc
	v_mov_b32_e32 v7, 0x3b800000
	v_lshlrev_b32_e32 v3, 20, v3
	v_lshl_add_u32 v4, v4, 23, v7
	v_or3_b32 v3, v6, v4, v3
.LBB15_1504:
	s_or_b64 exec, exec, s[6:7]
	s_nop 0
	v_mfma_f32_16x16x4f32 a[0:3], v2, v3, a[0:3]
	s_movk_i32 s4, 0x7f
	v_cmp_gt_i16_sdwa s[6:7], v9, s4 src0_sel:BYTE_0 src1_sel:DWORD
	s_mov_b64 s[4:5], 0
                                        ; implicit-def: $sgpr10
	s_and_saveexec_b64 s[8:9], s[6:7]
	s_xor_b64 s[6:7], exec, s[8:9]
	s_cbranch_execnz .LBB15_3553
; %bb.1505:
	s_or_saveexec_b64 s[6:7], s[6:7]
	v_mov_b32_e32 v2, s10
	s_xor_b64 exec, exec, s[6:7]
	s_cbranch_execnz .LBB15_3556
.LBB15_1506:
	s_or_b64 exec, exec, s[6:7]
	s_and_saveexec_b64 s[6:7], s[4:5]
	s_cbranch_execz .LBB15_1508
.LBB15_1507:
	v_mov_b32_e32 v2, 8
	v_and_b32_e32 v3, 7, v9
	v_lshrrev_b32_sdwa v2, v2, v9 dst_sel:BYTE_1 dst_unused:UNUSED_PAD src0_sel:DWORD src1_sel:DWORD
	v_ffbh_u32_e32 v4, v3
	v_or_b32_sdwa v2, v9, v2 dst_sel:DWORD dst_unused:UNUSED_PAD src0_sel:BYTE_0 src1_sel:DWORD
	v_min_u32_e32 v4, 32, v4
	v_lshrrev_b16_e32 v2, 3, v2
	v_subrev_u32_e32 v6, 28, v4
	v_and_b32_e32 v2, 15, v2
	v_lshlrev_b32_e32 v6, v6, v9
	v_sub_u32_e32 v4, 29, v4
	v_and_b32_e32 v6, 7, v6
	v_cmp_eq_u16_e32 vcc, 0, v2
	v_cndmask_b32_e32 v3, v3, v6, vcc
	v_cndmask_b32_e32 v2, v2, v4, vcc
	v_lshlrev_b32_e32 v4, 24, v9
	v_mov_b32_e32 v6, 0x3b800000
	v_lshlrev_b32_e32 v3, 20, v3
	v_and_b32_e32 v4, 0x80000000, v4
	v_lshl_add_u32 v2, v2, 23, v6
	v_or3_b32 v2, v4, v2, v3
.LBB15_1508:
	s_or_b64 exec, exec, s[6:7]
	s_movk_i32 s4, 0x7f
	v_cmp_gt_i16_sdwa s[6:7], v5, s4 src0_sel:BYTE_0 src1_sel:DWORD
	s_mov_b64 s[4:5], 0
                                        ; implicit-def: $sgpr10
	s_and_saveexec_b64 s[8:9], s[6:7]
	s_xor_b64 s[6:7], exec, s[8:9]
	s_cbranch_execnz .LBB15_3557
; %bb.1509:
	s_or_saveexec_b64 s[6:7], s[6:7]
	v_mov_b32_e32 v3, s10
	s_xor_b64 exec, exec, s[6:7]
	s_cbranch_execnz .LBB15_3560
.LBB15_1510:
	s_or_b64 exec, exec, s[6:7]
	s_and_saveexec_b64 s[6:7], s[4:5]
	s_cbranch_execz .LBB15_1512
.LBB15_1511:
	v_mov_b32_e32 v3, 8
	v_and_b32_e32 v4, 7, v5
	v_lshrrev_b32_sdwa v3, v3, v5 dst_sel:BYTE_1 dst_unused:UNUSED_PAD src0_sel:DWORD src1_sel:DWORD
	v_ffbh_u32_e32 v6, v4
	v_or_b32_sdwa v3, v5, v3 dst_sel:DWORD dst_unused:UNUSED_PAD src0_sel:BYTE_0 src1_sel:DWORD
	v_min_u32_e32 v6, 32, v6
	v_lshrrev_b16_e32 v3, 3, v3
	v_subrev_u32_e32 v7, 28, v6
	v_and_b32_e32 v3, 15, v3
	v_lshlrev_b32_e32 v7, v7, v5
	v_sub_u32_e32 v6, 29, v6
	v_and_b32_e32 v7, 7, v7
	v_cmp_eq_u16_e32 vcc, 0, v3
	v_cndmask_b32_e32 v4, v4, v7, vcc
	v_cndmask_b32_e32 v3, v3, v6, vcc
	v_lshlrev_b32_e32 v6, 24, v5
	v_mov_b32_e32 v7, 0x3b800000
	v_lshlrev_b32_e32 v4, 20, v4
	v_and_b32_e32 v6, 0x80000000, v6
	v_lshl_add_u32 v3, v3, 23, v7
	v_or3_b32 v3, v6, v3, v4
.LBB15_1512:
	s_or_b64 exec, exec, s[6:7]
	s_nop 0
	v_mfma_f32_16x16x4f32 a[0:3], v2, v3, a[0:3]
	v_lshrrev_b32_e32 v3, 8, v9
	s_movk_i32 s4, 0x7f
	v_cmp_gt_i16_sdwa s[6:7], v3, s4 src0_sel:BYTE_0 src1_sel:DWORD
	s_mov_b64 s[4:5], 0
                                        ; implicit-def: $sgpr10
	s_and_saveexec_b64 s[8:9], s[6:7]
	s_xor_b64 s[6:7], exec, s[8:9]
	s_cbranch_execnz .LBB15_3561
; %bb.1513:
	s_or_saveexec_b64 s[6:7], s[6:7]
	v_mov_b32_e32 v2, s10
	s_xor_b64 exec, exec, s[6:7]
	s_cbranch_execnz .LBB15_3564
.LBB15_1514:
	s_or_b64 exec, exec, s[6:7]
	s_and_saveexec_b64 s[6:7], s[4:5]
	s_cbranch_execz .LBB15_1516
.LBB15_1515:
	v_bfe_u32 v2, v9, 8, 3
	v_ffbh_u32_e32 v6, v2
	v_min_u32_e32 v6, 32, v6
	v_lshrrev_b16_e32 v4, 3, v3
	v_subrev_u32_e32 v7, 28, v6
	v_and_b32_e32 v4, 15, v4
	v_lshlrev_b32_e32 v3, v7, v3
	v_sub_u32_e32 v6, 29, v6
	v_and_b32_e32 v3, 7, v3
	v_cmp_eq_u16_e32 vcc, 0, v4
	v_cndmask_b32_e32 v2, v2, v3, vcc
	v_cndmask_b32_e32 v3, v4, v6, vcc
	v_lshlrev_b32_e32 v4, 16, v9
	v_mov_b32_e32 v6, 0x3b800000
	v_lshlrev_b32_e32 v2, 20, v2
	v_and_b32_e32 v4, 0x80000000, v4
	v_lshl_add_u32 v3, v3, 23, v6
	v_or3_b32 v2, v4, v3, v2
.LBB15_1516:
	s_or_b64 exec, exec, s[6:7]
	v_lshrrev_b32_e32 v3, 8, v5
	s_movk_i32 s4, 0x7f
	v_cmp_gt_i16_sdwa s[6:7], v3, s4 src0_sel:BYTE_0 src1_sel:DWORD
	s_mov_b64 s[4:5], 0
                                        ; implicit-def: $sgpr10
	s_and_saveexec_b64 s[8:9], s[6:7]
	s_xor_b64 s[6:7], exec, s[8:9]
	s_cbranch_execnz .LBB15_3565
; %bb.1517:
	s_or_saveexec_b64 s[6:7], s[6:7]
	v_mov_b32_e32 v4, s10
	s_xor_b64 exec, exec, s[6:7]
	s_cbranch_execnz .LBB15_3568
.LBB15_1518:
	s_or_b64 exec, exec, s[6:7]
	s_and_saveexec_b64 s[6:7], s[4:5]
	s_cbranch_execz .LBB15_1520
.LBB15_1519:
	v_bfe_u32 v4, v5, 8, 3
	v_ffbh_u32_e32 v7, v4
	v_min_u32_e32 v7, 32, v7
	v_lshrrev_b16_e32 v6, 3, v3
	v_subrev_u32_e32 v8, 28, v7
	v_and_b32_e32 v6, 15, v6
	v_lshlrev_b32_e32 v3, v8, v3
	v_sub_u32_e32 v7, 29, v7
	v_and_b32_e32 v3, 7, v3
	v_cmp_eq_u16_e32 vcc, 0, v6
	v_cndmask_b32_e32 v3, v4, v3, vcc
	v_cndmask_b32_e32 v4, v6, v7, vcc
	v_lshlrev_b32_e32 v6, 16, v5
	v_mov_b32_e32 v7, 0x3b800000
	v_lshlrev_b32_e32 v3, 20, v3
	v_and_b32_e32 v6, 0x80000000, v6
	v_lshl_add_u32 v4, v4, 23, v7
	v_or3_b32 v4, v6, v4, v3
.LBB15_1520:
	s_or_b64 exec, exec, s[6:7]
	s_nop 0
	v_mfma_f32_16x16x4f32 a[0:3], v2, v4, a[0:3]
	s_movk_i32 s4, 0xff
	v_and_b32_sdwa v3, v9, s4 dst_sel:DWORD dst_unused:UNUSED_PAD src0_sel:WORD_1 src1_sel:DWORD
	s_movk_i32 s4, 0x7f
	v_cmp_lt_i16_e32 vcc, s4, v3
	s_mov_b64 s[4:5], 0
                                        ; implicit-def: $sgpr10
	s_and_saveexec_b64 s[6:7], vcc
	s_xor_b64 s[6:7], exec, s[6:7]
	s_cbranch_execnz .LBB15_3569
; %bb.1521:
	s_or_saveexec_b64 s[6:7], s[6:7]
	v_mov_b32_e32 v2, s10
	s_xor_b64 exec, exec, s[6:7]
	s_cbranch_execnz .LBB15_3572
.LBB15_1522:
	s_or_b64 exec, exec, s[6:7]
	s_and_saveexec_b64 s[6:7], s[4:5]
	s_cbranch_execz .LBB15_1524
.LBB15_1523:
	v_bfe_u32 v2, v9, 16, 3
	v_ffbh_u32_e32 v6, v2
	v_min_u32_e32 v6, 32, v6
	v_lshrrev_b32_e32 v3, 19, v9
	v_subrev_u32_e32 v7, 28, v6
	v_and_b32_e32 v3, 15, v3
	v_lshlrev_b32_sdwa v7, v7, v9 dst_sel:DWORD dst_unused:UNUSED_PAD src0_sel:DWORD src1_sel:WORD_1
	v_bfe_u32 v4, v9, 19, 4
	v_sub_u32_e32 v6, 29, v6
	v_and_b32_e32 v7, 7, v7
	v_cmp_eq_u16_e32 vcc, 0, v3
	v_cndmask_b32_e32 v2, v2, v7, vcc
	v_cndmask_b32_e32 v3, v4, v6, vcc
	v_lshlrev_b32_e32 v4, 8, v9
	v_mov_b32_e32 v6, 0x3b800000
	v_lshlrev_b32_e32 v2, 20, v2
	v_and_b32_e32 v4, 0x80000000, v4
	v_lshl_add_u32 v3, v3, 23, v6
	v_or3_b32 v2, v4, v3, v2
.LBB15_1524:
	s_or_b64 exec, exec, s[6:7]
	s_movk_i32 s4, 0xff
	v_and_b32_sdwa v3, v5, s4 dst_sel:DWORD dst_unused:UNUSED_PAD src0_sel:WORD_1 src1_sel:DWORD
	s_movk_i32 s4, 0x7f
	v_cmp_lt_i16_e32 vcc, s4, v3
	s_mov_b64 s[4:5], 0
                                        ; implicit-def: $sgpr10
	s_and_saveexec_b64 s[6:7], vcc
	s_xor_b64 s[6:7], exec, s[6:7]
	s_cbranch_execnz .LBB15_3573
; %bb.1525:
	s_or_saveexec_b64 s[6:7], s[6:7]
	v_mov_b32_e32 v4, s10
	s_xor_b64 exec, exec, s[6:7]
	s_cbranch_execnz .LBB15_3576
.LBB15_1526:
	s_or_b64 exec, exec, s[6:7]
	s_and_saveexec_b64 s[6:7], s[4:5]
	s_cbranch_execz .LBB15_1528
.LBB15_1527:
	v_bfe_u32 v3, v5, 16, 3
	v_ffbh_u32_e32 v7, v3
	v_min_u32_e32 v7, 32, v7
	v_lshrrev_b32_e32 v4, 19, v5
	v_subrev_u32_e32 v8, 28, v7
	v_and_b32_e32 v4, 15, v4
	v_lshlrev_b32_sdwa v8, v8, v5 dst_sel:DWORD dst_unused:UNUSED_PAD src0_sel:DWORD src1_sel:WORD_1
	v_bfe_u32 v6, v5, 19, 4
	v_sub_u32_e32 v7, 29, v7
	v_and_b32_e32 v8, 7, v8
	v_cmp_eq_u16_e32 vcc, 0, v4
	v_cndmask_b32_e32 v3, v3, v8, vcc
	v_cndmask_b32_e32 v4, v6, v7, vcc
	v_lshlrev_b32_e32 v6, 8, v5
	v_mov_b32_e32 v7, 0x3b800000
	v_lshlrev_b32_e32 v3, 20, v3
	v_and_b32_e32 v6, 0x80000000, v6
	v_lshl_add_u32 v4, v4, 23, v7
	v_or3_b32 v4, v6, v4, v3
.LBB15_1528:
	s_or_b64 exec, exec, s[6:7]
	s_nop 0
	v_mfma_f32_16x16x4f32 a[0:3], v2, v4, a[0:3]
	s_movk_i32 s4, 0x7f
	v_cmp_gt_i16_sdwa s[6:7], v9, s4 src0_sel:BYTE_3 src1_sel:DWORD
	s_mov_b64 s[4:5], 0
                                        ; implicit-def: $sgpr10
	s_and_saveexec_b64 s[8:9], s[6:7]
	s_xor_b64 s[6:7], exec, s[8:9]
	s_cbranch_execnz .LBB15_3577
; %bb.1529:
	s_or_saveexec_b64 s[6:7], s[6:7]
	v_mov_b32_e32 v2, s10
	s_xor_b64 exec, exec, s[6:7]
	s_cbranch_execnz .LBB15_3580
.LBB15_1530:
	s_or_b64 exec, exec, s[6:7]
	s_and_saveexec_b64 s[6:7], s[4:5]
	s_cbranch_execz .LBB15_1532
.LBB15_1531:
	v_bfe_u32 v2, v9, 24, 3
	v_ffbh_u32_e32 v7, v2
	v_min_u32_e32 v7, 32, v7
	v_lshrrev_b32_e32 v4, 27, v9
	v_subrev_u32_e32 v8, 28, v7
	v_and_b32_e32 v4, 15, v4
	v_lshlrev_b32_sdwa v8, v8, v9 dst_sel:DWORD dst_unused:UNUSED_PAD src0_sel:DWORD src1_sel:BYTE_3
	v_bfe_u32 v6, v9, 27, 4
	v_sub_u32_e32 v7, 29, v7
	v_and_b32_e32 v8, 7, v8
	v_cmp_eq_u16_e32 vcc, 0, v4
	v_cndmask_b32_e32 v2, v2, v8, vcc
	v_cndmask_b32_e32 v4, v6, v7, vcc
	v_mov_b32_e32 v6, 0x3b800000
	v_and_b32_e32 v3, 0x80000000, v9
	v_lshlrev_b32_e32 v2, 20, v2
	v_lshl_add_u32 v4, v4, 23, v6
	v_or3_b32 v2, v3, v4, v2
.LBB15_1532:
	s_or_b64 exec, exec, s[6:7]
	s_movk_i32 s4, 0x7f
	v_cmp_gt_i16_sdwa s[6:7], v5, s4 src0_sel:BYTE_3 src1_sel:DWORD
	s_mov_b64 s[4:5], 0
                                        ; implicit-def: $sgpr10
	s_and_saveexec_b64 s[8:9], s[6:7]
	s_xor_b64 s[6:7], exec, s[8:9]
	s_cbranch_execnz .LBB15_3581
; %bb.1533:
	s_or_saveexec_b64 s[6:7], s[6:7]
	v_mov_b32_e32 v3, s10
	s_xor_b64 exec, exec, s[6:7]
	s_cbranch_execnz .LBB15_3584
.LBB15_1534:
	s_or_b64 exec, exec, s[6:7]
	s_and_saveexec_b64 s[6:7], s[4:5]
	s_cbranch_execz .LBB15_1536
.LBB15_1535:
	v_bfe_u32 v3, v5, 24, 3
	v_ffbh_u32_e32 v8, v3
	v_min_u32_e32 v8, 32, v8
	v_lshrrev_b32_e32 v6, 27, v5
	v_subrev_u32_e32 v9, 28, v8
	v_and_b32_e32 v4, 0x80000000, v5
	v_and_b32_e32 v6, 15, v6
	v_bfe_u32 v7, v5, 27, 4
	v_lshlrev_b32_sdwa v5, v9, v5 dst_sel:DWORD dst_unused:UNUSED_PAD src0_sel:DWORD src1_sel:BYTE_3
	v_sub_u32_e32 v8, 29, v8
	v_and_b32_e32 v5, 7, v5
	v_cmp_eq_u16_e32 vcc, 0, v6
	v_cndmask_b32_e32 v3, v3, v5, vcc
	v_cndmask_b32_e32 v5, v7, v8, vcc
	v_mov_b32_e32 v6, 0x3b800000
	v_lshlrev_b32_e32 v3, 20, v3
	v_lshl_add_u32 v5, v5, 23, v6
	v_or3_b32 v3, v4, v5, v3
.LBB15_1536:
	s_or_b64 exec, exec, s[6:7]
	s_nop 0
	v_mfma_f32_16x16x4f32 a[0:3], v2, v3, a[0:3]
	s_movk_i32 s4, 0x7f
                                        ; implicit-def: $sgpr10
	s_nop 7
	s_nop 1
	flat_store_dwordx4 v[10:11], a[0:3] offset:176
	flat_load_dwordx4 v[12:15], v[0:1] offset:8
	s_nop 0
	flat_load_dwordx2 v[10:11], v[0:1] offset:32
	s_waitcnt vmcnt(0) lgkmcnt(0)
	flat_load_dwordx4 v[6:9], v[12:13] offset:112
	flat_load_dwordx4 v[2:5], v[14:15] offset:16
	s_waitcnt vmcnt(0) lgkmcnt(0)
	v_cmp_gt_i16_sdwa s[6:7], v6, s4 src0_sel:BYTE_0 src1_sel:DWORD
	s_mov_b64 s[4:5], 0
	s_and_saveexec_b64 s[8:9], s[6:7]
	s_xor_b64 s[6:7], exec, s[8:9]
	s_cbranch_execnz .LBB15_3585
; %bb.1537:
	s_or_saveexec_b64 s[6:7], s[6:7]
	v_mov_b32_e32 v12, s10
	s_xor_b64 exec, exec, s[6:7]
	s_cbranch_execnz .LBB15_3588
.LBB15_1538:
	s_or_b64 exec, exec, s[6:7]
	s_and_saveexec_b64 s[6:7], s[4:5]
	s_cbranch_execz .LBB15_1540
.LBB15_1539:
	v_and_b32_e32 v12, 7, v6
	v_ffbh_u32_e32 v14, v12
	v_min_u32_e32 v14, 32, v14
	v_lshrrev_b16_e32 v13, 3, v6
	v_subrev_u32_e32 v15, 28, v14
	v_and_b32_e32 v13, 15, v13
	v_lshlrev_b32_e32 v15, v15, v6
	v_sub_u32_e32 v14, 29, v14
	v_and_b32_e32 v15, 7, v15
	v_cmp_eq_u16_e32 vcc, 0, v13
	v_cndmask_b32_e32 v12, v12, v15, vcc
	v_cndmask_b32_e32 v13, v13, v14, vcc
	v_lshlrev_b32_e32 v14, 24, v6
	v_mov_b32_e32 v15, 0x3b800000
	v_lshlrev_b32_e32 v12, 20, v12
	v_and_b32_e32 v14, 0x80000000, v14
	v_lshl_add_u32 v13, v13, 23, v15
	v_or3_b32 v12, v14, v13, v12
.LBB15_1540:
	s_or_b64 exec, exec, s[6:7]
	s_movk_i32 s4, 0x7f
	v_cmp_gt_i16_sdwa s[6:7], v2, s4 src0_sel:BYTE_0 src1_sel:DWORD
	s_mov_b64 s[4:5], 0
                                        ; implicit-def: $sgpr10
	s_and_saveexec_b64 s[8:9], s[6:7]
	s_xor_b64 s[6:7], exec, s[8:9]
	s_cbranch_execnz .LBB15_3589
; %bb.1541:
	s_or_saveexec_b64 s[6:7], s[6:7]
	v_mov_b32_e32 v13, s10
	s_xor_b64 exec, exec, s[6:7]
	s_cbranch_execnz .LBB15_3592
.LBB15_1542:
	s_or_b64 exec, exec, s[6:7]
	s_and_saveexec_b64 s[6:7], s[4:5]
	s_cbranch_execz .LBB15_1544
.LBB15_1543:
	v_and_b32_e32 v13, 7, v2
	v_ffbh_u32_e32 v15, v13
	v_min_u32_e32 v15, 32, v15
	v_lshrrev_b16_e32 v14, 3, v2
	v_subrev_u32_e32 v16, 28, v15
	v_and_b32_e32 v14, 15, v14
	v_lshlrev_b32_e32 v16, v16, v2
	v_sub_u32_e32 v15, 29, v15
	v_and_b32_e32 v16, 7, v16
	v_cmp_eq_u16_e32 vcc, 0, v14
	v_cndmask_b32_e32 v13, v13, v16, vcc
	v_cndmask_b32_e32 v14, v14, v15, vcc
	v_lshlrev_b32_e32 v15, 24, v2
	v_mov_b32_e32 v16, 0x3b800000
	v_lshlrev_b32_e32 v13, 20, v13
	v_and_b32_e32 v15, 0x80000000, v15
	v_lshl_add_u32 v14, v14, 23, v16
	v_or3_b32 v13, v15, v14, v13
.LBB15_1544:
	s_or_b64 exec, exec, s[6:7]
	flat_load_dwordx4 a[0:3], v[10:11] offset:192
	s_movk_i32 s4, 0x7f
                                        ; implicit-def: $sgpr10
	s_waitcnt vmcnt(0) lgkmcnt(0)
	v_mfma_f32_16x16x4f32 a[0:3], v12, v13, a[0:3]
	v_lshrrev_b32_e32 v13, 8, v6
	v_cmp_gt_i16_sdwa s[6:7], v13, s4 src0_sel:BYTE_0 src1_sel:DWORD
	s_mov_b64 s[4:5], 0
	s_and_saveexec_b64 s[8:9], s[6:7]
	s_xor_b64 s[6:7], exec, s[8:9]
	s_cbranch_execnz .LBB15_3593
; %bb.1545:
	s_or_saveexec_b64 s[6:7], s[6:7]
	v_mov_b32_e32 v12, s10
	s_xor_b64 exec, exec, s[6:7]
	s_cbranch_execnz .LBB15_3596
.LBB15_1546:
	s_or_b64 exec, exec, s[6:7]
	s_and_saveexec_b64 s[6:7], s[4:5]
	s_cbranch_execz .LBB15_1548
.LBB15_1547:
	v_bfe_u32 v12, v6, 8, 3
	v_ffbh_u32_e32 v15, v12
	v_min_u32_e32 v15, 32, v15
	v_lshrrev_b16_e32 v14, 3, v13
	v_subrev_u32_e32 v16, 28, v15
	v_and_b32_e32 v14, 15, v14
	v_lshlrev_b32_e32 v13, v16, v13
	v_sub_u32_e32 v15, 29, v15
	v_and_b32_e32 v13, 7, v13
	v_cmp_eq_u16_e32 vcc, 0, v14
	v_cndmask_b32_e32 v12, v12, v13, vcc
	v_cndmask_b32_e32 v13, v14, v15, vcc
	v_lshlrev_b32_e32 v14, 16, v6
	v_mov_b32_e32 v15, 0x3b800000
	v_lshlrev_b32_e32 v12, 20, v12
	v_and_b32_e32 v14, 0x80000000, v14
	v_lshl_add_u32 v13, v13, 23, v15
	v_or3_b32 v12, v14, v13, v12
.LBB15_1548:
	s_or_b64 exec, exec, s[6:7]
	v_lshrrev_b32_e32 v13, 8, v2
	s_movk_i32 s4, 0x7f
	v_cmp_gt_i16_sdwa s[6:7], v13, s4 src0_sel:BYTE_0 src1_sel:DWORD
	s_mov_b64 s[4:5], 0
                                        ; implicit-def: $sgpr10
	s_and_saveexec_b64 s[8:9], s[6:7]
	s_xor_b64 s[6:7], exec, s[8:9]
	s_cbranch_execnz .LBB15_3597
; %bb.1549:
	s_or_saveexec_b64 s[6:7], s[6:7]
	v_mov_b32_e32 v14, s10
	s_xor_b64 exec, exec, s[6:7]
	s_cbranch_execnz .LBB15_3600
.LBB15_1550:
	s_or_b64 exec, exec, s[6:7]
	s_and_saveexec_b64 s[6:7], s[4:5]
	s_cbranch_execz .LBB15_1552
.LBB15_1551:
	v_bfe_u32 v14, v2, 8, 3
	v_ffbh_u32_e32 v16, v14
	v_min_u32_e32 v16, 32, v16
	v_lshrrev_b16_e32 v15, 3, v13
	v_subrev_u32_e32 v17, 28, v16
	v_and_b32_e32 v15, 15, v15
	v_lshlrev_b32_e32 v13, v17, v13
	v_sub_u32_e32 v16, 29, v16
	v_and_b32_e32 v13, 7, v13
	v_cmp_eq_u16_e32 vcc, 0, v15
	v_cndmask_b32_e32 v13, v14, v13, vcc
	v_cndmask_b32_e32 v14, v15, v16, vcc
	v_lshlrev_b32_e32 v15, 16, v2
	v_mov_b32_e32 v16, 0x3b800000
	v_lshlrev_b32_e32 v13, 20, v13
	v_and_b32_e32 v15, 0x80000000, v15
	v_lshl_add_u32 v14, v14, 23, v16
	v_or3_b32 v14, v15, v14, v13
.LBB15_1552:
	s_or_b64 exec, exec, s[6:7]
	s_nop 0
	v_mfma_f32_16x16x4f32 a[0:3], v12, v14, a[0:3]
	s_movk_i32 s4, 0xff
	v_and_b32_sdwa v13, v6, s4 dst_sel:DWORD dst_unused:UNUSED_PAD src0_sel:WORD_1 src1_sel:DWORD
	s_movk_i32 s4, 0x7f
	v_cmp_lt_i16_e32 vcc, s4, v13
	s_mov_b64 s[4:5], 0
                                        ; implicit-def: $sgpr10
	s_and_saveexec_b64 s[6:7], vcc
	s_xor_b64 s[6:7], exec, s[6:7]
	s_cbranch_execnz .LBB15_3601
; %bb.1553:
	s_or_saveexec_b64 s[6:7], s[6:7]
	v_mov_b32_e32 v12, s10
	s_xor_b64 exec, exec, s[6:7]
	s_cbranch_execnz .LBB15_3604
.LBB15_1554:
	s_or_b64 exec, exec, s[6:7]
	s_and_saveexec_b64 s[6:7], s[4:5]
	s_cbranch_execz .LBB15_1556
.LBB15_1555:
	v_bfe_u32 v12, v6, 16, 3
	v_ffbh_u32_e32 v15, v12
	v_min_u32_e32 v15, 32, v15
	v_lshrrev_b32_e32 v13, 19, v6
	v_subrev_u32_e32 v16, 28, v15
	v_and_b32_e32 v13, 15, v13
	v_lshlrev_b32_sdwa v16, v16, v6 dst_sel:DWORD dst_unused:UNUSED_PAD src0_sel:DWORD src1_sel:WORD_1
	v_bfe_u32 v14, v6, 19, 4
	v_sub_u32_e32 v15, 29, v15
	v_and_b32_e32 v16, 7, v16
	v_cmp_eq_u16_e32 vcc, 0, v13
	v_cndmask_b32_e32 v12, v12, v16, vcc
	v_cndmask_b32_e32 v13, v14, v15, vcc
	v_lshlrev_b32_e32 v14, 8, v6
	v_mov_b32_e32 v15, 0x3b800000
	v_lshlrev_b32_e32 v12, 20, v12
	v_and_b32_e32 v14, 0x80000000, v14
	v_lshl_add_u32 v13, v13, 23, v15
	v_or3_b32 v12, v14, v13, v12
.LBB15_1556:
	s_or_b64 exec, exec, s[6:7]
	s_movk_i32 s4, 0xff
	v_and_b32_sdwa v13, v2, s4 dst_sel:DWORD dst_unused:UNUSED_PAD src0_sel:WORD_1 src1_sel:DWORD
	s_movk_i32 s4, 0x7f
	v_cmp_lt_i16_e32 vcc, s4, v13
	s_mov_b64 s[4:5], 0
                                        ; implicit-def: $sgpr10
	s_and_saveexec_b64 s[6:7], vcc
	s_xor_b64 s[6:7], exec, s[6:7]
	s_cbranch_execnz .LBB15_3605
; %bb.1557:
	s_or_saveexec_b64 s[6:7], s[6:7]
	v_mov_b32_e32 v14, s10
	s_xor_b64 exec, exec, s[6:7]
	s_cbranch_execnz .LBB15_3608
.LBB15_1558:
	s_or_b64 exec, exec, s[6:7]
	s_and_saveexec_b64 s[6:7], s[4:5]
	s_cbranch_execz .LBB15_1560
.LBB15_1559:
	v_bfe_u32 v13, v2, 16, 3
	v_ffbh_u32_e32 v16, v13
	v_min_u32_e32 v16, 32, v16
	v_lshrrev_b32_e32 v14, 19, v2
	v_subrev_u32_e32 v17, 28, v16
	v_and_b32_e32 v14, 15, v14
	v_lshlrev_b32_sdwa v17, v17, v2 dst_sel:DWORD dst_unused:UNUSED_PAD src0_sel:DWORD src1_sel:WORD_1
	v_bfe_u32 v15, v2, 19, 4
	v_sub_u32_e32 v16, 29, v16
	v_and_b32_e32 v17, 7, v17
	v_cmp_eq_u16_e32 vcc, 0, v14
	v_cndmask_b32_e32 v13, v13, v17, vcc
	v_cndmask_b32_e32 v14, v15, v16, vcc
	v_lshlrev_b32_e32 v15, 8, v2
	v_mov_b32_e32 v16, 0x3b800000
	v_lshlrev_b32_e32 v13, 20, v13
	v_and_b32_e32 v15, 0x80000000, v15
	v_lshl_add_u32 v14, v14, 23, v16
	v_or3_b32 v14, v15, v14, v13
.LBB15_1560:
	s_or_b64 exec, exec, s[6:7]
	s_nop 0
	v_mfma_f32_16x16x4f32 a[0:3], v12, v14, a[0:3]
	s_movk_i32 s4, 0x7f
	v_cmp_gt_i16_sdwa s[6:7], v6, s4 src0_sel:BYTE_3 src1_sel:DWORD
	s_mov_b64 s[4:5], 0
                                        ; implicit-def: $sgpr10
	s_and_saveexec_b64 s[8:9], s[6:7]
	s_xor_b64 s[6:7], exec, s[8:9]
	s_cbranch_execnz .LBB15_3609
; %bb.1561:
	s_or_saveexec_b64 s[6:7], s[6:7]
	v_mov_b32_e32 v12, s10
	s_xor_b64 exec, exec, s[6:7]
	s_cbranch_execnz .LBB15_3612
.LBB15_1562:
	s_or_b64 exec, exec, s[6:7]
	s_and_saveexec_b64 s[6:7], s[4:5]
	s_cbranch_execz .LBB15_1564
.LBB15_1563:
	v_bfe_u32 v12, v6, 24, 3
	v_ffbh_u32_e32 v16, v12
	v_min_u32_e32 v16, 32, v16
	v_lshrrev_b32_e32 v14, 27, v6
	v_subrev_u32_e32 v17, 28, v16
	v_and_b32_e32 v13, 0x80000000, v6
	v_and_b32_e32 v14, 15, v14
	v_bfe_u32 v15, v6, 27, 4
	v_lshlrev_b32_sdwa v6, v17, v6 dst_sel:DWORD dst_unused:UNUSED_PAD src0_sel:DWORD src1_sel:BYTE_3
	v_sub_u32_e32 v16, 29, v16
	v_and_b32_e32 v6, 7, v6
	v_cmp_eq_u16_e32 vcc, 0, v14
	v_cndmask_b32_e32 v6, v12, v6, vcc
	v_cndmask_b32_e32 v12, v15, v16, vcc
	v_mov_b32_e32 v14, 0x3b800000
	v_lshlrev_b32_e32 v6, 20, v6
	v_lshl_add_u32 v12, v12, 23, v14
	v_or3_b32 v12, v13, v12, v6
.LBB15_1564:
	s_or_b64 exec, exec, s[6:7]
	s_movk_i32 s4, 0x7f
	v_cmp_gt_i16_sdwa s[6:7], v2, s4 src0_sel:BYTE_3 src1_sel:DWORD
	s_mov_b64 s[4:5], 0
                                        ; implicit-def: $sgpr10
	s_and_saveexec_b64 s[8:9], s[6:7]
	s_xor_b64 s[6:7], exec, s[8:9]
	s_cbranch_execnz .LBB15_3613
; %bb.1565:
	s_or_saveexec_b64 s[6:7], s[6:7]
	v_mov_b32_e32 v6, s10
	s_xor_b64 exec, exec, s[6:7]
	s_cbranch_execnz .LBB15_3616
.LBB15_1566:
	s_or_b64 exec, exec, s[6:7]
	s_and_saveexec_b64 s[6:7], s[4:5]
	s_cbranch_execz .LBB15_1568
.LBB15_1567:
	v_bfe_u32 v6, v2, 24, 3
	v_ffbh_u32_e32 v16, v6
	v_min_u32_e32 v16, 32, v16
	v_lshrrev_b32_e32 v14, 27, v2
	v_subrev_u32_e32 v17, 28, v16
	v_and_b32_e32 v13, 0x80000000, v2
	v_and_b32_e32 v14, 15, v14
	v_bfe_u32 v15, v2, 27, 4
	v_lshlrev_b32_sdwa v2, v17, v2 dst_sel:DWORD dst_unused:UNUSED_PAD src0_sel:DWORD src1_sel:BYTE_3
	v_sub_u32_e32 v16, 29, v16
	v_and_b32_e32 v2, 7, v2
	v_cmp_eq_u16_e32 vcc, 0, v14
	v_cndmask_b32_e32 v2, v6, v2, vcc
	v_cndmask_b32_e32 v6, v15, v16, vcc
	v_mov_b32_e32 v14, 0x3b800000
	v_lshlrev_b32_e32 v2, 20, v2
	v_lshl_add_u32 v6, v6, 23, v14
	v_or3_b32 v6, v13, v6, v2
.LBB15_1568:
	s_or_b64 exec, exec, s[6:7]
	s_nop 0
	v_mfma_f32_16x16x4f32 a[0:3], v12, v6, a[0:3]
	s_movk_i32 s4, 0x7f
	v_cmp_gt_i16_sdwa s[6:7], v7, s4 src0_sel:BYTE_0 src1_sel:DWORD
	s_mov_b64 s[4:5], 0
                                        ; implicit-def: $sgpr10
	s_and_saveexec_b64 s[8:9], s[6:7]
	s_xor_b64 s[6:7], exec, s[8:9]
	s_cbranch_execnz .LBB15_3617
; %bb.1569:
	s_or_saveexec_b64 s[6:7], s[6:7]
	v_mov_b32_e32 v2, s10
	s_xor_b64 exec, exec, s[6:7]
	s_cbranch_execnz .LBB15_3620
.LBB15_1570:
	s_or_b64 exec, exec, s[6:7]
	s_and_saveexec_b64 s[6:7], s[4:5]
	s_cbranch_execz .LBB15_1572
.LBB15_1571:
	v_and_b32_e32 v2, 7, v7
	v_ffbh_u32_e32 v12, v2
	v_min_u32_e32 v12, 32, v12
	v_lshrrev_b16_e32 v6, 3, v7
	v_subrev_u32_e32 v13, 28, v12
	v_and_b32_e32 v6, 15, v6
	v_lshlrev_b32_e32 v13, v13, v7
	v_sub_u32_e32 v12, 29, v12
	v_and_b32_e32 v13, 7, v13
	v_cmp_eq_u16_e32 vcc, 0, v6
	v_cndmask_b32_e32 v2, v2, v13, vcc
	v_cndmask_b32_e32 v6, v6, v12, vcc
	v_lshlrev_b32_e32 v12, 24, v7
	v_mov_b32_e32 v13, 0x3b800000
	v_lshlrev_b32_e32 v2, 20, v2
	v_and_b32_e32 v12, 0x80000000, v12
	v_lshl_add_u32 v6, v6, 23, v13
	v_or3_b32 v2, v12, v6, v2
.LBB15_1572:
	s_or_b64 exec, exec, s[6:7]
	s_movk_i32 s4, 0x7f
	v_cmp_gt_i16_sdwa s[6:7], v3, s4 src0_sel:BYTE_0 src1_sel:DWORD
	s_mov_b64 s[4:5], 0
                                        ; implicit-def: $sgpr10
	s_and_saveexec_b64 s[8:9], s[6:7]
	s_xor_b64 s[6:7], exec, s[8:9]
	s_cbranch_execnz .LBB15_3621
; %bb.1573:
	s_or_saveexec_b64 s[6:7], s[6:7]
	v_mov_b32_e32 v6, s10
	s_xor_b64 exec, exec, s[6:7]
	s_cbranch_execnz .LBB15_3624
.LBB15_1574:
	s_or_b64 exec, exec, s[6:7]
	s_and_saveexec_b64 s[6:7], s[4:5]
	s_cbranch_execz .LBB15_1576
.LBB15_1575:
	v_and_b32_e32 v6, 7, v3
	v_ffbh_u32_e32 v13, v6
	v_min_u32_e32 v13, 32, v13
	v_lshrrev_b16_e32 v12, 3, v3
	v_subrev_u32_e32 v14, 28, v13
	v_and_b32_e32 v12, 15, v12
	v_lshlrev_b32_e32 v14, v14, v3
	v_sub_u32_e32 v13, 29, v13
	v_and_b32_e32 v14, 7, v14
	v_cmp_eq_u16_e32 vcc, 0, v12
	v_cndmask_b32_e32 v6, v6, v14, vcc
	v_cndmask_b32_e32 v12, v12, v13, vcc
	v_lshlrev_b32_e32 v13, 24, v3
	v_mov_b32_e32 v14, 0x3b800000
	v_lshlrev_b32_e32 v6, 20, v6
	v_and_b32_e32 v13, 0x80000000, v13
	v_lshl_add_u32 v12, v12, 23, v14
	v_or3_b32 v6, v13, v12, v6
.LBB15_1576:
	s_or_b64 exec, exec, s[6:7]
	s_nop 0
	v_mfma_f32_16x16x4f32 a[0:3], v2, v6, a[0:3]
	v_lshrrev_b32_e32 v6, 8, v7
	s_movk_i32 s4, 0x7f
	v_cmp_gt_i16_sdwa s[6:7], v6, s4 src0_sel:BYTE_0 src1_sel:DWORD
	s_mov_b64 s[4:5], 0
                                        ; implicit-def: $sgpr10
	s_and_saveexec_b64 s[8:9], s[6:7]
	s_xor_b64 s[6:7], exec, s[8:9]
	s_cbranch_execnz .LBB15_3625
; %bb.1577:
	s_or_saveexec_b64 s[6:7], s[6:7]
	v_mov_b32_e32 v2, s10
	s_xor_b64 exec, exec, s[6:7]
	s_cbranch_execnz .LBB15_3628
.LBB15_1578:
	s_or_b64 exec, exec, s[6:7]
	s_and_saveexec_b64 s[6:7], s[4:5]
	s_cbranch_execz .LBB15_1580
.LBB15_1579:
	v_bfe_u32 v2, v7, 8, 3
	v_ffbh_u32_e32 v13, v2
	v_min_u32_e32 v13, 32, v13
	v_lshrrev_b16_e32 v12, 3, v6
	v_subrev_u32_e32 v14, 28, v13
	v_and_b32_e32 v12, 15, v12
	v_lshlrev_b32_e32 v6, v14, v6
	v_sub_u32_e32 v13, 29, v13
	v_and_b32_e32 v6, 7, v6
	v_cmp_eq_u16_e32 vcc, 0, v12
	v_cndmask_b32_e32 v2, v2, v6, vcc
	v_cndmask_b32_e32 v6, v12, v13, vcc
	v_lshlrev_b32_e32 v12, 16, v7
	v_mov_b32_e32 v13, 0x3b800000
	v_lshlrev_b32_e32 v2, 20, v2
	v_and_b32_e32 v12, 0x80000000, v12
	v_lshl_add_u32 v6, v6, 23, v13
	v_or3_b32 v2, v12, v6, v2
.LBB15_1580:
	s_or_b64 exec, exec, s[6:7]
	v_lshrrev_b32_e32 v6, 8, v3
	s_movk_i32 s4, 0x7f
	v_cmp_gt_i16_sdwa s[6:7], v6, s4 src0_sel:BYTE_0 src1_sel:DWORD
	s_mov_b64 s[4:5], 0
                                        ; implicit-def: $sgpr10
	s_and_saveexec_b64 s[8:9], s[6:7]
	s_xor_b64 s[6:7], exec, s[8:9]
	s_cbranch_execnz .LBB15_3629
; %bb.1581:
	s_or_saveexec_b64 s[6:7], s[6:7]
	v_mov_b32_e32 v12, s10
	s_xor_b64 exec, exec, s[6:7]
	s_cbranch_execnz .LBB15_3632
.LBB15_1582:
	s_or_b64 exec, exec, s[6:7]
	s_and_saveexec_b64 s[6:7], s[4:5]
	s_cbranch_execz .LBB15_1584
.LBB15_1583:
	v_bfe_u32 v12, v3, 8, 3
	v_ffbh_u32_e32 v14, v12
	v_min_u32_e32 v14, 32, v14
	v_lshrrev_b16_e32 v13, 3, v6
	v_subrev_u32_e32 v15, 28, v14
	v_and_b32_e32 v13, 15, v13
	v_lshlrev_b32_e32 v6, v15, v6
	v_sub_u32_e32 v14, 29, v14
	v_and_b32_e32 v6, 7, v6
	v_cmp_eq_u16_e32 vcc, 0, v13
	v_cndmask_b32_e32 v6, v12, v6, vcc
	v_cndmask_b32_e32 v12, v13, v14, vcc
	v_lshlrev_b32_e32 v13, 16, v3
	v_mov_b32_e32 v14, 0x3b800000
	v_lshlrev_b32_e32 v6, 20, v6
	v_and_b32_e32 v13, 0x80000000, v13
	v_lshl_add_u32 v12, v12, 23, v14
	v_or3_b32 v12, v13, v12, v6
.LBB15_1584:
	s_or_b64 exec, exec, s[6:7]
	s_nop 0
	v_mfma_f32_16x16x4f32 a[0:3], v2, v12, a[0:3]
	s_movk_i32 s4, 0xff
	v_and_b32_sdwa v6, v7, s4 dst_sel:DWORD dst_unused:UNUSED_PAD src0_sel:WORD_1 src1_sel:DWORD
	s_movk_i32 s4, 0x7f
	v_cmp_lt_i16_e32 vcc, s4, v6
	s_mov_b64 s[4:5], 0
                                        ; implicit-def: $sgpr10
	s_and_saveexec_b64 s[6:7], vcc
	s_xor_b64 s[6:7], exec, s[6:7]
	s_cbranch_execnz .LBB15_3633
; %bb.1585:
	s_or_saveexec_b64 s[6:7], s[6:7]
	v_mov_b32_e32 v2, s10
	s_xor_b64 exec, exec, s[6:7]
	s_cbranch_execnz .LBB15_3636
.LBB15_1586:
	s_or_b64 exec, exec, s[6:7]
	s_and_saveexec_b64 s[6:7], s[4:5]
	s_cbranch_execz .LBB15_1588
.LBB15_1587:
	v_bfe_u32 v2, v7, 16, 3
	v_ffbh_u32_e32 v13, v2
	v_min_u32_e32 v13, 32, v13
	v_lshrrev_b32_e32 v6, 19, v7
	v_subrev_u32_e32 v14, 28, v13
	v_and_b32_e32 v6, 15, v6
	v_lshlrev_b32_sdwa v14, v14, v7 dst_sel:DWORD dst_unused:UNUSED_PAD src0_sel:DWORD src1_sel:WORD_1
	v_bfe_u32 v12, v7, 19, 4
	v_sub_u32_e32 v13, 29, v13
	v_and_b32_e32 v14, 7, v14
	v_cmp_eq_u16_e32 vcc, 0, v6
	v_cndmask_b32_e32 v2, v2, v14, vcc
	v_cndmask_b32_e32 v6, v12, v13, vcc
	v_lshlrev_b32_e32 v12, 8, v7
	v_mov_b32_e32 v13, 0x3b800000
	v_lshlrev_b32_e32 v2, 20, v2
	v_and_b32_e32 v12, 0x80000000, v12
	v_lshl_add_u32 v6, v6, 23, v13
	v_or3_b32 v2, v12, v6, v2
.LBB15_1588:
	s_or_b64 exec, exec, s[6:7]
	s_movk_i32 s4, 0xff
	v_and_b32_sdwa v6, v3, s4 dst_sel:DWORD dst_unused:UNUSED_PAD src0_sel:WORD_1 src1_sel:DWORD
	s_movk_i32 s4, 0x7f
	v_cmp_lt_i16_e32 vcc, s4, v6
	s_mov_b64 s[4:5], 0
                                        ; implicit-def: $sgpr10
	s_and_saveexec_b64 s[6:7], vcc
	s_xor_b64 s[6:7], exec, s[6:7]
	s_cbranch_execnz .LBB15_3637
; %bb.1589:
	s_or_saveexec_b64 s[6:7], s[6:7]
	v_mov_b32_e32 v12, s10
	s_xor_b64 exec, exec, s[6:7]
	s_cbranch_execnz .LBB15_3640
.LBB15_1590:
	s_or_b64 exec, exec, s[6:7]
	s_and_saveexec_b64 s[6:7], s[4:5]
	s_cbranch_execz .LBB15_1592
.LBB15_1591:
	v_bfe_u32 v6, v3, 16, 3
	v_ffbh_u32_e32 v14, v6
	v_min_u32_e32 v14, 32, v14
	v_lshrrev_b32_e32 v12, 19, v3
	v_subrev_u32_e32 v15, 28, v14
	v_and_b32_e32 v12, 15, v12
	v_lshlrev_b32_sdwa v15, v15, v3 dst_sel:DWORD dst_unused:UNUSED_PAD src0_sel:DWORD src1_sel:WORD_1
	v_bfe_u32 v13, v3, 19, 4
	v_sub_u32_e32 v14, 29, v14
	v_and_b32_e32 v15, 7, v15
	v_cmp_eq_u16_e32 vcc, 0, v12
	v_cndmask_b32_e32 v6, v6, v15, vcc
	v_cndmask_b32_e32 v12, v13, v14, vcc
	v_lshlrev_b32_e32 v13, 8, v3
	v_mov_b32_e32 v14, 0x3b800000
	v_lshlrev_b32_e32 v6, 20, v6
	v_and_b32_e32 v13, 0x80000000, v13
	v_lshl_add_u32 v12, v12, 23, v14
	v_or3_b32 v12, v13, v12, v6
.LBB15_1592:
	s_or_b64 exec, exec, s[6:7]
	s_nop 0
	v_mfma_f32_16x16x4f32 a[0:3], v2, v12, a[0:3]
	s_movk_i32 s4, 0x7f
	v_cmp_gt_i16_sdwa s[6:7], v7, s4 src0_sel:BYTE_3 src1_sel:DWORD
	s_mov_b64 s[4:5], 0
                                        ; implicit-def: $sgpr10
	s_and_saveexec_b64 s[8:9], s[6:7]
	s_xor_b64 s[6:7], exec, s[8:9]
	s_cbranch_execnz .LBB15_3641
; %bb.1593:
	s_or_saveexec_b64 s[6:7], s[6:7]
	v_mov_b32_e32 v2, s10
	s_xor_b64 exec, exec, s[6:7]
	s_cbranch_execnz .LBB15_3644
.LBB15_1594:
	s_or_b64 exec, exec, s[6:7]
	s_and_saveexec_b64 s[6:7], s[4:5]
	s_cbranch_execz .LBB15_1596
.LBB15_1595:
	v_bfe_u32 v2, v7, 24, 3
	v_ffbh_u32_e32 v14, v2
	v_min_u32_e32 v14, 32, v14
	v_lshrrev_b32_e32 v12, 27, v7
	v_subrev_u32_e32 v15, 28, v14
	v_and_b32_e32 v6, 0x80000000, v7
	v_and_b32_e32 v12, 15, v12
	v_bfe_u32 v13, v7, 27, 4
	v_lshlrev_b32_sdwa v7, v15, v7 dst_sel:DWORD dst_unused:UNUSED_PAD src0_sel:DWORD src1_sel:BYTE_3
	v_sub_u32_e32 v14, 29, v14
	v_and_b32_e32 v7, 7, v7
	v_cmp_eq_u16_e32 vcc, 0, v12
	v_cndmask_b32_e32 v2, v2, v7, vcc
	v_cndmask_b32_e32 v7, v13, v14, vcc
	v_mov_b32_e32 v12, 0x3b800000
	v_lshlrev_b32_e32 v2, 20, v2
	v_lshl_add_u32 v7, v7, 23, v12
	v_or3_b32 v2, v6, v7, v2
.LBB15_1596:
	s_or_b64 exec, exec, s[6:7]
	s_movk_i32 s4, 0x7f
	v_cmp_gt_i16_sdwa s[6:7], v3, s4 src0_sel:BYTE_3 src1_sel:DWORD
	s_mov_b64 s[4:5], 0
                                        ; implicit-def: $sgpr10
	s_and_saveexec_b64 s[8:9], s[6:7]
	s_xor_b64 s[6:7], exec, s[8:9]
	s_cbranch_execnz .LBB15_3645
; %bb.1597:
	s_or_saveexec_b64 s[6:7], s[6:7]
	v_mov_b32_e32 v6, s10
	s_xor_b64 exec, exec, s[6:7]
	s_cbranch_execnz .LBB15_3648
.LBB15_1598:
	s_or_b64 exec, exec, s[6:7]
	s_and_saveexec_b64 s[6:7], s[4:5]
	s_cbranch_execz .LBB15_1600
.LBB15_1599:
	v_bfe_u32 v6, v3, 24, 3
	v_ffbh_u32_e32 v14, v6
	v_min_u32_e32 v14, 32, v14
	v_lshrrev_b32_e32 v12, 27, v3
	v_subrev_u32_e32 v15, 28, v14
	v_and_b32_e32 v7, 0x80000000, v3
	v_and_b32_e32 v12, 15, v12
	v_bfe_u32 v13, v3, 27, 4
	v_lshlrev_b32_sdwa v3, v15, v3 dst_sel:DWORD dst_unused:UNUSED_PAD src0_sel:DWORD src1_sel:BYTE_3
	v_sub_u32_e32 v14, 29, v14
	v_and_b32_e32 v3, 7, v3
	v_cmp_eq_u16_e32 vcc, 0, v12
	v_cndmask_b32_e32 v3, v6, v3, vcc
	v_cndmask_b32_e32 v6, v13, v14, vcc
	v_mov_b32_e32 v12, 0x3b800000
	v_lshlrev_b32_e32 v3, 20, v3
	v_lshl_add_u32 v6, v6, 23, v12
	v_or3_b32 v6, v7, v6, v3
.LBB15_1600:
	s_or_b64 exec, exec, s[6:7]
	s_nop 0
	v_mfma_f32_16x16x4f32 a[0:3], v2, v6, a[0:3]
	s_movk_i32 s4, 0x7f
	v_cmp_gt_i16_sdwa s[6:7], v8, s4 src0_sel:BYTE_0 src1_sel:DWORD
	s_mov_b64 s[4:5], 0
                                        ; implicit-def: $sgpr10
	s_and_saveexec_b64 s[8:9], s[6:7]
	s_xor_b64 s[6:7], exec, s[8:9]
	s_cbranch_execnz .LBB15_3649
; %bb.1601:
	s_or_saveexec_b64 s[6:7], s[6:7]
	v_mov_b32_e32 v2, s10
	s_xor_b64 exec, exec, s[6:7]
	s_cbranch_execnz .LBB15_3652
.LBB15_1602:
	s_or_b64 exec, exec, s[6:7]
	s_and_saveexec_b64 s[6:7], s[4:5]
	s_cbranch_execz .LBB15_1604
.LBB15_1603:
	v_and_b32_e32 v2, 7, v8
	v_ffbh_u32_e32 v6, v2
	v_min_u32_e32 v6, 32, v6
	v_lshrrev_b16_e32 v3, 3, v8
	v_subrev_u32_e32 v7, 28, v6
	v_and_b32_e32 v3, 15, v3
	v_lshlrev_b32_e32 v7, v7, v8
	v_sub_u32_e32 v6, 29, v6
	v_and_b32_e32 v7, 7, v7
	v_cmp_eq_u16_e32 vcc, 0, v3
	v_cndmask_b32_e32 v2, v2, v7, vcc
	v_cndmask_b32_e32 v3, v3, v6, vcc
	v_lshlrev_b32_e32 v6, 24, v8
	v_mov_b32_e32 v7, 0x3b800000
	v_lshlrev_b32_e32 v2, 20, v2
	v_and_b32_e32 v6, 0x80000000, v6
	v_lshl_add_u32 v3, v3, 23, v7
	v_or3_b32 v2, v6, v3, v2
.LBB15_1604:
	s_or_b64 exec, exec, s[6:7]
	s_movk_i32 s4, 0x7f
	v_cmp_gt_i16_sdwa s[6:7], v4, s4 src0_sel:BYTE_0 src1_sel:DWORD
	s_mov_b64 s[4:5], 0
                                        ; implicit-def: $sgpr10
	s_and_saveexec_b64 s[8:9], s[6:7]
	s_xor_b64 s[6:7], exec, s[8:9]
	s_cbranch_execnz .LBB15_3653
; %bb.1605:
	s_or_saveexec_b64 s[6:7], s[6:7]
	v_mov_b32_e32 v3, s10
	s_xor_b64 exec, exec, s[6:7]
	s_cbranch_execnz .LBB15_3656
.LBB15_1606:
	s_or_b64 exec, exec, s[6:7]
	s_and_saveexec_b64 s[6:7], s[4:5]
	s_cbranch_execz .LBB15_1608
.LBB15_1607:
	v_and_b32_e32 v3, 7, v4
	v_ffbh_u32_e32 v7, v3
	v_min_u32_e32 v7, 32, v7
	v_lshrrev_b16_e32 v6, 3, v4
	v_subrev_u32_e32 v12, 28, v7
	v_and_b32_e32 v6, 15, v6
	v_lshlrev_b32_e32 v12, v12, v4
	v_sub_u32_e32 v7, 29, v7
	v_and_b32_e32 v12, 7, v12
	v_cmp_eq_u16_e32 vcc, 0, v6
	v_cndmask_b32_e32 v3, v3, v12, vcc
	v_cndmask_b32_e32 v6, v6, v7, vcc
	v_lshlrev_b32_e32 v7, 24, v4
	v_mov_b32_e32 v12, 0x3b800000
	v_lshlrev_b32_e32 v3, 20, v3
	v_and_b32_e32 v7, 0x80000000, v7
	v_lshl_add_u32 v6, v6, 23, v12
	v_or3_b32 v3, v7, v6, v3
.LBB15_1608:
	s_or_b64 exec, exec, s[6:7]
	s_nop 0
	v_mfma_f32_16x16x4f32 a[0:3], v2, v3, a[0:3]
	v_lshrrev_b32_e32 v3, 8, v8
	s_movk_i32 s4, 0x7f
	v_cmp_gt_i16_sdwa s[6:7], v3, s4 src0_sel:BYTE_0 src1_sel:DWORD
	s_mov_b64 s[4:5], 0
                                        ; implicit-def: $sgpr10
	s_and_saveexec_b64 s[8:9], s[6:7]
	s_xor_b64 s[6:7], exec, s[8:9]
	s_cbranch_execnz .LBB15_3657
; %bb.1609:
	s_or_saveexec_b64 s[6:7], s[6:7]
	v_mov_b32_e32 v2, s10
	s_xor_b64 exec, exec, s[6:7]
	s_cbranch_execnz .LBB15_3660
.LBB15_1610:
	s_or_b64 exec, exec, s[6:7]
	s_and_saveexec_b64 s[6:7], s[4:5]
	s_cbranch_execz .LBB15_1612
.LBB15_1611:
	v_bfe_u32 v2, v8, 8, 3
	v_ffbh_u32_e32 v7, v2
	v_min_u32_e32 v7, 32, v7
	v_lshrrev_b16_e32 v6, 3, v3
	v_subrev_u32_e32 v12, 28, v7
	v_and_b32_e32 v6, 15, v6
	v_lshlrev_b32_e32 v3, v12, v3
	v_sub_u32_e32 v7, 29, v7
	v_and_b32_e32 v3, 7, v3
	v_cmp_eq_u16_e32 vcc, 0, v6
	v_cndmask_b32_e32 v2, v2, v3, vcc
	v_cndmask_b32_e32 v3, v6, v7, vcc
	v_lshlrev_b32_e32 v6, 16, v8
	v_mov_b32_e32 v7, 0x3b800000
	v_lshlrev_b32_e32 v2, 20, v2
	v_and_b32_e32 v6, 0x80000000, v6
	v_lshl_add_u32 v3, v3, 23, v7
	v_or3_b32 v2, v6, v3, v2
.LBB15_1612:
	s_or_b64 exec, exec, s[6:7]
	v_lshrrev_b32_e32 v3, 8, v4
	s_movk_i32 s4, 0x7f
	v_cmp_gt_i16_sdwa s[6:7], v3, s4 src0_sel:BYTE_0 src1_sel:DWORD
	s_mov_b64 s[4:5], 0
                                        ; implicit-def: $sgpr10
	s_and_saveexec_b64 s[8:9], s[6:7]
	s_xor_b64 s[6:7], exec, s[8:9]
	s_cbranch_execnz .LBB15_3661
; %bb.1613:
	s_or_saveexec_b64 s[6:7], s[6:7]
	v_mov_b32_e32 v6, s10
	s_xor_b64 exec, exec, s[6:7]
	s_cbranch_execnz .LBB15_3664
.LBB15_1614:
	s_or_b64 exec, exec, s[6:7]
	s_and_saveexec_b64 s[6:7], s[4:5]
	s_cbranch_execz .LBB15_1616
.LBB15_1615:
	v_bfe_u32 v6, v4, 8, 3
	v_ffbh_u32_e32 v12, v6
	v_min_u32_e32 v12, 32, v12
	v_lshrrev_b16_e32 v7, 3, v3
	v_subrev_u32_e32 v13, 28, v12
	v_and_b32_e32 v7, 15, v7
	v_lshlrev_b32_e32 v3, v13, v3
	v_sub_u32_e32 v12, 29, v12
	v_and_b32_e32 v3, 7, v3
	v_cmp_eq_u16_e32 vcc, 0, v7
	v_cndmask_b32_e32 v3, v6, v3, vcc
	v_cndmask_b32_e32 v6, v7, v12, vcc
	v_lshlrev_b32_e32 v7, 16, v4
	v_mov_b32_e32 v12, 0x3b800000
	v_lshlrev_b32_e32 v3, 20, v3
	v_and_b32_e32 v7, 0x80000000, v7
	v_lshl_add_u32 v6, v6, 23, v12
	v_or3_b32 v6, v7, v6, v3
.LBB15_1616:
	s_or_b64 exec, exec, s[6:7]
	s_nop 0
	v_mfma_f32_16x16x4f32 a[0:3], v2, v6, a[0:3]
	s_movk_i32 s4, 0xff
	v_and_b32_sdwa v3, v8, s4 dst_sel:DWORD dst_unused:UNUSED_PAD src0_sel:WORD_1 src1_sel:DWORD
	s_movk_i32 s4, 0x7f
	v_cmp_lt_i16_e32 vcc, s4, v3
	s_mov_b64 s[4:5], 0
                                        ; implicit-def: $sgpr10
	s_and_saveexec_b64 s[6:7], vcc
	s_xor_b64 s[6:7], exec, s[6:7]
	s_cbranch_execnz .LBB15_3665
; %bb.1617:
	s_or_saveexec_b64 s[6:7], s[6:7]
	v_mov_b32_e32 v2, s10
	s_xor_b64 exec, exec, s[6:7]
	s_cbranch_execnz .LBB15_3668
.LBB15_1618:
	s_or_b64 exec, exec, s[6:7]
	s_and_saveexec_b64 s[6:7], s[4:5]
	s_cbranch_execz .LBB15_1620
.LBB15_1619:
	v_bfe_u32 v2, v8, 16, 3
	v_ffbh_u32_e32 v7, v2
	v_min_u32_e32 v7, 32, v7
	v_lshrrev_b32_e32 v3, 19, v8
	v_subrev_u32_e32 v12, 28, v7
	v_and_b32_e32 v3, 15, v3
	v_lshlrev_b32_sdwa v12, v12, v8 dst_sel:DWORD dst_unused:UNUSED_PAD src0_sel:DWORD src1_sel:WORD_1
	v_bfe_u32 v6, v8, 19, 4
	v_sub_u32_e32 v7, 29, v7
	v_and_b32_e32 v12, 7, v12
	v_cmp_eq_u16_e32 vcc, 0, v3
	v_cndmask_b32_e32 v2, v2, v12, vcc
	v_cndmask_b32_e32 v3, v6, v7, vcc
	v_lshlrev_b32_e32 v6, 8, v8
	v_mov_b32_e32 v7, 0x3b800000
	v_lshlrev_b32_e32 v2, 20, v2
	v_and_b32_e32 v6, 0x80000000, v6
	v_lshl_add_u32 v3, v3, 23, v7
	v_or3_b32 v2, v6, v3, v2
.LBB15_1620:
	s_or_b64 exec, exec, s[6:7]
	s_movk_i32 s4, 0xff
	v_and_b32_sdwa v3, v4, s4 dst_sel:DWORD dst_unused:UNUSED_PAD src0_sel:WORD_1 src1_sel:DWORD
	s_movk_i32 s4, 0x7f
	v_cmp_lt_i16_e32 vcc, s4, v3
	s_mov_b64 s[4:5], 0
                                        ; implicit-def: $sgpr10
	s_and_saveexec_b64 s[6:7], vcc
	s_xor_b64 s[6:7], exec, s[6:7]
	s_cbranch_execnz .LBB15_3669
; %bb.1621:
	s_or_saveexec_b64 s[6:7], s[6:7]
	v_mov_b32_e32 v6, s10
	s_xor_b64 exec, exec, s[6:7]
	s_cbranch_execnz .LBB15_3672
.LBB15_1622:
	s_or_b64 exec, exec, s[6:7]
	s_and_saveexec_b64 s[6:7], s[4:5]
	s_cbranch_execz .LBB15_1624
.LBB15_1623:
	v_bfe_u32 v3, v4, 16, 3
	v_ffbh_u32_e32 v12, v3
	v_min_u32_e32 v12, 32, v12
	v_lshrrev_b32_e32 v6, 19, v4
	v_subrev_u32_e32 v13, 28, v12
	v_and_b32_e32 v6, 15, v6
	v_lshlrev_b32_sdwa v13, v13, v4 dst_sel:DWORD dst_unused:UNUSED_PAD src0_sel:DWORD src1_sel:WORD_1
	v_bfe_u32 v7, v4, 19, 4
	v_sub_u32_e32 v12, 29, v12
	v_and_b32_e32 v13, 7, v13
	v_cmp_eq_u16_e32 vcc, 0, v6
	v_cndmask_b32_e32 v3, v3, v13, vcc
	v_cndmask_b32_e32 v6, v7, v12, vcc
	v_lshlrev_b32_e32 v7, 8, v4
	v_mov_b32_e32 v12, 0x3b800000
	v_lshlrev_b32_e32 v3, 20, v3
	v_and_b32_e32 v7, 0x80000000, v7
	v_lshl_add_u32 v6, v6, 23, v12
	v_or3_b32 v6, v7, v6, v3
.LBB15_1624:
	s_or_b64 exec, exec, s[6:7]
	s_nop 0
	v_mfma_f32_16x16x4f32 a[0:3], v2, v6, a[0:3]
	s_movk_i32 s4, 0x7f
	v_cmp_gt_i16_sdwa s[6:7], v8, s4 src0_sel:BYTE_3 src1_sel:DWORD
	s_mov_b64 s[4:5], 0
                                        ; implicit-def: $sgpr10
	s_and_saveexec_b64 s[8:9], s[6:7]
	s_xor_b64 s[6:7], exec, s[8:9]
	s_cbranch_execnz .LBB15_3673
; %bb.1625:
	s_or_saveexec_b64 s[6:7], s[6:7]
	v_mov_b32_e32 v2, s10
	s_xor_b64 exec, exec, s[6:7]
	s_cbranch_execnz .LBB15_3676
.LBB15_1626:
	s_or_b64 exec, exec, s[6:7]
	s_and_saveexec_b64 s[6:7], s[4:5]
	s_cbranch_execz .LBB15_1628
.LBB15_1627:
	v_bfe_u32 v2, v8, 24, 3
	v_ffbh_u32_e32 v12, v2
	v_min_u32_e32 v12, 32, v12
	v_lshrrev_b32_e32 v6, 27, v8
	v_subrev_u32_e32 v13, 28, v12
	v_and_b32_e32 v3, 0x80000000, v8
	v_and_b32_e32 v6, 15, v6
	v_bfe_u32 v7, v8, 27, 4
	v_lshlrev_b32_sdwa v8, v13, v8 dst_sel:DWORD dst_unused:UNUSED_PAD src0_sel:DWORD src1_sel:BYTE_3
	v_sub_u32_e32 v12, 29, v12
	v_and_b32_e32 v8, 7, v8
	v_cmp_eq_u16_e32 vcc, 0, v6
	v_cndmask_b32_e32 v2, v2, v8, vcc
	v_cndmask_b32_e32 v6, v7, v12, vcc
	v_mov_b32_e32 v7, 0x3b800000
	v_lshlrev_b32_e32 v2, 20, v2
	v_lshl_add_u32 v6, v6, 23, v7
	v_or3_b32 v2, v3, v6, v2
.LBB15_1628:
	s_or_b64 exec, exec, s[6:7]
	s_movk_i32 s4, 0x7f
	v_cmp_gt_i16_sdwa s[6:7], v4, s4 src0_sel:BYTE_3 src1_sel:DWORD
	s_mov_b64 s[4:5], 0
                                        ; implicit-def: $sgpr10
	s_and_saveexec_b64 s[8:9], s[6:7]
	s_xor_b64 s[6:7], exec, s[8:9]
	s_cbranch_execnz .LBB15_3677
; %bb.1629:
	s_or_saveexec_b64 s[6:7], s[6:7]
	v_mov_b32_e32 v3, s10
	s_xor_b64 exec, exec, s[6:7]
	s_cbranch_execnz .LBB15_3680
.LBB15_1630:
	s_or_b64 exec, exec, s[6:7]
	s_and_saveexec_b64 s[6:7], s[4:5]
	s_cbranch_execz .LBB15_1632
.LBB15_1631:
	v_bfe_u32 v3, v4, 24, 3
	v_ffbh_u32_e32 v12, v3
	v_min_u32_e32 v12, 32, v12
	v_lshrrev_b32_e32 v7, 27, v4
	v_subrev_u32_e32 v13, 28, v12
	v_and_b32_e32 v6, 0x80000000, v4
	v_and_b32_e32 v7, 15, v7
	v_bfe_u32 v8, v4, 27, 4
	v_lshlrev_b32_sdwa v4, v13, v4 dst_sel:DWORD dst_unused:UNUSED_PAD src0_sel:DWORD src1_sel:BYTE_3
	v_sub_u32_e32 v12, 29, v12
	v_and_b32_e32 v4, 7, v4
	v_cmp_eq_u16_e32 vcc, 0, v7
	v_cndmask_b32_e32 v3, v3, v4, vcc
	v_cndmask_b32_e32 v4, v8, v12, vcc
	v_mov_b32_e32 v7, 0x3b800000
	v_lshlrev_b32_e32 v3, 20, v3
	v_lshl_add_u32 v4, v4, 23, v7
	v_or3_b32 v3, v6, v4, v3
.LBB15_1632:
	s_or_b64 exec, exec, s[6:7]
	s_nop 0
	v_mfma_f32_16x16x4f32 a[0:3], v2, v3, a[0:3]
	s_movk_i32 s4, 0x7f
	v_cmp_gt_i16_sdwa s[6:7], v9, s4 src0_sel:BYTE_0 src1_sel:DWORD
	s_mov_b64 s[4:5], 0
                                        ; implicit-def: $sgpr10
	s_and_saveexec_b64 s[8:9], s[6:7]
	s_xor_b64 s[6:7], exec, s[8:9]
	s_cbranch_execnz .LBB15_3681
; %bb.1633:
	s_or_saveexec_b64 s[6:7], s[6:7]
	v_mov_b32_e32 v2, s10
	s_xor_b64 exec, exec, s[6:7]
	s_cbranch_execnz .LBB15_3684
.LBB15_1634:
	s_or_b64 exec, exec, s[6:7]
	s_and_saveexec_b64 s[6:7], s[4:5]
	s_cbranch_execz .LBB15_1636
.LBB15_1635:
	v_mov_b32_e32 v2, 8
	v_and_b32_e32 v3, 7, v9
	v_lshrrev_b32_sdwa v2, v2, v9 dst_sel:BYTE_1 dst_unused:UNUSED_PAD src0_sel:DWORD src1_sel:DWORD
	v_ffbh_u32_e32 v4, v3
	v_or_b32_sdwa v2, v9, v2 dst_sel:DWORD dst_unused:UNUSED_PAD src0_sel:BYTE_0 src1_sel:DWORD
	v_min_u32_e32 v4, 32, v4
	v_lshrrev_b16_e32 v2, 3, v2
	v_subrev_u32_e32 v6, 28, v4
	v_and_b32_e32 v2, 15, v2
	v_lshlrev_b32_e32 v6, v6, v9
	v_sub_u32_e32 v4, 29, v4
	v_and_b32_e32 v6, 7, v6
	v_cmp_eq_u16_e32 vcc, 0, v2
	v_cndmask_b32_e32 v3, v3, v6, vcc
	v_cndmask_b32_e32 v2, v2, v4, vcc
	v_lshlrev_b32_e32 v4, 24, v9
	v_mov_b32_e32 v6, 0x3b800000
	v_lshlrev_b32_e32 v3, 20, v3
	v_and_b32_e32 v4, 0x80000000, v4
	v_lshl_add_u32 v2, v2, 23, v6
	v_or3_b32 v2, v4, v2, v3
.LBB15_1636:
	s_or_b64 exec, exec, s[6:7]
	s_movk_i32 s4, 0x7f
	v_cmp_gt_i16_sdwa s[6:7], v5, s4 src0_sel:BYTE_0 src1_sel:DWORD
	s_mov_b64 s[4:5], 0
                                        ; implicit-def: $sgpr10
	s_and_saveexec_b64 s[8:9], s[6:7]
	s_xor_b64 s[6:7], exec, s[8:9]
	s_cbranch_execnz .LBB15_3685
; %bb.1637:
	s_or_saveexec_b64 s[6:7], s[6:7]
	v_mov_b32_e32 v3, s10
	s_xor_b64 exec, exec, s[6:7]
	s_cbranch_execnz .LBB15_3688
.LBB15_1638:
	s_or_b64 exec, exec, s[6:7]
	s_and_saveexec_b64 s[6:7], s[4:5]
	s_cbranch_execz .LBB15_1640
.LBB15_1639:
	v_mov_b32_e32 v3, 8
	v_and_b32_e32 v4, 7, v5
	v_lshrrev_b32_sdwa v3, v3, v5 dst_sel:BYTE_1 dst_unused:UNUSED_PAD src0_sel:DWORD src1_sel:DWORD
	v_ffbh_u32_e32 v6, v4
	v_or_b32_sdwa v3, v5, v3 dst_sel:DWORD dst_unused:UNUSED_PAD src0_sel:BYTE_0 src1_sel:DWORD
	v_min_u32_e32 v6, 32, v6
	v_lshrrev_b16_e32 v3, 3, v3
	v_subrev_u32_e32 v7, 28, v6
	v_and_b32_e32 v3, 15, v3
	v_lshlrev_b32_e32 v7, v7, v5
	v_sub_u32_e32 v6, 29, v6
	v_and_b32_e32 v7, 7, v7
	v_cmp_eq_u16_e32 vcc, 0, v3
	v_cndmask_b32_e32 v4, v4, v7, vcc
	v_cndmask_b32_e32 v3, v3, v6, vcc
	v_lshlrev_b32_e32 v6, 24, v5
	v_mov_b32_e32 v7, 0x3b800000
	v_lshlrev_b32_e32 v4, 20, v4
	v_and_b32_e32 v6, 0x80000000, v6
	v_lshl_add_u32 v3, v3, 23, v7
	v_or3_b32 v3, v6, v3, v4
.LBB15_1640:
	s_or_b64 exec, exec, s[6:7]
	s_nop 0
	v_mfma_f32_16x16x4f32 a[0:3], v2, v3, a[0:3]
	v_lshrrev_b32_e32 v3, 8, v9
	s_movk_i32 s4, 0x7f
	v_cmp_gt_i16_sdwa s[6:7], v3, s4 src0_sel:BYTE_0 src1_sel:DWORD
	s_mov_b64 s[4:5], 0
                                        ; implicit-def: $sgpr10
	s_and_saveexec_b64 s[8:9], s[6:7]
	s_xor_b64 s[6:7], exec, s[8:9]
	s_cbranch_execnz .LBB15_3689
; %bb.1641:
	s_or_saveexec_b64 s[6:7], s[6:7]
	v_mov_b32_e32 v2, s10
	s_xor_b64 exec, exec, s[6:7]
	s_cbranch_execnz .LBB15_3692
.LBB15_1642:
	s_or_b64 exec, exec, s[6:7]
	s_and_saveexec_b64 s[6:7], s[4:5]
	s_cbranch_execz .LBB15_1644
.LBB15_1643:
	v_bfe_u32 v2, v9, 8, 3
	v_ffbh_u32_e32 v6, v2
	v_min_u32_e32 v6, 32, v6
	v_lshrrev_b16_e32 v4, 3, v3
	v_subrev_u32_e32 v7, 28, v6
	v_and_b32_e32 v4, 15, v4
	v_lshlrev_b32_e32 v3, v7, v3
	v_sub_u32_e32 v6, 29, v6
	v_and_b32_e32 v3, 7, v3
	v_cmp_eq_u16_e32 vcc, 0, v4
	v_cndmask_b32_e32 v2, v2, v3, vcc
	v_cndmask_b32_e32 v3, v4, v6, vcc
	v_lshlrev_b32_e32 v4, 16, v9
	v_mov_b32_e32 v6, 0x3b800000
	v_lshlrev_b32_e32 v2, 20, v2
	v_and_b32_e32 v4, 0x80000000, v4
	v_lshl_add_u32 v3, v3, 23, v6
	v_or3_b32 v2, v4, v3, v2
.LBB15_1644:
	s_or_b64 exec, exec, s[6:7]
	v_lshrrev_b32_e32 v3, 8, v5
	s_movk_i32 s4, 0x7f
	v_cmp_gt_i16_sdwa s[6:7], v3, s4 src0_sel:BYTE_0 src1_sel:DWORD
	s_mov_b64 s[4:5], 0
                                        ; implicit-def: $sgpr10
	s_and_saveexec_b64 s[8:9], s[6:7]
	s_xor_b64 s[6:7], exec, s[8:9]
	s_cbranch_execnz .LBB15_3693
; %bb.1645:
	s_or_saveexec_b64 s[6:7], s[6:7]
	v_mov_b32_e32 v4, s10
	s_xor_b64 exec, exec, s[6:7]
	s_cbranch_execnz .LBB15_3696
.LBB15_1646:
	s_or_b64 exec, exec, s[6:7]
	s_and_saveexec_b64 s[6:7], s[4:5]
	s_cbranch_execz .LBB15_1648
.LBB15_1647:
	v_bfe_u32 v4, v5, 8, 3
	v_ffbh_u32_e32 v7, v4
	v_min_u32_e32 v7, 32, v7
	v_lshrrev_b16_e32 v6, 3, v3
	v_subrev_u32_e32 v8, 28, v7
	v_and_b32_e32 v6, 15, v6
	v_lshlrev_b32_e32 v3, v8, v3
	v_sub_u32_e32 v7, 29, v7
	v_and_b32_e32 v3, 7, v3
	v_cmp_eq_u16_e32 vcc, 0, v6
	v_cndmask_b32_e32 v3, v4, v3, vcc
	v_cndmask_b32_e32 v4, v6, v7, vcc
	v_lshlrev_b32_e32 v6, 16, v5
	v_mov_b32_e32 v7, 0x3b800000
	v_lshlrev_b32_e32 v3, 20, v3
	v_and_b32_e32 v6, 0x80000000, v6
	v_lshl_add_u32 v4, v4, 23, v7
	v_or3_b32 v4, v6, v4, v3
.LBB15_1648:
	s_or_b64 exec, exec, s[6:7]
	s_nop 0
	v_mfma_f32_16x16x4f32 a[0:3], v2, v4, a[0:3]
	s_movk_i32 s4, 0xff
	v_and_b32_sdwa v3, v9, s4 dst_sel:DWORD dst_unused:UNUSED_PAD src0_sel:WORD_1 src1_sel:DWORD
	s_movk_i32 s4, 0x7f
	v_cmp_lt_i16_e32 vcc, s4, v3
	s_mov_b64 s[4:5], 0
                                        ; implicit-def: $sgpr10
	s_and_saveexec_b64 s[6:7], vcc
	s_xor_b64 s[6:7], exec, s[6:7]
	s_cbranch_execnz .LBB15_3697
; %bb.1649:
	s_or_saveexec_b64 s[6:7], s[6:7]
	v_mov_b32_e32 v2, s10
	s_xor_b64 exec, exec, s[6:7]
	s_cbranch_execnz .LBB15_3700
.LBB15_1650:
	s_or_b64 exec, exec, s[6:7]
	s_and_saveexec_b64 s[6:7], s[4:5]
	s_cbranch_execz .LBB15_1652
.LBB15_1651:
	v_bfe_u32 v2, v9, 16, 3
	v_ffbh_u32_e32 v6, v2
	v_min_u32_e32 v6, 32, v6
	v_lshrrev_b32_e32 v3, 19, v9
	v_subrev_u32_e32 v7, 28, v6
	v_and_b32_e32 v3, 15, v3
	v_lshlrev_b32_sdwa v7, v7, v9 dst_sel:DWORD dst_unused:UNUSED_PAD src0_sel:DWORD src1_sel:WORD_1
	v_bfe_u32 v4, v9, 19, 4
	v_sub_u32_e32 v6, 29, v6
	v_and_b32_e32 v7, 7, v7
	v_cmp_eq_u16_e32 vcc, 0, v3
	v_cndmask_b32_e32 v2, v2, v7, vcc
	v_cndmask_b32_e32 v3, v4, v6, vcc
	v_lshlrev_b32_e32 v4, 8, v9
	v_mov_b32_e32 v6, 0x3b800000
	v_lshlrev_b32_e32 v2, 20, v2
	v_and_b32_e32 v4, 0x80000000, v4
	v_lshl_add_u32 v3, v3, 23, v6
	v_or3_b32 v2, v4, v3, v2
.LBB15_1652:
	s_or_b64 exec, exec, s[6:7]
	s_movk_i32 s4, 0xff
	v_and_b32_sdwa v3, v5, s4 dst_sel:DWORD dst_unused:UNUSED_PAD src0_sel:WORD_1 src1_sel:DWORD
	s_movk_i32 s4, 0x7f
	v_cmp_lt_i16_e32 vcc, s4, v3
	s_mov_b64 s[4:5], 0
                                        ; implicit-def: $sgpr10
	s_and_saveexec_b64 s[6:7], vcc
	s_xor_b64 s[6:7], exec, s[6:7]
	s_cbranch_execnz .LBB15_3701
; %bb.1653:
	s_or_saveexec_b64 s[6:7], s[6:7]
	v_mov_b32_e32 v4, s10
	s_xor_b64 exec, exec, s[6:7]
	s_cbranch_execnz .LBB15_3704
.LBB15_1654:
	s_or_b64 exec, exec, s[6:7]
	s_and_saveexec_b64 s[6:7], s[4:5]
	s_cbranch_execz .LBB15_1656
.LBB15_1655:
	v_bfe_u32 v3, v5, 16, 3
	v_ffbh_u32_e32 v7, v3
	v_min_u32_e32 v7, 32, v7
	v_lshrrev_b32_e32 v4, 19, v5
	v_subrev_u32_e32 v8, 28, v7
	v_and_b32_e32 v4, 15, v4
	v_lshlrev_b32_sdwa v8, v8, v5 dst_sel:DWORD dst_unused:UNUSED_PAD src0_sel:DWORD src1_sel:WORD_1
	v_bfe_u32 v6, v5, 19, 4
	v_sub_u32_e32 v7, 29, v7
	v_and_b32_e32 v8, 7, v8
	v_cmp_eq_u16_e32 vcc, 0, v4
	v_cndmask_b32_e32 v3, v3, v8, vcc
	v_cndmask_b32_e32 v4, v6, v7, vcc
	v_lshlrev_b32_e32 v6, 8, v5
	v_mov_b32_e32 v7, 0x3b800000
	v_lshlrev_b32_e32 v3, 20, v3
	v_and_b32_e32 v6, 0x80000000, v6
	v_lshl_add_u32 v4, v4, 23, v7
	v_or3_b32 v4, v6, v4, v3
.LBB15_1656:
	s_or_b64 exec, exec, s[6:7]
	s_nop 0
	v_mfma_f32_16x16x4f32 a[0:3], v2, v4, a[0:3]
	s_movk_i32 s4, 0x7f
	v_cmp_gt_i16_sdwa s[6:7], v9, s4 src0_sel:BYTE_3 src1_sel:DWORD
	s_mov_b64 s[4:5], 0
                                        ; implicit-def: $sgpr10
	s_and_saveexec_b64 s[8:9], s[6:7]
	s_xor_b64 s[6:7], exec, s[8:9]
	s_cbranch_execnz .LBB15_3705
; %bb.1657:
	s_or_saveexec_b64 s[6:7], s[6:7]
	v_mov_b32_e32 v2, s10
	s_xor_b64 exec, exec, s[6:7]
	s_cbranch_execnz .LBB15_3708
.LBB15_1658:
	s_or_b64 exec, exec, s[6:7]
	s_and_saveexec_b64 s[6:7], s[4:5]
	s_cbranch_execz .LBB15_1660
.LBB15_1659:
	v_bfe_u32 v2, v9, 24, 3
	v_ffbh_u32_e32 v7, v2
	v_min_u32_e32 v7, 32, v7
	v_lshrrev_b32_e32 v4, 27, v9
	v_subrev_u32_e32 v8, 28, v7
	v_and_b32_e32 v4, 15, v4
	v_lshlrev_b32_sdwa v8, v8, v9 dst_sel:DWORD dst_unused:UNUSED_PAD src0_sel:DWORD src1_sel:BYTE_3
	v_bfe_u32 v6, v9, 27, 4
	v_sub_u32_e32 v7, 29, v7
	v_and_b32_e32 v8, 7, v8
	v_cmp_eq_u16_e32 vcc, 0, v4
	v_cndmask_b32_e32 v2, v2, v8, vcc
	v_cndmask_b32_e32 v4, v6, v7, vcc
	v_mov_b32_e32 v6, 0x3b800000
	v_and_b32_e32 v3, 0x80000000, v9
	v_lshlrev_b32_e32 v2, 20, v2
	v_lshl_add_u32 v4, v4, 23, v6
	v_or3_b32 v2, v3, v4, v2
.LBB15_1660:
	s_or_b64 exec, exec, s[6:7]
	s_movk_i32 s4, 0x7f
	v_cmp_gt_i16_sdwa s[6:7], v5, s4 src0_sel:BYTE_3 src1_sel:DWORD
	s_mov_b64 s[4:5], 0
                                        ; implicit-def: $sgpr10
	s_and_saveexec_b64 s[8:9], s[6:7]
	s_xor_b64 s[6:7], exec, s[8:9]
	s_cbranch_execnz .LBB15_3709
; %bb.1661:
	s_or_saveexec_b64 s[6:7], s[6:7]
	v_mov_b32_e32 v3, s10
	s_xor_b64 exec, exec, s[6:7]
	s_cbranch_execnz .LBB15_3712
.LBB15_1662:
	s_or_b64 exec, exec, s[6:7]
	s_and_saveexec_b64 s[6:7], s[4:5]
	s_cbranch_execz .LBB15_1664
.LBB15_1663:
	v_bfe_u32 v3, v5, 24, 3
	v_ffbh_u32_e32 v8, v3
	v_min_u32_e32 v8, 32, v8
	v_lshrrev_b32_e32 v6, 27, v5
	v_subrev_u32_e32 v9, 28, v8
	v_and_b32_e32 v4, 0x80000000, v5
	v_and_b32_e32 v6, 15, v6
	v_bfe_u32 v7, v5, 27, 4
	v_lshlrev_b32_sdwa v5, v9, v5 dst_sel:DWORD dst_unused:UNUSED_PAD src0_sel:DWORD src1_sel:BYTE_3
	v_sub_u32_e32 v8, 29, v8
	v_and_b32_e32 v5, 7, v5
	v_cmp_eq_u16_e32 vcc, 0, v6
	v_cndmask_b32_e32 v3, v3, v5, vcc
	v_cndmask_b32_e32 v5, v7, v8, vcc
	v_mov_b32_e32 v6, 0x3b800000
	v_lshlrev_b32_e32 v3, 20, v3
	v_lshl_add_u32 v5, v5, 23, v6
	v_or3_b32 v3, v4, v5, v3
.LBB15_1664:
	s_or_b64 exec, exec, s[6:7]
	s_nop 0
	v_mfma_f32_16x16x4f32 a[0:3], v2, v3, a[0:3]
	s_movk_i32 s4, 0x7f
                                        ; implicit-def: $sgpr10
	s_nop 7
	s_nop 1
	flat_store_dwordx4 v[10:11], a[0:3] offset:192
	flat_load_dwordx4 v[12:15], v[0:1] offset:8
	s_nop 0
	flat_load_dwordx2 v[10:11], v[0:1] offset:32
	s_waitcnt vmcnt(0) lgkmcnt(0)
	flat_load_dwordx4 v[6:9], v[12:13] offset:112
	flat_load_dwordx4 v[2:5], v[14:15] offset:48
	s_waitcnt vmcnt(0) lgkmcnt(0)
	v_cmp_gt_i16_sdwa s[6:7], v6, s4 src0_sel:BYTE_0 src1_sel:DWORD
	s_mov_b64 s[4:5], 0
	s_and_saveexec_b64 s[8:9], s[6:7]
	s_xor_b64 s[6:7], exec, s[8:9]
	s_cbranch_execnz .LBB15_3713
; %bb.1665:
	s_or_saveexec_b64 s[6:7], s[6:7]
	v_mov_b32_e32 v12, s10
	s_xor_b64 exec, exec, s[6:7]
	s_cbranch_execnz .LBB15_3716
.LBB15_1666:
	s_or_b64 exec, exec, s[6:7]
	s_and_saveexec_b64 s[6:7], s[4:5]
	s_cbranch_execz .LBB15_1668
.LBB15_1667:
	v_and_b32_e32 v12, 7, v6
	v_ffbh_u32_e32 v14, v12
	v_min_u32_e32 v14, 32, v14
	v_lshrrev_b16_e32 v13, 3, v6
	v_subrev_u32_e32 v15, 28, v14
	v_and_b32_e32 v13, 15, v13
	v_lshlrev_b32_e32 v15, v15, v6
	v_sub_u32_e32 v14, 29, v14
	v_and_b32_e32 v15, 7, v15
	v_cmp_eq_u16_e32 vcc, 0, v13
	v_cndmask_b32_e32 v12, v12, v15, vcc
	v_cndmask_b32_e32 v13, v13, v14, vcc
	v_lshlrev_b32_e32 v14, 24, v6
	v_mov_b32_e32 v15, 0x3b800000
	v_lshlrev_b32_e32 v12, 20, v12
	v_and_b32_e32 v14, 0x80000000, v14
	v_lshl_add_u32 v13, v13, 23, v15
	v_or3_b32 v12, v14, v13, v12
.LBB15_1668:
	s_or_b64 exec, exec, s[6:7]
	s_movk_i32 s4, 0x7f
	v_cmp_gt_i16_sdwa s[6:7], v2, s4 src0_sel:BYTE_0 src1_sel:DWORD
	s_mov_b64 s[4:5], 0
                                        ; implicit-def: $sgpr10
	s_and_saveexec_b64 s[8:9], s[6:7]
	s_xor_b64 s[6:7], exec, s[8:9]
	s_cbranch_execnz .LBB15_3717
; %bb.1669:
	s_or_saveexec_b64 s[6:7], s[6:7]
	v_mov_b32_e32 v13, s10
	s_xor_b64 exec, exec, s[6:7]
	s_cbranch_execnz .LBB15_3720
.LBB15_1670:
	s_or_b64 exec, exec, s[6:7]
	s_and_saveexec_b64 s[6:7], s[4:5]
	s_cbranch_execz .LBB15_1672
.LBB15_1671:
	v_and_b32_e32 v13, 7, v2
	v_ffbh_u32_e32 v15, v13
	v_min_u32_e32 v15, 32, v15
	v_lshrrev_b16_e32 v14, 3, v2
	v_subrev_u32_e32 v16, 28, v15
	v_and_b32_e32 v14, 15, v14
	v_lshlrev_b32_e32 v16, v16, v2
	v_sub_u32_e32 v15, 29, v15
	v_and_b32_e32 v16, 7, v16
	v_cmp_eq_u16_e32 vcc, 0, v14
	v_cndmask_b32_e32 v13, v13, v16, vcc
	v_cndmask_b32_e32 v14, v14, v15, vcc
	v_lshlrev_b32_e32 v15, 24, v2
	v_mov_b32_e32 v16, 0x3b800000
	v_lshlrev_b32_e32 v13, 20, v13
	v_and_b32_e32 v15, 0x80000000, v15
	v_lshl_add_u32 v14, v14, 23, v16
	v_or3_b32 v13, v15, v14, v13
.LBB15_1672:
	s_or_b64 exec, exec, s[6:7]
	flat_load_dwordx4 a[0:3], v[10:11] offset:208
	s_movk_i32 s4, 0x7f
                                        ; implicit-def: $sgpr10
	s_waitcnt vmcnt(0) lgkmcnt(0)
	v_mfma_f32_16x16x4f32 a[0:3], v12, v13, a[0:3]
	v_lshrrev_b32_e32 v13, 8, v6
	v_cmp_gt_i16_sdwa s[6:7], v13, s4 src0_sel:BYTE_0 src1_sel:DWORD
	s_mov_b64 s[4:5], 0
	s_and_saveexec_b64 s[8:9], s[6:7]
	s_xor_b64 s[6:7], exec, s[8:9]
	s_cbranch_execnz .LBB15_3721
; %bb.1673:
	s_or_saveexec_b64 s[6:7], s[6:7]
	v_mov_b32_e32 v12, s10
	s_xor_b64 exec, exec, s[6:7]
	s_cbranch_execnz .LBB15_3724
.LBB15_1674:
	s_or_b64 exec, exec, s[6:7]
	s_and_saveexec_b64 s[6:7], s[4:5]
	s_cbranch_execz .LBB15_1676
.LBB15_1675:
	v_bfe_u32 v12, v6, 8, 3
	v_ffbh_u32_e32 v15, v12
	v_min_u32_e32 v15, 32, v15
	v_lshrrev_b16_e32 v14, 3, v13
	v_subrev_u32_e32 v16, 28, v15
	v_and_b32_e32 v14, 15, v14
	v_lshlrev_b32_e32 v13, v16, v13
	v_sub_u32_e32 v15, 29, v15
	v_and_b32_e32 v13, 7, v13
	v_cmp_eq_u16_e32 vcc, 0, v14
	v_cndmask_b32_e32 v12, v12, v13, vcc
	v_cndmask_b32_e32 v13, v14, v15, vcc
	v_lshlrev_b32_e32 v14, 16, v6
	v_mov_b32_e32 v15, 0x3b800000
	v_lshlrev_b32_e32 v12, 20, v12
	v_and_b32_e32 v14, 0x80000000, v14
	v_lshl_add_u32 v13, v13, 23, v15
	v_or3_b32 v12, v14, v13, v12
.LBB15_1676:
	s_or_b64 exec, exec, s[6:7]
	v_lshrrev_b32_e32 v13, 8, v2
	s_movk_i32 s4, 0x7f
	v_cmp_gt_i16_sdwa s[6:7], v13, s4 src0_sel:BYTE_0 src1_sel:DWORD
	s_mov_b64 s[4:5], 0
                                        ; implicit-def: $sgpr10
	s_and_saveexec_b64 s[8:9], s[6:7]
	s_xor_b64 s[6:7], exec, s[8:9]
	s_cbranch_execnz .LBB15_3725
; %bb.1677:
	s_or_saveexec_b64 s[6:7], s[6:7]
	v_mov_b32_e32 v14, s10
	s_xor_b64 exec, exec, s[6:7]
	s_cbranch_execnz .LBB15_3728
.LBB15_1678:
	s_or_b64 exec, exec, s[6:7]
	s_and_saveexec_b64 s[6:7], s[4:5]
	s_cbranch_execz .LBB15_1680
.LBB15_1679:
	v_bfe_u32 v14, v2, 8, 3
	v_ffbh_u32_e32 v16, v14
	v_min_u32_e32 v16, 32, v16
	v_lshrrev_b16_e32 v15, 3, v13
	v_subrev_u32_e32 v17, 28, v16
	v_and_b32_e32 v15, 15, v15
	v_lshlrev_b32_e32 v13, v17, v13
	v_sub_u32_e32 v16, 29, v16
	v_and_b32_e32 v13, 7, v13
	v_cmp_eq_u16_e32 vcc, 0, v15
	v_cndmask_b32_e32 v13, v14, v13, vcc
	v_cndmask_b32_e32 v14, v15, v16, vcc
	v_lshlrev_b32_e32 v15, 16, v2
	v_mov_b32_e32 v16, 0x3b800000
	v_lshlrev_b32_e32 v13, 20, v13
	v_and_b32_e32 v15, 0x80000000, v15
	v_lshl_add_u32 v14, v14, 23, v16
	v_or3_b32 v14, v15, v14, v13
.LBB15_1680:
	s_or_b64 exec, exec, s[6:7]
	s_nop 0
	v_mfma_f32_16x16x4f32 a[0:3], v12, v14, a[0:3]
	s_movk_i32 s4, 0xff
	v_and_b32_sdwa v13, v6, s4 dst_sel:DWORD dst_unused:UNUSED_PAD src0_sel:WORD_1 src1_sel:DWORD
	s_movk_i32 s4, 0x7f
	v_cmp_lt_i16_e32 vcc, s4, v13
	s_mov_b64 s[4:5], 0
                                        ; implicit-def: $sgpr10
	s_and_saveexec_b64 s[6:7], vcc
	s_xor_b64 s[6:7], exec, s[6:7]
	s_cbranch_execnz .LBB15_3729
; %bb.1681:
	s_or_saveexec_b64 s[6:7], s[6:7]
	v_mov_b32_e32 v12, s10
	s_xor_b64 exec, exec, s[6:7]
	s_cbranch_execnz .LBB15_3732
.LBB15_1682:
	s_or_b64 exec, exec, s[6:7]
	s_and_saveexec_b64 s[6:7], s[4:5]
	s_cbranch_execz .LBB15_1684
.LBB15_1683:
	v_bfe_u32 v12, v6, 16, 3
	v_ffbh_u32_e32 v15, v12
	v_min_u32_e32 v15, 32, v15
	v_lshrrev_b32_e32 v13, 19, v6
	v_subrev_u32_e32 v16, 28, v15
	v_and_b32_e32 v13, 15, v13
	v_lshlrev_b32_sdwa v16, v16, v6 dst_sel:DWORD dst_unused:UNUSED_PAD src0_sel:DWORD src1_sel:WORD_1
	v_bfe_u32 v14, v6, 19, 4
	v_sub_u32_e32 v15, 29, v15
	v_and_b32_e32 v16, 7, v16
	v_cmp_eq_u16_e32 vcc, 0, v13
	v_cndmask_b32_e32 v12, v12, v16, vcc
	v_cndmask_b32_e32 v13, v14, v15, vcc
	v_lshlrev_b32_e32 v14, 8, v6
	v_mov_b32_e32 v15, 0x3b800000
	v_lshlrev_b32_e32 v12, 20, v12
	v_and_b32_e32 v14, 0x80000000, v14
	v_lshl_add_u32 v13, v13, 23, v15
	v_or3_b32 v12, v14, v13, v12
.LBB15_1684:
	s_or_b64 exec, exec, s[6:7]
	s_movk_i32 s4, 0xff
	v_and_b32_sdwa v13, v2, s4 dst_sel:DWORD dst_unused:UNUSED_PAD src0_sel:WORD_1 src1_sel:DWORD
	s_movk_i32 s4, 0x7f
	v_cmp_lt_i16_e32 vcc, s4, v13
	s_mov_b64 s[4:5], 0
                                        ; implicit-def: $sgpr10
	s_and_saveexec_b64 s[6:7], vcc
	s_xor_b64 s[6:7], exec, s[6:7]
	s_cbranch_execnz .LBB15_3733
; %bb.1685:
	s_or_saveexec_b64 s[6:7], s[6:7]
	v_mov_b32_e32 v14, s10
	s_xor_b64 exec, exec, s[6:7]
	s_cbranch_execnz .LBB15_3736
.LBB15_1686:
	s_or_b64 exec, exec, s[6:7]
	s_and_saveexec_b64 s[6:7], s[4:5]
	s_cbranch_execz .LBB15_1688
.LBB15_1687:
	v_bfe_u32 v13, v2, 16, 3
	v_ffbh_u32_e32 v16, v13
	v_min_u32_e32 v16, 32, v16
	v_lshrrev_b32_e32 v14, 19, v2
	v_subrev_u32_e32 v17, 28, v16
	v_and_b32_e32 v14, 15, v14
	v_lshlrev_b32_sdwa v17, v17, v2 dst_sel:DWORD dst_unused:UNUSED_PAD src0_sel:DWORD src1_sel:WORD_1
	v_bfe_u32 v15, v2, 19, 4
	v_sub_u32_e32 v16, 29, v16
	v_and_b32_e32 v17, 7, v17
	v_cmp_eq_u16_e32 vcc, 0, v14
	v_cndmask_b32_e32 v13, v13, v17, vcc
	v_cndmask_b32_e32 v14, v15, v16, vcc
	v_lshlrev_b32_e32 v15, 8, v2
	v_mov_b32_e32 v16, 0x3b800000
	v_lshlrev_b32_e32 v13, 20, v13
	v_and_b32_e32 v15, 0x80000000, v15
	v_lshl_add_u32 v14, v14, 23, v16
	v_or3_b32 v14, v15, v14, v13
.LBB15_1688:
	s_or_b64 exec, exec, s[6:7]
	s_nop 0
	v_mfma_f32_16x16x4f32 a[0:3], v12, v14, a[0:3]
	s_movk_i32 s4, 0x7f
	v_cmp_gt_i16_sdwa s[6:7], v6, s4 src0_sel:BYTE_3 src1_sel:DWORD
	s_mov_b64 s[4:5], 0
                                        ; implicit-def: $sgpr10
	s_and_saveexec_b64 s[8:9], s[6:7]
	s_xor_b64 s[6:7], exec, s[8:9]
	s_cbranch_execnz .LBB15_3737
; %bb.1689:
	s_or_saveexec_b64 s[6:7], s[6:7]
	v_mov_b32_e32 v12, s10
	s_xor_b64 exec, exec, s[6:7]
	s_cbranch_execnz .LBB15_3740
.LBB15_1690:
	s_or_b64 exec, exec, s[6:7]
	s_and_saveexec_b64 s[6:7], s[4:5]
	s_cbranch_execz .LBB15_1692
.LBB15_1691:
	v_bfe_u32 v12, v6, 24, 3
	v_ffbh_u32_e32 v16, v12
	v_min_u32_e32 v16, 32, v16
	v_lshrrev_b32_e32 v14, 27, v6
	v_subrev_u32_e32 v17, 28, v16
	v_and_b32_e32 v13, 0x80000000, v6
	v_and_b32_e32 v14, 15, v14
	v_bfe_u32 v15, v6, 27, 4
	v_lshlrev_b32_sdwa v6, v17, v6 dst_sel:DWORD dst_unused:UNUSED_PAD src0_sel:DWORD src1_sel:BYTE_3
	v_sub_u32_e32 v16, 29, v16
	v_and_b32_e32 v6, 7, v6
	v_cmp_eq_u16_e32 vcc, 0, v14
	v_cndmask_b32_e32 v6, v12, v6, vcc
	v_cndmask_b32_e32 v12, v15, v16, vcc
	v_mov_b32_e32 v14, 0x3b800000
	v_lshlrev_b32_e32 v6, 20, v6
	v_lshl_add_u32 v12, v12, 23, v14
	v_or3_b32 v12, v13, v12, v6
.LBB15_1692:
	s_or_b64 exec, exec, s[6:7]
	s_movk_i32 s4, 0x7f
	v_cmp_gt_i16_sdwa s[6:7], v2, s4 src0_sel:BYTE_3 src1_sel:DWORD
	s_mov_b64 s[4:5], 0
                                        ; implicit-def: $sgpr10
	s_and_saveexec_b64 s[8:9], s[6:7]
	s_xor_b64 s[6:7], exec, s[8:9]
	s_cbranch_execnz .LBB15_3741
; %bb.1693:
	s_or_saveexec_b64 s[6:7], s[6:7]
	v_mov_b32_e32 v6, s10
	s_xor_b64 exec, exec, s[6:7]
	s_cbranch_execnz .LBB15_3744
.LBB15_1694:
	s_or_b64 exec, exec, s[6:7]
	s_and_saveexec_b64 s[6:7], s[4:5]
	s_cbranch_execz .LBB15_1696
.LBB15_1695:
	v_bfe_u32 v6, v2, 24, 3
	v_ffbh_u32_e32 v16, v6
	v_min_u32_e32 v16, 32, v16
	v_lshrrev_b32_e32 v14, 27, v2
	v_subrev_u32_e32 v17, 28, v16
	v_and_b32_e32 v13, 0x80000000, v2
	v_and_b32_e32 v14, 15, v14
	v_bfe_u32 v15, v2, 27, 4
	v_lshlrev_b32_sdwa v2, v17, v2 dst_sel:DWORD dst_unused:UNUSED_PAD src0_sel:DWORD src1_sel:BYTE_3
	v_sub_u32_e32 v16, 29, v16
	v_and_b32_e32 v2, 7, v2
	v_cmp_eq_u16_e32 vcc, 0, v14
	v_cndmask_b32_e32 v2, v6, v2, vcc
	v_cndmask_b32_e32 v6, v15, v16, vcc
	v_mov_b32_e32 v14, 0x3b800000
	v_lshlrev_b32_e32 v2, 20, v2
	v_lshl_add_u32 v6, v6, 23, v14
	v_or3_b32 v6, v13, v6, v2
.LBB15_1696:
	s_or_b64 exec, exec, s[6:7]
	s_nop 0
	v_mfma_f32_16x16x4f32 a[0:3], v12, v6, a[0:3]
	s_movk_i32 s4, 0x7f
	v_cmp_gt_i16_sdwa s[6:7], v7, s4 src0_sel:BYTE_0 src1_sel:DWORD
	s_mov_b64 s[4:5], 0
                                        ; implicit-def: $sgpr10
	s_and_saveexec_b64 s[8:9], s[6:7]
	s_xor_b64 s[6:7], exec, s[8:9]
	s_cbranch_execnz .LBB15_3745
; %bb.1697:
	s_or_saveexec_b64 s[6:7], s[6:7]
	v_mov_b32_e32 v2, s10
	s_xor_b64 exec, exec, s[6:7]
	s_cbranch_execnz .LBB15_3748
.LBB15_1698:
	s_or_b64 exec, exec, s[6:7]
	s_and_saveexec_b64 s[6:7], s[4:5]
	s_cbranch_execz .LBB15_1700
.LBB15_1699:
	v_and_b32_e32 v2, 7, v7
	v_ffbh_u32_e32 v12, v2
	v_min_u32_e32 v12, 32, v12
	v_lshrrev_b16_e32 v6, 3, v7
	v_subrev_u32_e32 v13, 28, v12
	v_and_b32_e32 v6, 15, v6
	v_lshlrev_b32_e32 v13, v13, v7
	v_sub_u32_e32 v12, 29, v12
	v_and_b32_e32 v13, 7, v13
	v_cmp_eq_u16_e32 vcc, 0, v6
	v_cndmask_b32_e32 v2, v2, v13, vcc
	v_cndmask_b32_e32 v6, v6, v12, vcc
	v_lshlrev_b32_e32 v12, 24, v7
	v_mov_b32_e32 v13, 0x3b800000
	v_lshlrev_b32_e32 v2, 20, v2
	v_and_b32_e32 v12, 0x80000000, v12
	v_lshl_add_u32 v6, v6, 23, v13
	v_or3_b32 v2, v12, v6, v2
.LBB15_1700:
	s_or_b64 exec, exec, s[6:7]
	s_movk_i32 s4, 0x7f
	v_cmp_gt_i16_sdwa s[6:7], v3, s4 src0_sel:BYTE_0 src1_sel:DWORD
	s_mov_b64 s[4:5], 0
                                        ; implicit-def: $sgpr10
	s_and_saveexec_b64 s[8:9], s[6:7]
	s_xor_b64 s[6:7], exec, s[8:9]
	s_cbranch_execnz .LBB15_3749
; %bb.1701:
	s_or_saveexec_b64 s[6:7], s[6:7]
	v_mov_b32_e32 v6, s10
	s_xor_b64 exec, exec, s[6:7]
	s_cbranch_execnz .LBB15_3752
.LBB15_1702:
	s_or_b64 exec, exec, s[6:7]
	s_and_saveexec_b64 s[6:7], s[4:5]
	s_cbranch_execz .LBB15_1704
.LBB15_1703:
	v_and_b32_e32 v6, 7, v3
	v_ffbh_u32_e32 v13, v6
	v_min_u32_e32 v13, 32, v13
	v_lshrrev_b16_e32 v12, 3, v3
	v_subrev_u32_e32 v14, 28, v13
	v_and_b32_e32 v12, 15, v12
	v_lshlrev_b32_e32 v14, v14, v3
	v_sub_u32_e32 v13, 29, v13
	v_and_b32_e32 v14, 7, v14
	v_cmp_eq_u16_e32 vcc, 0, v12
	v_cndmask_b32_e32 v6, v6, v14, vcc
	v_cndmask_b32_e32 v12, v12, v13, vcc
	v_lshlrev_b32_e32 v13, 24, v3
	v_mov_b32_e32 v14, 0x3b800000
	v_lshlrev_b32_e32 v6, 20, v6
	v_and_b32_e32 v13, 0x80000000, v13
	v_lshl_add_u32 v12, v12, 23, v14
	v_or3_b32 v6, v13, v12, v6
.LBB15_1704:
	s_or_b64 exec, exec, s[6:7]
	s_nop 0
	v_mfma_f32_16x16x4f32 a[0:3], v2, v6, a[0:3]
	v_lshrrev_b32_e32 v6, 8, v7
	s_movk_i32 s4, 0x7f
	v_cmp_gt_i16_sdwa s[6:7], v6, s4 src0_sel:BYTE_0 src1_sel:DWORD
	s_mov_b64 s[4:5], 0
                                        ; implicit-def: $sgpr10
	s_and_saveexec_b64 s[8:9], s[6:7]
	s_xor_b64 s[6:7], exec, s[8:9]
	s_cbranch_execnz .LBB15_3753
; %bb.1705:
	s_or_saveexec_b64 s[6:7], s[6:7]
	v_mov_b32_e32 v2, s10
	s_xor_b64 exec, exec, s[6:7]
	s_cbranch_execnz .LBB15_3756
.LBB15_1706:
	s_or_b64 exec, exec, s[6:7]
	s_and_saveexec_b64 s[6:7], s[4:5]
	s_cbranch_execz .LBB15_1708
.LBB15_1707:
	v_bfe_u32 v2, v7, 8, 3
	v_ffbh_u32_e32 v13, v2
	v_min_u32_e32 v13, 32, v13
	v_lshrrev_b16_e32 v12, 3, v6
	v_subrev_u32_e32 v14, 28, v13
	v_and_b32_e32 v12, 15, v12
	v_lshlrev_b32_e32 v6, v14, v6
	v_sub_u32_e32 v13, 29, v13
	v_and_b32_e32 v6, 7, v6
	v_cmp_eq_u16_e32 vcc, 0, v12
	v_cndmask_b32_e32 v2, v2, v6, vcc
	v_cndmask_b32_e32 v6, v12, v13, vcc
	v_lshlrev_b32_e32 v12, 16, v7
	v_mov_b32_e32 v13, 0x3b800000
	v_lshlrev_b32_e32 v2, 20, v2
	v_and_b32_e32 v12, 0x80000000, v12
	v_lshl_add_u32 v6, v6, 23, v13
	v_or3_b32 v2, v12, v6, v2
.LBB15_1708:
	s_or_b64 exec, exec, s[6:7]
	v_lshrrev_b32_e32 v6, 8, v3
	s_movk_i32 s4, 0x7f
	v_cmp_gt_i16_sdwa s[6:7], v6, s4 src0_sel:BYTE_0 src1_sel:DWORD
	s_mov_b64 s[4:5], 0
                                        ; implicit-def: $sgpr10
	s_and_saveexec_b64 s[8:9], s[6:7]
	s_xor_b64 s[6:7], exec, s[8:9]
	s_cbranch_execnz .LBB15_3757
; %bb.1709:
	s_or_saveexec_b64 s[6:7], s[6:7]
	v_mov_b32_e32 v12, s10
	s_xor_b64 exec, exec, s[6:7]
	s_cbranch_execnz .LBB15_3760
.LBB15_1710:
	s_or_b64 exec, exec, s[6:7]
	s_and_saveexec_b64 s[6:7], s[4:5]
	s_cbranch_execz .LBB15_1712
.LBB15_1711:
	v_bfe_u32 v12, v3, 8, 3
	v_ffbh_u32_e32 v14, v12
	v_min_u32_e32 v14, 32, v14
	v_lshrrev_b16_e32 v13, 3, v6
	v_subrev_u32_e32 v15, 28, v14
	v_and_b32_e32 v13, 15, v13
	v_lshlrev_b32_e32 v6, v15, v6
	v_sub_u32_e32 v14, 29, v14
	v_and_b32_e32 v6, 7, v6
	v_cmp_eq_u16_e32 vcc, 0, v13
	v_cndmask_b32_e32 v6, v12, v6, vcc
	v_cndmask_b32_e32 v12, v13, v14, vcc
	v_lshlrev_b32_e32 v13, 16, v3
	v_mov_b32_e32 v14, 0x3b800000
	v_lshlrev_b32_e32 v6, 20, v6
	v_and_b32_e32 v13, 0x80000000, v13
	v_lshl_add_u32 v12, v12, 23, v14
	v_or3_b32 v12, v13, v12, v6
.LBB15_1712:
	s_or_b64 exec, exec, s[6:7]
	s_nop 0
	v_mfma_f32_16x16x4f32 a[0:3], v2, v12, a[0:3]
	s_movk_i32 s4, 0xff
	v_and_b32_sdwa v6, v7, s4 dst_sel:DWORD dst_unused:UNUSED_PAD src0_sel:WORD_1 src1_sel:DWORD
	s_movk_i32 s4, 0x7f
	v_cmp_lt_i16_e32 vcc, s4, v6
	s_mov_b64 s[4:5], 0
                                        ; implicit-def: $sgpr10
	s_and_saveexec_b64 s[6:7], vcc
	s_xor_b64 s[6:7], exec, s[6:7]
	s_cbranch_execnz .LBB15_3761
; %bb.1713:
	s_or_saveexec_b64 s[6:7], s[6:7]
	v_mov_b32_e32 v2, s10
	s_xor_b64 exec, exec, s[6:7]
	s_cbranch_execnz .LBB15_3764
.LBB15_1714:
	s_or_b64 exec, exec, s[6:7]
	s_and_saveexec_b64 s[6:7], s[4:5]
	s_cbranch_execz .LBB15_1716
.LBB15_1715:
	v_bfe_u32 v2, v7, 16, 3
	v_ffbh_u32_e32 v13, v2
	v_min_u32_e32 v13, 32, v13
	v_lshrrev_b32_e32 v6, 19, v7
	v_subrev_u32_e32 v14, 28, v13
	v_and_b32_e32 v6, 15, v6
	v_lshlrev_b32_sdwa v14, v14, v7 dst_sel:DWORD dst_unused:UNUSED_PAD src0_sel:DWORD src1_sel:WORD_1
	v_bfe_u32 v12, v7, 19, 4
	v_sub_u32_e32 v13, 29, v13
	v_and_b32_e32 v14, 7, v14
	v_cmp_eq_u16_e32 vcc, 0, v6
	v_cndmask_b32_e32 v2, v2, v14, vcc
	v_cndmask_b32_e32 v6, v12, v13, vcc
	v_lshlrev_b32_e32 v12, 8, v7
	v_mov_b32_e32 v13, 0x3b800000
	v_lshlrev_b32_e32 v2, 20, v2
	v_and_b32_e32 v12, 0x80000000, v12
	v_lshl_add_u32 v6, v6, 23, v13
	v_or3_b32 v2, v12, v6, v2
.LBB15_1716:
	s_or_b64 exec, exec, s[6:7]
	s_movk_i32 s4, 0xff
	v_and_b32_sdwa v6, v3, s4 dst_sel:DWORD dst_unused:UNUSED_PAD src0_sel:WORD_1 src1_sel:DWORD
	s_movk_i32 s4, 0x7f
	v_cmp_lt_i16_e32 vcc, s4, v6
	s_mov_b64 s[4:5], 0
                                        ; implicit-def: $sgpr10
	s_and_saveexec_b64 s[6:7], vcc
	s_xor_b64 s[6:7], exec, s[6:7]
	s_cbranch_execnz .LBB15_3765
; %bb.1717:
	s_or_saveexec_b64 s[6:7], s[6:7]
	v_mov_b32_e32 v12, s10
	s_xor_b64 exec, exec, s[6:7]
	s_cbranch_execnz .LBB15_3768
.LBB15_1718:
	s_or_b64 exec, exec, s[6:7]
	s_and_saveexec_b64 s[6:7], s[4:5]
	s_cbranch_execz .LBB15_1720
.LBB15_1719:
	v_bfe_u32 v6, v3, 16, 3
	v_ffbh_u32_e32 v14, v6
	v_min_u32_e32 v14, 32, v14
	v_lshrrev_b32_e32 v12, 19, v3
	v_subrev_u32_e32 v15, 28, v14
	v_and_b32_e32 v12, 15, v12
	v_lshlrev_b32_sdwa v15, v15, v3 dst_sel:DWORD dst_unused:UNUSED_PAD src0_sel:DWORD src1_sel:WORD_1
	v_bfe_u32 v13, v3, 19, 4
	v_sub_u32_e32 v14, 29, v14
	v_and_b32_e32 v15, 7, v15
	v_cmp_eq_u16_e32 vcc, 0, v12
	v_cndmask_b32_e32 v6, v6, v15, vcc
	v_cndmask_b32_e32 v12, v13, v14, vcc
	v_lshlrev_b32_e32 v13, 8, v3
	v_mov_b32_e32 v14, 0x3b800000
	v_lshlrev_b32_e32 v6, 20, v6
	v_and_b32_e32 v13, 0x80000000, v13
	v_lshl_add_u32 v12, v12, 23, v14
	v_or3_b32 v12, v13, v12, v6
.LBB15_1720:
	s_or_b64 exec, exec, s[6:7]
	s_nop 0
	v_mfma_f32_16x16x4f32 a[0:3], v2, v12, a[0:3]
	s_movk_i32 s4, 0x7f
	v_cmp_gt_i16_sdwa s[6:7], v7, s4 src0_sel:BYTE_3 src1_sel:DWORD
	s_mov_b64 s[4:5], 0
                                        ; implicit-def: $sgpr10
	s_and_saveexec_b64 s[8:9], s[6:7]
	s_xor_b64 s[6:7], exec, s[8:9]
	s_cbranch_execnz .LBB15_3769
; %bb.1721:
	s_or_saveexec_b64 s[6:7], s[6:7]
	v_mov_b32_e32 v2, s10
	s_xor_b64 exec, exec, s[6:7]
	s_cbranch_execnz .LBB15_3772
.LBB15_1722:
	s_or_b64 exec, exec, s[6:7]
	s_and_saveexec_b64 s[6:7], s[4:5]
	s_cbranch_execz .LBB15_1724
.LBB15_1723:
	v_bfe_u32 v2, v7, 24, 3
	v_ffbh_u32_e32 v14, v2
	v_min_u32_e32 v14, 32, v14
	v_lshrrev_b32_e32 v12, 27, v7
	v_subrev_u32_e32 v15, 28, v14
	v_and_b32_e32 v6, 0x80000000, v7
	v_and_b32_e32 v12, 15, v12
	v_bfe_u32 v13, v7, 27, 4
	v_lshlrev_b32_sdwa v7, v15, v7 dst_sel:DWORD dst_unused:UNUSED_PAD src0_sel:DWORD src1_sel:BYTE_3
	v_sub_u32_e32 v14, 29, v14
	v_and_b32_e32 v7, 7, v7
	v_cmp_eq_u16_e32 vcc, 0, v12
	v_cndmask_b32_e32 v2, v2, v7, vcc
	v_cndmask_b32_e32 v7, v13, v14, vcc
	v_mov_b32_e32 v12, 0x3b800000
	v_lshlrev_b32_e32 v2, 20, v2
	v_lshl_add_u32 v7, v7, 23, v12
	v_or3_b32 v2, v6, v7, v2
.LBB15_1724:
	s_or_b64 exec, exec, s[6:7]
	s_movk_i32 s4, 0x7f
	v_cmp_gt_i16_sdwa s[6:7], v3, s4 src0_sel:BYTE_3 src1_sel:DWORD
	s_mov_b64 s[4:5], 0
                                        ; implicit-def: $sgpr10
	s_and_saveexec_b64 s[8:9], s[6:7]
	s_xor_b64 s[6:7], exec, s[8:9]
	s_cbranch_execnz .LBB15_3773
; %bb.1725:
	s_or_saveexec_b64 s[6:7], s[6:7]
	v_mov_b32_e32 v6, s10
	s_xor_b64 exec, exec, s[6:7]
	s_cbranch_execnz .LBB15_3776
.LBB15_1726:
	s_or_b64 exec, exec, s[6:7]
	s_and_saveexec_b64 s[6:7], s[4:5]
	s_cbranch_execz .LBB15_1728
.LBB15_1727:
	v_bfe_u32 v6, v3, 24, 3
	v_ffbh_u32_e32 v14, v6
	v_min_u32_e32 v14, 32, v14
	v_lshrrev_b32_e32 v12, 27, v3
	v_subrev_u32_e32 v15, 28, v14
	v_and_b32_e32 v7, 0x80000000, v3
	v_and_b32_e32 v12, 15, v12
	v_bfe_u32 v13, v3, 27, 4
	v_lshlrev_b32_sdwa v3, v15, v3 dst_sel:DWORD dst_unused:UNUSED_PAD src0_sel:DWORD src1_sel:BYTE_3
	v_sub_u32_e32 v14, 29, v14
	v_and_b32_e32 v3, 7, v3
	v_cmp_eq_u16_e32 vcc, 0, v12
	v_cndmask_b32_e32 v3, v6, v3, vcc
	v_cndmask_b32_e32 v6, v13, v14, vcc
	v_mov_b32_e32 v12, 0x3b800000
	v_lshlrev_b32_e32 v3, 20, v3
	v_lshl_add_u32 v6, v6, 23, v12
	v_or3_b32 v6, v7, v6, v3
.LBB15_1728:
	s_or_b64 exec, exec, s[6:7]
	s_nop 0
	v_mfma_f32_16x16x4f32 a[0:3], v2, v6, a[0:3]
	s_movk_i32 s4, 0x7f
	v_cmp_gt_i16_sdwa s[6:7], v8, s4 src0_sel:BYTE_0 src1_sel:DWORD
	s_mov_b64 s[4:5], 0
                                        ; implicit-def: $sgpr10
	s_and_saveexec_b64 s[8:9], s[6:7]
	s_xor_b64 s[6:7], exec, s[8:9]
	s_cbranch_execnz .LBB15_3777
; %bb.1729:
	s_or_saveexec_b64 s[6:7], s[6:7]
	v_mov_b32_e32 v2, s10
	s_xor_b64 exec, exec, s[6:7]
	s_cbranch_execnz .LBB15_3780
.LBB15_1730:
	s_or_b64 exec, exec, s[6:7]
	s_and_saveexec_b64 s[6:7], s[4:5]
	s_cbranch_execz .LBB15_1732
.LBB15_1731:
	v_and_b32_e32 v2, 7, v8
	v_ffbh_u32_e32 v6, v2
	v_min_u32_e32 v6, 32, v6
	v_lshrrev_b16_e32 v3, 3, v8
	v_subrev_u32_e32 v7, 28, v6
	v_and_b32_e32 v3, 15, v3
	v_lshlrev_b32_e32 v7, v7, v8
	v_sub_u32_e32 v6, 29, v6
	v_and_b32_e32 v7, 7, v7
	v_cmp_eq_u16_e32 vcc, 0, v3
	v_cndmask_b32_e32 v2, v2, v7, vcc
	v_cndmask_b32_e32 v3, v3, v6, vcc
	v_lshlrev_b32_e32 v6, 24, v8
	v_mov_b32_e32 v7, 0x3b800000
	v_lshlrev_b32_e32 v2, 20, v2
	v_and_b32_e32 v6, 0x80000000, v6
	v_lshl_add_u32 v3, v3, 23, v7
	v_or3_b32 v2, v6, v3, v2
.LBB15_1732:
	s_or_b64 exec, exec, s[6:7]
	s_movk_i32 s4, 0x7f
	v_cmp_gt_i16_sdwa s[6:7], v4, s4 src0_sel:BYTE_0 src1_sel:DWORD
	s_mov_b64 s[4:5], 0
                                        ; implicit-def: $sgpr10
	s_and_saveexec_b64 s[8:9], s[6:7]
	s_xor_b64 s[6:7], exec, s[8:9]
	s_cbranch_execnz .LBB15_3781
; %bb.1733:
	s_or_saveexec_b64 s[6:7], s[6:7]
	v_mov_b32_e32 v3, s10
	s_xor_b64 exec, exec, s[6:7]
	s_cbranch_execnz .LBB15_3784
.LBB15_1734:
	s_or_b64 exec, exec, s[6:7]
	s_and_saveexec_b64 s[6:7], s[4:5]
	s_cbranch_execz .LBB15_1736
.LBB15_1735:
	v_and_b32_e32 v3, 7, v4
	v_ffbh_u32_e32 v7, v3
	v_min_u32_e32 v7, 32, v7
	v_lshrrev_b16_e32 v6, 3, v4
	v_subrev_u32_e32 v12, 28, v7
	v_and_b32_e32 v6, 15, v6
	v_lshlrev_b32_e32 v12, v12, v4
	v_sub_u32_e32 v7, 29, v7
	v_and_b32_e32 v12, 7, v12
	v_cmp_eq_u16_e32 vcc, 0, v6
	v_cndmask_b32_e32 v3, v3, v12, vcc
	v_cndmask_b32_e32 v6, v6, v7, vcc
	v_lshlrev_b32_e32 v7, 24, v4
	v_mov_b32_e32 v12, 0x3b800000
	v_lshlrev_b32_e32 v3, 20, v3
	v_and_b32_e32 v7, 0x80000000, v7
	v_lshl_add_u32 v6, v6, 23, v12
	v_or3_b32 v3, v7, v6, v3
.LBB15_1736:
	s_or_b64 exec, exec, s[6:7]
	s_nop 0
	v_mfma_f32_16x16x4f32 a[0:3], v2, v3, a[0:3]
	v_lshrrev_b32_e32 v3, 8, v8
	s_movk_i32 s4, 0x7f
	v_cmp_gt_i16_sdwa s[6:7], v3, s4 src0_sel:BYTE_0 src1_sel:DWORD
	s_mov_b64 s[4:5], 0
                                        ; implicit-def: $sgpr10
	s_and_saveexec_b64 s[8:9], s[6:7]
	s_xor_b64 s[6:7], exec, s[8:9]
	s_cbranch_execnz .LBB15_3785
; %bb.1737:
	s_or_saveexec_b64 s[6:7], s[6:7]
	v_mov_b32_e32 v2, s10
	s_xor_b64 exec, exec, s[6:7]
	s_cbranch_execnz .LBB15_3788
.LBB15_1738:
	s_or_b64 exec, exec, s[6:7]
	s_and_saveexec_b64 s[6:7], s[4:5]
	s_cbranch_execz .LBB15_1740
.LBB15_1739:
	v_bfe_u32 v2, v8, 8, 3
	v_ffbh_u32_e32 v7, v2
	v_min_u32_e32 v7, 32, v7
	v_lshrrev_b16_e32 v6, 3, v3
	v_subrev_u32_e32 v12, 28, v7
	v_and_b32_e32 v6, 15, v6
	v_lshlrev_b32_e32 v3, v12, v3
	v_sub_u32_e32 v7, 29, v7
	v_and_b32_e32 v3, 7, v3
	v_cmp_eq_u16_e32 vcc, 0, v6
	v_cndmask_b32_e32 v2, v2, v3, vcc
	v_cndmask_b32_e32 v3, v6, v7, vcc
	v_lshlrev_b32_e32 v6, 16, v8
	v_mov_b32_e32 v7, 0x3b800000
	v_lshlrev_b32_e32 v2, 20, v2
	v_and_b32_e32 v6, 0x80000000, v6
	v_lshl_add_u32 v3, v3, 23, v7
	v_or3_b32 v2, v6, v3, v2
.LBB15_1740:
	s_or_b64 exec, exec, s[6:7]
	v_lshrrev_b32_e32 v3, 8, v4
	s_movk_i32 s4, 0x7f
	v_cmp_gt_i16_sdwa s[6:7], v3, s4 src0_sel:BYTE_0 src1_sel:DWORD
	s_mov_b64 s[4:5], 0
                                        ; implicit-def: $sgpr10
	s_and_saveexec_b64 s[8:9], s[6:7]
	s_xor_b64 s[6:7], exec, s[8:9]
	s_cbranch_execnz .LBB15_3789
; %bb.1741:
	s_or_saveexec_b64 s[6:7], s[6:7]
	v_mov_b32_e32 v6, s10
	s_xor_b64 exec, exec, s[6:7]
	s_cbranch_execnz .LBB15_3792
.LBB15_1742:
	s_or_b64 exec, exec, s[6:7]
	s_and_saveexec_b64 s[6:7], s[4:5]
	s_cbranch_execz .LBB15_1744
.LBB15_1743:
	v_bfe_u32 v6, v4, 8, 3
	v_ffbh_u32_e32 v12, v6
	v_min_u32_e32 v12, 32, v12
	v_lshrrev_b16_e32 v7, 3, v3
	v_subrev_u32_e32 v13, 28, v12
	v_and_b32_e32 v7, 15, v7
	v_lshlrev_b32_e32 v3, v13, v3
	v_sub_u32_e32 v12, 29, v12
	v_and_b32_e32 v3, 7, v3
	v_cmp_eq_u16_e32 vcc, 0, v7
	v_cndmask_b32_e32 v3, v6, v3, vcc
	v_cndmask_b32_e32 v6, v7, v12, vcc
	v_lshlrev_b32_e32 v7, 16, v4
	v_mov_b32_e32 v12, 0x3b800000
	v_lshlrev_b32_e32 v3, 20, v3
	v_and_b32_e32 v7, 0x80000000, v7
	v_lshl_add_u32 v6, v6, 23, v12
	v_or3_b32 v6, v7, v6, v3
.LBB15_1744:
	s_or_b64 exec, exec, s[6:7]
	s_nop 0
	v_mfma_f32_16x16x4f32 a[0:3], v2, v6, a[0:3]
	s_movk_i32 s4, 0xff
	v_and_b32_sdwa v3, v8, s4 dst_sel:DWORD dst_unused:UNUSED_PAD src0_sel:WORD_1 src1_sel:DWORD
	s_movk_i32 s4, 0x7f
	v_cmp_lt_i16_e32 vcc, s4, v3
	s_mov_b64 s[4:5], 0
                                        ; implicit-def: $sgpr10
	s_and_saveexec_b64 s[6:7], vcc
	s_xor_b64 s[6:7], exec, s[6:7]
	s_cbranch_execnz .LBB15_3793
; %bb.1745:
	s_or_saveexec_b64 s[6:7], s[6:7]
	v_mov_b32_e32 v2, s10
	s_xor_b64 exec, exec, s[6:7]
	s_cbranch_execnz .LBB15_3796
.LBB15_1746:
	s_or_b64 exec, exec, s[6:7]
	s_and_saveexec_b64 s[6:7], s[4:5]
	s_cbranch_execz .LBB15_1748
.LBB15_1747:
	v_bfe_u32 v2, v8, 16, 3
	v_ffbh_u32_e32 v7, v2
	v_min_u32_e32 v7, 32, v7
	v_lshrrev_b32_e32 v3, 19, v8
	v_subrev_u32_e32 v12, 28, v7
	v_and_b32_e32 v3, 15, v3
	v_lshlrev_b32_sdwa v12, v12, v8 dst_sel:DWORD dst_unused:UNUSED_PAD src0_sel:DWORD src1_sel:WORD_1
	v_bfe_u32 v6, v8, 19, 4
	v_sub_u32_e32 v7, 29, v7
	v_and_b32_e32 v12, 7, v12
	v_cmp_eq_u16_e32 vcc, 0, v3
	v_cndmask_b32_e32 v2, v2, v12, vcc
	v_cndmask_b32_e32 v3, v6, v7, vcc
	v_lshlrev_b32_e32 v6, 8, v8
	v_mov_b32_e32 v7, 0x3b800000
	v_lshlrev_b32_e32 v2, 20, v2
	v_and_b32_e32 v6, 0x80000000, v6
	v_lshl_add_u32 v3, v3, 23, v7
	v_or3_b32 v2, v6, v3, v2
.LBB15_1748:
	s_or_b64 exec, exec, s[6:7]
	s_movk_i32 s4, 0xff
	v_and_b32_sdwa v3, v4, s4 dst_sel:DWORD dst_unused:UNUSED_PAD src0_sel:WORD_1 src1_sel:DWORD
	s_movk_i32 s4, 0x7f
	v_cmp_lt_i16_e32 vcc, s4, v3
	s_mov_b64 s[4:5], 0
                                        ; implicit-def: $sgpr10
	s_and_saveexec_b64 s[6:7], vcc
	s_xor_b64 s[6:7], exec, s[6:7]
	s_cbranch_execnz .LBB15_3797
; %bb.1749:
	s_or_saveexec_b64 s[6:7], s[6:7]
	v_mov_b32_e32 v6, s10
	s_xor_b64 exec, exec, s[6:7]
	s_cbranch_execnz .LBB15_3800
.LBB15_1750:
	s_or_b64 exec, exec, s[6:7]
	s_and_saveexec_b64 s[6:7], s[4:5]
	s_cbranch_execz .LBB15_1752
.LBB15_1751:
	v_bfe_u32 v3, v4, 16, 3
	v_ffbh_u32_e32 v12, v3
	v_min_u32_e32 v12, 32, v12
	v_lshrrev_b32_e32 v6, 19, v4
	v_subrev_u32_e32 v13, 28, v12
	v_and_b32_e32 v6, 15, v6
	v_lshlrev_b32_sdwa v13, v13, v4 dst_sel:DWORD dst_unused:UNUSED_PAD src0_sel:DWORD src1_sel:WORD_1
	v_bfe_u32 v7, v4, 19, 4
	v_sub_u32_e32 v12, 29, v12
	v_and_b32_e32 v13, 7, v13
	v_cmp_eq_u16_e32 vcc, 0, v6
	v_cndmask_b32_e32 v3, v3, v13, vcc
	v_cndmask_b32_e32 v6, v7, v12, vcc
	v_lshlrev_b32_e32 v7, 8, v4
	v_mov_b32_e32 v12, 0x3b800000
	v_lshlrev_b32_e32 v3, 20, v3
	v_and_b32_e32 v7, 0x80000000, v7
	v_lshl_add_u32 v6, v6, 23, v12
	v_or3_b32 v6, v7, v6, v3
.LBB15_1752:
	s_or_b64 exec, exec, s[6:7]
	s_nop 0
	v_mfma_f32_16x16x4f32 a[0:3], v2, v6, a[0:3]
	s_movk_i32 s4, 0x7f
	v_cmp_gt_i16_sdwa s[6:7], v8, s4 src0_sel:BYTE_3 src1_sel:DWORD
	s_mov_b64 s[4:5], 0
                                        ; implicit-def: $sgpr10
	s_and_saveexec_b64 s[8:9], s[6:7]
	s_xor_b64 s[6:7], exec, s[8:9]
	s_cbranch_execnz .LBB15_3801
; %bb.1753:
	s_or_saveexec_b64 s[6:7], s[6:7]
	v_mov_b32_e32 v2, s10
	s_xor_b64 exec, exec, s[6:7]
	s_cbranch_execnz .LBB15_3804
.LBB15_1754:
	s_or_b64 exec, exec, s[6:7]
	s_and_saveexec_b64 s[6:7], s[4:5]
	s_cbranch_execz .LBB15_1756
.LBB15_1755:
	v_bfe_u32 v2, v8, 24, 3
	v_ffbh_u32_e32 v12, v2
	v_min_u32_e32 v12, 32, v12
	v_lshrrev_b32_e32 v6, 27, v8
	v_subrev_u32_e32 v13, 28, v12
	v_and_b32_e32 v3, 0x80000000, v8
	v_and_b32_e32 v6, 15, v6
	v_bfe_u32 v7, v8, 27, 4
	v_lshlrev_b32_sdwa v8, v13, v8 dst_sel:DWORD dst_unused:UNUSED_PAD src0_sel:DWORD src1_sel:BYTE_3
	v_sub_u32_e32 v12, 29, v12
	v_and_b32_e32 v8, 7, v8
	v_cmp_eq_u16_e32 vcc, 0, v6
	v_cndmask_b32_e32 v2, v2, v8, vcc
	v_cndmask_b32_e32 v6, v7, v12, vcc
	v_mov_b32_e32 v7, 0x3b800000
	v_lshlrev_b32_e32 v2, 20, v2
	v_lshl_add_u32 v6, v6, 23, v7
	v_or3_b32 v2, v3, v6, v2
.LBB15_1756:
	s_or_b64 exec, exec, s[6:7]
	s_movk_i32 s4, 0x7f
	v_cmp_gt_i16_sdwa s[6:7], v4, s4 src0_sel:BYTE_3 src1_sel:DWORD
	s_mov_b64 s[4:5], 0
                                        ; implicit-def: $sgpr10
	s_and_saveexec_b64 s[8:9], s[6:7]
	s_xor_b64 s[6:7], exec, s[8:9]
	s_cbranch_execnz .LBB15_3805
; %bb.1757:
	s_or_saveexec_b64 s[6:7], s[6:7]
	v_mov_b32_e32 v3, s10
	s_xor_b64 exec, exec, s[6:7]
	s_cbranch_execnz .LBB15_3808
.LBB15_1758:
	s_or_b64 exec, exec, s[6:7]
	s_and_saveexec_b64 s[6:7], s[4:5]
	s_cbranch_execz .LBB15_1760
.LBB15_1759:
	v_bfe_u32 v3, v4, 24, 3
	v_ffbh_u32_e32 v12, v3
	v_min_u32_e32 v12, 32, v12
	v_lshrrev_b32_e32 v7, 27, v4
	v_subrev_u32_e32 v13, 28, v12
	v_and_b32_e32 v6, 0x80000000, v4
	v_and_b32_e32 v7, 15, v7
	v_bfe_u32 v8, v4, 27, 4
	v_lshlrev_b32_sdwa v4, v13, v4 dst_sel:DWORD dst_unused:UNUSED_PAD src0_sel:DWORD src1_sel:BYTE_3
	v_sub_u32_e32 v12, 29, v12
	v_and_b32_e32 v4, 7, v4
	v_cmp_eq_u16_e32 vcc, 0, v7
	v_cndmask_b32_e32 v3, v3, v4, vcc
	v_cndmask_b32_e32 v4, v8, v12, vcc
	v_mov_b32_e32 v7, 0x3b800000
	v_lshlrev_b32_e32 v3, 20, v3
	v_lshl_add_u32 v4, v4, 23, v7
	v_or3_b32 v3, v6, v4, v3
.LBB15_1760:
	s_or_b64 exec, exec, s[6:7]
	s_nop 0
	v_mfma_f32_16x16x4f32 a[0:3], v2, v3, a[0:3]
	s_movk_i32 s4, 0x7f
	v_cmp_gt_i16_sdwa s[6:7], v9, s4 src0_sel:BYTE_0 src1_sel:DWORD
	s_mov_b64 s[4:5], 0
                                        ; implicit-def: $sgpr10
	s_and_saveexec_b64 s[8:9], s[6:7]
	s_xor_b64 s[6:7], exec, s[8:9]
	s_cbranch_execnz .LBB15_3809
; %bb.1761:
	s_or_saveexec_b64 s[6:7], s[6:7]
	v_mov_b32_e32 v2, s10
	s_xor_b64 exec, exec, s[6:7]
	s_cbranch_execnz .LBB15_3812
.LBB15_1762:
	s_or_b64 exec, exec, s[6:7]
	s_and_saveexec_b64 s[6:7], s[4:5]
	s_cbranch_execz .LBB15_1764
.LBB15_1763:
	v_mov_b32_e32 v2, 8
	v_and_b32_e32 v3, 7, v9
	v_lshrrev_b32_sdwa v2, v2, v9 dst_sel:BYTE_1 dst_unused:UNUSED_PAD src0_sel:DWORD src1_sel:DWORD
	v_ffbh_u32_e32 v4, v3
	v_or_b32_sdwa v2, v9, v2 dst_sel:DWORD dst_unused:UNUSED_PAD src0_sel:BYTE_0 src1_sel:DWORD
	v_min_u32_e32 v4, 32, v4
	v_lshrrev_b16_e32 v2, 3, v2
	v_subrev_u32_e32 v6, 28, v4
	v_and_b32_e32 v2, 15, v2
	v_lshlrev_b32_e32 v6, v6, v9
	v_sub_u32_e32 v4, 29, v4
	v_and_b32_e32 v6, 7, v6
	v_cmp_eq_u16_e32 vcc, 0, v2
	v_cndmask_b32_e32 v3, v3, v6, vcc
	v_cndmask_b32_e32 v2, v2, v4, vcc
	v_lshlrev_b32_e32 v4, 24, v9
	v_mov_b32_e32 v6, 0x3b800000
	v_lshlrev_b32_e32 v3, 20, v3
	v_and_b32_e32 v4, 0x80000000, v4
	v_lshl_add_u32 v2, v2, 23, v6
	v_or3_b32 v2, v4, v2, v3
.LBB15_1764:
	s_or_b64 exec, exec, s[6:7]
	s_movk_i32 s4, 0x7f
	v_cmp_gt_i16_sdwa s[6:7], v5, s4 src0_sel:BYTE_0 src1_sel:DWORD
	s_mov_b64 s[4:5], 0
                                        ; implicit-def: $sgpr10
	s_and_saveexec_b64 s[8:9], s[6:7]
	s_xor_b64 s[6:7], exec, s[8:9]
	s_cbranch_execnz .LBB15_3813
; %bb.1765:
	s_or_saveexec_b64 s[6:7], s[6:7]
	v_mov_b32_e32 v3, s10
	s_xor_b64 exec, exec, s[6:7]
	s_cbranch_execnz .LBB15_3816
.LBB15_1766:
	s_or_b64 exec, exec, s[6:7]
	s_and_saveexec_b64 s[6:7], s[4:5]
	s_cbranch_execz .LBB15_1768
.LBB15_1767:
	v_mov_b32_e32 v3, 8
	v_and_b32_e32 v4, 7, v5
	v_lshrrev_b32_sdwa v3, v3, v5 dst_sel:BYTE_1 dst_unused:UNUSED_PAD src0_sel:DWORD src1_sel:DWORD
	v_ffbh_u32_e32 v6, v4
	v_or_b32_sdwa v3, v5, v3 dst_sel:DWORD dst_unused:UNUSED_PAD src0_sel:BYTE_0 src1_sel:DWORD
	v_min_u32_e32 v6, 32, v6
	v_lshrrev_b16_e32 v3, 3, v3
	v_subrev_u32_e32 v7, 28, v6
	v_and_b32_e32 v3, 15, v3
	v_lshlrev_b32_e32 v7, v7, v5
	v_sub_u32_e32 v6, 29, v6
	v_and_b32_e32 v7, 7, v7
	v_cmp_eq_u16_e32 vcc, 0, v3
	v_cndmask_b32_e32 v4, v4, v7, vcc
	v_cndmask_b32_e32 v3, v3, v6, vcc
	v_lshlrev_b32_e32 v6, 24, v5
	v_mov_b32_e32 v7, 0x3b800000
	v_lshlrev_b32_e32 v4, 20, v4
	v_and_b32_e32 v6, 0x80000000, v6
	v_lshl_add_u32 v3, v3, 23, v7
	v_or3_b32 v3, v6, v3, v4
.LBB15_1768:
	s_or_b64 exec, exec, s[6:7]
	s_nop 0
	v_mfma_f32_16x16x4f32 a[0:3], v2, v3, a[0:3]
	v_lshrrev_b32_e32 v3, 8, v9
	s_movk_i32 s4, 0x7f
	v_cmp_gt_i16_sdwa s[6:7], v3, s4 src0_sel:BYTE_0 src1_sel:DWORD
	s_mov_b64 s[4:5], 0
                                        ; implicit-def: $sgpr10
	s_and_saveexec_b64 s[8:9], s[6:7]
	s_xor_b64 s[6:7], exec, s[8:9]
	s_cbranch_execnz .LBB15_3817
; %bb.1769:
	s_or_saveexec_b64 s[6:7], s[6:7]
	v_mov_b32_e32 v2, s10
	s_xor_b64 exec, exec, s[6:7]
	s_cbranch_execnz .LBB15_3820
.LBB15_1770:
	s_or_b64 exec, exec, s[6:7]
	s_and_saveexec_b64 s[6:7], s[4:5]
	s_cbranch_execz .LBB15_1772
.LBB15_1771:
	v_bfe_u32 v2, v9, 8, 3
	v_ffbh_u32_e32 v6, v2
	v_min_u32_e32 v6, 32, v6
	v_lshrrev_b16_e32 v4, 3, v3
	v_subrev_u32_e32 v7, 28, v6
	v_and_b32_e32 v4, 15, v4
	v_lshlrev_b32_e32 v3, v7, v3
	v_sub_u32_e32 v6, 29, v6
	v_and_b32_e32 v3, 7, v3
	v_cmp_eq_u16_e32 vcc, 0, v4
	v_cndmask_b32_e32 v2, v2, v3, vcc
	v_cndmask_b32_e32 v3, v4, v6, vcc
	v_lshlrev_b32_e32 v4, 16, v9
	v_mov_b32_e32 v6, 0x3b800000
	v_lshlrev_b32_e32 v2, 20, v2
	v_and_b32_e32 v4, 0x80000000, v4
	v_lshl_add_u32 v3, v3, 23, v6
	v_or3_b32 v2, v4, v3, v2
.LBB15_1772:
	s_or_b64 exec, exec, s[6:7]
	v_lshrrev_b32_e32 v3, 8, v5
	s_movk_i32 s4, 0x7f
	v_cmp_gt_i16_sdwa s[6:7], v3, s4 src0_sel:BYTE_0 src1_sel:DWORD
	s_mov_b64 s[4:5], 0
                                        ; implicit-def: $sgpr10
	s_and_saveexec_b64 s[8:9], s[6:7]
	s_xor_b64 s[6:7], exec, s[8:9]
	s_cbranch_execnz .LBB15_3821
; %bb.1773:
	s_or_saveexec_b64 s[6:7], s[6:7]
	v_mov_b32_e32 v4, s10
	s_xor_b64 exec, exec, s[6:7]
	s_cbranch_execnz .LBB15_3824
.LBB15_1774:
	s_or_b64 exec, exec, s[6:7]
	s_and_saveexec_b64 s[6:7], s[4:5]
	s_cbranch_execz .LBB15_1776
.LBB15_1775:
	v_bfe_u32 v4, v5, 8, 3
	v_ffbh_u32_e32 v7, v4
	v_min_u32_e32 v7, 32, v7
	v_lshrrev_b16_e32 v6, 3, v3
	v_subrev_u32_e32 v8, 28, v7
	v_and_b32_e32 v6, 15, v6
	v_lshlrev_b32_e32 v3, v8, v3
	v_sub_u32_e32 v7, 29, v7
	v_and_b32_e32 v3, 7, v3
	v_cmp_eq_u16_e32 vcc, 0, v6
	v_cndmask_b32_e32 v3, v4, v3, vcc
	v_cndmask_b32_e32 v4, v6, v7, vcc
	v_lshlrev_b32_e32 v6, 16, v5
	v_mov_b32_e32 v7, 0x3b800000
	v_lshlrev_b32_e32 v3, 20, v3
	v_and_b32_e32 v6, 0x80000000, v6
	v_lshl_add_u32 v4, v4, 23, v7
	v_or3_b32 v4, v6, v4, v3
.LBB15_1776:
	s_or_b64 exec, exec, s[6:7]
	s_nop 0
	v_mfma_f32_16x16x4f32 a[0:3], v2, v4, a[0:3]
	s_movk_i32 s4, 0xff
	v_and_b32_sdwa v3, v9, s4 dst_sel:DWORD dst_unused:UNUSED_PAD src0_sel:WORD_1 src1_sel:DWORD
	s_movk_i32 s4, 0x7f
	v_cmp_lt_i16_e32 vcc, s4, v3
	s_mov_b64 s[4:5], 0
                                        ; implicit-def: $sgpr10
	s_and_saveexec_b64 s[6:7], vcc
	s_xor_b64 s[6:7], exec, s[6:7]
	s_cbranch_execnz .LBB15_3825
; %bb.1777:
	s_or_saveexec_b64 s[6:7], s[6:7]
	v_mov_b32_e32 v2, s10
	s_xor_b64 exec, exec, s[6:7]
	s_cbranch_execnz .LBB15_3828
.LBB15_1778:
	s_or_b64 exec, exec, s[6:7]
	s_and_saveexec_b64 s[6:7], s[4:5]
	s_cbranch_execz .LBB15_1780
.LBB15_1779:
	v_bfe_u32 v2, v9, 16, 3
	v_ffbh_u32_e32 v6, v2
	v_min_u32_e32 v6, 32, v6
	v_lshrrev_b32_e32 v3, 19, v9
	v_subrev_u32_e32 v7, 28, v6
	v_and_b32_e32 v3, 15, v3
	v_lshlrev_b32_sdwa v7, v7, v9 dst_sel:DWORD dst_unused:UNUSED_PAD src0_sel:DWORD src1_sel:WORD_1
	v_bfe_u32 v4, v9, 19, 4
	v_sub_u32_e32 v6, 29, v6
	v_and_b32_e32 v7, 7, v7
	v_cmp_eq_u16_e32 vcc, 0, v3
	v_cndmask_b32_e32 v2, v2, v7, vcc
	v_cndmask_b32_e32 v3, v4, v6, vcc
	v_lshlrev_b32_e32 v4, 8, v9
	v_mov_b32_e32 v6, 0x3b800000
	v_lshlrev_b32_e32 v2, 20, v2
	v_and_b32_e32 v4, 0x80000000, v4
	v_lshl_add_u32 v3, v3, 23, v6
	v_or3_b32 v2, v4, v3, v2
.LBB15_1780:
	s_or_b64 exec, exec, s[6:7]
	s_movk_i32 s4, 0xff
	v_and_b32_sdwa v3, v5, s4 dst_sel:DWORD dst_unused:UNUSED_PAD src0_sel:WORD_1 src1_sel:DWORD
	s_movk_i32 s4, 0x7f
	v_cmp_lt_i16_e32 vcc, s4, v3
	s_mov_b64 s[4:5], 0
                                        ; implicit-def: $sgpr10
	s_and_saveexec_b64 s[6:7], vcc
	s_xor_b64 s[6:7], exec, s[6:7]
	s_cbranch_execnz .LBB15_3829
; %bb.1781:
	s_or_saveexec_b64 s[6:7], s[6:7]
	v_mov_b32_e32 v4, s10
	s_xor_b64 exec, exec, s[6:7]
	s_cbranch_execnz .LBB15_3832
.LBB15_1782:
	s_or_b64 exec, exec, s[6:7]
	s_and_saveexec_b64 s[6:7], s[4:5]
	s_cbranch_execz .LBB15_1784
.LBB15_1783:
	v_bfe_u32 v3, v5, 16, 3
	v_ffbh_u32_e32 v7, v3
	v_min_u32_e32 v7, 32, v7
	v_lshrrev_b32_e32 v4, 19, v5
	v_subrev_u32_e32 v8, 28, v7
	v_and_b32_e32 v4, 15, v4
	v_lshlrev_b32_sdwa v8, v8, v5 dst_sel:DWORD dst_unused:UNUSED_PAD src0_sel:DWORD src1_sel:WORD_1
	v_bfe_u32 v6, v5, 19, 4
	v_sub_u32_e32 v7, 29, v7
	v_and_b32_e32 v8, 7, v8
	v_cmp_eq_u16_e32 vcc, 0, v4
	v_cndmask_b32_e32 v3, v3, v8, vcc
	v_cndmask_b32_e32 v4, v6, v7, vcc
	v_lshlrev_b32_e32 v6, 8, v5
	v_mov_b32_e32 v7, 0x3b800000
	v_lshlrev_b32_e32 v3, 20, v3
	v_and_b32_e32 v6, 0x80000000, v6
	v_lshl_add_u32 v4, v4, 23, v7
	v_or3_b32 v4, v6, v4, v3
.LBB15_1784:
	s_or_b64 exec, exec, s[6:7]
	s_nop 0
	v_mfma_f32_16x16x4f32 a[0:3], v2, v4, a[0:3]
	s_movk_i32 s4, 0x7f
	v_cmp_gt_i16_sdwa s[6:7], v9, s4 src0_sel:BYTE_3 src1_sel:DWORD
	s_mov_b64 s[4:5], 0
                                        ; implicit-def: $sgpr10
	s_and_saveexec_b64 s[8:9], s[6:7]
	s_xor_b64 s[6:7], exec, s[8:9]
	s_cbranch_execnz .LBB15_3833
; %bb.1785:
	s_or_saveexec_b64 s[6:7], s[6:7]
	v_mov_b32_e32 v2, s10
	s_xor_b64 exec, exec, s[6:7]
	s_cbranch_execnz .LBB15_3836
.LBB15_1786:
	s_or_b64 exec, exec, s[6:7]
	s_and_saveexec_b64 s[6:7], s[4:5]
	s_cbranch_execz .LBB15_1788
.LBB15_1787:
	v_bfe_u32 v2, v9, 24, 3
	v_ffbh_u32_e32 v7, v2
	v_min_u32_e32 v7, 32, v7
	v_lshrrev_b32_e32 v4, 27, v9
	v_subrev_u32_e32 v8, 28, v7
	v_and_b32_e32 v4, 15, v4
	v_lshlrev_b32_sdwa v8, v8, v9 dst_sel:DWORD dst_unused:UNUSED_PAD src0_sel:DWORD src1_sel:BYTE_3
	v_bfe_u32 v6, v9, 27, 4
	v_sub_u32_e32 v7, 29, v7
	v_and_b32_e32 v8, 7, v8
	v_cmp_eq_u16_e32 vcc, 0, v4
	v_cndmask_b32_e32 v2, v2, v8, vcc
	v_cndmask_b32_e32 v4, v6, v7, vcc
	v_mov_b32_e32 v6, 0x3b800000
	v_and_b32_e32 v3, 0x80000000, v9
	v_lshlrev_b32_e32 v2, 20, v2
	v_lshl_add_u32 v4, v4, 23, v6
	v_or3_b32 v2, v3, v4, v2
.LBB15_1788:
	s_or_b64 exec, exec, s[6:7]
	s_movk_i32 s4, 0x7f
	v_cmp_gt_i16_sdwa s[6:7], v5, s4 src0_sel:BYTE_3 src1_sel:DWORD
	s_mov_b64 s[4:5], 0
                                        ; implicit-def: $sgpr10
	s_and_saveexec_b64 s[8:9], s[6:7]
	s_xor_b64 s[6:7], exec, s[8:9]
	s_cbranch_execnz .LBB15_3837
; %bb.1789:
	s_or_saveexec_b64 s[6:7], s[6:7]
	v_mov_b32_e32 v3, s10
	s_xor_b64 exec, exec, s[6:7]
	s_cbranch_execnz .LBB15_3840
.LBB15_1790:
	s_or_b64 exec, exec, s[6:7]
	s_and_saveexec_b64 s[6:7], s[4:5]
	s_cbranch_execz .LBB15_1792
.LBB15_1791:
	v_bfe_u32 v3, v5, 24, 3
	v_ffbh_u32_e32 v8, v3
	v_min_u32_e32 v8, 32, v8
	v_lshrrev_b32_e32 v6, 27, v5
	v_subrev_u32_e32 v9, 28, v8
	v_and_b32_e32 v4, 0x80000000, v5
	v_and_b32_e32 v6, 15, v6
	v_bfe_u32 v7, v5, 27, 4
	v_lshlrev_b32_sdwa v5, v9, v5 dst_sel:DWORD dst_unused:UNUSED_PAD src0_sel:DWORD src1_sel:BYTE_3
	v_sub_u32_e32 v8, 29, v8
	v_and_b32_e32 v5, 7, v5
	v_cmp_eq_u16_e32 vcc, 0, v6
	v_cndmask_b32_e32 v3, v3, v5, vcc
	v_cndmask_b32_e32 v5, v7, v8, vcc
	v_mov_b32_e32 v6, 0x3b800000
	v_lshlrev_b32_e32 v3, 20, v3
	v_lshl_add_u32 v5, v5, 23, v6
	v_or3_b32 v3, v4, v5, v3
.LBB15_1792:
	s_or_b64 exec, exec, s[6:7]
	s_nop 0
	v_mfma_f32_16x16x4f32 a[0:3], v2, v3, a[0:3]
	s_movk_i32 s4, 0x7f
                                        ; implicit-def: $sgpr10
	s_nop 7
	s_nop 1
	flat_store_dwordx4 v[10:11], a[0:3] offset:208
	flat_load_dwordx4 v[12:15], v[0:1] offset:8
	s_nop 0
	flat_load_dwordx2 v[10:11], v[0:1] offset:32
	s_waitcnt vmcnt(0) lgkmcnt(0)
	flat_load_dwordx4 v[6:9], v[12:13] offset:112
	flat_load_dwordx4 v[2:5], v[14:15] offset:80
	s_waitcnt vmcnt(0) lgkmcnt(0)
	v_cmp_gt_i16_sdwa s[6:7], v6, s4 src0_sel:BYTE_0 src1_sel:DWORD
	s_mov_b64 s[4:5], 0
	s_and_saveexec_b64 s[8:9], s[6:7]
	s_xor_b64 s[6:7], exec, s[8:9]
	s_cbranch_execnz .LBB15_3841
; %bb.1793:
	s_or_saveexec_b64 s[6:7], s[6:7]
	v_mov_b32_e32 v12, s10
	s_xor_b64 exec, exec, s[6:7]
	s_cbranch_execnz .LBB15_3844
.LBB15_1794:
	s_or_b64 exec, exec, s[6:7]
	s_and_saveexec_b64 s[6:7], s[4:5]
	s_cbranch_execz .LBB15_1796
.LBB15_1795:
	v_and_b32_e32 v12, 7, v6
	v_ffbh_u32_e32 v14, v12
	v_min_u32_e32 v14, 32, v14
	v_lshrrev_b16_e32 v13, 3, v6
	v_subrev_u32_e32 v15, 28, v14
	v_and_b32_e32 v13, 15, v13
	v_lshlrev_b32_e32 v15, v15, v6
	v_sub_u32_e32 v14, 29, v14
	v_and_b32_e32 v15, 7, v15
	v_cmp_eq_u16_e32 vcc, 0, v13
	v_cndmask_b32_e32 v12, v12, v15, vcc
	v_cndmask_b32_e32 v13, v13, v14, vcc
	v_lshlrev_b32_e32 v14, 24, v6
	v_mov_b32_e32 v15, 0x3b800000
	v_lshlrev_b32_e32 v12, 20, v12
	v_and_b32_e32 v14, 0x80000000, v14
	v_lshl_add_u32 v13, v13, 23, v15
	v_or3_b32 v12, v14, v13, v12
.LBB15_1796:
	s_or_b64 exec, exec, s[6:7]
	s_movk_i32 s4, 0x7f
	v_cmp_gt_i16_sdwa s[6:7], v2, s4 src0_sel:BYTE_0 src1_sel:DWORD
	s_mov_b64 s[4:5], 0
                                        ; implicit-def: $sgpr10
	s_and_saveexec_b64 s[8:9], s[6:7]
	s_xor_b64 s[6:7], exec, s[8:9]
	s_cbranch_execnz .LBB15_3845
; %bb.1797:
	s_or_saveexec_b64 s[6:7], s[6:7]
	v_mov_b32_e32 v13, s10
	s_xor_b64 exec, exec, s[6:7]
	s_cbranch_execnz .LBB15_3848
.LBB15_1798:
	s_or_b64 exec, exec, s[6:7]
	s_and_saveexec_b64 s[6:7], s[4:5]
	s_cbranch_execz .LBB15_1800
.LBB15_1799:
	v_and_b32_e32 v13, 7, v2
	v_ffbh_u32_e32 v15, v13
	v_min_u32_e32 v15, 32, v15
	v_lshrrev_b16_e32 v14, 3, v2
	v_subrev_u32_e32 v16, 28, v15
	v_and_b32_e32 v14, 15, v14
	v_lshlrev_b32_e32 v16, v16, v2
	v_sub_u32_e32 v15, 29, v15
	v_and_b32_e32 v16, 7, v16
	v_cmp_eq_u16_e32 vcc, 0, v14
	v_cndmask_b32_e32 v13, v13, v16, vcc
	v_cndmask_b32_e32 v14, v14, v15, vcc
	v_lshlrev_b32_e32 v15, 24, v2
	v_mov_b32_e32 v16, 0x3b800000
	v_lshlrev_b32_e32 v13, 20, v13
	v_and_b32_e32 v15, 0x80000000, v15
	v_lshl_add_u32 v14, v14, 23, v16
	v_or3_b32 v13, v15, v14, v13
.LBB15_1800:
	s_or_b64 exec, exec, s[6:7]
	flat_load_dwordx4 a[0:3], v[10:11] offset:224
	s_movk_i32 s4, 0x7f
                                        ; implicit-def: $sgpr10
	s_waitcnt vmcnt(0) lgkmcnt(0)
	v_mfma_f32_16x16x4f32 a[0:3], v12, v13, a[0:3]
	v_lshrrev_b32_e32 v13, 8, v6
	v_cmp_gt_i16_sdwa s[6:7], v13, s4 src0_sel:BYTE_0 src1_sel:DWORD
	s_mov_b64 s[4:5], 0
	s_and_saveexec_b64 s[8:9], s[6:7]
	s_xor_b64 s[6:7], exec, s[8:9]
	s_cbranch_execnz .LBB15_3849
; %bb.1801:
	s_or_saveexec_b64 s[6:7], s[6:7]
	v_mov_b32_e32 v12, s10
	s_xor_b64 exec, exec, s[6:7]
	s_cbranch_execnz .LBB15_3852
.LBB15_1802:
	s_or_b64 exec, exec, s[6:7]
	s_and_saveexec_b64 s[6:7], s[4:5]
	s_cbranch_execz .LBB15_1804
.LBB15_1803:
	v_bfe_u32 v12, v6, 8, 3
	v_ffbh_u32_e32 v15, v12
	v_min_u32_e32 v15, 32, v15
	v_lshrrev_b16_e32 v14, 3, v13
	v_subrev_u32_e32 v16, 28, v15
	v_and_b32_e32 v14, 15, v14
	v_lshlrev_b32_e32 v13, v16, v13
	v_sub_u32_e32 v15, 29, v15
	v_and_b32_e32 v13, 7, v13
	v_cmp_eq_u16_e32 vcc, 0, v14
	v_cndmask_b32_e32 v12, v12, v13, vcc
	v_cndmask_b32_e32 v13, v14, v15, vcc
	v_lshlrev_b32_e32 v14, 16, v6
	v_mov_b32_e32 v15, 0x3b800000
	v_lshlrev_b32_e32 v12, 20, v12
	v_and_b32_e32 v14, 0x80000000, v14
	v_lshl_add_u32 v13, v13, 23, v15
	v_or3_b32 v12, v14, v13, v12
.LBB15_1804:
	s_or_b64 exec, exec, s[6:7]
	v_lshrrev_b32_e32 v13, 8, v2
	s_movk_i32 s4, 0x7f
	v_cmp_gt_i16_sdwa s[6:7], v13, s4 src0_sel:BYTE_0 src1_sel:DWORD
	s_mov_b64 s[4:5], 0
                                        ; implicit-def: $sgpr10
	s_and_saveexec_b64 s[8:9], s[6:7]
	s_xor_b64 s[6:7], exec, s[8:9]
	s_cbranch_execnz .LBB15_3853
; %bb.1805:
	s_or_saveexec_b64 s[6:7], s[6:7]
	v_mov_b32_e32 v14, s10
	s_xor_b64 exec, exec, s[6:7]
	s_cbranch_execnz .LBB15_3856
.LBB15_1806:
	s_or_b64 exec, exec, s[6:7]
	s_and_saveexec_b64 s[6:7], s[4:5]
	s_cbranch_execz .LBB15_1808
.LBB15_1807:
	v_bfe_u32 v14, v2, 8, 3
	v_ffbh_u32_e32 v16, v14
	v_min_u32_e32 v16, 32, v16
	v_lshrrev_b16_e32 v15, 3, v13
	v_subrev_u32_e32 v17, 28, v16
	v_and_b32_e32 v15, 15, v15
	v_lshlrev_b32_e32 v13, v17, v13
	v_sub_u32_e32 v16, 29, v16
	v_and_b32_e32 v13, 7, v13
	v_cmp_eq_u16_e32 vcc, 0, v15
	v_cndmask_b32_e32 v13, v14, v13, vcc
	v_cndmask_b32_e32 v14, v15, v16, vcc
	v_lshlrev_b32_e32 v15, 16, v2
	v_mov_b32_e32 v16, 0x3b800000
	v_lshlrev_b32_e32 v13, 20, v13
	v_and_b32_e32 v15, 0x80000000, v15
	v_lshl_add_u32 v14, v14, 23, v16
	v_or3_b32 v14, v15, v14, v13
.LBB15_1808:
	s_or_b64 exec, exec, s[6:7]
	s_nop 0
	v_mfma_f32_16x16x4f32 a[0:3], v12, v14, a[0:3]
	s_movk_i32 s4, 0xff
	v_and_b32_sdwa v13, v6, s4 dst_sel:DWORD dst_unused:UNUSED_PAD src0_sel:WORD_1 src1_sel:DWORD
	s_movk_i32 s4, 0x7f
	v_cmp_lt_i16_e32 vcc, s4, v13
	s_mov_b64 s[4:5], 0
                                        ; implicit-def: $sgpr10
	s_and_saveexec_b64 s[6:7], vcc
	s_xor_b64 s[6:7], exec, s[6:7]
	s_cbranch_execnz .LBB15_3857
; %bb.1809:
	s_or_saveexec_b64 s[6:7], s[6:7]
	v_mov_b32_e32 v12, s10
	s_xor_b64 exec, exec, s[6:7]
	s_cbranch_execnz .LBB15_3860
.LBB15_1810:
	s_or_b64 exec, exec, s[6:7]
	s_and_saveexec_b64 s[6:7], s[4:5]
	s_cbranch_execz .LBB15_1812
.LBB15_1811:
	v_bfe_u32 v12, v6, 16, 3
	v_ffbh_u32_e32 v15, v12
	v_min_u32_e32 v15, 32, v15
	v_lshrrev_b32_e32 v13, 19, v6
	v_subrev_u32_e32 v16, 28, v15
	v_and_b32_e32 v13, 15, v13
	v_lshlrev_b32_sdwa v16, v16, v6 dst_sel:DWORD dst_unused:UNUSED_PAD src0_sel:DWORD src1_sel:WORD_1
	v_bfe_u32 v14, v6, 19, 4
	v_sub_u32_e32 v15, 29, v15
	v_and_b32_e32 v16, 7, v16
	v_cmp_eq_u16_e32 vcc, 0, v13
	v_cndmask_b32_e32 v12, v12, v16, vcc
	v_cndmask_b32_e32 v13, v14, v15, vcc
	v_lshlrev_b32_e32 v14, 8, v6
	v_mov_b32_e32 v15, 0x3b800000
	v_lshlrev_b32_e32 v12, 20, v12
	v_and_b32_e32 v14, 0x80000000, v14
	v_lshl_add_u32 v13, v13, 23, v15
	v_or3_b32 v12, v14, v13, v12
.LBB15_1812:
	s_or_b64 exec, exec, s[6:7]
	s_movk_i32 s4, 0xff
	v_and_b32_sdwa v13, v2, s4 dst_sel:DWORD dst_unused:UNUSED_PAD src0_sel:WORD_1 src1_sel:DWORD
	s_movk_i32 s4, 0x7f
	v_cmp_lt_i16_e32 vcc, s4, v13
	s_mov_b64 s[4:5], 0
                                        ; implicit-def: $sgpr10
	s_and_saveexec_b64 s[6:7], vcc
	s_xor_b64 s[6:7], exec, s[6:7]
	s_cbranch_execnz .LBB15_3861
; %bb.1813:
	s_or_saveexec_b64 s[6:7], s[6:7]
	v_mov_b32_e32 v14, s10
	s_xor_b64 exec, exec, s[6:7]
	s_cbranch_execnz .LBB15_3864
.LBB15_1814:
	s_or_b64 exec, exec, s[6:7]
	s_and_saveexec_b64 s[6:7], s[4:5]
	s_cbranch_execz .LBB15_1816
.LBB15_1815:
	v_bfe_u32 v13, v2, 16, 3
	v_ffbh_u32_e32 v16, v13
	v_min_u32_e32 v16, 32, v16
	v_lshrrev_b32_e32 v14, 19, v2
	v_subrev_u32_e32 v17, 28, v16
	v_and_b32_e32 v14, 15, v14
	v_lshlrev_b32_sdwa v17, v17, v2 dst_sel:DWORD dst_unused:UNUSED_PAD src0_sel:DWORD src1_sel:WORD_1
	v_bfe_u32 v15, v2, 19, 4
	v_sub_u32_e32 v16, 29, v16
	v_and_b32_e32 v17, 7, v17
	v_cmp_eq_u16_e32 vcc, 0, v14
	v_cndmask_b32_e32 v13, v13, v17, vcc
	v_cndmask_b32_e32 v14, v15, v16, vcc
	v_lshlrev_b32_e32 v15, 8, v2
	v_mov_b32_e32 v16, 0x3b800000
	v_lshlrev_b32_e32 v13, 20, v13
	v_and_b32_e32 v15, 0x80000000, v15
	v_lshl_add_u32 v14, v14, 23, v16
	v_or3_b32 v14, v15, v14, v13
.LBB15_1816:
	s_or_b64 exec, exec, s[6:7]
	s_nop 0
	v_mfma_f32_16x16x4f32 a[0:3], v12, v14, a[0:3]
	s_movk_i32 s4, 0x7f
	v_cmp_gt_i16_sdwa s[6:7], v6, s4 src0_sel:BYTE_3 src1_sel:DWORD
	s_mov_b64 s[4:5], 0
                                        ; implicit-def: $sgpr10
	s_and_saveexec_b64 s[8:9], s[6:7]
	s_xor_b64 s[6:7], exec, s[8:9]
	s_cbranch_execnz .LBB15_3865
; %bb.1817:
	s_or_saveexec_b64 s[6:7], s[6:7]
	v_mov_b32_e32 v12, s10
	s_xor_b64 exec, exec, s[6:7]
	s_cbranch_execnz .LBB15_3868
.LBB15_1818:
	s_or_b64 exec, exec, s[6:7]
	s_and_saveexec_b64 s[6:7], s[4:5]
	s_cbranch_execz .LBB15_1820
.LBB15_1819:
	v_bfe_u32 v12, v6, 24, 3
	v_ffbh_u32_e32 v16, v12
	v_min_u32_e32 v16, 32, v16
	v_lshrrev_b32_e32 v14, 27, v6
	v_subrev_u32_e32 v17, 28, v16
	v_and_b32_e32 v13, 0x80000000, v6
	v_and_b32_e32 v14, 15, v14
	v_bfe_u32 v15, v6, 27, 4
	v_lshlrev_b32_sdwa v6, v17, v6 dst_sel:DWORD dst_unused:UNUSED_PAD src0_sel:DWORD src1_sel:BYTE_3
	v_sub_u32_e32 v16, 29, v16
	v_and_b32_e32 v6, 7, v6
	v_cmp_eq_u16_e32 vcc, 0, v14
	v_cndmask_b32_e32 v6, v12, v6, vcc
	v_cndmask_b32_e32 v12, v15, v16, vcc
	v_mov_b32_e32 v14, 0x3b800000
	v_lshlrev_b32_e32 v6, 20, v6
	v_lshl_add_u32 v12, v12, 23, v14
	v_or3_b32 v12, v13, v12, v6
.LBB15_1820:
	s_or_b64 exec, exec, s[6:7]
	s_movk_i32 s4, 0x7f
	v_cmp_gt_i16_sdwa s[6:7], v2, s4 src0_sel:BYTE_3 src1_sel:DWORD
	s_mov_b64 s[4:5], 0
                                        ; implicit-def: $sgpr10
	s_and_saveexec_b64 s[8:9], s[6:7]
	s_xor_b64 s[6:7], exec, s[8:9]
	s_cbranch_execnz .LBB15_3869
; %bb.1821:
	s_or_saveexec_b64 s[6:7], s[6:7]
	v_mov_b32_e32 v6, s10
	s_xor_b64 exec, exec, s[6:7]
	s_cbranch_execnz .LBB15_3872
.LBB15_1822:
	s_or_b64 exec, exec, s[6:7]
	s_and_saveexec_b64 s[6:7], s[4:5]
	s_cbranch_execz .LBB15_1824
.LBB15_1823:
	v_bfe_u32 v6, v2, 24, 3
	v_ffbh_u32_e32 v16, v6
	v_min_u32_e32 v16, 32, v16
	v_lshrrev_b32_e32 v14, 27, v2
	v_subrev_u32_e32 v17, 28, v16
	v_and_b32_e32 v13, 0x80000000, v2
	v_and_b32_e32 v14, 15, v14
	v_bfe_u32 v15, v2, 27, 4
	v_lshlrev_b32_sdwa v2, v17, v2 dst_sel:DWORD dst_unused:UNUSED_PAD src0_sel:DWORD src1_sel:BYTE_3
	v_sub_u32_e32 v16, 29, v16
	v_and_b32_e32 v2, 7, v2
	v_cmp_eq_u16_e32 vcc, 0, v14
	v_cndmask_b32_e32 v2, v6, v2, vcc
	v_cndmask_b32_e32 v6, v15, v16, vcc
	v_mov_b32_e32 v14, 0x3b800000
	v_lshlrev_b32_e32 v2, 20, v2
	v_lshl_add_u32 v6, v6, 23, v14
	v_or3_b32 v6, v13, v6, v2
.LBB15_1824:
	s_or_b64 exec, exec, s[6:7]
	s_nop 0
	v_mfma_f32_16x16x4f32 a[0:3], v12, v6, a[0:3]
	s_movk_i32 s4, 0x7f
	v_cmp_gt_i16_sdwa s[6:7], v7, s4 src0_sel:BYTE_0 src1_sel:DWORD
	s_mov_b64 s[4:5], 0
                                        ; implicit-def: $sgpr10
	s_and_saveexec_b64 s[8:9], s[6:7]
	s_xor_b64 s[6:7], exec, s[8:9]
	s_cbranch_execnz .LBB15_3873
; %bb.1825:
	s_or_saveexec_b64 s[6:7], s[6:7]
	v_mov_b32_e32 v2, s10
	s_xor_b64 exec, exec, s[6:7]
	s_cbranch_execnz .LBB15_3876
.LBB15_1826:
	s_or_b64 exec, exec, s[6:7]
	s_and_saveexec_b64 s[6:7], s[4:5]
	s_cbranch_execz .LBB15_1828
.LBB15_1827:
	v_and_b32_e32 v2, 7, v7
	v_ffbh_u32_e32 v12, v2
	v_min_u32_e32 v12, 32, v12
	v_lshrrev_b16_e32 v6, 3, v7
	v_subrev_u32_e32 v13, 28, v12
	v_and_b32_e32 v6, 15, v6
	v_lshlrev_b32_e32 v13, v13, v7
	v_sub_u32_e32 v12, 29, v12
	v_and_b32_e32 v13, 7, v13
	v_cmp_eq_u16_e32 vcc, 0, v6
	v_cndmask_b32_e32 v2, v2, v13, vcc
	v_cndmask_b32_e32 v6, v6, v12, vcc
	v_lshlrev_b32_e32 v12, 24, v7
	v_mov_b32_e32 v13, 0x3b800000
	v_lshlrev_b32_e32 v2, 20, v2
	v_and_b32_e32 v12, 0x80000000, v12
	v_lshl_add_u32 v6, v6, 23, v13
	v_or3_b32 v2, v12, v6, v2
.LBB15_1828:
	s_or_b64 exec, exec, s[6:7]
	s_movk_i32 s4, 0x7f
	v_cmp_gt_i16_sdwa s[6:7], v3, s4 src0_sel:BYTE_0 src1_sel:DWORD
	s_mov_b64 s[4:5], 0
                                        ; implicit-def: $sgpr10
	s_and_saveexec_b64 s[8:9], s[6:7]
	s_xor_b64 s[6:7], exec, s[8:9]
	s_cbranch_execnz .LBB15_3877
; %bb.1829:
	s_or_saveexec_b64 s[6:7], s[6:7]
	v_mov_b32_e32 v6, s10
	s_xor_b64 exec, exec, s[6:7]
	s_cbranch_execnz .LBB15_3880
.LBB15_1830:
	s_or_b64 exec, exec, s[6:7]
	s_and_saveexec_b64 s[6:7], s[4:5]
	s_cbranch_execz .LBB15_1832
.LBB15_1831:
	v_and_b32_e32 v6, 7, v3
	v_ffbh_u32_e32 v13, v6
	v_min_u32_e32 v13, 32, v13
	v_lshrrev_b16_e32 v12, 3, v3
	v_subrev_u32_e32 v14, 28, v13
	v_and_b32_e32 v12, 15, v12
	v_lshlrev_b32_e32 v14, v14, v3
	v_sub_u32_e32 v13, 29, v13
	v_and_b32_e32 v14, 7, v14
	v_cmp_eq_u16_e32 vcc, 0, v12
	v_cndmask_b32_e32 v6, v6, v14, vcc
	v_cndmask_b32_e32 v12, v12, v13, vcc
	v_lshlrev_b32_e32 v13, 24, v3
	v_mov_b32_e32 v14, 0x3b800000
	v_lshlrev_b32_e32 v6, 20, v6
	v_and_b32_e32 v13, 0x80000000, v13
	v_lshl_add_u32 v12, v12, 23, v14
	v_or3_b32 v6, v13, v12, v6
.LBB15_1832:
	s_or_b64 exec, exec, s[6:7]
	s_nop 0
	v_mfma_f32_16x16x4f32 a[0:3], v2, v6, a[0:3]
	v_lshrrev_b32_e32 v6, 8, v7
	s_movk_i32 s4, 0x7f
	v_cmp_gt_i16_sdwa s[6:7], v6, s4 src0_sel:BYTE_0 src1_sel:DWORD
	s_mov_b64 s[4:5], 0
                                        ; implicit-def: $sgpr10
	s_and_saveexec_b64 s[8:9], s[6:7]
	s_xor_b64 s[6:7], exec, s[8:9]
	s_cbranch_execnz .LBB15_3881
; %bb.1833:
	s_or_saveexec_b64 s[6:7], s[6:7]
	v_mov_b32_e32 v2, s10
	s_xor_b64 exec, exec, s[6:7]
	s_cbranch_execnz .LBB15_3884
.LBB15_1834:
	s_or_b64 exec, exec, s[6:7]
	s_and_saveexec_b64 s[6:7], s[4:5]
	s_cbranch_execz .LBB15_1836
.LBB15_1835:
	v_bfe_u32 v2, v7, 8, 3
	v_ffbh_u32_e32 v13, v2
	v_min_u32_e32 v13, 32, v13
	v_lshrrev_b16_e32 v12, 3, v6
	v_subrev_u32_e32 v14, 28, v13
	v_and_b32_e32 v12, 15, v12
	v_lshlrev_b32_e32 v6, v14, v6
	v_sub_u32_e32 v13, 29, v13
	v_and_b32_e32 v6, 7, v6
	v_cmp_eq_u16_e32 vcc, 0, v12
	v_cndmask_b32_e32 v2, v2, v6, vcc
	v_cndmask_b32_e32 v6, v12, v13, vcc
	v_lshlrev_b32_e32 v12, 16, v7
	v_mov_b32_e32 v13, 0x3b800000
	v_lshlrev_b32_e32 v2, 20, v2
	v_and_b32_e32 v12, 0x80000000, v12
	v_lshl_add_u32 v6, v6, 23, v13
	v_or3_b32 v2, v12, v6, v2
.LBB15_1836:
	s_or_b64 exec, exec, s[6:7]
	v_lshrrev_b32_e32 v6, 8, v3
	s_movk_i32 s4, 0x7f
	v_cmp_gt_i16_sdwa s[6:7], v6, s4 src0_sel:BYTE_0 src1_sel:DWORD
	s_mov_b64 s[4:5], 0
                                        ; implicit-def: $sgpr10
	s_and_saveexec_b64 s[8:9], s[6:7]
	s_xor_b64 s[6:7], exec, s[8:9]
	s_cbranch_execnz .LBB15_3885
; %bb.1837:
	s_or_saveexec_b64 s[6:7], s[6:7]
	v_mov_b32_e32 v12, s10
	s_xor_b64 exec, exec, s[6:7]
	s_cbranch_execnz .LBB15_3888
.LBB15_1838:
	s_or_b64 exec, exec, s[6:7]
	s_and_saveexec_b64 s[6:7], s[4:5]
	s_cbranch_execz .LBB15_1840
.LBB15_1839:
	v_bfe_u32 v12, v3, 8, 3
	v_ffbh_u32_e32 v14, v12
	v_min_u32_e32 v14, 32, v14
	v_lshrrev_b16_e32 v13, 3, v6
	v_subrev_u32_e32 v15, 28, v14
	v_and_b32_e32 v13, 15, v13
	v_lshlrev_b32_e32 v6, v15, v6
	v_sub_u32_e32 v14, 29, v14
	v_and_b32_e32 v6, 7, v6
	v_cmp_eq_u16_e32 vcc, 0, v13
	v_cndmask_b32_e32 v6, v12, v6, vcc
	v_cndmask_b32_e32 v12, v13, v14, vcc
	v_lshlrev_b32_e32 v13, 16, v3
	v_mov_b32_e32 v14, 0x3b800000
	v_lshlrev_b32_e32 v6, 20, v6
	v_and_b32_e32 v13, 0x80000000, v13
	v_lshl_add_u32 v12, v12, 23, v14
	v_or3_b32 v12, v13, v12, v6
.LBB15_1840:
	s_or_b64 exec, exec, s[6:7]
	s_nop 0
	v_mfma_f32_16x16x4f32 a[0:3], v2, v12, a[0:3]
	s_movk_i32 s4, 0xff
	v_and_b32_sdwa v6, v7, s4 dst_sel:DWORD dst_unused:UNUSED_PAD src0_sel:WORD_1 src1_sel:DWORD
	s_movk_i32 s4, 0x7f
	v_cmp_lt_i16_e32 vcc, s4, v6
	s_mov_b64 s[4:5], 0
                                        ; implicit-def: $sgpr10
	s_and_saveexec_b64 s[6:7], vcc
	s_xor_b64 s[6:7], exec, s[6:7]
	s_cbranch_execnz .LBB15_3889
; %bb.1841:
	s_or_saveexec_b64 s[6:7], s[6:7]
	v_mov_b32_e32 v2, s10
	s_xor_b64 exec, exec, s[6:7]
	s_cbranch_execnz .LBB15_3892
.LBB15_1842:
	s_or_b64 exec, exec, s[6:7]
	s_and_saveexec_b64 s[6:7], s[4:5]
	s_cbranch_execz .LBB15_1844
.LBB15_1843:
	v_bfe_u32 v2, v7, 16, 3
	v_ffbh_u32_e32 v13, v2
	v_min_u32_e32 v13, 32, v13
	v_lshrrev_b32_e32 v6, 19, v7
	v_subrev_u32_e32 v14, 28, v13
	v_and_b32_e32 v6, 15, v6
	v_lshlrev_b32_sdwa v14, v14, v7 dst_sel:DWORD dst_unused:UNUSED_PAD src0_sel:DWORD src1_sel:WORD_1
	v_bfe_u32 v12, v7, 19, 4
	v_sub_u32_e32 v13, 29, v13
	v_and_b32_e32 v14, 7, v14
	v_cmp_eq_u16_e32 vcc, 0, v6
	v_cndmask_b32_e32 v2, v2, v14, vcc
	v_cndmask_b32_e32 v6, v12, v13, vcc
	v_lshlrev_b32_e32 v12, 8, v7
	v_mov_b32_e32 v13, 0x3b800000
	v_lshlrev_b32_e32 v2, 20, v2
	v_and_b32_e32 v12, 0x80000000, v12
	v_lshl_add_u32 v6, v6, 23, v13
	v_or3_b32 v2, v12, v6, v2
.LBB15_1844:
	s_or_b64 exec, exec, s[6:7]
	s_movk_i32 s4, 0xff
	v_and_b32_sdwa v6, v3, s4 dst_sel:DWORD dst_unused:UNUSED_PAD src0_sel:WORD_1 src1_sel:DWORD
	s_movk_i32 s4, 0x7f
	v_cmp_lt_i16_e32 vcc, s4, v6
	s_mov_b64 s[4:5], 0
                                        ; implicit-def: $sgpr10
	s_and_saveexec_b64 s[6:7], vcc
	s_xor_b64 s[6:7], exec, s[6:7]
	s_cbranch_execnz .LBB15_3893
; %bb.1845:
	s_or_saveexec_b64 s[6:7], s[6:7]
	v_mov_b32_e32 v12, s10
	s_xor_b64 exec, exec, s[6:7]
	s_cbranch_execnz .LBB15_3896
.LBB15_1846:
	s_or_b64 exec, exec, s[6:7]
	s_and_saveexec_b64 s[6:7], s[4:5]
	s_cbranch_execz .LBB15_1848
.LBB15_1847:
	v_bfe_u32 v6, v3, 16, 3
	v_ffbh_u32_e32 v14, v6
	v_min_u32_e32 v14, 32, v14
	v_lshrrev_b32_e32 v12, 19, v3
	v_subrev_u32_e32 v15, 28, v14
	v_and_b32_e32 v12, 15, v12
	v_lshlrev_b32_sdwa v15, v15, v3 dst_sel:DWORD dst_unused:UNUSED_PAD src0_sel:DWORD src1_sel:WORD_1
	v_bfe_u32 v13, v3, 19, 4
	v_sub_u32_e32 v14, 29, v14
	v_and_b32_e32 v15, 7, v15
	v_cmp_eq_u16_e32 vcc, 0, v12
	v_cndmask_b32_e32 v6, v6, v15, vcc
	v_cndmask_b32_e32 v12, v13, v14, vcc
	v_lshlrev_b32_e32 v13, 8, v3
	v_mov_b32_e32 v14, 0x3b800000
	v_lshlrev_b32_e32 v6, 20, v6
	v_and_b32_e32 v13, 0x80000000, v13
	v_lshl_add_u32 v12, v12, 23, v14
	v_or3_b32 v12, v13, v12, v6
.LBB15_1848:
	s_or_b64 exec, exec, s[6:7]
	s_nop 0
	v_mfma_f32_16x16x4f32 a[0:3], v2, v12, a[0:3]
	s_movk_i32 s4, 0x7f
	v_cmp_gt_i16_sdwa s[6:7], v7, s4 src0_sel:BYTE_3 src1_sel:DWORD
	s_mov_b64 s[4:5], 0
                                        ; implicit-def: $sgpr10
	s_and_saveexec_b64 s[8:9], s[6:7]
	s_xor_b64 s[6:7], exec, s[8:9]
	s_cbranch_execnz .LBB15_3897
; %bb.1849:
	s_or_saveexec_b64 s[6:7], s[6:7]
	v_mov_b32_e32 v2, s10
	s_xor_b64 exec, exec, s[6:7]
	s_cbranch_execnz .LBB15_3900
.LBB15_1850:
	s_or_b64 exec, exec, s[6:7]
	s_and_saveexec_b64 s[6:7], s[4:5]
	s_cbranch_execz .LBB15_1852
.LBB15_1851:
	v_bfe_u32 v2, v7, 24, 3
	v_ffbh_u32_e32 v14, v2
	v_min_u32_e32 v14, 32, v14
	v_lshrrev_b32_e32 v12, 27, v7
	v_subrev_u32_e32 v15, 28, v14
	v_and_b32_e32 v6, 0x80000000, v7
	v_and_b32_e32 v12, 15, v12
	v_bfe_u32 v13, v7, 27, 4
	v_lshlrev_b32_sdwa v7, v15, v7 dst_sel:DWORD dst_unused:UNUSED_PAD src0_sel:DWORD src1_sel:BYTE_3
	v_sub_u32_e32 v14, 29, v14
	v_and_b32_e32 v7, 7, v7
	v_cmp_eq_u16_e32 vcc, 0, v12
	v_cndmask_b32_e32 v2, v2, v7, vcc
	v_cndmask_b32_e32 v7, v13, v14, vcc
	v_mov_b32_e32 v12, 0x3b800000
	v_lshlrev_b32_e32 v2, 20, v2
	v_lshl_add_u32 v7, v7, 23, v12
	v_or3_b32 v2, v6, v7, v2
.LBB15_1852:
	s_or_b64 exec, exec, s[6:7]
	s_movk_i32 s4, 0x7f
	v_cmp_gt_i16_sdwa s[6:7], v3, s4 src0_sel:BYTE_3 src1_sel:DWORD
	s_mov_b64 s[4:5], 0
                                        ; implicit-def: $sgpr10
	s_and_saveexec_b64 s[8:9], s[6:7]
	s_xor_b64 s[6:7], exec, s[8:9]
	s_cbranch_execnz .LBB15_3901
; %bb.1853:
	s_or_saveexec_b64 s[6:7], s[6:7]
	v_mov_b32_e32 v6, s10
	s_xor_b64 exec, exec, s[6:7]
	s_cbranch_execnz .LBB15_3904
.LBB15_1854:
	s_or_b64 exec, exec, s[6:7]
	s_and_saveexec_b64 s[6:7], s[4:5]
	s_cbranch_execz .LBB15_1856
.LBB15_1855:
	v_bfe_u32 v6, v3, 24, 3
	v_ffbh_u32_e32 v14, v6
	v_min_u32_e32 v14, 32, v14
	v_lshrrev_b32_e32 v12, 27, v3
	v_subrev_u32_e32 v15, 28, v14
	v_and_b32_e32 v7, 0x80000000, v3
	v_and_b32_e32 v12, 15, v12
	v_bfe_u32 v13, v3, 27, 4
	v_lshlrev_b32_sdwa v3, v15, v3 dst_sel:DWORD dst_unused:UNUSED_PAD src0_sel:DWORD src1_sel:BYTE_3
	v_sub_u32_e32 v14, 29, v14
	v_and_b32_e32 v3, 7, v3
	v_cmp_eq_u16_e32 vcc, 0, v12
	v_cndmask_b32_e32 v3, v6, v3, vcc
	v_cndmask_b32_e32 v6, v13, v14, vcc
	v_mov_b32_e32 v12, 0x3b800000
	v_lshlrev_b32_e32 v3, 20, v3
	v_lshl_add_u32 v6, v6, 23, v12
	v_or3_b32 v6, v7, v6, v3
.LBB15_1856:
	s_or_b64 exec, exec, s[6:7]
	s_nop 0
	v_mfma_f32_16x16x4f32 a[0:3], v2, v6, a[0:3]
	s_movk_i32 s4, 0x7f
	v_cmp_gt_i16_sdwa s[6:7], v8, s4 src0_sel:BYTE_0 src1_sel:DWORD
	s_mov_b64 s[4:5], 0
                                        ; implicit-def: $sgpr10
	s_and_saveexec_b64 s[8:9], s[6:7]
	s_xor_b64 s[6:7], exec, s[8:9]
	s_cbranch_execnz .LBB15_3905
; %bb.1857:
	s_or_saveexec_b64 s[6:7], s[6:7]
	v_mov_b32_e32 v2, s10
	s_xor_b64 exec, exec, s[6:7]
	s_cbranch_execnz .LBB15_3908
.LBB15_1858:
	s_or_b64 exec, exec, s[6:7]
	s_and_saveexec_b64 s[6:7], s[4:5]
	s_cbranch_execz .LBB15_1860
.LBB15_1859:
	v_and_b32_e32 v2, 7, v8
	v_ffbh_u32_e32 v6, v2
	v_min_u32_e32 v6, 32, v6
	v_lshrrev_b16_e32 v3, 3, v8
	v_subrev_u32_e32 v7, 28, v6
	v_and_b32_e32 v3, 15, v3
	v_lshlrev_b32_e32 v7, v7, v8
	v_sub_u32_e32 v6, 29, v6
	v_and_b32_e32 v7, 7, v7
	v_cmp_eq_u16_e32 vcc, 0, v3
	v_cndmask_b32_e32 v2, v2, v7, vcc
	v_cndmask_b32_e32 v3, v3, v6, vcc
	v_lshlrev_b32_e32 v6, 24, v8
	v_mov_b32_e32 v7, 0x3b800000
	v_lshlrev_b32_e32 v2, 20, v2
	v_and_b32_e32 v6, 0x80000000, v6
	v_lshl_add_u32 v3, v3, 23, v7
	v_or3_b32 v2, v6, v3, v2
.LBB15_1860:
	s_or_b64 exec, exec, s[6:7]
	s_movk_i32 s4, 0x7f
	v_cmp_gt_i16_sdwa s[6:7], v4, s4 src0_sel:BYTE_0 src1_sel:DWORD
	s_mov_b64 s[4:5], 0
                                        ; implicit-def: $sgpr10
	s_and_saveexec_b64 s[8:9], s[6:7]
	s_xor_b64 s[6:7], exec, s[8:9]
	s_cbranch_execnz .LBB15_3909
; %bb.1861:
	s_or_saveexec_b64 s[6:7], s[6:7]
	v_mov_b32_e32 v3, s10
	s_xor_b64 exec, exec, s[6:7]
	s_cbranch_execnz .LBB15_3912
.LBB15_1862:
	s_or_b64 exec, exec, s[6:7]
	s_and_saveexec_b64 s[6:7], s[4:5]
	s_cbranch_execz .LBB15_1864
.LBB15_1863:
	v_and_b32_e32 v3, 7, v4
	v_ffbh_u32_e32 v7, v3
	v_min_u32_e32 v7, 32, v7
	v_lshrrev_b16_e32 v6, 3, v4
	v_subrev_u32_e32 v12, 28, v7
	v_and_b32_e32 v6, 15, v6
	v_lshlrev_b32_e32 v12, v12, v4
	v_sub_u32_e32 v7, 29, v7
	v_and_b32_e32 v12, 7, v12
	v_cmp_eq_u16_e32 vcc, 0, v6
	v_cndmask_b32_e32 v3, v3, v12, vcc
	v_cndmask_b32_e32 v6, v6, v7, vcc
	v_lshlrev_b32_e32 v7, 24, v4
	v_mov_b32_e32 v12, 0x3b800000
	v_lshlrev_b32_e32 v3, 20, v3
	v_and_b32_e32 v7, 0x80000000, v7
	v_lshl_add_u32 v6, v6, 23, v12
	v_or3_b32 v3, v7, v6, v3
.LBB15_1864:
	s_or_b64 exec, exec, s[6:7]
	s_nop 0
	v_mfma_f32_16x16x4f32 a[0:3], v2, v3, a[0:3]
	v_lshrrev_b32_e32 v3, 8, v8
	s_movk_i32 s4, 0x7f
	v_cmp_gt_i16_sdwa s[6:7], v3, s4 src0_sel:BYTE_0 src1_sel:DWORD
	s_mov_b64 s[4:5], 0
                                        ; implicit-def: $sgpr10
	s_and_saveexec_b64 s[8:9], s[6:7]
	s_xor_b64 s[6:7], exec, s[8:9]
	s_cbranch_execnz .LBB15_3913
; %bb.1865:
	s_or_saveexec_b64 s[6:7], s[6:7]
	v_mov_b32_e32 v2, s10
	s_xor_b64 exec, exec, s[6:7]
	s_cbranch_execnz .LBB15_3916
.LBB15_1866:
	s_or_b64 exec, exec, s[6:7]
	s_and_saveexec_b64 s[6:7], s[4:5]
	s_cbranch_execz .LBB15_1868
.LBB15_1867:
	v_bfe_u32 v2, v8, 8, 3
	v_ffbh_u32_e32 v7, v2
	v_min_u32_e32 v7, 32, v7
	v_lshrrev_b16_e32 v6, 3, v3
	v_subrev_u32_e32 v12, 28, v7
	v_and_b32_e32 v6, 15, v6
	v_lshlrev_b32_e32 v3, v12, v3
	v_sub_u32_e32 v7, 29, v7
	v_and_b32_e32 v3, 7, v3
	v_cmp_eq_u16_e32 vcc, 0, v6
	v_cndmask_b32_e32 v2, v2, v3, vcc
	v_cndmask_b32_e32 v3, v6, v7, vcc
	v_lshlrev_b32_e32 v6, 16, v8
	v_mov_b32_e32 v7, 0x3b800000
	v_lshlrev_b32_e32 v2, 20, v2
	v_and_b32_e32 v6, 0x80000000, v6
	v_lshl_add_u32 v3, v3, 23, v7
	v_or3_b32 v2, v6, v3, v2
.LBB15_1868:
	s_or_b64 exec, exec, s[6:7]
	v_lshrrev_b32_e32 v3, 8, v4
	s_movk_i32 s4, 0x7f
	v_cmp_gt_i16_sdwa s[6:7], v3, s4 src0_sel:BYTE_0 src1_sel:DWORD
	s_mov_b64 s[4:5], 0
                                        ; implicit-def: $sgpr10
	s_and_saveexec_b64 s[8:9], s[6:7]
	s_xor_b64 s[6:7], exec, s[8:9]
	s_cbranch_execnz .LBB15_3917
; %bb.1869:
	s_or_saveexec_b64 s[6:7], s[6:7]
	v_mov_b32_e32 v6, s10
	s_xor_b64 exec, exec, s[6:7]
	s_cbranch_execnz .LBB15_3920
.LBB15_1870:
	s_or_b64 exec, exec, s[6:7]
	s_and_saveexec_b64 s[6:7], s[4:5]
	s_cbranch_execz .LBB15_1872
.LBB15_1871:
	v_bfe_u32 v6, v4, 8, 3
	v_ffbh_u32_e32 v12, v6
	v_min_u32_e32 v12, 32, v12
	v_lshrrev_b16_e32 v7, 3, v3
	v_subrev_u32_e32 v13, 28, v12
	v_and_b32_e32 v7, 15, v7
	v_lshlrev_b32_e32 v3, v13, v3
	v_sub_u32_e32 v12, 29, v12
	v_and_b32_e32 v3, 7, v3
	v_cmp_eq_u16_e32 vcc, 0, v7
	v_cndmask_b32_e32 v3, v6, v3, vcc
	v_cndmask_b32_e32 v6, v7, v12, vcc
	v_lshlrev_b32_e32 v7, 16, v4
	v_mov_b32_e32 v12, 0x3b800000
	v_lshlrev_b32_e32 v3, 20, v3
	v_and_b32_e32 v7, 0x80000000, v7
	v_lshl_add_u32 v6, v6, 23, v12
	v_or3_b32 v6, v7, v6, v3
.LBB15_1872:
	s_or_b64 exec, exec, s[6:7]
	s_nop 0
	v_mfma_f32_16x16x4f32 a[0:3], v2, v6, a[0:3]
	s_movk_i32 s4, 0xff
	v_and_b32_sdwa v3, v8, s4 dst_sel:DWORD dst_unused:UNUSED_PAD src0_sel:WORD_1 src1_sel:DWORD
	s_movk_i32 s4, 0x7f
	v_cmp_lt_i16_e32 vcc, s4, v3
	s_mov_b64 s[4:5], 0
                                        ; implicit-def: $sgpr10
	s_and_saveexec_b64 s[6:7], vcc
	s_xor_b64 s[6:7], exec, s[6:7]
	s_cbranch_execnz .LBB15_3921
; %bb.1873:
	s_or_saveexec_b64 s[6:7], s[6:7]
	v_mov_b32_e32 v2, s10
	s_xor_b64 exec, exec, s[6:7]
	s_cbranch_execnz .LBB15_3924
.LBB15_1874:
	s_or_b64 exec, exec, s[6:7]
	s_and_saveexec_b64 s[6:7], s[4:5]
	s_cbranch_execz .LBB15_1876
.LBB15_1875:
	v_bfe_u32 v2, v8, 16, 3
	v_ffbh_u32_e32 v7, v2
	v_min_u32_e32 v7, 32, v7
	v_lshrrev_b32_e32 v3, 19, v8
	v_subrev_u32_e32 v12, 28, v7
	v_and_b32_e32 v3, 15, v3
	v_lshlrev_b32_sdwa v12, v12, v8 dst_sel:DWORD dst_unused:UNUSED_PAD src0_sel:DWORD src1_sel:WORD_1
	v_bfe_u32 v6, v8, 19, 4
	v_sub_u32_e32 v7, 29, v7
	v_and_b32_e32 v12, 7, v12
	v_cmp_eq_u16_e32 vcc, 0, v3
	v_cndmask_b32_e32 v2, v2, v12, vcc
	v_cndmask_b32_e32 v3, v6, v7, vcc
	v_lshlrev_b32_e32 v6, 8, v8
	v_mov_b32_e32 v7, 0x3b800000
	v_lshlrev_b32_e32 v2, 20, v2
	v_and_b32_e32 v6, 0x80000000, v6
	v_lshl_add_u32 v3, v3, 23, v7
	v_or3_b32 v2, v6, v3, v2
.LBB15_1876:
	s_or_b64 exec, exec, s[6:7]
	s_movk_i32 s4, 0xff
	v_and_b32_sdwa v3, v4, s4 dst_sel:DWORD dst_unused:UNUSED_PAD src0_sel:WORD_1 src1_sel:DWORD
	s_movk_i32 s4, 0x7f
	v_cmp_lt_i16_e32 vcc, s4, v3
	s_mov_b64 s[4:5], 0
                                        ; implicit-def: $sgpr10
	s_and_saveexec_b64 s[6:7], vcc
	s_xor_b64 s[6:7], exec, s[6:7]
	s_cbranch_execnz .LBB15_3925
; %bb.1877:
	s_or_saveexec_b64 s[6:7], s[6:7]
	v_mov_b32_e32 v6, s10
	s_xor_b64 exec, exec, s[6:7]
	s_cbranch_execnz .LBB15_3928
.LBB15_1878:
	s_or_b64 exec, exec, s[6:7]
	s_and_saveexec_b64 s[6:7], s[4:5]
	s_cbranch_execz .LBB15_1880
.LBB15_1879:
	v_bfe_u32 v3, v4, 16, 3
	v_ffbh_u32_e32 v12, v3
	v_min_u32_e32 v12, 32, v12
	v_lshrrev_b32_e32 v6, 19, v4
	v_subrev_u32_e32 v13, 28, v12
	v_and_b32_e32 v6, 15, v6
	v_lshlrev_b32_sdwa v13, v13, v4 dst_sel:DWORD dst_unused:UNUSED_PAD src0_sel:DWORD src1_sel:WORD_1
	v_bfe_u32 v7, v4, 19, 4
	v_sub_u32_e32 v12, 29, v12
	v_and_b32_e32 v13, 7, v13
	v_cmp_eq_u16_e32 vcc, 0, v6
	v_cndmask_b32_e32 v3, v3, v13, vcc
	v_cndmask_b32_e32 v6, v7, v12, vcc
	v_lshlrev_b32_e32 v7, 8, v4
	v_mov_b32_e32 v12, 0x3b800000
	v_lshlrev_b32_e32 v3, 20, v3
	v_and_b32_e32 v7, 0x80000000, v7
	v_lshl_add_u32 v6, v6, 23, v12
	v_or3_b32 v6, v7, v6, v3
.LBB15_1880:
	s_or_b64 exec, exec, s[6:7]
	s_nop 0
	v_mfma_f32_16x16x4f32 a[0:3], v2, v6, a[0:3]
	s_movk_i32 s4, 0x7f
	v_cmp_gt_i16_sdwa s[6:7], v8, s4 src0_sel:BYTE_3 src1_sel:DWORD
	s_mov_b64 s[4:5], 0
                                        ; implicit-def: $sgpr10
	s_and_saveexec_b64 s[8:9], s[6:7]
	s_xor_b64 s[6:7], exec, s[8:9]
	s_cbranch_execnz .LBB15_3929
; %bb.1881:
	s_or_saveexec_b64 s[6:7], s[6:7]
	v_mov_b32_e32 v2, s10
	s_xor_b64 exec, exec, s[6:7]
	s_cbranch_execnz .LBB15_3932
.LBB15_1882:
	s_or_b64 exec, exec, s[6:7]
	s_and_saveexec_b64 s[6:7], s[4:5]
	s_cbranch_execz .LBB15_1884
.LBB15_1883:
	v_bfe_u32 v2, v8, 24, 3
	v_ffbh_u32_e32 v12, v2
	v_min_u32_e32 v12, 32, v12
	v_lshrrev_b32_e32 v6, 27, v8
	v_subrev_u32_e32 v13, 28, v12
	v_and_b32_e32 v3, 0x80000000, v8
	v_and_b32_e32 v6, 15, v6
	v_bfe_u32 v7, v8, 27, 4
	v_lshlrev_b32_sdwa v8, v13, v8 dst_sel:DWORD dst_unused:UNUSED_PAD src0_sel:DWORD src1_sel:BYTE_3
	v_sub_u32_e32 v12, 29, v12
	v_and_b32_e32 v8, 7, v8
	v_cmp_eq_u16_e32 vcc, 0, v6
	v_cndmask_b32_e32 v2, v2, v8, vcc
	v_cndmask_b32_e32 v6, v7, v12, vcc
	v_mov_b32_e32 v7, 0x3b800000
	v_lshlrev_b32_e32 v2, 20, v2
	v_lshl_add_u32 v6, v6, 23, v7
	v_or3_b32 v2, v3, v6, v2
.LBB15_1884:
	s_or_b64 exec, exec, s[6:7]
	s_movk_i32 s4, 0x7f
	v_cmp_gt_i16_sdwa s[6:7], v4, s4 src0_sel:BYTE_3 src1_sel:DWORD
	s_mov_b64 s[4:5], 0
                                        ; implicit-def: $sgpr10
	s_and_saveexec_b64 s[8:9], s[6:7]
	s_xor_b64 s[6:7], exec, s[8:9]
	s_cbranch_execnz .LBB15_3933
; %bb.1885:
	s_or_saveexec_b64 s[6:7], s[6:7]
	v_mov_b32_e32 v3, s10
	s_xor_b64 exec, exec, s[6:7]
	s_cbranch_execnz .LBB15_3936
.LBB15_1886:
	s_or_b64 exec, exec, s[6:7]
	s_and_saveexec_b64 s[6:7], s[4:5]
	s_cbranch_execz .LBB15_1888
.LBB15_1887:
	v_bfe_u32 v3, v4, 24, 3
	v_ffbh_u32_e32 v12, v3
	v_min_u32_e32 v12, 32, v12
	v_lshrrev_b32_e32 v7, 27, v4
	v_subrev_u32_e32 v13, 28, v12
	v_and_b32_e32 v6, 0x80000000, v4
	v_and_b32_e32 v7, 15, v7
	v_bfe_u32 v8, v4, 27, 4
	v_lshlrev_b32_sdwa v4, v13, v4 dst_sel:DWORD dst_unused:UNUSED_PAD src0_sel:DWORD src1_sel:BYTE_3
	v_sub_u32_e32 v12, 29, v12
	v_and_b32_e32 v4, 7, v4
	v_cmp_eq_u16_e32 vcc, 0, v7
	v_cndmask_b32_e32 v3, v3, v4, vcc
	v_cndmask_b32_e32 v4, v8, v12, vcc
	v_mov_b32_e32 v7, 0x3b800000
	v_lshlrev_b32_e32 v3, 20, v3
	v_lshl_add_u32 v4, v4, 23, v7
	v_or3_b32 v3, v6, v4, v3
.LBB15_1888:
	s_or_b64 exec, exec, s[6:7]
	s_nop 0
	v_mfma_f32_16x16x4f32 a[0:3], v2, v3, a[0:3]
	s_movk_i32 s4, 0x7f
	v_cmp_gt_i16_sdwa s[6:7], v9, s4 src0_sel:BYTE_0 src1_sel:DWORD
	s_mov_b64 s[4:5], 0
                                        ; implicit-def: $sgpr10
	s_and_saveexec_b64 s[8:9], s[6:7]
	s_xor_b64 s[6:7], exec, s[8:9]
	s_cbranch_execnz .LBB15_3937
; %bb.1889:
	s_or_saveexec_b64 s[6:7], s[6:7]
	v_mov_b32_e32 v2, s10
	s_xor_b64 exec, exec, s[6:7]
	s_cbranch_execnz .LBB15_3940
.LBB15_1890:
	s_or_b64 exec, exec, s[6:7]
	s_and_saveexec_b64 s[6:7], s[4:5]
	s_cbranch_execz .LBB15_1892
.LBB15_1891:
	v_mov_b32_e32 v2, 8
	v_and_b32_e32 v3, 7, v9
	v_lshrrev_b32_sdwa v2, v2, v9 dst_sel:BYTE_1 dst_unused:UNUSED_PAD src0_sel:DWORD src1_sel:DWORD
	v_ffbh_u32_e32 v4, v3
	v_or_b32_sdwa v2, v9, v2 dst_sel:DWORD dst_unused:UNUSED_PAD src0_sel:BYTE_0 src1_sel:DWORD
	v_min_u32_e32 v4, 32, v4
	v_lshrrev_b16_e32 v2, 3, v2
	v_subrev_u32_e32 v6, 28, v4
	v_and_b32_e32 v2, 15, v2
	v_lshlrev_b32_e32 v6, v6, v9
	v_sub_u32_e32 v4, 29, v4
	v_and_b32_e32 v6, 7, v6
	v_cmp_eq_u16_e32 vcc, 0, v2
	v_cndmask_b32_e32 v3, v3, v6, vcc
	v_cndmask_b32_e32 v2, v2, v4, vcc
	v_lshlrev_b32_e32 v4, 24, v9
	v_mov_b32_e32 v6, 0x3b800000
	v_lshlrev_b32_e32 v3, 20, v3
	v_and_b32_e32 v4, 0x80000000, v4
	v_lshl_add_u32 v2, v2, 23, v6
	v_or3_b32 v2, v4, v2, v3
.LBB15_1892:
	s_or_b64 exec, exec, s[6:7]
	s_movk_i32 s4, 0x7f
	v_cmp_gt_i16_sdwa s[6:7], v5, s4 src0_sel:BYTE_0 src1_sel:DWORD
	s_mov_b64 s[4:5], 0
                                        ; implicit-def: $sgpr10
	s_and_saveexec_b64 s[8:9], s[6:7]
	s_xor_b64 s[6:7], exec, s[8:9]
	s_cbranch_execnz .LBB15_3941
; %bb.1893:
	s_or_saveexec_b64 s[6:7], s[6:7]
	v_mov_b32_e32 v3, s10
	s_xor_b64 exec, exec, s[6:7]
	s_cbranch_execnz .LBB15_3944
.LBB15_1894:
	s_or_b64 exec, exec, s[6:7]
	s_and_saveexec_b64 s[6:7], s[4:5]
	s_cbranch_execz .LBB15_1896
.LBB15_1895:
	v_mov_b32_e32 v3, 8
	v_and_b32_e32 v4, 7, v5
	v_lshrrev_b32_sdwa v3, v3, v5 dst_sel:BYTE_1 dst_unused:UNUSED_PAD src0_sel:DWORD src1_sel:DWORD
	v_ffbh_u32_e32 v6, v4
	v_or_b32_sdwa v3, v5, v3 dst_sel:DWORD dst_unused:UNUSED_PAD src0_sel:BYTE_0 src1_sel:DWORD
	v_min_u32_e32 v6, 32, v6
	v_lshrrev_b16_e32 v3, 3, v3
	v_subrev_u32_e32 v7, 28, v6
	v_and_b32_e32 v3, 15, v3
	v_lshlrev_b32_e32 v7, v7, v5
	v_sub_u32_e32 v6, 29, v6
	v_and_b32_e32 v7, 7, v7
	v_cmp_eq_u16_e32 vcc, 0, v3
	v_cndmask_b32_e32 v4, v4, v7, vcc
	v_cndmask_b32_e32 v3, v3, v6, vcc
	v_lshlrev_b32_e32 v6, 24, v5
	v_mov_b32_e32 v7, 0x3b800000
	v_lshlrev_b32_e32 v4, 20, v4
	v_and_b32_e32 v6, 0x80000000, v6
	v_lshl_add_u32 v3, v3, 23, v7
	v_or3_b32 v3, v6, v3, v4
.LBB15_1896:
	s_or_b64 exec, exec, s[6:7]
	s_nop 0
	v_mfma_f32_16x16x4f32 a[0:3], v2, v3, a[0:3]
	v_lshrrev_b32_e32 v3, 8, v9
	s_movk_i32 s4, 0x7f
	v_cmp_gt_i16_sdwa s[6:7], v3, s4 src0_sel:BYTE_0 src1_sel:DWORD
	s_mov_b64 s[4:5], 0
                                        ; implicit-def: $sgpr10
	s_and_saveexec_b64 s[8:9], s[6:7]
	s_xor_b64 s[6:7], exec, s[8:9]
	s_cbranch_execnz .LBB15_3945
; %bb.1897:
	s_or_saveexec_b64 s[6:7], s[6:7]
	v_mov_b32_e32 v2, s10
	s_xor_b64 exec, exec, s[6:7]
	s_cbranch_execnz .LBB15_3948
.LBB15_1898:
	s_or_b64 exec, exec, s[6:7]
	s_and_saveexec_b64 s[6:7], s[4:5]
	s_cbranch_execz .LBB15_1900
.LBB15_1899:
	v_bfe_u32 v2, v9, 8, 3
	v_ffbh_u32_e32 v6, v2
	v_min_u32_e32 v6, 32, v6
	v_lshrrev_b16_e32 v4, 3, v3
	v_subrev_u32_e32 v7, 28, v6
	v_and_b32_e32 v4, 15, v4
	v_lshlrev_b32_e32 v3, v7, v3
	v_sub_u32_e32 v6, 29, v6
	v_and_b32_e32 v3, 7, v3
	v_cmp_eq_u16_e32 vcc, 0, v4
	v_cndmask_b32_e32 v2, v2, v3, vcc
	v_cndmask_b32_e32 v3, v4, v6, vcc
	v_lshlrev_b32_e32 v4, 16, v9
	v_mov_b32_e32 v6, 0x3b800000
	v_lshlrev_b32_e32 v2, 20, v2
	v_and_b32_e32 v4, 0x80000000, v4
	v_lshl_add_u32 v3, v3, 23, v6
	v_or3_b32 v2, v4, v3, v2
.LBB15_1900:
	s_or_b64 exec, exec, s[6:7]
	v_lshrrev_b32_e32 v3, 8, v5
	s_movk_i32 s4, 0x7f
	v_cmp_gt_i16_sdwa s[6:7], v3, s4 src0_sel:BYTE_0 src1_sel:DWORD
	s_mov_b64 s[4:5], 0
                                        ; implicit-def: $sgpr10
	s_and_saveexec_b64 s[8:9], s[6:7]
	s_xor_b64 s[6:7], exec, s[8:9]
	s_cbranch_execnz .LBB15_3949
; %bb.1901:
	s_or_saveexec_b64 s[6:7], s[6:7]
	v_mov_b32_e32 v4, s10
	s_xor_b64 exec, exec, s[6:7]
	s_cbranch_execnz .LBB15_3952
.LBB15_1902:
	s_or_b64 exec, exec, s[6:7]
	s_and_saveexec_b64 s[6:7], s[4:5]
	s_cbranch_execz .LBB15_1904
.LBB15_1903:
	v_bfe_u32 v4, v5, 8, 3
	v_ffbh_u32_e32 v7, v4
	v_min_u32_e32 v7, 32, v7
	v_lshrrev_b16_e32 v6, 3, v3
	v_subrev_u32_e32 v8, 28, v7
	v_and_b32_e32 v6, 15, v6
	v_lshlrev_b32_e32 v3, v8, v3
	v_sub_u32_e32 v7, 29, v7
	v_and_b32_e32 v3, 7, v3
	v_cmp_eq_u16_e32 vcc, 0, v6
	v_cndmask_b32_e32 v3, v4, v3, vcc
	v_cndmask_b32_e32 v4, v6, v7, vcc
	v_lshlrev_b32_e32 v6, 16, v5
	v_mov_b32_e32 v7, 0x3b800000
	v_lshlrev_b32_e32 v3, 20, v3
	v_and_b32_e32 v6, 0x80000000, v6
	v_lshl_add_u32 v4, v4, 23, v7
	v_or3_b32 v4, v6, v4, v3
.LBB15_1904:
	s_or_b64 exec, exec, s[6:7]
	s_nop 0
	v_mfma_f32_16x16x4f32 a[0:3], v2, v4, a[0:3]
	s_movk_i32 s4, 0xff
	v_and_b32_sdwa v3, v9, s4 dst_sel:DWORD dst_unused:UNUSED_PAD src0_sel:WORD_1 src1_sel:DWORD
	s_movk_i32 s4, 0x7f
	v_cmp_lt_i16_e32 vcc, s4, v3
	s_mov_b64 s[4:5], 0
                                        ; implicit-def: $sgpr10
	s_and_saveexec_b64 s[6:7], vcc
	s_xor_b64 s[6:7], exec, s[6:7]
	s_cbranch_execnz .LBB15_3953
; %bb.1905:
	s_or_saveexec_b64 s[6:7], s[6:7]
	v_mov_b32_e32 v2, s10
	s_xor_b64 exec, exec, s[6:7]
	s_cbranch_execnz .LBB15_3956
.LBB15_1906:
	s_or_b64 exec, exec, s[6:7]
	s_and_saveexec_b64 s[6:7], s[4:5]
	s_cbranch_execz .LBB15_1908
.LBB15_1907:
	v_bfe_u32 v2, v9, 16, 3
	v_ffbh_u32_e32 v6, v2
	v_min_u32_e32 v6, 32, v6
	v_lshrrev_b32_e32 v3, 19, v9
	v_subrev_u32_e32 v7, 28, v6
	v_and_b32_e32 v3, 15, v3
	v_lshlrev_b32_sdwa v7, v7, v9 dst_sel:DWORD dst_unused:UNUSED_PAD src0_sel:DWORD src1_sel:WORD_1
	v_bfe_u32 v4, v9, 19, 4
	v_sub_u32_e32 v6, 29, v6
	v_and_b32_e32 v7, 7, v7
	v_cmp_eq_u16_e32 vcc, 0, v3
	v_cndmask_b32_e32 v2, v2, v7, vcc
	v_cndmask_b32_e32 v3, v4, v6, vcc
	v_lshlrev_b32_e32 v4, 8, v9
	v_mov_b32_e32 v6, 0x3b800000
	v_lshlrev_b32_e32 v2, 20, v2
	v_and_b32_e32 v4, 0x80000000, v4
	v_lshl_add_u32 v3, v3, 23, v6
	v_or3_b32 v2, v4, v3, v2
.LBB15_1908:
	s_or_b64 exec, exec, s[6:7]
	s_movk_i32 s4, 0xff
	v_and_b32_sdwa v3, v5, s4 dst_sel:DWORD dst_unused:UNUSED_PAD src0_sel:WORD_1 src1_sel:DWORD
	s_movk_i32 s4, 0x7f
	v_cmp_lt_i16_e32 vcc, s4, v3
	s_mov_b64 s[4:5], 0
                                        ; implicit-def: $sgpr10
	s_and_saveexec_b64 s[6:7], vcc
	s_xor_b64 s[6:7], exec, s[6:7]
	s_cbranch_execnz .LBB15_3957
; %bb.1909:
	s_or_saveexec_b64 s[6:7], s[6:7]
	v_mov_b32_e32 v4, s10
	s_xor_b64 exec, exec, s[6:7]
	s_cbranch_execnz .LBB15_3960
.LBB15_1910:
	s_or_b64 exec, exec, s[6:7]
	s_and_saveexec_b64 s[6:7], s[4:5]
	s_cbranch_execz .LBB15_1912
.LBB15_1911:
	v_bfe_u32 v3, v5, 16, 3
	v_ffbh_u32_e32 v7, v3
	v_min_u32_e32 v7, 32, v7
	v_lshrrev_b32_e32 v4, 19, v5
	v_subrev_u32_e32 v8, 28, v7
	v_and_b32_e32 v4, 15, v4
	v_lshlrev_b32_sdwa v8, v8, v5 dst_sel:DWORD dst_unused:UNUSED_PAD src0_sel:DWORD src1_sel:WORD_1
	v_bfe_u32 v6, v5, 19, 4
	v_sub_u32_e32 v7, 29, v7
	v_and_b32_e32 v8, 7, v8
	v_cmp_eq_u16_e32 vcc, 0, v4
	v_cndmask_b32_e32 v3, v3, v8, vcc
	v_cndmask_b32_e32 v4, v6, v7, vcc
	v_lshlrev_b32_e32 v6, 8, v5
	v_mov_b32_e32 v7, 0x3b800000
	v_lshlrev_b32_e32 v3, 20, v3
	v_and_b32_e32 v6, 0x80000000, v6
	v_lshl_add_u32 v4, v4, 23, v7
	v_or3_b32 v4, v6, v4, v3
.LBB15_1912:
	s_or_b64 exec, exec, s[6:7]
	s_nop 0
	v_mfma_f32_16x16x4f32 a[0:3], v2, v4, a[0:3]
	s_movk_i32 s4, 0x7f
	v_cmp_gt_i16_sdwa s[6:7], v9, s4 src0_sel:BYTE_3 src1_sel:DWORD
	s_mov_b64 s[4:5], 0
                                        ; implicit-def: $sgpr10
	s_and_saveexec_b64 s[8:9], s[6:7]
	s_xor_b64 s[6:7], exec, s[8:9]
	s_cbranch_execnz .LBB15_3961
; %bb.1913:
	s_or_saveexec_b64 s[6:7], s[6:7]
	v_mov_b32_e32 v2, s10
	s_xor_b64 exec, exec, s[6:7]
	s_cbranch_execnz .LBB15_3964
.LBB15_1914:
	s_or_b64 exec, exec, s[6:7]
	s_and_saveexec_b64 s[6:7], s[4:5]
	s_cbranch_execz .LBB15_1916
.LBB15_1915:
	v_bfe_u32 v2, v9, 24, 3
	v_ffbh_u32_e32 v7, v2
	v_min_u32_e32 v7, 32, v7
	v_lshrrev_b32_e32 v4, 27, v9
	v_subrev_u32_e32 v8, 28, v7
	v_and_b32_e32 v4, 15, v4
	v_lshlrev_b32_sdwa v8, v8, v9 dst_sel:DWORD dst_unused:UNUSED_PAD src0_sel:DWORD src1_sel:BYTE_3
	v_bfe_u32 v6, v9, 27, 4
	v_sub_u32_e32 v7, 29, v7
	v_and_b32_e32 v8, 7, v8
	v_cmp_eq_u16_e32 vcc, 0, v4
	v_cndmask_b32_e32 v2, v2, v8, vcc
	v_cndmask_b32_e32 v4, v6, v7, vcc
	v_mov_b32_e32 v6, 0x3b800000
	v_and_b32_e32 v3, 0x80000000, v9
	v_lshlrev_b32_e32 v2, 20, v2
	v_lshl_add_u32 v4, v4, 23, v6
	v_or3_b32 v2, v3, v4, v2
.LBB15_1916:
	s_or_b64 exec, exec, s[6:7]
	s_movk_i32 s4, 0x7f
	v_cmp_gt_i16_sdwa s[6:7], v5, s4 src0_sel:BYTE_3 src1_sel:DWORD
	s_mov_b64 s[4:5], 0
                                        ; implicit-def: $sgpr10
	s_and_saveexec_b64 s[8:9], s[6:7]
	s_xor_b64 s[6:7], exec, s[8:9]
	s_cbranch_execnz .LBB15_3965
; %bb.1917:
	s_or_saveexec_b64 s[6:7], s[6:7]
	v_mov_b32_e32 v3, s10
	s_xor_b64 exec, exec, s[6:7]
	s_cbranch_execnz .LBB15_3968
.LBB15_1918:
	s_or_b64 exec, exec, s[6:7]
	s_and_saveexec_b64 s[6:7], s[4:5]
	s_cbranch_execz .LBB15_1920
.LBB15_1919:
	v_bfe_u32 v3, v5, 24, 3
	v_ffbh_u32_e32 v8, v3
	v_min_u32_e32 v8, 32, v8
	v_lshrrev_b32_e32 v6, 27, v5
	v_subrev_u32_e32 v9, 28, v8
	v_and_b32_e32 v4, 0x80000000, v5
	v_and_b32_e32 v6, 15, v6
	v_bfe_u32 v7, v5, 27, 4
	v_lshlrev_b32_sdwa v5, v9, v5 dst_sel:DWORD dst_unused:UNUSED_PAD src0_sel:DWORD src1_sel:BYTE_3
	v_sub_u32_e32 v8, 29, v8
	v_and_b32_e32 v5, 7, v5
	v_cmp_eq_u16_e32 vcc, 0, v6
	v_cndmask_b32_e32 v3, v3, v5, vcc
	v_cndmask_b32_e32 v5, v7, v8, vcc
	v_mov_b32_e32 v6, 0x3b800000
	v_lshlrev_b32_e32 v3, 20, v3
	v_lshl_add_u32 v5, v5, 23, v6
	v_or3_b32 v3, v4, v5, v3
.LBB15_1920:
	s_or_b64 exec, exec, s[6:7]
	s_nop 0
	v_mfma_f32_16x16x4f32 a[0:3], v2, v3, a[0:3]
	s_nop 7
	s_nop 2
	flat_store_dwordx4 v[10:11], a[0:3] offset:224
	flat_load_dwordx4 v[10:13], v[0:1] offset:8
	s_waitcnt vmcnt(0) lgkmcnt(0)
	flat_load_dwordx4 v[6:9], v[10:11] offset:112
	flat_load_dwordx4 v[2:5], v[12:13] offset:112
	; sched_barrier mask(0x00000000)
	s_waitcnt lgkmcnt(0)
	s_barrier
	; sched_barrier mask(0x00000000)
	flat_load_dwordx2 v[0:1], v[0:1] offset:32
	s_movk_i32 s4, 0x7f
	s_waitcnt vmcnt(0)
	v_cmp_gt_i16_sdwa s[6:7], v6, s4 src0_sel:BYTE_0 src1_sel:DWORD
	s_mov_b64 s[4:5], 0
                                        ; implicit-def: $sgpr10
	s_and_saveexec_b64 s[8:9], s[6:7]
	s_xor_b64 s[6:7], exec, s[8:9]
	s_cbranch_execnz .LBB15_3969
; %bb.1921:
	s_or_saveexec_b64 s[6:7], s[6:7]
	v_mov_b32_e32 v10, s10
	s_xor_b64 exec, exec, s[6:7]
	s_cbranch_execnz .LBB15_3972
.LBB15_1922:
	s_or_b64 exec, exec, s[6:7]
	s_and_saveexec_b64 s[6:7], s[4:5]
	s_cbranch_execz .LBB15_1924
.LBB15_1923:
	v_and_b32_e32 v10, 7, v6
	v_ffbh_u32_e32 v12, v10
	v_min_u32_e32 v12, 32, v12
	v_lshrrev_b16_e32 v11, 3, v6
	v_subrev_u32_e32 v13, 28, v12
	v_and_b32_e32 v11, 15, v11
	v_lshlrev_b32_e32 v13, v13, v6
	v_sub_u32_e32 v12, 29, v12
	v_and_b32_e32 v13, 7, v13
	v_cmp_eq_u16_e32 vcc, 0, v11
	v_cndmask_b32_e32 v10, v10, v13, vcc
	v_cndmask_b32_e32 v11, v11, v12, vcc
	v_lshlrev_b32_e32 v12, 24, v6
	v_mov_b32_e32 v13, 0x3b800000
	v_lshlrev_b32_e32 v10, 20, v10
	v_and_b32_e32 v12, 0x80000000, v12
	v_lshl_add_u32 v11, v11, 23, v13
	v_or3_b32 v10, v12, v11, v10
.LBB15_1924:
	s_or_b64 exec, exec, s[6:7]
	s_movk_i32 s4, 0x7f
	v_cmp_gt_i16_sdwa s[6:7], v2, s4 src0_sel:BYTE_0 src1_sel:DWORD
	s_mov_b64 s[4:5], 0
                                        ; implicit-def: $sgpr10
	s_and_saveexec_b64 s[8:9], s[6:7]
	s_xor_b64 s[6:7], exec, s[8:9]
	s_cbranch_execnz .LBB15_3973
; %bb.1925:
	s_or_saveexec_b64 s[6:7], s[6:7]
	v_mov_b32_e32 v11, s10
	s_xor_b64 exec, exec, s[6:7]
	s_cbranch_execnz .LBB15_3976
.LBB15_1926:
	s_or_b64 exec, exec, s[6:7]
	s_and_saveexec_b64 s[6:7], s[4:5]
	s_cbranch_execz .LBB15_1928
.LBB15_1927:
	v_and_b32_e32 v11, 7, v2
	v_ffbh_u32_e32 v13, v11
	v_min_u32_e32 v13, 32, v13
	v_lshrrev_b16_e32 v12, 3, v2
	v_subrev_u32_e32 v14, 28, v13
	v_and_b32_e32 v12, 15, v12
	v_lshlrev_b32_e32 v14, v14, v2
	v_sub_u32_e32 v13, 29, v13
	v_and_b32_e32 v14, 7, v14
	v_cmp_eq_u16_e32 vcc, 0, v12
	v_cndmask_b32_e32 v11, v11, v14, vcc
	v_cndmask_b32_e32 v12, v12, v13, vcc
	v_lshlrev_b32_e32 v13, 24, v2
	v_mov_b32_e32 v14, 0x3b800000
	v_lshlrev_b32_e32 v11, 20, v11
	v_and_b32_e32 v13, 0x80000000, v13
	v_lshl_add_u32 v12, v12, 23, v14
	v_or3_b32 v11, v13, v12, v11
.LBB15_1928:
	s_or_b64 exec, exec, s[6:7]
	s_waitcnt lgkmcnt(0)
	flat_load_dwordx4 a[0:3], v[0:1] offset:240
	s_movk_i32 s4, 0x7f
                                        ; implicit-def: $sgpr10
	s_waitcnt vmcnt(0) lgkmcnt(0)
	v_mfma_f32_16x16x4f32 a[0:3], v10, v11, a[0:3]
	v_lshrrev_b32_e32 v11, 8, v6
	v_cmp_gt_i16_sdwa s[6:7], v11, s4 src0_sel:BYTE_0 src1_sel:DWORD
	s_mov_b64 s[4:5], 0
	s_and_saveexec_b64 s[8:9], s[6:7]
	s_xor_b64 s[6:7], exec, s[8:9]
	s_cbranch_execnz .LBB15_3977
; %bb.1929:
	s_or_saveexec_b64 s[6:7], s[6:7]
	v_mov_b32_e32 v10, s10
	s_xor_b64 exec, exec, s[6:7]
	s_cbranch_execnz .LBB15_3980
.LBB15_1930:
	s_or_b64 exec, exec, s[6:7]
	s_and_saveexec_b64 s[6:7], s[4:5]
	s_cbranch_execz .LBB15_1932
.LBB15_1931:
	v_bfe_u32 v10, v6, 8, 3
	v_ffbh_u32_e32 v13, v10
	v_min_u32_e32 v13, 32, v13
	v_lshrrev_b16_e32 v12, 3, v11
	v_subrev_u32_e32 v14, 28, v13
	v_and_b32_e32 v12, 15, v12
	v_lshlrev_b32_e32 v11, v14, v11
	v_sub_u32_e32 v13, 29, v13
	v_and_b32_e32 v11, 7, v11
	v_cmp_eq_u16_e32 vcc, 0, v12
	v_cndmask_b32_e32 v10, v10, v11, vcc
	v_cndmask_b32_e32 v11, v12, v13, vcc
	v_lshlrev_b32_e32 v12, 16, v6
	v_mov_b32_e32 v13, 0x3b800000
	v_lshlrev_b32_e32 v10, 20, v10
	v_and_b32_e32 v12, 0x80000000, v12
	v_lshl_add_u32 v11, v11, 23, v13
	v_or3_b32 v10, v12, v11, v10
.LBB15_1932:
	s_or_b64 exec, exec, s[6:7]
	v_lshrrev_b32_e32 v11, 8, v2
	s_movk_i32 s4, 0x7f
	v_cmp_gt_i16_sdwa s[6:7], v11, s4 src0_sel:BYTE_0 src1_sel:DWORD
	s_mov_b64 s[4:5], 0
                                        ; implicit-def: $sgpr10
	s_and_saveexec_b64 s[8:9], s[6:7]
	s_xor_b64 s[6:7], exec, s[8:9]
	s_cbranch_execnz .LBB15_3981
; %bb.1933:
	s_or_saveexec_b64 s[6:7], s[6:7]
	v_mov_b32_e32 v12, s10
	s_xor_b64 exec, exec, s[6:7]
	s_cbranch_execnz .LBB15_3984
.LBB15_1934:
	s_or_b64 exec, exec, s[6:7]
	s_and_saveexec_b64 s[6:7], s[4:5]
	s_cbranch_execz .LBB15_1936
.LBB15_1935:
	v_bfe_u32 v12, v2, 8, 3
	v_ffbh_u32_e32 v14, v12
	v_min_u32_e32 v14, 32, v14
	v_lshrrev_b16_e32 v13, 3, v11
	v_subrev_u32_e32 v15, 28, v14
	v_and_b32_e32 v13, 15, v13
	v_lshlrev_b32_e32 v11, v15, v11
	v_sub_u32_e32 v14, 29, v14
	v_and_b32_e32 v11, 7, v11
	v_cmp_eq_u16_e32 vcc, 0, v13
	v_cndmask_b32_e32 v11, v12, v11, vcc
	v_cndmask_b32_e32 v12, v13, v14, vcc
	v_lshlrev_b32_e32 v13, 16, v2
	v_mov_b32_e32 v14, 0x3b800000
	v_lshlrev_b32_e32 v11, 20, v11
	v_and_b32_e32 v13, 0x80000000, v13
	v_lshl_add_u32 v12, v12, 23, v14
	v_or3_b32 v12, v13, v12, v11
.LBB15_1936:
	s_or_b64 exec, exec, s[6:7]
	s_nop 0
	v_mfma_f32_16x16x4f32 a[0:3], v10, v12, a[0:3]
	s_movk_i32 s4, 0xff
	v_and_b32_sdwa v11, v6, s4 dst_sel:DWORD dst_unused:UNUSED_PAD src0_sel:WORD_1 src1_sel:DWORD
	s_movk_i32 s4, 0x7f
	v_cmp_lt_i16_e32 vcc, s4, v11
	s_mov_b64 s[4:5], 0
                                        ; implicit-def: $sgpr10
	s_and_saveexec_b64 s[6:7], vcc
	s_xor_b64 s[6:7], exec, s[6:7]
	s_cbranch_execnz .LBB15_3985
; %bb.1937:
	s_or_saveexec_b64 s[6:7], s[6:7]
	v_mov_b32_e32 v10, s10
	s_xor_b64 exec, exec, s[6:7]
	s_cbranch_execnz .LBB15_3988
.LBB15_1938:
	s_or_b64 exec, exec, s[6:7]
	s_and_saveexec_b64 s[6:7], s[4:5]
	s_cbranch_execz .LBB15_1940
.LBB15_1939:
	v_bfe_u32 v10, v6, 16, 3
	v_ffbh_u32_e32 v13, v10
	v_min_u32_e32 v13, 32, v13
	v_lshrrev_b32_e32 v11, 19, v6
	v_subrev_u32_e32 v14, 28, v13
	v_and_b32_e32 v11, 15, v11
	v_lshlrev_b32_sdwa v14, v14, v6 dst_sel:DWORD dst_unused:UNUSED_PAD src0_sel:DWORD src1_sel:WORD_1
	v_bfe_u32 v12, v6, 19, 4
	v_sub_u32_e32 v13, 29, v13
	v_and_b32_e32 v14, 7, v14
	v_cmp_eq_u16_e32 vcc, 0, v11
	v_cndmask_b32_e32 v10, v10, v14, vcc
	v_cndmask_b32_e32 v11, v12, v13, vcc
	v_lshlrev_b32_e32 v12, 8, v6
	v_mov_b32_e32 v13, 0x3b800000
	v_lshlrev_b32_e32 v10, 20, v10
	v_and_b32_e32 v12, 0x80000000, v12
	v_lshl_add_u32 v11, v11, 23, v13
	v_or3_b32 v10, v12, v11, v10
.LBB15_1940:
	s_or_b64 exec, exec, s[6:7]
	s_movk_i32 s4, 0xff
	v_and_b32_sdwa v11, v2, s4 dst_sel:DWORD dst_unused:UNUSED_PAD src0_sel:WORD_1 src1_sel:DWORD
	s_movk_i32 s4, 0x7f
	v_cmp_lt_i16_e32 vcc, s4, v11
	s_mov_b64 s[4:5], 0
                                        ; implicit-def: $sgpr10
	s_and_saveexec_b64 s[6:7], vcc
	s_xor_b64 s[6:7], exec, s[6:7]
	s_cbranch_execnz .LBB15_3989
; %bb.1941:
	s_or_saveexec_b64 s[6:7], s[6:7]
	v_mov_b32_e32 v12, s10
	s_xor_b64 exec, exec, s[6:7]
	s_cbranch_execnz .LBB15_3992
.LBB15_1942:
	s_or_b64 exec, exec, s[6:7]
	s_and_saveexec_b64 s[6:7], s[4:5]
	s_cbranch_execz .LBB15_1944
.LBB15_1943:
	v_bfe_u32 v11, v2, 16, 3
	v_ffbh_u32_e32 v14, v11
	v_min_u32_e32 v14, 32, v14
	v_lshrrev_b32_e32 v12, 19, v2
	v_subrev_u32_e32 v15, 28, v14
	v_and_b32_e32 v12, 15, v12
	v_lshlrev_b32_sdwa v15, v15, v2 dst_sel:DWORD dst_unused:UNUSED_PAD src0_sel:DWORD src1_sel:WORD_1
	v_bfe_u32 v13, v2, 19, 4
	v_sub_u32_e32 v14, 29, v14
	v_and_b32_e32 v15, 7, v15
	v_cmp_eq_u16_e32 vcc, 0, v12
	v_cndmask_b32_e32 v11, v11, v15, vcc
	v_cndmask_b32_e32 v12, v13, v14, vcc
	v_lshlrev_b32_e32 v13, 8, v2
	v_mov_b32_e32 v14, 0x3b800000
	v_lshlrev_b32_e32 v11, 20, v11
	v_and_b32_e32 v13, 0x80000000, v13
	v_lshl_add_u32 v12, v12, 23, v14
	v_or3_b32 v12, v13, v12, v11
.LBB15_1944:
	s_or_b64 exec, exec, s[6:7]
	s_nop 0
	v_mfma_f32_16x16x4f32 a[0:3], v10, v12, a[0:3]
	s_movk_i32 s4, 0x7f
	v_cmp_gt_i16_sdwa s[6:7], v6, s4 src0_sel:BYTE_3 src1_sel:DWORD
	s_mov_b64 s[4:5], 0
                                        ; implicit-def: $sgpr10
	s_and_saveexec_b64 s[8:9], s[6:7]
	s_xor_b64 s[6:7], exec, s[8:9]
	s_cbranch_execnz .LBB15_3993
; %bb.1945:
	s_or_saveexec_b64 s[6:7], s[6:7]
	v_mov_b32_e32 v10, s10
	s_xor_b64 exec, exec, s[6:7]
	s_cbranch_execnz .LBB15_3996
.LBB15_1946:
	s_or_b64 exec, exec, s[6:7]
	s_and_saveexec_b64 s[6:7], s[4:5]
	s_cbranch_execz .LBB15_1948
.LBB15_1947:
	v_bfe_u32 v10, v6, 24, 3
	v_ffbh_u32_e32 v14, v10
	v_min_u32_e32 v14, 32, v14
	v_lshrrev_b32_e32 v12, 27, v6
	v_subrev_u32_e32 v15, 28, v14
	v_and_b32_e32 v11, 0x80000000, v6
	v_and_b32_e32 v12, 15, v12
	v_bfe_u32 v13, v6, 27, 4
	v_lshlrev_b32_sdwa v6, v15, v6 dst_sel:DWORD dst_unused:UNUSED_PAD src0_sel:DWORD src1_sel:BYTE_3
	v_sub_u32_e32 v14, 29, v14
	v_and_b32_e32 v6, 7, v6
	v_cmp_eq_u16_e32 vcc, 0, v12
	v_cndmask_b32_e32 v6, v10, v6, vcc
	v_cndmask_b32_e32 v10, v13, v14, vcc
	v_mov_b32_e32 v12, 0x3b800000
	v_lshlrev_b32_e32 v6, 20, v6
	v_lshl_add_u32 v10, v10, 23, v12
	v_or3_b32 v10, v11, v10, v6
.LBB15_1948:
	s_or_b64 exec, exec, s[6:7]
	s_movk_i32 s4, 0x7f
	v_cmp_gt_i16_sdwa s[6:7], v2, s4 src0_sel:BYTE_3 src1_sel:DWORD
	s_mov_b64 s[4:5], 0
                                        ; implicit-def: $sgpr10
	s_and_saveexec_b64 s[8:9], s[6:7]
	s_xor_b64 s[6:7], exec, s[8:9]
	s_cbranch_execnz .LBB15_3997
; %bb.1949:
	s_or_saveexec_b64 s[6:7], s[6:7]
	v_mov_b32_e32 v6, s10
	s_xor_b64 exec, exec, s[6:7]
	s_cbranch_execnz .LBB15_4000
.LBB15_1950:
	s_or_b64 exec, exec, s[6:7]
	s_and_saveexec_b64 s[6:7], s[4:5]
	s_cbranch_execz .LBB15_1952
.LBB15_1951:
	v_bfe_u32 v6, v2, 24, 3
	v_ffbh_u32_e32 v14, v6
	v_min_u32_e32 v14, 32, v14
	v_lshrrev_b32_e32 v12, 27, v2
	v_subrev_u32_e32 v15, 28, v14
	v_and_b32_e32 v11, 0x80000000, v2
	v_and_b32_e32 v12, 15, v12
	v_bfe_u32 v13, v2, 27, 4
	v_lshlrev_b32_sdwa v2, v15, v2 dst_sel:DWORD dst_unused:UNUSED_PAD src0_sel:DWORD src1_sel:BYTE_3
	v_sub_u32_e32 v14, 29, v14
	v_and_b32_e32 v2, 7, v2
	v_cmp_eq_u16_e32 vcc, 0, v12
	v_cndmask_b32_e32 v2, v6, v2, vcc
	v_cndmask_b32_e32 v6, v13, v14, vcc
	v_mov_b32_e32 v12, 0x3b800000
	v_lshlrev_b32_e32 v2, 20, v2
	v_lshl_add_u32 v6, v6, 23, v12
	v_or3_b32 v6, v11, v6, v2
.LBB15_1952:
	s_or_b64 exec, exec, s[6:7]
	s_nop 0
	v_mfma_f32_16x16x4f32 a[0:3], v10, v6, a[0:3]
	s_movk_i32 s4, 0x7f
	v_cmp_gt_i16_sdwa s[6:7], v7, s4 src0_sel:BYTE_0 src1_sel:DWORD
	s_mov_b64 s[4:5], 0
                                        ; implicit-def: $sgpr10
	s_and_saveexec_b64 s[8:9], s[6:7]
	s_xor_b64 s[6:7], exec, s[8:9]
	s_cbranch_execnz .LBB15_4001
; %bb.1953:
	s_or_saveexec_b64 s[6:7], s[6:7]
	v_mov_b32_e32 v2, s10
	s_xor_b64 exec, exec, s[6:7]
	s_cbranch_execnz .LBB15_4004
.LBB15_1954:
	s_or_b64 exec, exec, s[6:7]
	s_and_saveexec_b64 s[6:7], s[4:5]
	s_cbranch_execz .LBB15_1956
.LBB15_1955:
	v_and_b32_e32 v2, 7, v7
	v_ffbh_u32_e32 v10, v2
	v_min_u32_e32 v10, 32, v10
	v_lshrrev_b16_e32 v6, 3, v7
	v_subrev_u32_e32 v11, 28, v10
	v_and_b32_e32 v6, 15, v6
	v_lshlrev_b32_e32 v11, v11, v7
	v_sub_u32_e32 v10, 29, v10
	v_and_b32_e32 v11, 7, v11
	v_cmp_eq_u16_e32 vcc, 0, v6
	v_cndmask_b32_e32 v2, v2, v11, vcc
	v_cndmask_b32_e32 v6, v6, v10, vcc
	v_lshlrev_b32_e32 v10, 24, v7
	v_mov_b32_e32 v11, 0x3b800000
	v_lshlrev_b32_e32 v2, 20, v2
	v_and_b32_e32 v10, 0x80000000, v10
	v_lshl_add_u32 v6, v6, 23, v11
	v_or3_b32 v2, v10, v6, v2
.LBB15_1956:
	s_or_b64 exec, exec, s[6:7]
	s_movk_i32 s4, 0x7f
	v_cmp_gt_i16_sdwa s[6:7], v3, s4 src0_sel:BYTE_0 src1_sel:DWORD
	s_mov_b64 s[4:5], 0
                                        ; implicit-def: $sgpr10
	s_and_saveexec_b64 s[8:9], s[6:7]
	s_xor_b64 s[6:7], exec, s[8:9]
	s_cbranch_execnz .LBB15_4005
; %bb.1957:
	s_or_saveexec_b64 s[6:7], s[6:7]
	v_mov_b32_e32 v6, s10
	s_xor_b64 exec, exec, s[6:7]
	s_cbranch_execnz .LBB15_4008
.LBB15_1958:
	s_or_b64 exec, exec, s[6:7]
	s_and_saveexec_b64 s[6:7], s[4:5]
	s_cbranch_execz .LBB15_1960
.LBB15_1959:
	v_and_b32_e32 v6, 7, v3
	v_ffbh_u32_e32 v11, v6
	v_min_u32_e32 v11, 32, v11
	v_lshrrev_b16_e32 v10, 3, v3
	v_subrev_u32_e32 v12, 28, v11
	v_and_b32_e32 v10, 15, v10
	v_lshlrev_b32_e32 v12, v12, v3
	v_sub_u32_e32 v11, 29, v11
	v_and_b32_e32 v12, 7, v12
	v_cmp_eq_u16_e32 vcc, 0, v10
	v_cndmask_b32_e32 v6, v6, v12, vcc
	v_cndmask_b32_e32 v10, v10, v11, vcc
	v_lshlrev_b32_e32 v11, 24, v3
	v_mov_b32_e32 v12, 0x3b800000
	v_lshlrev_b32_e32 v6, 20, v6
	v_and_b32_e32 v11, 0x80000000, v11
	v_lshl_add_u32 v10, v10, 23, v12
	v_or3_b32 v6, v11, v10, v6
.LBB15_1960:
	s_or_b64 exec, exec, s[6:7]
	s_nop 0
	v_mfma_f32_16x16x4f32 a[0:3], v2, v6, a[0:3]
	v_lshrrev_b32_e32 v6, 8, v7
	s_movk_i32 s4, 0x7f
	v_cmp_gt_i16_sdwa s[6:7], v6, s4 src0_sel:BYTE_0 src1_sel:DWORD
	s_mov_b64 s[4:5], 0
                                        ; implicit-def: $sgpr10
	s_and_saveexec_b64 s[8:9], s[6:7]
	s_xor_b64 s[6:7], exec, s[8:9]
	s_cbranch_execnz .LBB15_4009
; %bb.1961:
	s_or_saveexec_b64 s[6:7], s[6:7]
	v_mov_b32_e32 v2, s10
	s_xor_b64 exec, exec, s[6:7]
	s_cbranch_execnz .LBB15_4012
.LBB15_1962:
	s_or_b64 exec, exec, s[6:7]
	s_and_saveexec_b64 s[6:7], s[4:5]
	s_cbranch_execz .LBB15_1964
.LBB15_1963:
	v_bfe_u32 v2, v7, 8, 3
	v_ffbh_u32_e32 v11, v2
	v_min_u32_e32 v11, 32, v11
	v_lshrrev_b16_e32 v10, 3, v6
	v_subrev_u32_e32 v12, 28, v11
	v_and_b32_e32 v10, 15, v10
	v_lshlrev_b32_e32 v6, v12, v6
	v_sub_u32_e32 v11, 29, v11
	v_and_b32_e32 v6, 7, v6
	v_cmp_eq_u16_e32 vcc, 0, v10
	v_cndmask_b32_e32 v2, v2, v6, vcc
	v_cndmask_b32_e32 v6, v10, v11, vcc
	v_lshlrev_b32_e32 v10, 16, v7
	v_mov_b32_e32 v11, 0x3b800000
	v_lshlrev_b32_e32 v2, 20, v2
	v_and_b32_e32 v10, 0x80000000, v10
	v_lshl_add_u32 v6, v6, 23, v11
	v_or3_b32 v2, v10, v6, v2
.LBB15_1964:
	s_or_b64 exec, exec, s[6:7]
	v_lshrrev_b32_e32 v6, 8, v3
	s_movk_i32 s4, 0x7f
	v_cmp_gt_i16_sdwa s[6:7], v6, s4 src0_sel:BYTE_0 src1_sel:DWORD
	s_mov_b64 s[4:5], 0
                                        ; implicit-def: $sgpr10
	s_and_saveexec_b64 s[8:9], s[6:7]
	s_xor_b64 s[6:7], exec, s[8:9]
	s_cbranch_execnz .LBB15_4013
; %bb.1965:
	s_or_saveexec_b64 s[6:7], s[6:7]
	v_mov_b32_e32 v10, s10
	s_xor_b64 exec, exec, s[6:7]
	s_cbranch_execnz .LBB15_4016
.LBB15_1966:
	s_or_b64 exec, exec, s[6:7]
	s_and_saveexec_b64 s[6:7], s[4:5]
	s_cbranch_execz .LBB15_1968
.LBB15_1967:
	v_bfe_u32 v10, v3, 8, 3
	v_ffbh_u32_e32 v12, v10
	v_min_u32_e32 v12, 32, v12
	v_lshrrev_b16_e32 v11, 3, v6
	v_subrev_u32_e32 v13, 28, v12
	v_and_b32_e32 v11, 15, v11
	v_lshlrev_b32_e32 v6, v13, v6
	v_sub_u32_e32 v12, 29, v12
	v_and_b32_e32 v6, 7, v6
	v_cmp_eq_u16_e32 vcc, 0, v11
	v_cndmask_b32_e32 v6, v10, v6, vcc
	v_cndmask_b32_e32 v10, v11, v12, vcc
	v_lshlrev_b32_e32 v11, 16, v3
	v_mov_b32_e32 v12, 0x3b800000
	v_lshlrev_b32_e32 v6, 20, v6
	v_and_b32_e32 v11, 0x80000000, v11
	v_lshl_add_u32 v10, v10, 23, v12
	v_or3_b32 v10, v11, v10, v6
.LBB15_1968:
	s_or_b64 exec, exec, s[6:7]
	s_nop 0
	v_mfma_f32_16x16x4f32 a[0:3], v2, v10, a[0:3]
	s_movk_i32 s4, 0xff
	v_and_b32_sdwa v6, v7, s4 dst_sel:DWORD dst_unused:UNUSED_PAD src0_sel:WORD_1 src1_sel:DWORD
	s_movk_i32 s4, 0x7f
	v_cmp_lt_i16_e32 vcc, s4, v6
	s_mov_b64 s[4:5], 0
                                        ; implicit-def: $sgpr10
	s_and_saveexec_b64 s[6:7], vcc
	s_xor_b64 s[6:7], exec, s[6:7]
	s_cbranch_execnz .LBB15_4017
; %bb.1969:
	s_or_saveexec_b64 s[6:7], s[6:7]
	v_mov_b32_e32 v2, s10
	s_xor_b64 exec, exec, s[6:7]
	s_cbranch_execnz .LBB15_4020
.LBB15_1970:
	s_or_b64 exec, exec, s[6:7]
	s_and_saveexec_b64 s[6:7], s[4:5]
	s_cbranch_execz .LBB15_1972
.LBB15_1971:
	v_bfe_u32 v2, v7, 16, 3
	v_ffbh_u32_e32 v11, v2
	v_min_u32_e32 v11, 32, v11
	v_lshrrev_b32_e32 v6, 19, v7
	v_subrev_u32_e32 v12, 28, v11
	v_and_b32_e32 v6, 15, v6
	v_lshlrev_b32_sdwa v12, v12, v7 dst_sel:DWORD dst_unused:UNUSED_PAD src0_sel:DWORD src1_sel:WORD_1
	v_bfe_u32 v10, v7, 19, 4
	v_sub_u32_e32 v11, 29, v11
	v_and_b32_e32 v12, 7, v12
	v_cmp_eq_u16_e32 vcc, 0, v6
	v_cndmask_b32_e32 v2, v2, v12, vcc
	v_cndmask_b32_e32 v6, v10, v11, vcc
	v_lshlrev_b32_e32 v10, 8, v7
	v_mov_b32_e32 v11, 0x3b800000
	v_lshlrev_b32_e32 v2, 20, v2
	v_and_b32_e32 v10, 0x80000000, v10
	v_lshl_add_u32 v6, v6, 23, v11
	v_or3_b32 v2, v10, v6, v2
.LBB15_1972:
	s_or_b64 exec, exec, s[6:7]
	s_movk_i32 s4, 0xff
	v_and_b32_sdwa v6, v3, s4 dst_sel:DWORD dst_unused:UNUSED_PAD src0_sel:WORD_1 src1_sel:DWORD
	s_movk_i32 s4, 0x7f
	v_cmp_lt_i16_e32 vcc, s4, v6
	s_mov_b64 s[4:5], 0
                                        ; implicit-def: $sgpr10
	s_and_saveexec_b64 s[6:7], vcc
	s_xor_b64 s[6:7], exec, s[6:7]
	s_cbranch_execnz .LBB15_4021
; %bb.1973:
	s_or_saveexec_b64 s[6:7], s[6:7]
	v_mov_b32_e32 v10, s10
	s_xor_b64 exec, exec, s[6:7]
	s_cbranch_execnz .LBB15_4024
.LBB15_1974:
	s_or_b64 exec, exec, s[6:7]
	s_and_saveexec_b64 s[6:7], s[4:5]
	s_cbranch_execz .LBB15_1976
.LBB15_1975:
	v_bfe_u32 v6, v3, 16, 3
	v_ffbh_u32_e32 v12, v6
	v_min_u32_e32 v12, 32, v12
	v_lshrrev_b32_e32 v10, 19, v3
	v_subrev_u32_e32 v13, 28, v12
	v_and_b32_e32 v10, 15, v10
	v_lshlrev_b32_sdwa v13, v13, v3 dst_sel:DWORD dst_unused:UNUSED_PAD src0_sel:DWORD src1_sel:WORD_1
	v_bfe_u32 v11, v3, 19, 4
	v_sub_u32_e32 v12, 29, v12
	v_and_b32_e32 v13, 7, v13
	v_cmp_eq_u16_e32 vcc, 0, v10
	v_cndmask_b32_e32 v6, v6, v13, vcc
	v_cndmask_b32_e32 v10, v11, v12, vcc
	v_lshlrev_b32_e32 v11, 8, v3
	v_mov_b32_e32 v12, 0x3b800000
	v_lshlrev_b32_e32 v6, 20, v6
	v_and_b32_e32 v11, 0x80000000, v11
	v_lshl_add_u32 v10, v10, 23, v12
	v_or3_b32 v10, v11, v10, v6
.LBB15_1976:
	s_or_b64 exec, exec, s[6:7]
	s_nop 0
	v_mfma_f32_16x16x4f32 a[0:3], v2, v10, a[0:3]
	s_movk_i32 s4, 0x7f
	v_cmp_gt_i16_sdwa s[6:7], v7, s4 src0_sel:BYTE_3 src1_sel:DWORD
	s_mov_b64 s[4:5], 0
                                        ; implicit-def: $sgpr10
	s_and_saveexec_b64 s[8:9], s[6:7]
	s_xor_b64 s[6:7], exec, s[8:9]
	s_cbranch_execnz .LBB15_4025
; %bb.1977:
	s_or_saveexec_b64 s[6:7], s[6:7]
	v_mov_b32_e32 v2, s10
	s_xor_b64 exec, exec, s[6:7]
	s_cbranch_execnz .LBB15_4028
.LBB15_1978:
	s_or_b64 exec, exec, s[6:7]
	s_and_saveexec_b64 s[6:7], s[4:5]
	s_cbranch_execz .LBB15_1980
.LBB15_1979:
	v_bfe_u32 v2, v7, 24, 3
	v_ffbh_u32_e32 v12, v2
	v_min_u32_e32 v12, 32, v12
	v_lshrrev_b32_e32 v10, 27, v7
	v_subrev_u32_e32 v13, 28, v12
	v_and_b32_e32 v6, 0x80000000, v7
	v_and_b32_e32 v10, 15, v10
	v_bfe_u32 v11, v7, 27, 4
	v_lshlrev_b32_sdwa v7, v13, v7 dst_sel:DWORD dst_unused:UNUSED_PAD src0_sel:DWORD src1_sel:BYTE_3
	v_sub_u32_e32 v12, 29, v12
	v_and_b32_e32 v7, 7, v7
	v_cmp_eq_u16_e32 vcc, 0, v10
	v_cndmask_b32_e32 v2, v2, v7, vcc
	v_cndmask_b32_e32 v7, v11, v12, vcc
	v_mov_b32_e32 v10, 0x3b800000
	v_lshlrev_b32_e32 v2, 20, v2
	v_lshl_add_u32 v7, v7, 23, v10
	v_or3_b32 v2, v6, v7, v2
.LBB15_1980:
	s_or_b64 exec, exec, s[6:7]
	s_movk_i32 s4, 0x7f
	v_cmp_gt_i16_sdwa s[6:7], v3, s4 src0_sel:BYTE_3 src1_sel:DWORD
	s_mov_b64 s[4:5], 0
                                        ; implicit-def: $sgpr10
	s_and_saveexec_b64 s[8:9], s[6:7]
	s_xor_b64 s[6:7], exec, s[8:9]
	s_cbranch_execnz .LBB15_4029
; %bb.1981:
	s_or_saveexec_b64 s[6:7], s[6:7]
	v_mov_b32_e32 v6, s10
	s_xor_b64 exec, exec, s[6:7]
	s_cbranch_execnz .LBB15_4032
.LBB15_1982:
	s_or_b64 exec, exec, s[6:7]
	s_and_saveexec_b64 s[6:7], s[4:5]
	s_cbranch_execz .LBB15_1984
.LBB15_1983:
	v_bfe_u32 v6, v3, 24, 3
	v_ffbh_u32_e32 v12, v6
	v_min_u32_e32 v12, 32, v12
	v_lshrrev_b32_e32 v10, 27, v3
	v_subrev_u32_e32 v13, 28, v12
	v_and_b32_e32 v7, 0x80000000, v3
	v_and_b32_e32 v10, 15, v10
	v_bfe_u32 v11, v3, 27, 4
	v_lshlrev_b32_sdwa v3, v13, v3 dst_sel:DWORD dst_unused:UNUSED_PAD src0_sel:DWORD src1_sel:BYTE_3
	v_sub_u32_e32 v12, 29, v12
	v_and_b32_e32 v3, 7, v3
	v_cmp_eq_u16_e32 vcc, 0, v10
	v_cndmask_b32_e32 v3, v6, v3, vcc
	v_cndmask_b32_e32 v6, v11, v12, vcc
	v_mov_b32_e32 v10, 0x3b800000
	v_lshlrev_b32_e32 v3, 20, v3
	v_lshl_add_u32 v6, v6, 23, v10
	v_or3_b32 v6, v7, v6, v3
.LBB15_1984:
	s_or_b64 exec, exec, s[6:7]
	s_nop 0
	v_mfma_f32_16x16x4f32 a[0:3], v2, v6, a[0:3]
	s_movk_i32 s4, 0x7f
	v_cmp_gt_i16_sdwa s[6:7], v8, s4 src0_sel:BYTE_0 src1_sel:DWORD
	s_mov_b64 s[4:5], 0
                                        ; implicit-def: $sgpr10
	s_and_saveexec_b64 s[8:9], s[6:7]
	s_xor_b64 s[6:7], exec, s[8:9]
	s_cbranch_execnz .LBB15_4033
; %bb.1985:
	s_or_saveexec_b64 s[6:7], s[6:7]
	v_mov_b32_e32 v2, s10
	s_xor_b64 exec, exec, s[6:7]
	s_cbranch_execnz .LBB15_4036
.LBB15_1986:
	s_or_b64 exec, exec, s[6:7]
	s_and_saveexec_b64 s[6:7], s[4:5]
	s_cbranch_execz .LBB15_1988
.LBB15_1987:
	v_and_b32_e32 v2, 7, v8
	v_ffbh_u32_e32 v6, v2
	v_min_u32_e32 v6, 32, v6
	v_lshrrev_b16_e32 v3, 3, v8
	v_subrev_u32_e32 v7, 28, v6
	v_and_b32_e32 v3, 15, v3
	v_lshlrev_b32_e32 v7, v7, v8
	v_sub_u32_e32 v6, 29, v6
	v_and_b32_e32 v7, 7, v7
	v_cmp_eq_u16_e32 vcc, 0, v3
	v_cndmask_b32_e32 v2, v2, v7, vcc
	v_cndmask_b32_e32 v3, v3, v6, vcc
	v_lshlrev_b32_e32 v6, 24, v8
	v_mov_b32_e32 v7, 0x3b800000
	v_lshlrev_b32_e32 v2, 20, v2
	v_and_b32_e32 v6, 0x80000000, v6
	v_lshl_add_u32 v3, v3, 23, v7
	v_or3_b32 v2, v6, v3, v2
.LBB15_1988:
	s_or_b64 exec, exec, s[6:7]
	s_movk_i32 s4, 0x7f
	v_cmp_gt_i16_sdwa s[6:7], v4, s4 src0_sel:BYTE_0 src1_sel:DWORD
	s_mov_b64 s[4:5], 0
                                        ; implicit-def: $sgpr10
	s_and_saveexec_b64 s[8:9], s[6:7]
	s_xor_b64 s[6:7], exec, s[8:9]
	s_cbranch_execnz .LBB15_4037
; %bb.1989:
	s_or_saveexec_b64 s[6:7], s[6:7]
	v_mov_b32_e32 v3, s10
	s_xor_b64 exec, exec, s[6:7]
	s_cbranch_execnz .LBB15_4040
.LBB15_1990:
	s_or_b64 exec, exec, s[6:7]
	s_and_saveexec_b64 s[6:7], s[4:5]
	s_cbranch_execz .LBB15_1992
.LBB15_1991:
	v_and_b32_e32 v3, 7, v4
	v_ffbh_u32_e32 v7, v3
	v_min_u32_e32 v7, 32, v7
	v_lshrrev_b16_e32 v6, 3, v4
	v_subrev_u32_e32 v10, 28, v7
	v_and_b32_e32 v6, 15, v6
	v_lshlrev_b32_e32 v10, v10, v4
	v_sub_u32_e32 v7, 29, v7
	v_and_b32_e32 v10, 7, v10
	v_cmp_eq_u16_e32 vcc, 0, v6
	v_cndmask_b32_e32 v3, v3, v10, vcc
	v_cndmask_b32_e32 v6, v6, v7, vcc
	v_lshlrev_b32_e32 v7, 24, v4
	v_mov_b32_e32 v10, 0x3b800000
	v_lshlrev_b32_e32 v3, 20, v3
	v_and_b32_e32 v7, 0x80000000, v7
	v_lshl_add_u32 v6, v6, 23, v10
	v_or3_b32 v3, v7, v6, v3
.LBB15_1992:
	s_or_b64 exec, exec, s[6:7]
	s_nop 0
	v_mfma_f32_16x16x4f32 a[0:3], v2, v3, a[0:3]
	v_lshrrev_b32_e32 v3, 8, v8
	s_movk_i32 s4, 0x7f
	v_cmp_gt_i16_sdwa s[6:7], v3, s4 src0_sel:BYTE_0 src1_sel:DWORD
	s_mov_b64 s[4:5], 0
                                        ; implicit-def: $sgpr10
	s_and_saveexec_b64 s[8:9], s[6:7]
	s_xor_b64 s[6:7], exec, s[8:9]
	s_cbranch_execnz .LBB15_4041
; %bb.1993:
	s_or_saveexec_b64 s[6:7], s[6:7]
	v_mov_b32_e32 v2, s10
	s_xor_b64 exec, exec, s[6:7]
	s_cbranch_execnz .LBB15_4044
.LBB15_1994:
	s_or_b64 exec, exec, s[6:7]
	s_and_saveexec_b64 s[6:7], s[4:5]
	s_cbranch_execz .LBB15_1996
.LBB15_1995:
	v_bfe_u32 v2, v8, 8, 3
	v_ffbh_u32_e32 v7, v2
	v_min_u32_e32 v7, 32, v7
	v_lshrrev_b16_e32 v6, 3, v3
	v_subrev_u32_e32 v10, 28, v7
	v_and_b32_e32 v6, 15, v6
	v_lshlrev_b32_e32 v3, v10, v3
	v_sub_u32_e32 v7, 29, v7
	v_and_b32_e32 v3, 7, v3
	v_cmp_eq_u16_e32 vcc, 0, v6
	v_cndmask_b32_e32 v2, v2, v3, vcc
	v_cndmask_b32_e32 v3, v6, v7, vcc
	v_lshlrev_b32_e32 v6, 16, v8
	v_mov_b32_e32 v7, 0x3b800000
	v_lshlrev_b32_e32 v2, 20, v2
	v_and_b32_e32 v6, 0x80000000, v6
	v_lshl_add_u32 v3, v3, 23, v7
	v_or3_b32 v2, v6, v3, v2
.LBB15_1996:
	s_or_b64 exec, exec, s[6:7]
	v_lshrrev_b32_e32 v3, 8, v4
	s_movk_i32 s4, 0x7f
	v_cmp_gt_i16_sdwa s[6:7], v3, s4 src0_sel:BYTE_0 src1_sel:DWORD
	s_mov_b64 s[4:5], 0
                                        ; implicit-def: $sgpr10
	s_and_saveexec_b64 s[8:9], s[6:7]
	s_xor_b64 s[6:7], exec, s[8:9]
	s_cbranch_execnz .LBB15_4045
; %bb.1997:
	s_or_saveexec_b64 s[6:7], s[6:7]
	v_mov_b32_e32 v6, s10
	s_xor_b64 exec, exec, s[6:7]
	s_cbranch_execnz .LBB15_4048
.LBB15_1998:
	s_or_b64 exec, exec, s[6:7]
	s_and_saveexec_b64 s[6:7], s[4:5]
	s_cbranch_execz .LBB15_2000
.LBB15_1999:
	v_bfe_u32 v6, v4, 8, 3
	v_ffbh_u32_e32 v10, v6
	v_min_u32_e32 v10, 32, v10
	v_lshrrev_b16_e32 v7, 3, v3
	v_subrev_u32_e32 v11, 28, v10
	v_and_b32_e32 v7, 15, v7
	v_lshlrev_b32_e32 v3, v11, v3
	v_sub_u32_e32 v10, 29, v10
	v_and_b32_e32 v3, 7, v3
	v_cmp_eq_u16_e32 vcc, 0, v7
	v_cndmask_b32_e32 v3, v6, v3, vcc
	v_cndmask_b32_e32 v6, v7, v10, vcc
	v_lshlrev_b32_e32 v7, 16, v4
	v_mov_b32_e32 v10, 0x3b800000
	v_lshlrev_b32_e32 v3, 20, v3
	v_and_b32_e32 v7, 0x80000000, v7
	v_lshl_add_u32 v6, v6, 23, v10
	v_or3_b32 v6, v7, v6, v3
.LBB15_2000:
	s_or_b64 exec, exec, s[6:7]
	s_nop 0
	v_mfma_f32_16x16x4f32 a[0:3], v2, v6, a[0:3]
	s_movk_i32 s4, 0xff
	v_and_b32_sdwa v3, v8, s4 dst_sel:DWORD dst_unused:UNUSED_PAD src0_sel:WORD_1 src1_sel:DWORD
	s_movk_i32 s4, 0x7f
	v_cmp_lt_i16_e32 vcc, s4, v3
	s_mov_b64 s[4:5], 0
                                        ; implicit-def: $sgpr10
	s_and_saveexec_b64 s[6:7], vcc
	s_xor_b64 s[6:7], exec, s[6:7]
	s_cbranch_execnz .LBB15_4049
; %bb.2001:
	s_or_saveexec_b64 s[6:7], s[6:7]
	v_mov_b32_e32 v2, s10
	s_xor_b64 exec, exec, s[6:7]
	s_cbranch_execnz .LBB15_4052
.LBB15_2002:
	s_or_b64 exec, exec, s[6:7]
	s_and_saveexec_b64 s[6:7], s[4:5]
	s_cbranch_execz .LBB15_2004
.LBB15_2003:
	v_bfe_u32 v2, v8, 16, 3
	v_ffbh_u32_e32 v7, v2
	v_min_u32_e32 v7, 32, v7
	v_lshrrev_b32_e32 v3, 19, v8
	v_subrev_u32_e32 v10, 28, v7
	v_and_b32_e32 v3, 15, v3
	v_lshlrev_b32_sdwa v10, v10, v8 dst_sel:DWORD dst_unused:UNUSED_PAD src0_sel:DWORD src1_sel:WORD_1
	v_bfe_u32 v6, v8, 19, 4
	v_sub_u32_e32 v7, 29, v7
	v_and_b32_e32 v10, 7, v10
	v_cmp_eq_u16_e32 vcc, 0, v3
	v_cndmask_b32_e32 v2, v2, v10, vcc
	v_cndmask_b32_e32 v3, v6, v7, vcc
	v_lshlrev_b32_e32 v6, 8, v8
	v_mov_b32_e32 v7, 0x3b800000
	v_lshlrev_b32_e32 v2, 20, v2
	v_and_b32_e32 v6, 0x80000000, v6
	v_lshl_add_u32 v3, v3, 23, v7
	v_or3_b32 v2, v6, v3, v2
.LBB15_2004:
	s_or_b64 exec, exec, s[6:7]
	s_movk_i32 s4, 0xff
	v_and_b32_sdwa v3, v4, s4 dst_sel:DWORD dst_unused:UNUSED_PAD src0_sel:WORD_1 src1_sel:DWORD
	s_movk_i32 s4, 0x7f
	v_cmp_lt_i16_e32 vcc, s4, v3
	s_mov_b64 s[4:5], 0
                                        ; implicit-def: $sgpr10
	s_and_saveexec_b64 s[6:7], vcc
	s_xor_b64 s[6:7], exec, s[6:7]
	s_cbranch_execnz .LBB15_4053
; %bb.2005:
	s_or_saveexec_b64 s[6:7], s[6:7]
	v_mov_b32_e32 v6, s10
	s_xor_b64 exec, exec, s[6:7]
	s_cbranch_execnz .LBB15_4056
.LBB15_2006:
	s_or_b64 exec, exec, s[6:7]
	s_and_saveexec_b64 s[6:7], s[4:5]
	s_cbranch_execz .LBB15_2008
.LBB15_2007:
	v_bfe_u32 v3, v4, 16, 3
	v_ffbh_u32_e32 v10, v3
	v_min_u32_e32 v10, 32, v10
	v_lshrrev_b32_e32 v6, 19, v4
	v_subrev_u32_e32 v11, 28, v10
	v_and_b32_e32 v6, 15, v6
	v_lshlrev_b32_sdwa v11, v11, v4 dst_sel:DWORD dst_unused:UNUSED_PAD src0_sel:DWORD src1_sel:WORD_1
	v_bfe_u32 v7, v4, 19, 4
	v_sub_u32_e32 v10, 29, v10
	v_and_b32_e32 v11, 7, v11
	v_cmp_eq_u16_e32 vcc, 0, v6
	v_cndmask_b32_e32 v3, v3, v11, vcc
	v_cndmask_b32_e32 v6, v7, v10, vcc
	v_lshlrev_b32_e32 v7, 8, v4
	v_mov_b32_e32 v10, 0x3b800000
	v_lshlrev_b32_e32 v3, 20, v3
	v_and_b32_e32 v7, 0x80000000, v7
	v_lshl_add_u32 v6, v6, 23, v10
	v_or3_b32 v6, v7, v6, v3
.LBB15_2008:
	s_or_b64 exec, exec, s[6:7]
	s_nop 0
	v_mfma_f32_16x16x4f32 a[0:3], v2, v6, a[0:3]
	s_movk_i32 s4, 0x7f
	v_cmp_gt_i16_sdwa s[6:7], v8, s4 src0_sel:BYTE_3 src1_sel:DWORD
	s_mov_b64 s[4:5], 0
                                        ; implicit-def: $sgpr10
	s_and_saveexec_b64 s[8:9], s[6:7]
	s_xor_b64 s[6:7], exec, s[8:9]
	s_cbranch_execnz .LBB15_4057
; %bb.2009:
	s_or_saveexec_b64 s[6:7], s[6:7]
	v_mov_b32_e32 v2, s10
	s_xor_b64 exec, exec, s[6:7]
	s_cbranch_execnz .LBB15_4060
.LBB15_2010:
	s_or_b64 exec, exec, s[6:7]
	s_and_saveexec_b64 s[6:7], s[4:5]
	s_cbranch_execz .LBB15_2012
.LBB15_2011:
	v_bfe_u32 v2, v8, 24, 3
	v_ffbh_u32_e32 v10, v2
	v_min_u32_e32 v10, 32, v10
	v_lshrrev_b32_e32 v6, 27, v8
	v_subrev_u32_e32 v11, 28, v10
	v_and_b32_e32 v3, 0x80000000, v8
	v_and_b32_e32 v6, 15, v6
	v_bfe_u32 v7, v8, 27, 4
	v_lshlrev_b32_sdwa v8, v11, v8 dst_sel:DWORD dst_unused:UNUSED_PAD src0_sel:DWORD src1_sel:BYTE_3
	v_sub_u32_e32 v10, 29, v10
	v_and_b32_e32 v8, 7, v8
	v_cmp_eq_u16_e32 vcc, 0, v6
	v_cndmask_b32_e32 v2, v2, v8, vcc
	v_cndmask_b32_e32 v6, v7, v10, vcc
	v_mov_b32_e32 v7, 0x3b800000
	v_lshlrev_b32_e32 v2, 20, v2
	v_lshl_add_u32 v6, v6, 23, v7
	v_or3_b32 v2, v3, v6, v2
.LBB15_2012:
	s_or_b64 exec, exec, s[6:7]
	s_movk_i32 s4, 0x7f
	v_cmp_gt_i16_sdwa s[6:7], v4, s4 src0_sel:BYTE_3 src1_sel:DWORD
	s_mov_b64 s[4:5], 0
                                        ; implicit-def: $sgpr10
	s_and_saveexec_b64 s[8:9], s[6:7]
	s_xor_b64 s[6:7], exec, s[8:9]
	s_cbranch_execnz .LBB15_4061
; %bb.2013:
	s_or_saveexec_b64 s[6:7], s[6:7]
	v_mov_b32_e32 v3, s10
	s_xor_b64 exec, exec, s[6:7]
	s_cbranch_execnz .LBB15_4064
.LBB15_2014:
	s_or_b64 exec, exec, s[6:7]
	s_and_saveexec_b64 s[6:7], s[4:5]
	s_cbranch_execz .LBB15_2016
.LBB15_2015:
	v_bfe_u32 v3, v4, 24, 3
	v_ffbh_u32_e32 v10, v3
	v_min_u32_e32 v10, 32, v10
	v_lshrrev_b32_e32 v7, 27, v4
	v_subrev_u32_e32 v11, 28, v10
	v_and_b32_e32 v6, 0x80000000, v4
	v_and_b32_e32 v7, 15, v7
	v_bfe_u32 v8, v4, 27, 4
	v_lshlrev_b32_sdwa v4, v11, v4 dst_sel:DWORD dst_unused:UNUSED_PAD src0_sel:DWORD src1_sel:BYTE_3
	v_sub_u32_e32 v10, 29, v10
	v_and_b32_e32 v4, 7, v4
	v_cmp_eq_u16_e32 vcc, 0, v7
	v_cndmask_b32_e32 v3, v3, v4, vcc
	v_cndmask_b32_e32 v4, v8, v10, vcc
	v_mov_b32_e32 v7, 0x3b800000
	v_lshlrev_b32_e32 v3, 20, v3
	v_lshl_add_u32 v4, v4, 23, v7
	v_or3_b32 v3, v6, v4, v3
.LBB15_2016:
	s_or_b64 exec, exec, s[6:7]
	s_nop 0
	v_mfma_f32_16x16x4f32 a[0:3], v2, v3, a[0:3]
	s_movk_i32 s4, 0x7f
	v_cmp_gt_i16_sdwa s[6:7], v9, s4 src0_sel:BYTE_0 src1_sel:DWORD
	s_mov_b64 s[4:5], 0
                                        ; implicit-def: $sgpr10
	s_and_saveexec_b64 s[8:9], s[6:7]
	s_xor_b64 s[6:7], exec, s[8:9]
	s_cbranch_execnz .LBB15_4065
; %bb.2017:
	s_or_saveexec_b64 s[6:7], s[6:7]
	v_mov_b32_e32 v2, s10
	s_xor_b64 exec, exec, s[6:7]
	s_cbranch_execnz .LBB15_4068
.LBB15_2018:
	s_or_b64 exec, exec, s[6:7]
	s_and_saveexec_b64 s[6:7], s[4:5]
	s_cbranch_execz .LBB15_2020
.LBB15_2019:
	v_mov_b32_e32 v2, 8
	v_and_b32_e32 v3, 7, v9
	v_lshrrev_b32_sdwa v2, v2, v9 dst_sel:BYTE_1 dst_unused:UNUSED_PAD src0_sel:DWORD src1_sel:DWORD
	v_ffbh_u32_e32 v4, v3
	v_or_b32_sdwa v2, v9, v2 dst_sel:DWORD dst_unused:UNUSED_PAD src0_sel:BYTE_0 src1_sel:DWORD
	v_min_u32_e32 v4, 32, v4
	v_lshrrev_b16_e32 v2, 3, v2
	v_subrev_u32_e32 v6, 28, v4
	v_and_b32_e32 v2, 15, v2
	v_lshlrev_b32_e32 v6, v6, v9
	v_sub_u32_e32 v4, 29, v4
	v_and_b32_e32 v6, 7, v6
	v_cmp_eq_u16_e32 vcc, 0, v2
	v_cndmask_b32_e32 v3, v3, v6, vcc
	v_cndmask_b32_e32 v2, v2, v4, vcc
	v_lshlrev_b32_e32 v4, 24, v9
	v_mov_b32_e32 v6, 0x3b800000
	v_lshlrev_b32_e32 v3, 20, v3
	v_and_b32_e32 v4, 0x80000000, v4
	v_lshl_add_u32 v2, v2, 23, v6
	v_or3_b32 v2, v4, v2, v3
.LBB15_2020:
	s_or_b64 exec, exec, s[6:7]
	s_movk_i32 s4, 0x7f
	v_cmp_gt_i16_sdwa s[6:7], v5, s4 src0_sel:BYTE_0 src1_sel:DWORD
	s_mov_b64 s[4:5], 0
                                        ; implicit-def: $sgpr10
	s_and_saveexec_b64 s[8:9], s[6:7]
	s_xor_b64 s[6:7], exec, s[8:9]
	s_cbranch_execnz .LBB15_4069
; %bb.2021:
	s_or_saveexec_b64 s[6:7], s[6:7]
	v_mov_b32_e32 v3, s10
	s_xor_b64 exec, exec, s[6:7]
	s_cbranch_execnz .LBB15_4072
.LBB15_2022:
	s_or_b64 exec, exec, s[6:7]
	s_and_saveexec_b64 s[6:7], s[4:5]
	s_cbranch_execz .LBB15_2024
.LBB15_2023:
	v_mov_b32_e32 v3, 8
	v_and_b32_e32 v4, 7, v5
	v_lshrrev_b32_sdwa v3, v3, v5 dst_sel:BYTE_1 dst_unused:UNUSED_PAD src0_sel:DWORD src1_sel:DWORD
	v_ffbh_u32_e32 v6, v4
	v_or_b32_sdwa v3, v5, v3 dst_sel:DWORD dst_unused:UNUSED_PAD src0_sel:BYTE_0 src1_sel:DWORD
	v_min_u32_e32 v6, 32, v6
	v_lshrrev_b16_e32 v3, 3, v3
	v_subrev_u32_e32 v7, 28, v6
	v_and_b32_e32 v3, 15, v3
	v_lshlrev_b32_e32 v7, v7, v5
	v_sub_u32_e32 v6, 29, v6
	v_and_b32_e32 v7, 7, v7
	v_cmp_eq_u16_e32 vcc, 0, v3
	v_cndmask_b32_e32 v4, v4, v7, vcc
	v_cndmask_b32_e32 v3, v3, v6, vcc
	v_lshlrev_b32_e32 v6, 24, v5
	v_mov_b32_e32 v7, 0x3b800000
	v_lshlrev_b32_e32 v4, 20, v4
	v_and_b32_e32 v6, 0x80000000, v6
	v_lshl_add_u32 v3, v3, 23, v7
	v_or3_b32 v3, v6, v3, v4
.LBB15_2024:
	s_or_b64 exec, exec, s[6:7]
	s_nop 0
	v_mfma_f32_16x16x4f32 a[0:3], v2, v3, a[0:3]
	v_lshrrev_b32_e32 v3, 8, v9
	s_movk_i32 s4, 0x7f
	v_cmp_gt_i16_sdwa s[6:7], v3, s4 src0_sel:BYTE_0 src1_sel:DWORD
	s_mov_b64 s[4:5], 0
                                        ; implicit-def: $sgpr10
	s_and_saveexec_b64 s[8:9], s[6:7]
	s_xor_b64 s[6:7], exec, s[8:9]
	s_cbranch_execnz .LBB15_4073
; %bb.2025:
	s_or_saveexec_b64 s[6:7], s[6:7]
	v_mov_b32_e32 v2, s10
	s_xor_b64 exec, exec, s[6:7]
	s_cbranch_execnz .LBB15_4076
.LBB15_2026:
	s_or_b64 exec, exec, s[6:7]
	s_and_saveexec_b64 s[6:7], s[4:5]
	s_cbranch_execz .LBB15_2028
.LBB15_2027:
	v_bfe_u32 v2, v9, 8, 3
	v_ffbh_u32_e32 v6, v2
	v_min_u32_e32 v6, 32, v6
	v_lshrrev_b16_e32 v4, 3, v3
	v_subrev_u32_e32 v7, 28, v6
	v_and_b32_e32 v4, 15, v4
	v_lshlrev_b32_e32 v3, v7, v3
	v_sub_u32_e32 v6, 29, v6
	v_and_b32_e32 v3, 7, v3
	v_cmp_eq_u16_e32 vcc, 0, v4
	v_cndmask_b32_e32 v2, v2, v3, vcc
	v_cndmask_b32_e32 v3, v4, v6, vcc
	v_lshlrev_b32_e32 v4, 16, v9
	v_mov_b32_e32 v6, 0x3b800000
	v_lshlrev_b32_e32 v2, 20, v2
	v_and_b32_e32 v4, 0x80000000, v4
	v_lshl_add_u32 v3, v3, 23, v6
	v_or3_b32 v2, v4, v3, v2
.LBB15_2028:
	s_or_b64 exec, exec, s[6:7]
	v_lshrrev_b32_e32 v3, 8, v5
	s_movk_i32 s4, 0x7f
	v_cmp_gt_i16_sdwa s[6:7], v3, s4 src0_sel:BYTE_0 src1_sel:DWORD
	s_mov_b64 s[4:5], 0
                                        ; implicit-def: $sgpr10
	s_and_saveexec_b64 s[8:9], s[6:7]
	s_xor_b64 s[6:7], exec, s[8:9]
	s_cbranch_execnz .LBB15_4077
; %bb.2029:
	s_or_saveexec_b64 s[6:7], s[6:7]
	v_mov_b32_e32 v4, s10
	s_xor_b64 exec, exec, s[6:7]
	s_cbranch_execnz .LBB15_4080
.LBB15_2030:
	s_or_b64 exec, exec, s[6:7]
	s_and_saveexec_b64 s[6:7], s[4:5]
	s_cbranch_execz .LBB15_2032
.LBB15_2031:
	v_bfe_u32 v4, v5, 8, 3
	v_ffbh_u32_e32 v7, v4
	v_min_u32_e32 v7, 32, v7
	v_lshrrev_b16_e32 v6, 3, v3
	v_subrev_u32_e32 v8, 28, v7
	v_and_b32_e32 v6, 15, v6
	v_lshlrev_b32_e32 v3, v8, v3
	v_sub_u32_e32 v7, 29, v7
	v_and_b32_e32 v3, 7, v3
	v_cmp_eq_u16_e32 vcc, 0, v6
	v_cndmask_b32_e32 v3, v4, v3, vcc
	v_cndmask_b32_e32 v4, v6, v7, vcc
	v_lshlrev_b32_e32 v6, 16, v5
	v_mov_b32_e32 v7, 0x3b800000
	v_lshlrev_b32_e32 v3, 20, v3
	v_and_b32_e32 v6, 0x80000000, v6
	v_lshl_add_u32 v4, v4, 23, v7
	v_or3_b32 v4, v6, v4, v3
.LBB15_2032:
	s_or_b64 exec, exec, s[6:7]
	s_nop 0
	v_mfma_f32_16x16x4f32 a[0:3], v2, v4, a[0:3]
	s_movk_i32 s4, 0xff
	v_and_b32_sdwa v3, v9, s4 dst_sel:DWORD dst_unused:UNUSED_PAD src0_sel:WORD_1 src1_sel:DWORD
	s_movk_i32 s4, 0x7f
	v_cmp_lt_i16_e32 vcc, s4, v3
	s_mov_b64 s[4:5], 0
                                        ; implicit-def: $sgpr10
	s_and_saveexec_b64 s[6:7], vcc
	s_xor_b64 s[6:7], exec, s[6:7]
	s_cbranch_execnz .LBB15_4081
; %bb.2033:
	s_or_saveexec_b64 s[6:7], s[6:7]
	v_mov_b32_e32 v2, s10
	s_xor_b64 exec, exec, s[6:7]
	s_cbranch_execnz .LBB15_4084
.LBB15_2034:
	s_or_b64 exec, exec, s[6:7]
	s_and_saveexec_b64 s[6:7], s[4:5]
	s_cbranch_execz .LBB15_2036
.LBB15_2035:
	v_bfe_u32 v2, v9, 16, 3
	v_ffbh_u32_e32 v6, v2
	v_min_u32_e32 v6, 32, v6
	v_lshrrev_b32_e32 v3, 19, v9
	v_subrev_u32_e32 v7, 28, v6
	v_and_b32_e32 v3, 15, v3
	v_lshlrev_b32_sdwa v7, v7, v9 dst_sel:DWORD dst_unused:UNUSED_PAD src0_sel:DWORD src1_sel:WORD_1
	v_bfe_u32 v4, v9, 19, 4
	v_sub_u32_e32 v6, 29, v6
	v_and_b32_e32 v7, 7, v7
	v_cmp_eq_u16_e32 vcc, 0, v3
	v_cndmask_b32_e32 v2, v2, v7, vcc
	v_cndmask_b32_e32 v3, v4, v6, vcc
	v_lshlrev_b32_e32 v4, 8, v9
	v_mov_b32_e32 v6, 0x3b800000
	v_lshlrev_b32_e32 v2, 20, v2
	v_and_b32_e32 v4, 0x80000000, v4
	v_lshl_add_u32 v3, v3, 23, v6
	v_or3_b32 v2, v4, v3, v2
.LBB15_2036:
	s_or_b64 exec, exec, s[6:7]
	s_movk_i32 s4, 0xff
	v_and_b32_sdwa v3, v5, s4 dst_sel:DWORD dst_unused:UNUSED_PAD src0_sel:WORD_1 src1_sel:DWORD
	s_movk_i32 s4, 0x7f
	v_cmp_lt_i16_e32 vcc, s4, v3
	s_mov_b64 s[4:5], 0
                                        ; implicit-def: $sgpr10
	s_and_saveexec_b64 s[6:7], vcc
	s_xor_b64 s[6:7], exec, s[6:7]
	s_cbranch_execnz .LBB15_4085
; %bb.2037:
	s_or_saveexec_b64 s[6:7], s[6:7]
	v_mov_b32_e32 v4, s10
	s_xor_b64 exec, exec, s[6:7]
	s_cbranch_execnz .LBB15_4088
.LBB15_2038:
	s_or_b64 exec, exec, s[6:7]
	s_and_saveexec_b64 s[6:7], s[4:5]
	s_cbranch_execz .LBB15_2040
.LBB15_2039:
	v_bfe_u32 v3, v5, 16, 3
	v_ffbh_u32_e32 v7, v3
	v_min_u32_e32 v7, 32, v7
	v_lshrrev_b32_e32 v4, 19, v5
	v_subrev_u32_e32 v8, 28, v7
	v_and_b32_e32 v4, 15, v4
	v_lshlrev_b32_sdwa v8, v8, v5 dst_sel:DWORD dst_unused:UNUSED_PAD src0_sel:DWORD src1_sel:WORD_1
	v_bfe_u32 v6, v5, 19, 4
	v_sub_u32_e32 v7, 29, v7
	v_and_b32_e32 v8, 7, v8
	v_cmp_eq_u16_e32 vcc, 0, v4
	v_cndmask_b32_e32 v3, v3, v8, vcc
	v_cndmask_b32_e32 v4, v6, v7, vcc
	v_lshlrev_b32_e32 v6, 8, v5
	v_mov_b32_e32 v7, 0x3b800000
	v_lshlrev_b32_e32 v3, 20, v3
	v_and_b32_e32 v6, 0x80000000, v6
	v_lshl_add_u32 v4, v4, 23, v7
	v_or3_b32 v4, v6, v4, v3
.LBB15_2040:
	s_or_b64 exec, exec, s[6:7]
	s_nop 0
	v_mfma_f32_16x16x4f32 a[0:3], v2, v4, a[0:3]
	s_movk_i32 s4, 0x7f
	v_cmp_gt_i16_sdwa s[6:7], v9, s4 src0_sel:BYTE_3 src1_sel:DWORD
	s_mov_b64 s[4:5], 0
                                        ; implicit-def: $sgpr10
	s_and_saveexec_b64 s[8:9], s[6:7]
	s_xor_b64 s[6:7], exec, s[8:9]
	s_cbranch_execnz .LBB15_4089
; %bb.2041:
	s_or_saveexec_b64 s[6:7], s[6:7]
	v_mov_b32_e32 v2, s10
	s_xor_b64 exec, exec, s[6:7]
	s_cbranch_execnz .LBB15_4092
.LBB15_2042:
	s_or_b64 exec, exec, s[6:7]
	s_and_saveexec_b64 s[6:7], s[4:5]
	s_cbranch_execz .LBB15_2044
.LBB15_2043:
	v_bfe_u32 v2, v9, 24, 3
	v_ffbh_u32_e32 v7, v2
	v_min_u32_e32 v7, 32, v7
	v_lshrrev_b32_e32 v4, 27, v9
	v_subrev_u32_e32 v8, 28, v7
	v_and_b32_e32 v4, 15, v4
	v_lshlrev_b32_sdwa v8, v8, v9 dst_sel:DWORD dst_unused:UNUSED_PAD src0_sel:DWORD src1_sel:BYTE_3
	v_bfe_u32 v6, v9, 27, 4
	v_sub_u32_e32 v7, 29, v7
	v_and_b32_e32 v8, 7, v8
	v_cmp_eq_u16_e32 vcc, 0, v4
	v_cndmask_b32_e32 v2, v2, v8, vcc
	v_cndmask_b32_e32 v4, v6, v7, vcc
	v_mov_b32_e32 v6, 0x3b800000
	v_and_b32_e32 v3, 0x80000000, v9
	v_lshlrev_b32_e32 v2, 20, v2
	v_lshl_add_u32 v4, v4, 23, v6
	v_or3_b32 v2, v3, v4, v2
.LBB15_2044:
	s_or_b64 exec, exec, s[6:7]
	s_movk_i32 s4, 0x7f
	v_cmp_gt_i16_sdwa s[6:7], v5, s4 src0_sel:BYTE_3 src1_sel:DWORD
	s_mov_b64 s[4:5], 0
                                        ; implicit-def: $sgpr10
	s_and_saveexec_b64 s[8:9], s[6:7]
	s_xor_b64 s[6:7], exec, s[8:9]
	s_cbranch_execnz .LBB15_4093
; %bb.2045:
	s_or_saveexec_b64 s[6:7], s[6:7]
	v_mov_b32_e32 v3, s10
	s_xor_b64 exec, exec, s[6:7]
	s_cbranch_execnz .LBB15_4096
.LBB15_2046:
	s_or_b64 exec, exec, s[6:7]
	s_and_saveexec_b64 s[6:7], s[4:5]
	s_cbranch_execz .LBB15_2048
.LBB15_2047:
	v_bfe_u32 v3, v5, 24, 3
	v_ffbh_u32_e32 v8, v3
	v_min_u32_e32 v8, 32, v8
	v_lshrrev_b32_e32 v6, 27, v5
	v_subrev_u32_e32 v9, 28, v8
	v_and_b32_e32 v4, 0x80000000, v5
	v_and_b32_e32 v6, 15, v6
	v_bfe_u32 v7, v5, 27, 4
	v_lshlrev_b32_sdwa v5, v9, v5 dst_sel:DWORD dst_unused:UNUSED_PAD src0_sel:DWORD src1_sel:BYTE_3
	v_sub_u32_e32 v8, 29, v8
	v_and_b32_e32 v5, 7, v5
	v_cmp_eq_u16_e32 vcc, 0, v6
	v_cndmask_b32_e32 v3, v3, v5, vcc
	v_cndmask_b32_e32 v5, v7, v8, vcc
	v_mov_b32_e32 v6, 0x3b800000
	v_lshlrev_b32_e32 v3, 20, v3
	v_lshl_add_u32 v5, v5, 23, v6
	v_or3_b32 v3, v4, v5, v3
.LBB15_2048:
	s_or_b64 exec, exec, s[6:7]
	s_nop 0
	v_mfma_f32_16x16x4f32 a[0:3], v2, v3, a[0:3]
	s_nop 7
	s_nop 2
	flat_store_dwordx4 v[0:1], a[0:3] offset:240
	s_waitcnt vmcnt(0) lgkmcnt(0)
	s_setpc_b64 s[30:31]
.LBB15_2049:
	s_movk_i32 s4, 0x80
	v_cmp_eq_u16_sdwa s[12:13], v6, s4 src0_sel:BYTE_0 src1_sel:DWORD
	s_mov_b64 s[4:5], -1
                                        ; implicit-def: $sgpr10
	s_and_saveexec_b64 s[8:9], s[12:13]
; %bb.2050:
	s_mov_b32 s10, 0x7f800001
	s_xor_b64 s[4:5], exec, -1
; %bb.2051:
	s_or_b64 exec, exec, s[8:9]
	s_and_b64 s[4:5], s[4:5], exec
	s_or_saveexec_b64 s[6:7], s[6:7]
	v_mov_b32_e32 v12, s10
	s_xor_b64 exec, exec, s[6:7]
	s_cbranch_execz .LBB15_2
.LBB15_2052:
	v_mov_b32_e32 v12, 0
	v_cmp_ne_u16_sdwa s[8:9], v6, v12 src0_sel:BYTE_0 src1_sel:DWORD
	s_andn2_b64 s[4:5], s[4:5], exec
	s_and_b64 s[8:9], s[8:9], exec
	s_or_b64 s[4:5], s[4:5], s[8:9]
	s_or_b64 exec, exec, s[6:7]
	s_and_saveexec_b64 s[6:7], s[4:5]
	s_cbranch_execnz .LBB15_3
	s_branch .LBB15_4
.LBB15_2053:
	s_movk_i32 s4, 0x80
	v_cmp_eq_u16_sdwa s[12:13], v2, s4 src0_sel:BYTE_0 src1_sel:DWORD
	s_mov_b64 s[4:5], -1
                                        ; implicit-def: $sgpr10
	s_and_saveexec_b64 s[8:9], s[12:13]
; %bb.2054:
	s_mov_b32 s10, 0x7f800001
	s_xor_b64 s[4:5], exec, -1
; %bb.2055:
	s_or_b64 exec, exec, s[8:9]
	s_and_b64 s[4:5], s[4:5], exec
	s_or_saveexec_b64 s[6:7], s[6:7]
	v_mov_b32_e32 v13, s10
	s_xor_b64 exec, exec, s[6:7]
	s_cbranch_execz .LBB15_6
.LBB15_2056:
	v_mov_b32_e32 v13, 0
	v_cmp_ne_u16_sdwa s[8:9], v2, v13 src0_sel:BYTE_0 src1_sel:DWORD
	s_andn2_b64 s[4:5], s[4:5], exec
	s_and_b64 s[8:9], s[8:9], exec
	s_or_b64 s[4:5], s[4:5], s[8:9]
	s_or_b64 exec, exec, s[6:7]
	s_and_saveexec_b64 s[6:7], s[4:5]
	s_cbranch_execnz .LBB15_7
	s_branch .LBB15_8
.LBB15_2057:
	s_movk_i32 s4, 0x80
	v_cmp_eq_u16_sdwa s[12:13], v13, s4 src0_sel:BYTE_0 src1_sel:DWORD
	s_mov_b64 s[4:5], -1
                                        ; implicit-def: $sgpr10
	s_and_saveexec_b64 s[8:9], s[12:13]
; %bb.2058:
	s_mov_b32 s10, 0x7f800001
	s_xor_b64 s[4:5], exec, -1
; %bb.2059:
	s_or_b64 exec, exec, s[8:9]
	s_and_b64 s[4:5], s[4:5], exec
	s_or_saveexec_b64 s[6:7], s[6:7]
	v_mov_b32_e32 v12, s10
	s_xor_b64 exec, exec, s[6:7]
	s_cbranch_execz .LBB15_10
.LBB15_2060:
	v_mov_b32_e32 v12, 0
	v_cmp_ne_u16_sdwa s[8:9], v13, v12 src0_sel:BYTE_0 src1_sel:DWORD
	s_andn2_b64 s[4:5], s[4:5], exec
	s_and_b64 s[8:9], s[8:9], exec
	s_or_b64 s[4:5], s[4:5], s[8:9]
	s_or_b64 exec, exec, s[6:7]
	s_and_saveexec_b64 s[6:7], s[4:5]
	s_cbranch_execnz .LBB15_11
	s_branch .LBB15_12
.LBB15_2061:
	s_movk_i32 s4, 0x80
	v_cmp_eq_u16_sdwa s[12:13], v13, s4 src0_sel:BYTE_0 src1_sel:DWORD
	s_mov_b64 s[4:5], -1
                                        ; implicit-def: $sgpr10
	s_and_saveexec_b64 s[8:9], s[12:13]
; %bb.2062:
	s_mov_b32 s10, 0x7f800001
	s_xor_b64 s[4:5], exec, -1
; %bb.2063:
	s_or_b64 exec, exec, s[8:9]
	s_and_b64 s[4:5], s[4:5], exec
	s_or_saveexec_b64 s[6:7], s[6:7]
	v_mov_b32_e32 v14, s10
	s_xor_b64 exec, exec, s[6:7]
	s_cbranch_execz .LBB15_14
.LBB15_2064:
	v_mov_b32_e32 v14, 0
	v_cmp_ne_u16_sdwa s[8:9], v13, v14 src0_sel:BYTE_0 src1_sel:DWORD
	s_andn2_b64 s[4:5], s[4:5], exec
	s_and_b64 s[8:9], s[8:9], exec
	s_or_b64 s[4:5], s[4:5], s[8:9]
	s_or_b64 exec, exec, s[6:7]
	s_and_saveexec_b64 s[6:7], s[4:5]
	s_cbranch_execnz .LBB15_15
	s_branch .LBB15_16
.LBB15_2065:
	s_movk_i32 s4, 0x80
	v_cmp_eq_u16_e32 vcc, s4, v13
	s_mov_b64 s[4:5], -1
                                        ; implicit-def: $sgpr10
	s_and_saveexec_b64 s[8:9], vcc
; %bb.2066:
	s_mov_b32 s10, 0x7f800001
	s_xor_b64 s[4:5], exec, -1
; %bb.2067:
	s_or_b64 exec, exec, s[8:9]
	s_and_b64 s[4:5], s[4:5], exec
                                        ; implicit-def: $vgpr13
	s_or_saveexec_b64 s[6:7], s[6:7]
	v_mov_b32_e32 v12, s10
	s_xor_b64 exec, exec, s[6:7]
	s_cbranch_execz .LBB15_18
.LBB15_2068:
	v_cmp_ne_u16_e32 vcc, 0, v13
	s_andn2_b64 s[4:5], s[4:5], exec
	s_and_b64 s[8:9], vcc, exec
	v_mov_b32_e32 v12, 0
	s_or_b64 s[4:5], s[4:5], s[8:9]
	s_or_b64 exec, exec, s[6:7]
	s_and_saveexec_b64 s[6:7], s[4:5]
	s_cbranch_execnz .LBB15_19
	s_branch .LBB15_20
.LBB15_2069:
	s_movk_i32 s4, 0x80
	v_cmp_eq_u16_e32 vcc, s4, v13
	s_mov_b64 s[4:5], -1
                                        ; implicit-def: $sgpr10
	s_and_saveexec_b64 s[8:9], vcc
; %bb.2070:
	s_mov_b32 s10, 0x7f800001
	s_xor_b64 s[4:5], exec, -1
; %bb.2071:
	s_or_b64 exec, exec, s[8:9]
	s_and_b64 s[4:5], s[4:5], exec
                                        ; implicit-def: $vgpr13
	s_or_saveexec_b64 s[6:7], s[6:7]
	v_mov_b32_e32 v14, s10
	s_xor_b64 exec, exec, s[6:7]
	s_cbranch_execz .LBB15_22
.LBB15_2072:
	v_cmp_ne_u16_e32 vcc, 0, v13
	s_andn2_b64 s[4:5], s[4:5], exec
	s_and_b64 s[8:9], vcc, exec
	v_mov_b32_e32 v14, 0
	s_or_b64 s[4:5], s[4:5], s[8:9]
	s_or_b64 exec, exec, s[6:7]
	s_and_saveexec_b64 s[6:7], s[4:5]
	s_cbranch_execnz .LBB15_23
	s_branch .LBB15_24
.LBB15_2073:
	s_movk_i32 s4, 0x80
	v_cmp_eq_u16_sdwa s[12:13], v6, s4 src0_sel:BYTE_3 src1_sel:DWORD
	s_mov_b64 s[4:5], -1
                                        ; implicit-def: $sgpr10
	s_and_saveexec_b64 s[8:9], s[12:13]
; %bb.2074:
	s_mov_b32 s10, 0x7f800001
	s_xor_b64 s[4:5], exec, -1
; %bb.2075:
	s_or_b64 exec, exec, s[8:9]
	s_and_b64 s[4:5], s[4:5], exec
	s_or_saveexec_b64 s[6:7], s[6:7]
	v_mov_b32_e32 v12, s10
	s_xor_b64 exec, exec, s[6:7]
	s_cbranch_execz .LBB15_26
.LBB15_2076:
	v_mov_b32_e32 v12, 0
	v_cmp_ne_u16_sdwa s[8:9], v6, v12 src0_sel:BYTE_3 src1_sel:DWORD
	s_andn2_b64 s[4:5], s[4:5], exec
	s_and_b64 s[8:9], s[8:9], exec
	s_or_b64 s[4:5], s[4:5], s[8:9]
	s_or_b64 exec, exec, s[6:7]
	s_and_saveexec_b64 s[6:7], s[4:5]
	s_cbranch_execnz .LBB15_27
	s_branch .LBB15_28
.LBB15_2077:
	s_movk_i32 s4, 0x80
	v_cmp_eq_u16_sdwa s[12:13], v2, s4 src0_sel:BYTE_3 src1_sel:DWORD
	s_mov_b64 s[4:5], -1
                                        ; implicit-def: $sgpr10
	s_and_saveexec_b64 s[8:9], s[12:13]
; %bb.2078:
	s_mov_b32 s10, 0x7f800001
	s_xor_b64 s[4:5], exec, -1
; %bb.2079:
	s_or_b64 exec, exec, s[8:9]
	s_and_b64 s[4:5], s[4:5], exec
	s_or_saveexec_b64 s[6:7], s[6:7]
	v_mov_b32_e32 v6, s10
	s_xor_b64 exec, exec, s[6:7]
	s_cbranch_execz .LBB15_30
.LBB15_2080:
	v_mov_b32_e32 v6, 0
	v_cmp_ne_u16_sdwa s[8:9], v2, v6 src0_sel:BYTE_3 src1_sel:DWORD
	s_andn2_b64 s[4:5], s[4:5], exec
	s_and_b64 s[8:9], s[8:9], exec
	s_or_b64 s[4:5], s[4:5], s[8:9]
	s_or_b64 exec, exec, s[6:7]
	s_and_saveexec_b64 s[6:7], s[4:5]
	s_cbranch_execnz .LBB15_31
	s_branch .LBB15_32
.LBB15_2081:
	s_movk_i32 s4, 0x80
	v_cmp_eq_u16_sdwa s[12:13], v7, s4 src0_sel:BYTE_0 src1_sel:DWORD
	s_mov_b64 s[4:5], -1
                                        ; implicit-def: $sgpr10
	s_and_saveexec_b64 s[8:9], s[12:13]
; %bb.2082:
	s_mov_b32 s10, 0x7f800001
	s_xor_b64 s[4:5], exec, -1
; %bb.2083:
	s_or_b64 exec, exec, s[8:9]
	s_and_b64 s[4:5], s[4:5], exec
	s_or_saveexec_b64 s[6:7], s[6:7]
	v_mov_b32_e32 v2, s10
	s_xor_b64 exec, exec, s[6:7]
	s_cbranch_execz .LBB15_34
.LBB15_2084:
	v_mov_b32_e32 v2, 0
	v_cmp_ne_u16_sdwa s[8:9], v7, v2 src0_sel:BYTE_0 src1_sel:DWORD
	s_andn2_b64 s[4:5], s[4:5], exec
	s_and_b64 s[8:9], s[8:9], exec
	s_or_b64 s[4:5], s[4:5], s[8:9]
	s_or_b64 exec, exec, s[6:7]
	s_and_saveexec_b64 s[6:7], s[4:5]
	s_cbranch_execnz .LBB15_35
	s_branch .LBB15_36
.LBB15_2085:
	s_movk_i32 s4, 0x80
	v_cmp_eq_u16_sdwa s[12:13], v3, s4 src0_sel:BYTE_0 src1_sel:DWORD
	s_mov_b64 s[4:5], -1
                                        ; implicit-def: $sgpr10
	s_and_saveexec_b64 s[8:9], s[12:13]
; %bb.2086:
	s_mov_b32 s10, 0x7f800001
	s_xor_b64 s[4:5], exec, -1
; %bb.2087:
	s_or_b64 exec, exec, s[8:9]
	s_and_b64 s[4:5], s[4:5], exec
	s_or_saveexec_b64 s[6:7], s[6:7]
	v_mov_b32_e32 v6, s10
	s_xor_b64 exec, exec, s[6:7]
	s_cbranch_execz .LBB15_38
.LBB15_2088:
	v_mov_b32_e32 v6, 0
	v_cmp_ne_u16_sdwa s[8:9], v3, v6 src0_sel:BYTE_0 src1_sel:DWORD
	s_andn2_b64 s[4:5], s[4:5], exec
	s_and_b64 s[8:9], s[8:9], exec
	s_or_b64 s[4:5], s[4:5], s[8:9]
	s_or_b64 exec, exec, s[6:7]
	s_and_saveexec_b64 s[6:7], s[4:5]
	s_cbranch_execnz .LBB15_39
	s_branch .LBB15_40
.LBB15_2089:
	s_movk_i32 s4, 0x80
	v_cmp_eq_u16_sdwa s[12:13], v6, s4 src0_sel:BYTE_0 src1_sel:DWORD
	s_mov_b64 s[4:5], -1
                                        ; implicit-def: $sgpr10
	s_and_saveexec_b64 s[8:9], s[12:13]
; %bb.2090:
	s_mov_b32 s10, 0x7f800001
	s_xor_b64 s[4:5], exec, -1
; %bb.2091:
	s_or_b64 exec, exec, s[8:9]
	s_and_b64 s[4:5], s[4:5], exec
	s_or_saveexec_b64 s[6:7], s[6:7]
	v_mov_b32_e32 v2, s10
	s_xor_b64 exec, exec, s[6:7]
	s_cbranch_execz .LBB15_42
.LBB15_2092:
	v_mov_b32_e32 v2, 0
	v_cmp_ne_u16_sdwa s[8:9], v6, v2 src0_sel:BYTE_0 src1_sel:DWORD
	s_andn2_b64 s[4:5], s[4:5], exec
	s_and_b64 s[8:9], s[8:9], exec
	s_or_b64 s[4:5], s[4:5], s[8:9]
	s_or_b64 exec, exec, s[6:7]
	s_and_saveexec_b64 s[6:7], s[4:5]
	s_cbranch_execnz .LBB15_43
	s_branch .LBB15_44
.LBB15_2093:
	s_movk_i32 s4, 0x80
	v_cmp_eq_u16_sdwa s[12:13], v6, s4 src0_sel:BYTE_0 src1_sel:DWORD
	s_mov_b64 s[4:5], -1
                                        ; implicit-def: $sgpr10
	s_and_saveexec_b64 s[8:9], s[12:13]
; %bb.2094:
	s_mov_b32 s10, 0x7f800001
	s_xor_b64 s[4:5], exec, -1
; %bb.2095:
	s_or_b64 exec, exec, s[8:9]
	s_and_b64 s[4:5], s[4:5], exec
	s_or_saveexec_b64 s[6:7], s[6:7]
	v_mov_b32_e32 v12, s10
	s_xor_b64 exec, exec, s[6:7]
	s_cbranch_execz .LBB15_46
.LBB15_2096:
	v_mov_b32_e32 v12, 0
	v_cmp_ne_u16_sdwa s[8:9], v6, v12 src0_sel:BYTE_0 src1_sel:DWORD
	s_andn2_b64 s[4:5], s[4:5], exec
	s_and_b64 s[8:9], s[8:9], exec
	s_or_b64 s[4:5], s[4:5], s[8:9]
	s_or_b64 exec, exec, s[6:7]
	s_and_saveexec_b64 s[6:7], s[4:5]
	s_cbranch_execnz .LBB15_47
	s_branch .LBB15_48
.LBB15_2097:
	s_movk_i32 s4, 0x80
	v_cmp_eq_u16_e32 vcc, s4, v6
	s_mov_b64 s[4:5], -1
                                        ; implicit-def: $sgpr10
	s_and_saveexec_b64 s[8:9], vcc
; %bb.2098:
	s_mov_b32 s10, 0x7f800001
	s_xor_b64 s[4:5], exec, -1
; %bb.2099:
	s_or_b64 exec, exec, s[8:9]
	s_and_b64 s[4:5], s[4:5], exec
                                        ; implicit-def: $vgpr6
	s_or_saveexec_b64 s[6:7], s[6:7]
	v_mov_b32_e32 v2, s10
	s_xor_b64 exec, exec, s[6:7]
	s_cbranch_execz .LBB15_50
.LBB15_2100:
	v_cmp_ne_u16_e32 vcc, 0, v6
	s_andn2_b64 s[4:5], s[4:5], exec
	s_and_b64 s[8:9], vcc, exec
	v_mov_b32_e32 v2, 0
	s_or_b64 s[4:5], s[4:5], s[8:9]
	s_or_b64 exec, exec, s[6:7]
	s_and_saveexec_b64 s[6:7], s[4:5]
	s_cbranch_execnz .LBB15_51
	s_branch .LBB15_52
.LBB15_2101:
	s_movk_i32 s4, 0x80
	v_cmp_eq_u16_e32 vcc, s4, v6
	s_mov_b64 s[4:5], -1
                                        ; implicit-def: $sgpr10
	s_and_saveexec_b64 s[8:9], vcc
; %bb.2102:
	s_mov_b32 s10, 0x7f800001
	s_xor_b64 s[4:5], exec, -1
; %bb.2103:
	s_or_b64 exec, exec, s[8:9]
	s_and_b64 s[4:5], s[4:5], exec
                                        ; implicit-def: $vgpr6
	s_or_saveexec_b64 s[6:7], s[6:7]
	v_mov_b32_e32 v12, s10
	s_xor_b64 exec, exec, s[6:7]
	s_cbranch_execz .LBB15_54
.LBB15_2104:
	v_cmp_ne_u16_e32 vcc, 0, v6
	s_andn2_b64 s[4:5], s[4:5], exec
	s_and_b64 s[8:9], vcc, exec
	v_mov_b32_e32 v12, 0
	s_or_b64 s[4:5], s[4:5], s[8:9]
	s_or_b64 exec, exec, s[6:7]
	s_and_saveexec_b64 s[6:7], s[4:5]
	s_cbranch_execnz .LBB15_55
	s_branch .LBB15_56
.LBB15_2105:
	s_movk_i32 s4, 0x80
	v_cmp_eq_u16_sdwa s[12:13], v7, s4 src0_sel:BYTE_3 src1_sel:DWORD
	s_mov_b64 s[4:5], -1
                                        ; implicit-def: $sgpr10
	s_and_saveexec_b64 s[8:9], s[12:13]
; %bb.2106:
	s_mov_b32 s10, 0x7f800001
	s_xor_b64 s[4:5], exec, -1
; %bb.2107:
	s_or_b64 exec, exec, s[8:9]
	s_and_b64 s[4:5], s[4:5], exec
	s_or_saveexec_b64 s[6:7], s[6:7]
	v_mov_b32_e32 v2, s10
	s_xor_b64 exec, exec, s[6:7]
	s_cbranch_execz .LBB15_58
.LBB15_2108:
	v_mov_b32_e32 v2, 0
	v_cmp_ne_u16_sdwa s[8:9], v7, v2 src0_sel:BYTE_3 src1_sel:DWORD
	s_andn2_b64 s[4:5], s[4:5], exec
	s_and_b64 s[8:9], s[8:9], exec
	s_or_b64 s[4:5], s[4:5], s[8:9]
	s_or_b64 exec, exec, s[6:7]
	s_and_saveexec_b64 s[6:7], s[4:5]
	s_cbranch_execnz .LBB15_59
	s_branch .LBB15_60
.LBB15_2109:
	s_movk_i32 s4, 0x80
	v_cmp_eq_u16_sdwa s[12:13], v3, s4 src0_sel:BYTE_3 src1_sel:DWORD
	s_mov_b64 s[4:5], -1
                                        ; implicit-def: $sgpr10
	s_and_saveexec_b64 s[8:9], s[12:13]
; %bb.2110:
	s_mov_b32 s10, 0x7f800001
	s_xor_b64 s[4:5], exec, -1
; %bb.2111:
	s_or_b64 exec, exec, s[8:9]
	s_and_b64 s[4:5], s[4:5], exec
	s_or_saveexec_b64 s[6:7], s[6:7]
	v_mov_b32_e32 v6, s10
	s_xor_b64 exec, exec, s[6:7]
	s_cbranch_execz .LBB15_62
.LBB15_2112:
	v_mov_b32_e32 v6, 0
	v_cmp_ne_u16_sdwa s[8:9], v3, v6 src0_sel:BYTE_3 src1_sel:DWORD
	s_andn2_b64 s[4:5], s[4:5], exec
	s_and_b64 s[8:9], s[8:9], exec
	s_or_b64 s[4:5], s[4:5], s[8:9]
	s_or_b64 exec, exec, s[6:7]
	s_and_saveexec_b64 s[6:7], s[4:5]
	s_cbranch_execnz .LBB15_63
	s_branch .LBB15_64
.LBB15_2113:
	s_movk_i32 s4, 0x80
	v_cmp_eq_u16_sdwa s[12:13], v8, s4 src0_sel:BYTE_0 src1_sel:DWORD
	s_mov_b64 s[4:5], -1
                                        ; implicit-def: $sgpr10
	s_and_saveexec_b64 s[8:9], s[12:13]
; %bb.2114:
	s_mov_b32 s10, 0x7f800001
	s_xor_b64 s[4:5], exec, -1
; %bb.2115:
	s_or_b64 exec, exec, s[8:9]
	s_and_b64 s[4:5], s[4:5], exec
	s_or_saveexec_b64 s[6:7], s[6:7]
	v_mov_b32_e32 v2, s10
	s_xor_b64 exec, exec, s[6:7]
	s_cbranch_execz .LBB15_66
.LBB15_2116:
	v_mov_b32_e32 v2, 0
	v_cmp_ne_u16_sdwa s[8:9], v8, v2 src0_sel:BYTE_0 src1_sel:DWORD
	s_andn2_b64 s[4:5], s[4:5], exec
	s_and_b64 s[8:9], s[8:9], exec
	s_or_b64 s[4:5], s[4:5], s[8:9]
	s_or_b64 exec, exec, s[6:7]
	s_and_saveexec_b64 s[6:7], s[4:5]
	s_cbranch_execnz .LBB15_67
	s_branch .LBB15_68
.LBB15_2117:
	s_movk_i32 s4, 0x80
	v_cmp_eq_u16_sdwa s[12:13], v4, s4 src0_sel:BYTE_0 src1_sel:DWORD
	s_mov_b64 s[4:5], -1
                                        ; implicit-def: $sgpr10
	s_and_saveexec_b64 s[8:9], s[12:13]
; %bb.2118:
	s_mov_b32 s10, 0x7f800001
	s_xor_b64 s[4:5], exec, -1
; %bb.2119:
	s_or_b64 exec, exec, s[8:9]
	s_and_b64 s[4:5], s[4:5], exec
	s_or_saveexec_b64 s[6:7], s[6:7]
	v_mov_b32_e32 v3, s10
	s_xor_b64 exec, exec, s[6:7]
	s_cbranch_execz .LBB15_70
.LBB15_2120:
	v_mov_b32_e32 v3, 0
	v_cmp_ne_u16_sdwa s[8:9], v4, v3 src0_sel:BYTE_0 src1_sel:DWORD
	s_andn2_b64 s[4:5], s[4:5], exec
	s_and_b64 s[8:9], s[8:9], exec
	s_or_b64 s[4:5], s[4:5], s[8:9]
	s_or_b64 exec, exec, s[6:7]
	s_and_saveexec_b64 s[6:7], s[4:5]
	s_cbranch_execnz .LBB15_71
	s_branch .LBB15_72
.LBB15_2121:
	s_movk_i32 s4, 0x80
	v_cmp_eq_u16_sdwa s[12:13], v3, s4 src0_sel:BYTE_0 src1_sel:DWORD
	s_mov_b64 s[4:5], -1
                                        ; implicit-def: $sgpr10
	s_and_saveexec_b64 s[8:9], s[12:13]
; %bb.2122:
	s_mov_b32 s10, 0x7f800001
	s_xor_b64 s[4:5], exec, -1
; %bb.2123:
	s_or_b64 exec, exec, s[8:9]
	s_and_b64 s[4:5], s[4:5], exec
	s_or_saveexec_b64 s[6:7], s[6:7]
	v_mov_b32_e32 v2, s10
	s_xor_b64 exec, exec, s[6:7]
	s_cbranch_execz .LBB15_74
.LBB15_2124:
	v_mov_b32_e32 v2, 0
	v_cmp_ne_u16_sdwa s[8:9], v3, v2 src0_sel:BYTE_0 src1_sel:DWORD
	s_andn2_b64 s[4:5], s[4:5], exec
	s_and_b64 s[8:9], s[8:9], exec
	s_or_b64 s[4:5], s[4:5], s[8:9]
	s_or_b64 exec, exec, s[6:7]
	s_and_saveexec_b64 s[6:7], s[4:5]
	s_cbranch_execnz .LBB15_75
	s_branch .LBB15_76
.LBB15_2125:
	s_movk_i32 s4, 0x80
	v_cmp_eq_u16_sdwa s[12:13], v3, s4 src0_sel:BYTE_0 src1_sel:DWORD
	s_mov_b64 s[4:5], -1
                                        ; implicit-def: $sgpr10
	s_and_saveexec_b64 s[8:9], s[12:13]
; %bb.2126:
	s_mov_b32 s10, 0x7f800001
	s_xor_b64 s[4:5], exec, -1
; %bb.2127:
	s_or_b64 exec, exec, s[8:9]
	s_and_b64 s[4:5], s[4:5], exec
	s_or_saveexec_b64 s[6:7], s[6:7]
	v_mov_b32_e32 v6, s10
	s_xor_b64 exec, exec, s[6:7]
	s_cbranch_execz .LBB15_78
.LBB15_2128:
	v_mov_b32_e32 v6, 0
	v_cmp_ne_u16_sdwa s[8:9], v3, v6 src0_sel:BYTE_0 src1_sel:DWORD
	s_andn2_b64 s[4:5], s[4:5], exec
	s_and_b64 s[8:9], s[8:9], exec
	s_or_b64 s[4:5], s[4:5], s[8:9]
	s_or_b64 exec, exec, s[6:7]
	s_and_saveexec_b64 s[6:7], s[4:5]
	s_cbranch_execnz .LBB15_79
	s_branch .LBB15_80
.LBB15_2129:
	s_movk_i32 s4, 0x80
	v_cmp_eq_u16_e32 vcc, s4, v3
	s_mov_b64 s[4:5], -1
                                        ; implicit-def: $sgpr10
	s_and_saveexec_b64 s[8:9], vcc
; %bb.2130:
	s_mov_b32 s10, 0x7f800001
	s_xor_b64 s[4:5], exec, -1
; %bb.2131:
	s_or_b64 exec, exec, s[8:9]
	s_and_b64 s[4:5], s[4:5], exec
                                        ; implicit-def: $vgpr3
	s_or_saveexec_b64 s[6:7], s[6:7]
	v_mov_b32_e32 v2, s10
	s_xor_b64 exec, exec, s[6:7]
	s_cbranch_execz .LBB15_82
.LBB15_2132:
	v_cmp_ne_u16_e32 vcc, 0, v3
	s_andn2_b64 s[4:5], s[4:5], exec
	s_and_b64 s[8:9], vcc, exec
	v_mov_b32_e32 v2, 0
	s_or_b64 s[4:5], s[4:5], s[8:9]
	s_or_b64 exec, exec, s[6:7]
	s_and_saveexec_b64 s[6:7], s[4:5]
	s_cbranch_execnz .LBB15_83
	s_branch .LBB15_84
.LBB15_2133:
	s_movk_i32 s4, 0x80
	v_cmp_eq_u16_e32 vcc, s4, v3
	s_mov_b64 s[4:5], -1
                                        ; implicit-def: $sgpr10
	s_and_saveexec_b64 s[8:9], vcc
; %bb.2134:
	s_mov_b32 s10, 0x7f800001
	s_xor_b64 s[4:5], exec, -1
; %bb.2135:
	s_or_b64 exec, exec, s[8:9]
	s_and_b64 s[4:5], s[4:5], exec
                                        ; implicit-def: $vgpr3
	s_or_saveexec_b64 s[6:7], s[6:7]
	v_mov_b32_e32 v6, s10
	s_xor_b64 exec, exec, s[6:7]
	s_cbranch_execz .LBB15_86
.LBB15_2136:
	v_cmp_ne_u16_e32 vcc, 0, v3
	s_andn2_b64 s[4:5], s[4:5], exec
	s_and_b64 s[8:9], vcc, exec
	v_mov_b32_e32 v6, 0
	s_or_b64 s[4:5], s[4:5], s[8:9]
	s_or_b64 exec, exec, s[6:7]
	s_and_saveexec_b64 s[6:7], s[4:5]
	s_cbranch_execnz .LBB15_87
	s_branch .LBB15_88
.LBB15_2137:
	s_movk_i32 s4, 0x80
	v_cmp_eq_u16_sdwa s[12:13], v8, s4 src0_sel:BYTE_3 src1_sel:DWORD
	s_mov_b64 s[4:5], -1
                                        ; implicit-def: $sgpr10
	s_and_saveexec_b64 s[8:9], s[12:13]
; %bb.2138:
	s_mov_b32 s10, 0x7f800001
	s_xor_b64 s[4:5], exec, -1
; %bb.2139:
	s_or_b64 exec, exec, s[8:9]
	s_and_b64 s[4:5], s[4:5], exec
	s_or_saveexec_b64 s[6:7], s[6:7]
	v_mov_b32_e32 v2, s10
	s_xor_b64 exec, exec, s[6:7]
	s_cbranch_execz .LBB15_90
.LBB15_2140:
	v_mov_b32_e32 v2, 0
	v_cmp_ne_u16_sdwa s[8:9], v8, v2 src0_sel:BYTE_3 src1_sel:DWORD
	s_andn2_b64 s[4:5], s[4:5], exec
	s_and_b64 s[8:9], s[8:9], exec
	s_or_b64 s[4:5], s[4:5], s[8:9]
	s_or_b64 exec, exec, s[6:7]
	s_and_saveexec_b64 s[6:7], s[4:5]
	s_cbranch_execnz .LBB15_91
	s_branch .LBB15_92
.LBB15_2141:
	s_movk_i32 s4, 0x80
	v_cmp_eq_u16_sdwa s[12:13], v4, s4 src0_sel:BYTE_3 src1_sel:DWORD
	s_mov_b64 s[4:5], -1
                                        ; implicit-def: $sgpr10
	s_and_saveexec_b64 s[8:9], s[12:13]
; %bb.2142:
	s_mov_b32 s10, 0x7f800001
	s_xor_b64 s[4:5], exec, -1
; %bb.2143:
	s_or_b64 exec, exec, s[8:9]
	s_and_b64 s[4:5], s[4:5], exec
	s_or_saveexec_b64 s[6:7], s[6:7]
	v_mov_b32_e32 v3, s10
	s_xor_b64 exec, exec, s[6:7]
	s_cbranch_execz .LBB15_94
.LBB15_2144:
	v_mov_b32_e32 v3, 0
	v_cmp_ne_u16_sdwa s[8:9], v4, v3 src0_sel:BYTE_3 src1_sel:DWORD
	s_andn2_b64 s[4:5], s[4:5], exec
	s_and_b64 s[8:9], s[8:9], exec
	s_or_b64 s[4:5], s[4:5], s[8:9]
	s_or_b64 exec, exec, s[6:7]
	s_and_saveexec_b64 s[6:7], s[4:5]
	s_cbranch_execnz .LBB15_95
	s_branch .LBB15_96
.LBB15_2145:
	s_movk_i32 s4, 0x80
	v_cmp_eq_u16_sdwa s[12:13], v9, s4 src0_sel:BYTE_0 src1_sel:DWORD
	s_mov_b64 s[4:5], -1
                                        ; implicit-def: $sgpr10
	s_and_saveexec_b64 s[8:9], s[12:13]
; %bb.2146:
	s_mov_b32 s10, 0x7f800001
	s_xor_b64 s[4:5], exec, -1
; %bb.2147:
	s_or_b64 exec, exec, s[8:9]
	s_and_b64 s[4:5], s[4:5], exec
	s_or_saveexec_b64 s[6:7], s[6:7]
	v_mov_b32_e32 v2, s10
	s_xor_b64 exec, exec, s[6:7]
	s_cbranch_execz .LBB15_98
.LBB15_2148:
	v_mov_b32_e32 v2, 0
	v_cmp_ne_u16_sdwa s[8:9], v9, v2 src0_sel:BYTE_0 src1_sel:DWORD
	s_andn2_b64 s[4:5], s[4:5], exec
	s_and_b64 s[8:9], s[8:9], exec
	s_or_b64 s[4:5], s[4:5], s[8:9]
	s_or_b64 exec, exec, s[6:7]
	s_and_saveexec_b64 s[6:7], s[4:5]
	s_cbranch_execnz .LBB15_99
	s_branch .LBB15_100
.LBB15_2149:
	s_movk_i32 s4, 0x80
	v_cmp_eq_u16_sdwa s[12:13], v5, s4 src0_sel:BYTE_0 src1_sel:DWORD
	s_mov_b64 s[4:5], -1
                                        ; implicit-def: $sgpr10
	s_and_saveexec_b64 s[8:9], s[12:13]
; %bb.2150:
	s_mov_b32 s10, 0x7f800001
	s_xor_b64 s[4:5], exec, -1
; %bb.2151:
	s_or_b64 exec, exec, s[8:9]
	s_and_b64 s[4:5], s[4:5], exec
	s_or_saveexec_b64 s[6:7], s[6:7]
	v_mov_b32_e32 v3, s10
	s_xor_b64 exec, exec, s[6:7]
	s_cbranch_execz .LBB15_102
.LBB15_2152:
	v_mov_b32_e32 v3, 0
	v_cmp_ne_u16_sdwa s[8:9], v5, v3 src0_sel:BYTE_0 src1_sel:DWORD
	s_andn2_b64 s[4:5], s[4:5], exec
	s_and_b64 s[8:9], s[8:9], exec
	s_or_b64 s[4:5], s[4:5], s[8:9]
	s_or_b64 exec, exec, s[6:7]
	s_and_saveexec_b64 s[6:7], s[4:5]
	s_cbranch_execnz .LBB15_103
	s_branch .LBB15_104
.LBB15_2153:
	s_movk_i32 s4, 0x80
	v_cmp_eq_u16_sdwa s[12:13], v3, s4 src0_sel:BYTE_0 src1_sel:DWORD
	s_mov_b64 s[4:5], -1
                                        ; implicit-def: $sgpr10
	s_and_saveexec_b64 s[8:9], s[12:13]
; %bb.2154:
	s_mov_b32 s10, 0x7f800001
	s_xor_b64 s[4:5], exec, -1
; %bb.2155:
	s_or_b64 exec, exec, s[8:9]
	s_and_b64 s[4:5], s[4:5], exec
	s_or_saveexec_b64 s[6:7], s[6:7]
	v_mov_b32_e32 v2, s10
	s_xor_b64 exec, exec, s[6:7]
	s_cbranch_execz .LBB15_106
.LBB15_2156:
	v_mov_b32_e32 v2, 0
	v_cmp_ne_u16_sdwa s[8:9], v3, v2 src0_sel:BYTE_0 src1_sel:DWORD
	s_andn2_b64 s[4:5], s[4:5], exec
	s_and_b64 s[8:9], s[8:9], exec
	s_or_b64 s[4:5], s[4:5], s[8:9]
	s_or_b64 exec, exec, s[6:7]
	s_and_saveexec_b64 s[6:7], s[4:5]
	s_cbranch_execnz .LBB15_107
	s_branch .LBB15_108
.LBB15_2157:
	s_movk_i32 s4, 0x80
	v_cmp_eq_u16_sdwa s[12:13], v3, s4 src0_sel:BYTE_0 src1_sel:DWORD
	s_mov_b64 s[4:5], -1
                                        ; implicit-def: $sgpr10
	s_and_saveexec_b64 s[8:9], s[12:13]
; %bb.2158:
	s_mov_b32 s10, 0x7f800001
	s_xor_b64 s[4:5], exec, -1
; %bb.2159:
	s_or_b64 exec, exec, s[8:9]
	s_and_b64 s[4:5], s[4:5], exec
	s_or_saveexec_b64 s[6:7], s[6:7]
	v_mov_b32_e32 v4, s10
	s_xor_b64 exec, exec, s[6:7]
	s_cbranch_execz .LBB15_110
.LBB15_2160:
	v_mov_b32_e32 v4, 0
	v_cmp_ne_u16_sdwa s[8:9], v3, v4 src0_sel:BYTE_0 src1_sel:DWORD
	s_andn2_b64 s[4:5], s[4:5], exec
	s_and_b64 s[8:9], s[8:9], exec
	s_or_b64 s[4:5], s[4:5], s[8:9]
	s_or_b64 exec, exec, s[6:7]
	s_and_saveexec_b64 s[6:7], s[4:5]
	s_cbranch_execnz .LBB15_111
	s_branch .LBB15_112
.LBB15_2161:
	s_movk_i32 s4, 0x80
	v_cmp_eq_u16_e32 vcc, s4, v3
	s_mov_b64 s[4:5], -1
                                        ; implicit-def: $sgpr10
	s_and_saveexec_b64 s[8:9], vcc
; %bb.2162:
	s_mov_b32 s10, 0x7f800001
	s_xor_b64 s[4:5], exec, -1
; %bb.2163:
	s_or_b64 exec, exec, s[8:9]
	s_and_b64 s[4:5], s[4:5], exec
                                        ; implicit-def: $vgpr3
	s_or_saveexec_b64 s[6:7], s[6:7]
	v_mov_b32_e32 v2, s10
	s_xor_b64 exec, exec, s[6:7]
	s_cbranch_execz .LBB15_114
.LBB15_2164:
	v_cmp_ne_u16_e32 vcc, 0, v3
	s_andn2_b64 s[4:5], s[4:5], exec
	s_and_b64 s[8:9], vcc, exec
	v_mov_b32_e32 v2, 0
	s_or_b64 s[4:5], s[4:5], s[8:9]
	s_or_b64 exec, exec, s[6:7]
	s_and_saveexec_b64 s[6:7], s[4:5]
	s_cbranch_execnz .LBB15_115
	s_branch .LBB15_116
.LBB15_2165:
	s_movk_i32 s4, 0x80
	v_cmp_eq_u16_e32 vcc, s4, v3
	s_mov_b64 s[4:5], -1
                                        ; implicit-def: $sgpr10
	s_and_saveexec_b64 s[8:9], vcc
; %bb.2166:
	s_mov_b32 s10, 0x7f800001
	s_xor_b64 s[4:5], exec, -1
; %bb.2167:
	s_or_b64 exec, exec, s[8:9]
	s_and_b64 s[4:5], s[4:5], exec
                                        ; implicit-def: $vgpr3
	s_or_saveexec_b64 s[6:7], s[6:7]
	v_mov_b32_e32 v4, s10
	s_xor_b64 exec, exec, s[6:7]
	s_cbranch_execz .LBB15_118
.LBB15_2168:
	v_cmp_ne_u16_e32 vcc, 0, v3
	s_andn2_b64 s[4:5], s[4:5], exec
	s_and_b64 s[8:9], vcc, exec
	v_mov_b32_e32 v4, 0
	s_or_b64 s[4:5], s[4:5], s[8:9]
	s_or_b64 exec, exec, s[6:7]
	s_and_saveexec_b64 s[6:7], s[4:5]
	s_cbranch_execnz .LBB15_119
	s_branch .LBB15_120
.LBB15_2169:
	s_movk_i32 s4, 0x80
	v_cmp_eq_u16_sdwa s[12:13], v9, s4 src0_sel:BYTE_3 src1_sel:DWORD
	s_mov_b64 s[4:5], -1
                                        ; implicit-def: $sgpr10
	s_and_saveexec_b64 s[8:9], s[12:13]
; %bb.2170:
	s_mov_b32 s10, 0x7f800001
	s_xor_b64 s[4:5], exec, -1
; %bb.2171:
	s_or_b64 exec, exec, s[8:9]
	s_and_b64 s[4:5], s[4:5], exec
	s_or_saveexec_b64 s[6:7], s[6:7]
	v_mov_b32_e32 v2, s10
	s_xor_b64 exec, exec, s[6:7]
	s_cbranch_execz .LBB15_122
.LBB15_2172:
	v_mov_b32_e32 v2, 0
	v_cmp_ne_u16_sdwa s[8:9], v9, v2 src0_sel:BYTE_3 src1_sel:DWORD
	s_andn2_b64 s[4:5], s[4:5], exec
	s_and_b64 s[8:9], s[8:9], exec
	s_or_b64 s[4:5], s[4:5], s[8:9]
	s_or_b64 exec, exec, s[6:7]
	s_and_saveexec_b64 s[6:7], s[4:5]
	s_cbranch_execnz .LBB15_123
	s_branch .LBB15_124
.LBB15_2173:
	s_movk_i32 s4, 0x80
	v_cmp_eq_u16_sdwa s[12:13], v5, s4 src0_sel:BYTE_3 src1_sel:DWORD
	s_mov_b64 s[4:5], -1
                                        ; implicit-def: $sgpr10
	s_and_saveexec_b64 s[8:9], s[12:13]
; %bb.2174:
	s_mov_b32 s10, 0x7f800001
	s_xor_b64 s[4:5], exec, -1
; %bb.2175:
	s_or_b64 exec, exec, s[8:9]
	s_and_b64 s[4:5], s[4:5], exec
	s_or_saveexec_b64 s[6:7], s[6:7]
	v_mov_b32_e32 v3, s10
	s_xor_b64 exec, exec, s[6:7]
	s_cbranch_execz .LBB15_126
.LBB15_2176:
	v_mov_b32_e32 v3, 0
	v_cmp_ne_u16_sdwa s[8:9], v5, v3 src0_sel:BYTE_3 src1_sel:DWORD
	s_andn2_b64 s[4:5], s[4:5], exec
	s_and_b64 s[8:9], s[8:9], exec
	s_or_b64 s[4:5], s[4:5], s[8:9]
	s_or_b64 exec, exec, s[6:7]
	s_and_saveexec_b64 s[6:7], s[4:5]
	s_cbranch_execnz .LBB15_127
	s_branch .LBB15_128
.LBB15_2177:
	s_movk_i32 s4, 0x80
	v_cmp_eq_u16_sdwa s[12:13], v6, s4 src0_sel:BYTE_0 src1_sel:DWORD
	s_mov_b64 s[4:5], -1
                                        ; implicit-def: $sgpr10
	s_and_saveexec_b64 s[8:9], s[12:13]
; %bb.2178:
	s_mov_b32 s10, 0x7f800001
	s_xor_b64 s[4:5], exec, -1
; %bb.2179:
	s_or_b64 exec, exec, s[8:9]
	s_and_b64 s[4:5], s[4:5], exec
	s_or_saveexec_b64 s[6:7], s[6:7]
	v_mov_b32_e32 v12, s10
	s_xor_b64 exec, exec, s[6:7]
	s_cbranch_execz .LBB15_130
.LBB15_2180:
	v_mov_b32_e32 v12, 0
	v_cmp_ne_u16_sdwa s[8:9], v6, v12 src0_sel:BYTE_0 src1_sel:DWORD
	s_andn2_b64 s[4:5], s[4:5], exec
	s_and_b64 s[8:9], s[8:9], exec
	s_or_b64 s[4:5], s[4:5], s[8:9]
	s_or_b64 exec, exec, s[6:7]
	s_and_saveexec_b64 s[6:7], s[4:5]
	s_cbranch_execnz .LBB15_131
	s_branch .LBB15_132
.LBB15_2181:
	s_movk_i32 s4, 0x80
	v_cmp_eq_u16_sdwa s[12:13], v2, s4 src0_sel:BYTE_0 src1_sel:DWORD
	s_mov_b64 s[4:5], -1
                                        ; implicit-def: $sgpr10
	s_and_saveexec_b64 s[8:9], s[12:13]
; %bb.2182:
	s_mov_b32 s10, 0x7f800001
	s_xor_b64 s[4:5], exec, -1
; %bb.2183:
	s_or_b64 exec, exec, s[8:9]
	s_and_b64 s[4:5], s[4:5], exec
	s_or_saveexec_b64 s[6:7], s[6:7]
	v_mov_b32_e32 v13, s10
	s_xor_b64 exec, exec, s[6:7]
	s_cbranch_execz .LBB15_134
.LBB15_2184:
	v_mov_b32_e32 v13, 0
	v_cmp_ne_u16_sdwa s[8:9], v2, v13 src0_sel:BYTE_0 src1_sel:DWORD
	s_andn2_b64 s[4:5], s[4:5], exec
	s_and_b64 s[8:9], s[8:9], exec
	s_or_b64 s[4:5], s[4:5], s[8:9]
	s_or_b64 exec, exec, s[6:7]
	s_and_saveexec_b64 s[6:7], s[4:5]
	s_cbranch_execnz .LBB15_135
	s_branch .LBB15_136
.LBB15_2185:
	s_movk_i32 s4, 0x80
	v_cmp_eq_u16_sdwa s[12:13], v13, s4 src0_sel:BYTE_0 src1_sel:DWORD
	s_mov_b64 s[4:5], -1
                                        ; implicit-def: $sgpr10
	s_and_saveexec_b64 s[8:9], s[12:13]
; %bb.2186:
	s_mov_b32 s10, 0x7f800001
	s_xor_b64 s[4:5], exec, -1
; %bb.2187:
	s_or_b64 exec, exec, s[8:9]
	s_and_b64 s[4:5], s[4:5], exec
	s_or_saveexec_b64 s[6:7], s[6:7]
	v_mov_b32_e32 v12, s10
	s_xor_b64 exec, exec, s[6:7]
	s_cbranch_execz .LBB15_138
.LBB15_2188:
	v_mov_b32_e32 v12, 0
	v_cmp_ne_u16_sdwa s[8:9], v13, v12 src0_sel:BYTE_0 src1_sel:DWORD
	s_andn2_b64 s[4:5], s[4:5], exec
	s_and_b64 s[8:9], s[8:9], exec
	s_or_b64 s[4:5], s[4:5], s[8:9]
	s_or_b64 exec, exec, s[6:7]
	s_and_saveexec_b64 s[6:7], s[4:5]
	s_cbranch_execnz .LBB15_139
	s_branch .LBB15_140
.LBB15_2189:
	s_movk_i32 s4, 0x80
	v_cmp_eq_u16_sdwa s[12:13], v13, s4 src0_sel:BYTE_0 src1_sel:DWORD
	s_mov_b64 s[4:5], -1
                                        ; implicit-def: $sgpr10
	s_and_saveexec_b64 s[8:9], s[12:13]
; %bb.2190:
	s_mov_b32 s10, 0x7f800001
	s_xor_b64 s[4:5], exec, -1
; %bb.2191:
	s_or_b64 exec, exec, s[8:9]
	s_and_b64 s[4:5], s[4:5], exec
	s_or_saveexec_b64 s[6:7], s[6:7]
	v_mov_b32_e32 v14, s10
	s_xor_b64 exec, exec, s[6:7]
	s_cbranch_execz .LBB15_142
.LBB15_2192:
	v_mov_b32_e32 v14, 0
	v_cmp_ne_u16_sdwa s[8:9], v13, v14 src0_sel:BYTE_0 src1_sel:DWORD
	s_andn2_b64 s[4:5], s[4:5], exec
	s_and_b64 s[8:9], s[8:9], exec
	s_or_b64 s[4:5], s[4:5], s[8:9]
	s_or_b64 exec, exec, s[6:7]
	s_and_saveexec_b64 s[6:7], s[4:5]
	s_cbranch_execnz .LBB15_143
	s_branch .LBB15_144
.LBB15_2193:
	s_movk_i32 s4, 0x80
	v_cmp_eq_u16_e32 vcc, s4, v13
	s_mov_b64 s[4:5], -1
                                        ; implicit-def: $sgpr10
	s_and_saveexec_b64 s[8:9], vcc
; %bb.2194:
	s_mov_b32 s10, 0x7f800001
	s_xor_b64 s[4:5], exec, -1
; %bb.2195:
	s_or_b64 exec, exec, s[8:9]
	s_and_b64 s[4:5], s[4:5], exec
                                        ; implicit-def: $vgpr13
	s_or_saveexec_b64 s[6:7], s[6:7]
	v_mov_b32_e32 v12, s10
	s_xor_b64 exec, exec, s[6:7]
	s_cbranch_execz .LBB15_146
.LBB15_2196:
	v_cmp_ne_u16_e32 vcc, 0, v13
	s_andn2_b64 s[4:5], s[4:5], exec
	s_and_b64 s[8:9], vcc, exec
	v_mov_b32_e32 v12, 0
	s_or_b64 s[4:5], s[4:5], s[8:9]
	s_or_b64 exec, exec, s[6:7]
	s_and_saveexec_b64 s[6:7], s[4:5]
	s_cbranch_execnz .LBB15_147
	s_branch .LBB15_148
.LBB15_2197:
	s_movk_i32 s4, 0x80
	v_cmp_eq_u16_e32 vcc, s4, v13
	s_mov_b64 s[4:5], -1
                                        ; implicit-def: $sgpr10
	s_and_saveexec_b64 s[8:9], vcc
; %bb.2198:
	s_mov_b32 s10, 0x7f800001
	s_xor_b64 s[4:5], exec, -1
; %bb.2199:
	s_or_b64 exec, exec, s[8:9]
	s_and_b64 s[4:5], s[4:5], exec
                                        ; implicit-def: $vgpr13
	s_or_saveexec_b64 s[6:7], s[6:7]
	v_mov_b32_e32 v14, s10
	s_xor_b64 exec, exec, s[6:7]
	s_cbranch_execz .LBB15_150
.LBB15_2200:
	v_cmp_ne_u16_e32 vcc, 0, v13
	s_andn2_b64 s[4:5], s[4:5], exec
	s_and_b64 s[8:9], vcc, exec
	v_mov_b32_e32 v14, 0
	s_or_b64 s[4:5], s[4:5], s[8:9]
	s_or_b64 exec, exec, s[6:7]
	s_and_saveexec_b64 s[6:7], s[4:5]
	s_cbranch_execnz .LBB15_151
	s_branch .LBB15_152
.LBB15_2201:
	s_movk_i32 s4, 0x80
	v_cmp_eq_u16_sdwa s[12:13], v6, s4 src0_sel:BYTE_3 src1_sel:DWORD
	s_mov_b64 s[4:5], -1
                                        ; implicit-def: $sgpr10
	s_and_saveexec_b64 s[8:9], s[12:13]
; %bb.2202:
	s_mov_b32 s10, 0x7f800001
	s_xor_b64 s[4:5], exec, -1
; %bb.2203:
	s_or_b64 exec, exec, s[8:9]
	s_and_b64 s[4:5], s[4:5], exec
	s_or_saveexec_b64 s[6:7], s[6:7]
	v_mov_b32_e32 v12, s10
	s_xor_b64 exec, exec, s[6:7]
	s_cbranch_execz .LBB15_154
.LBB15_2204:
	v_mov_b32_e32 v12, 0
	v_cmp_ne_u16_sdwa s[8:9], v6, v12 src0_sel:BYTE_3 src1_sel:DWORD
	s_andn2_b64 s[4:5], s[4:5], exec
	s_and_b64 s[8:9], s[8:9], exec
	s_or_b64 s[4:5], s[4:5], s[8:9]
	s_or_b64 exec, exec, s[6:7]
	s_and_saveexec_b64 s[6:7], s[4:5]
	s_cbranch_execnz .LBB15_155
	s_branch .LBB15_156
.LBB15_2205:
	s_movk_i32 s4, 0x80
	v_cmp_eq_u16_sdwa s[12:13], v2, s4 src0_sel:BYTE_3 src1_sel:DWORD
	s_mov_b64 s[4:5], -1
                                        ; implicit-def: $sgpr10
	s_and_saveexec_b64 s[8:9], s[12:13]
; %bb.2206:
	s_mov_b32 s10, 0x7f800001
	s_xor_b64 s[4:5], exec, -1
; %bb.2207:
	s_or_b64 exec, exec, s[8:9]
	s_and_b64 s[4:5], s[4:5], exec
	s_or_saveexec_b64 s[6:7], s[6:7]
	v_mov_b32_e32 v6, s10
	s_xor_b64 exec, exec, s[6:7]
	s_cbranch_execz .LBB15_158
.LBB15_2208:
	v_mov_b32_e32 v6, 0
	v_cmp_ne_u16_sdwa s[8:9], v2, v6 src0_sel:BYTE_3 src1_sel:DWORD
	s_andn2_b64 s[4:5], s[4:5], exec
	s_and_b64 s[8:9], s[8:9], exec
	s_or_b64 s[4:5], s[4:5], s[8:9]
	s_or_b64 exec, exec, s[6:7]
	s_and_saveexec_b64 s[6:7], s[4:5]
	s_cbranch_execnz .LBB15_159
	s_branch .LBB15_160
.LBB15_2209:
	s_movk_i32 s4, 0x80
	v_cmp_eq_u16_sdwa s[12:13], v7, s4 src0_sel:BYTE_0 src1_sel:DWORD
	s_mov_b64 s[4:5], -1
                                        ; implicit-def: $sgpr10
	s_and_saveexec_b64 s[8:9], s[12:13]
; %bb.2210:
	s_mov_b32 s10, 0x7f800001
	s_xor_b64 s[4:5], exec, -1
; %bb.2211:
	s_or_b64 exec, exec, s[8:9]
	s_and_b64 s[4:5], s[4:5], exec
	s_or_saveexec_b64 s[6:7], s[6:7]
	v_mov_b32_e32 v2, s10
	s_xor_b64 exec, exec, s[6:7]
	s_cbranch_execz .LBB15_162
.LBB15_2212:
	v_mov_b32_e32 v2, 0
	v_cmp_ne_u16_sdwa s[8:9], v7, v2 src0_sel:BYTE_0 src1_sel:DWORD
	s_andn2_b64 s[4:5], s[4:5], exec
	s_and_b64 s[8:9], s[8:9], exec
	s_or_b64 s[4:5], s[4:5], s[8:9]
	s_or_b64 exec, exec, s[6:7]
	s_and_saveexec_b64 s[6:7], s[4:5]
	s_cbranch_execnz .LBB15_163
	s_branch .LBB15_164
.LBB15_2213:
	s_movk_i32 s4, 0x80
	v_cmp_eq_u16_sdwa s[12:13], v3, s4 src0_sel:BYTE_0 src1_sel:DWORD
	s_mov_b64 s[4:5], -1
                                        ; implicit-def: $sgpr10
	s_and_saveexec_b64 s[8:9], s[12:13]
; %bb.2214:
	s_mov_b32 s10, 0x7f800001
	s_xor_b64 s[4:5], exec, -1
; %bb.2215:
	s_or_b64 exec, exec, s[8:9]
	s_and_b64 s[4:5], s[4:5], exec
	s_or_saveexec_b64 s[6:7], s[6:7]
	v_mov_b32_e32 v6, s10
	s_xor_b64 exec, exec, s[6:7]
	s_cbranch_execz .LBB15_166
.LBB15_2216:
	v_mov_b32_e32 v6, 0
	v_cmp_ne_u16_sdwa s[8:9], v3, v6 src0_sel:BYTE_0 src1_sel:DWORD
	s_andn2_b64 s[4:5], s[4:5], exec
	s_and_b64 s[8:9], s[8:9], exec
	s_or_b64 s[4:5], s[4:5], s[8:9]
	s_or_b64 exec, exec, s[6:7]
	s_and_saveexec_b64 s[6:7], s[4:5]
	s_cbranch_execnz .LBB15_167
	s_branch .LBB15_168
.LBB15_2217:
	s_movk_i32 s4, 0x80
	v_cmp_eq_u16_sdwa s[12:13], v6, s4 src0_sel:BYTE_0 src1_sel:DWORD
	s_mov_b64 s[4:5], -1
                                        ; implicit-def: $sgpr10
	s_and_saveexec_b64 s[8:9], s[12:13]
; %bb.2218:
	s_mov_b32 s10, 0x7f800001
	s_xor_b64 s[4:5], exec, -1
; %bb.2219:
	s_or_b64 exec, exec, s[8:9]
	s_and_b64 s[4:5], s[4:5], exec
	s_or_saveexec_b64 s[6:7], s[6:7]
	v_mov_b32_e32 v2, s10
	s_xor_b64 exec, exec, s[6:7]
	s_cbranch_execz .LBB15_170
.LBB15_2220:
	v_mov_b32_e32 v2, 0
	v_cmp_ne_u16_sdwa s[8:9], v6, v2 src0_sel:BYTE_0 src1_sel:DWORD
	s_andn2_b64 s[4:5], s[4:5], exec
	s_and_b64 s[8:9], s[8:9], exec
	s_or_b64 s[4:5], s[4:5], s[8:9]
	s_or_b64 exec, exec, s[6:7]
	s_and_saveexec_b64 s[6:7], s[4:5]
	s_cbranch_execnz .LBB15_171
	s_branch .LBB15_172
.LBB15_2221:
	s_movk_i32 s4, 0x80
	v_cmp_eq_u16_sdwa s[12:13], v6, s4 src0_sel:BYTE_0 src1_sel:DWORD
	s_mov_b64 s[4:5], -1
                                        ; implicit-def: $sgpr10
	s_and_saveexec_b64 s[8:9], s[12:13]
; %bb.2222:
	s_mov_b32 s10, 0x7f800001
	s_xor_b64 s[4:5], exec, -1
; %bb.2223:
	s_or_b64 exec, exec, s[8:9]
	s_and_b64 s[4:5], s[4:5], exec
	s_or_saveexec_b64 s[6:7], s[6:7]
	v_mov_b32_e32 v12, s10
	s_xor_b64 exec, exec, s[6:7]
	s_cbranch_execz .LBB15_174
.LBB15_2224:
	v_mov_b32_e32 v12, 0
	v_cmp_ne_u16_sdwa s[8:9], v6, v12 src0_sel:BYTE_0 src1_sel:DWORD
	s_andn2_b64 s[4:5], s[4:5], exec
	s_and_b64 s[8:9], s[8:9], exec
	s_or_b64 s[4:5], s[4:5], s[8:9]
	s_or_b64 exec, exec, s[6:7]
	s_and_saveexec_b64 s[6:7], s[4:5]
	s_cbranch_execnz .LBB15_175
	s_branch .LBB15_176
.LBB15_2225:
	s_movk_i32 s4, 0x80
	v_cmp_eq_u16_e32 vcc, s4, v6
	s_mov_b64 s[4:5], -1
                                        ; implicit-def: $sgpr10
	s_and_saveexec_b64 s[8:9], vcc
; %bb.2226:
	s_mov_b32 s10, 0x7f800001
	s_xor_b64 s[4:5], exec, -1
; %bb.2227:
	s_or_b64 exec, exec, s[8:9]
	s_and_b64 s[4:5], s[4:5], exec
                                        ; implicit-def: $vgpr6
	s_or_saveexec_b64 s[6:7], s[6:7]
	v_mov_b32_e32 v2, s10
	s_xor_b64 exec, exec, s[6:7]
	s_cbranch_execz .LBB15_178
.LBB15_2228:
	v_cmp_ne_u16_e32 vcc, 0, v6
	s_andn2_b64 s[4:5], s[4:5], exec
	s_and_b64 s[8:9], vcc, exec
	v_mov_b32_e32 v2, 0
	s_or_b64 s[4:5], s[4:5], s[8:9]
	s_or_b64 exec, exec, s[6:7]
	s_and_saveexec_b64 s[6:7], s[4:5]
	s_cbranch_execnz .LBB15_179
	s_branch .LBB15_180
.LBB15_2229:
	s_movk_i32 s4, 0x80
	v_cmp_eq_u16_e32 vcc, s4, v6
	s_mov_b64 s[4:5], -1
                                        ; implicit-def: $sgpr10
	s_and_saveexec_b64 s[8:9], vcc
; %bb.2230:
	s_mov_b32 s10, 0x7f800001
	s_xor_b64 s[4:5], exec, -1
; %bb.2231:
	s_or_b64 exec, exec, s[8:9]
	s_and_b64 s[4:5], s[4:5], exec
                                        ; implicit-def: $vgpr6
	s_or_saveexec_b64 s[6:7], s[6:7]
	v_mov_b32_e32 v12, s10
	s_xor_b64 exec, exec, s[6:7]
	s_cbranch_execz .LBB15_182
.LBB15_2232:
	v_cmp_ne_u16_e32 vcc, 0, v6
	s_andn2_b64 s[4:5], s[4:5], exec
	s_and_b64 s[8:9], vcc, exec
	v_mov_b32_e32 v12, 0
	s_or_b64 s[4:5], s[4:5], s[8:9]
	s_or_b64 exec, exec, s[6:7]
	s_and_saveexec_b64 s[6:7], s[4:5]
	s_cbranch_execnz .LBB15_183
	s_branch .LBB15_184
.LBB15_2233:
	s_movk_i32 s4, 0x80
	v_cmp_eq_u16_sdwa s[12:13], v7, s4 src0_sel:BYTE_3 src1_sel:DWORD
	s_mov_b64 s[4:5], -1
                                        ; implicit-def: $sgpr10
	s_and_saveexec_b64 s[8:9], s[12:13]
; %bb.2234:
	s_mov_b32 s10, 0x7f800001
	s_xor_b64 s[4:5], exec, -1
; %bb.2235:
	s_or_b64 exec, exec, s[8:9]
	s_and_b64 s[4:5], s[4:5], exec
	s_or_saveexec_b64 s[6:7], s[6:7]
	v_mov_b32_e32 v2, s10
	s_xor_b64 exec, exec, s[6:7]
	s_cbranch_execz .LBB15_186
.LBB15_2236:
	v_mov_b32_e32 v2, 0
	v_cmp_ne_u16_sdwa s[8:9], v7, v2 src0_sel:BYTE_3 src1_sel:DWORD
	s_andn2_b64 s[4:5], s[4:5], exec
	s_and_b64 s[8:9], s[8:9], exec
	s_or_b64 s[4:5], s[4:5], s[8:9]
	s_or_b64 exec, exec, s[6:7]
	s_and_saveexec_b64 s[6:7], s[4:5]
	s_cbranch_execnz .LBB15_187
	s_branch .LBB15_188
.LBB15_2237:
	s_movk_i32 s4, 0x80
	v_cmp_eq_u16_sdwa s[12:13], v3, s4 src0_sel:BYTE_3 src1_sel:DWORD
	s_mov_b64 s[4:5], -1
                                        ; implicit-def: $sgpr10
	s_and_saveexec_b64 s[8:9], s[12:13]
; %bb.2238:
	s_mov_b32 s10, 0x7f800001
	s_xor_b64 s[4:5], exec, -1
; %bb.2239:
	s_or_b64 exec, exec, s[8:9]
	s_and_b64 s[4:5], s[4:5], exec
	s_or_saveexec_b64 s[6:7], s[6:7]
	v_mov_b32_e32 v6, s10
	s_xor_b64 exec, exec, s[6:7]
	s_cbranch_execz .LBB15_190
.LBB15_2240:
	v_mov_b32_e32 v6, 0
	v_cmp_ne_u16_sdwa s[8:9], v3, v6 src0_sel:BYTE_3 src1_sel:DWORD
	s_andn2_b64 s[4:5], s[4:5], exec
	s_and_b64 s[8:9], s[8:9], exec
	s_or_b64 s[4:5], s[4:5], s[8:9]
	s_or_b64 exec, exec, s[6:7]
	s_and_saveexec_b64 s[6:7], s[4:5]
	s_cbranch_execnz .LBB15_191
	s_branch .LBB15_192
.LBB15_2241:
	s_movk_i32 s4, 0x80
	v_cmp_eq_u16_sdwa s[12:13], v8, s4 src0_sel:BYTE_0 src1_sel:DWORD
	s_mov_b64 s[4:5], -1
                                        ; implicit-def: $sgpr10
	s_and_saveexec_b64 s[8:9], s[12:13]
; %bb.2242:
	s_mov_b32 s10, 0x7f800001
	s_xor_b64 s[4:5], exec, -1
; %bb.2243:
	s_or_b64 exec, exec, s[8:9]
	s_and_b64 s[4:5], s[4:5], exec
	s_or_saveexec_b64 s[6:7], s[6:7]
	v_mov_b32_e32 v2, s10
	s_xor_b64 exec, exec, s[6:7]
	s_cbranch_execz .LBB15_194
.LBB15_2244:
	v_mov_b32_e32 v2, 0
	v_cmp_ne_u16_sdwa s[8:9], v8, v2 src0_sel:BYTE_0 src1_sel:DWORD
	s_andn2_b64 s[4:5], s[4:5], exec
	s_and_b64 s[8:9], s[8:9], exec
	s_or_b64 s[4:5], s[4:5], s[8:9]
	s_or_b64 exec, exec, s[6:7]
	s_and_saveexec_b64 s[6:7], s[4:5]
	s_cbranch_execnz .LBB15_195
	s_branch .LBB15_196
.LBB15_2245:
	s_movk_i32 s4, 0x80
	v_cmp_eq_u16_sdwa s[12:13], v4, s4 src0_sel:BYTE_0 src1_sel:DWORD
	s_mov_b64 s[4:5], -1
                                        ; implicit-def: $sgpr10
	s_and_saveexec_b64 s[8:9], s[12:13]
; %bb.2246:
	s_mov_b32 s10, 0x7f800001
	s_xor_b64 s[4:5], exec, -1
; %bb.2247:
	s_or_b64 exec, exec, s[8:9]
	s_and_b64 s[4:5], s[4:5], exec
	s_or_saveexec_b64 s[6:7], s[6:7]
	v_mov_b32_e32 v3, s10
	s_xor_b64 exec, exec, s[6:7]
	s_cbranch_execz .LBB15_198
.LBB15_2248:
	v_mov_b32_e32 v3, 0
	v_cmp_ne_u16_sdwa s[8:9], v4, v3 src0_sel:BYTE_0 src1_sel:DWORD
	s_andn2_b64 s[4:5], s[4:5], exec
	s_and_b64 s[8:9], s[8:9], exec
	s_or_b64 s[4:5], s[4:5], s[8:9]
	s_or_b64 exec, exec, s[6:7]
	s_and_saveexec_b64 s[6:7], s[4:5]
	s_cbranch_execnz .LBB15_199
	s_branch .LBB15_200
.LBB15_2249:
	s_movk_i32 s4, 0x80
	v_cmp_eq_u16_sdwa s[12:13], v3, s4 src0_sel:BYTE_0 src1_sel:DWORD
	s_mov_b64 s[4:5], -1
                                        ; implicit-def: $sgpr10
	s_and_saveexec_b64 s[8:9], s[12:13]
; %bb.2250:
	s_mov_b32 s10, 0x7f800001
	s_xor_b64 s[4:5], exec, -1
; %bb.2251:
	s_or_b64 exec, exec, s[8:9]
	s_and_b64 s[4:5], s[4:5], exec
	s_or_saveexec_b64 s[6:7], s[6:7]
	v_mov_b32_e32 v2, s10
	s_xor_b64 exec, exec, s[6:7]
	s_cbranch_execz .LBB15_202
.LBB15_2252:
	v_mov_b32_e32 v2, 0
	v_cmp_ne_u16_sdwa s[8:9], v3, v2 src0_sel:BYTE_0 src1_sel:DWORD
	s_andn2_b64 s[4:5], s[4:5], exec
	s_and_b64 s[8:9], s[8:9], exec
	s_or_b64 s[4:5], s[4:5], s[8:9]
	s_or_b64 exec, exec, s[6:7]
	s_and_saveexec_b64 s[6:7], s[4:5]
	s_cbranch_execnz .LBB15_203
	s_branch .LBB15_204
.LBB15_2253:
	s_movk_i32 s4, 0x80
	v_cmp_eq_u16_sdwa s[12:13], v3, s4 src0_sel:BYTE_0 src1_sel:DWORD
	s_mov_b64 s[4:5], -1
                                        ; implicit-def: $sgpr10
	s_and_saveexec_b64 s[8:9], s[12:13]
; %bb.2254:
	s_mov_b32 s10, 0x7f800001
	s_xor_b64 s[4:5], exec, -1
; %bb.2255:
	s_or_b64 exec, exec, s[8:9]
	s_and_b64 s[4:5], s[4:5], exec
	s_or_saveexec_b64 s[6:7], s[6:7]
	v_mov_b32_e32 v6, s10
	s_xor_b64 exec, exec, s[6:7]
	s_cbranch_execz .LBB15_206
.LBB15_2256:
	v_mov_b32_e32 v6, 0
	v_cmp_ne_u16_sdwa s[8:9], v3, v6 src0_sel:BYTE_0 src1_sel:DWORD
	s_andn2_b64 s[4:5], s[4:5], exec
	s_and_b64 s[8:9], s[8:9], exec
	s_or_b64 s[4:5], s[4:5], s[8:9]
	s_or_b64 exec, exec, s[6:7]
	s_and_saveexec_b64 s[6:7], s[4:5]
	s_cbranch_execnz .LBB15_207
	s_branch .LBB15_208
.LBB15_2257:
	s_movk_i32 s4, 0x80
	v_cmp_eq_u16_e32 vcc, s4, v3
	s_mov_b64 s[4:5], -1
                                        ; implicit-def: $sgpr10
	s_and_saveexec_b64 s[8:9], vcc
; %bb.2258:
	s_mov_b32 s10, 0x7f800001
	s_xor_b64 s[4:5], exec, -1
; %bb.2259:
	s_or_b64 exec, exec, s[8:9]
	s_and_b64 s[4:5], s[4:5], exec
                                        ; implicit-def: $vgpr3
	s_or_saveexec_b64 s[6:7], s[6:7]
	v_mov_b32_e32 v2, s10
	s_xor_b64 exec, exec, s[6:7]
	s_cbranch_execz .LBB15_210
.LBB15_2260:
	v_cmp_ne_u16_e32 vcc, 0, v3
	s_andn2_b64 s[4:5], s[4:5], exec
	s_and_b64 s[8:9], vcc, exec
	v_mov_b32_e32 v2, 0
	s_or_b64 s[4:5], s[4:5], s[8:9]
	s_or_b64 exec, exec, s[6:7]
	s_and_saveexec_b64 s[6:7], s[4:5]
	s_cbranch_execnz .LBB15_211
	s_branch .LBB15_212
.LBB15_2261:
	s_movk_i32 s4, 0x80
	v_cmp_eq_u16_e32 vcc, s4, v3
	s_mov_b64 s[4:5], -1
                                        ; implicit-def: $sgpr10
	s_and_saveexec_b64 s[8:9], vcc
; %bb.2262:
	s_mov_b32 s10, 0x7f800001
	s_xor_b64 s[4:5], exec, -1
; %bb.2263:
	s_or_b64 exec, exec, s[8:9]
	s_and_b64 s[4:5], s[4:5], exec
                                        ; implicit-def: $vgpr3
	s_or_saveexec_b64 s[6:7], s[6:7]
	v_mov_b32_e32 v6, s10
	s_xor_b64 exec, exec, s[6:7]
	s_cbranch_execz .LBB15_214
.LBB15_2264:
	v_cmp_ne_u16_e32 vcc, 0, v3
	s_andn2_b64 s[4:5], s[4:5], exec
	s_and_b64 s[8:9], vcc, exec
	v_mov_b32_e32 v6, 0
	s_or_b64 s[4:5], s[4:5], s[8:9]
	s_or_b64 exec, exec, s[6:7]
	s_and_saveexec_b64 s[6:7], s[4:5]
	s_cbranch_execnz .LBB15_215
	s_branch .LBB15_216
.LBB15_2265:
	s_movk_i32 s4, 0x80
	v_cmp_eq_u16_sdwa s[12:13], v8, s4 src0_sel:BYTE_3 src1_sel:DWORD
	s_mov_b64 s[4:5], -1
                                        ; implicit-def: $sgpr10
	s_and_saveexec_b64 s[8:9], s[12:13]
; %bb.2266:
	s_mov_b32 s10, 0x7f800001
	s_xor_b64 s[4:5], exec, -1
; %bb.2267:
	s_or_b64 exec, exec, s[8:9]
	s_and_b64 s[4:5], s[4:5], exec
	s_or_saveexec_b64 s[6:7], s[6:7]
	v_mov_b32_e32 v2, s10
	s_xor_b64 exec, exec, s[6:7]
	s_cbranch_execz .LBB15_218
.LBB15_2268:
	v_mov_b32_e32 v2, 0
	v_cmp_ne_u16_sdwa s[8:9], v8, v2 src0_sel:BYTE_3 src1_sel:DWORD
	s_andn2_b64 s[4:5], s[4:5], exec
	s_and_b64 s[8:9], s[8:9], exec
	s_or_b64 s[4:5], s[4:5], s[8:9]
	s_or_b64 exec, exec, s[6:7]
	s_and_saveexec_b64 s[6:7], s[4:5]
	s_cbranch_execnz .LBB15_219
	s_branch .LBB15_220
.LBB15_2269:
	s_movk_i32 s4, 0x80
	v_cmp_eq_u16_sdwa s[12:13], v4, s4 src0_sel:BYTE_3 src1_sel:DWORD
	s_mov_b64 s[4:5], -1
                                        ; implicit-def: $sgpr10
	s_and_saveexec_b64 s[8:9], s[12:13]
; %bb.2270:
	s_mov_b32 s10, 0x7f800001
	s_xor_b64 s[4:5], exec, -1
; %bb.2271:
	s_or_b64 exec, exec, s[8:9]
	s_and_b64 s[4:5], s[4:5], exec
	s_or_saveexec_b64 s[6:7], s[6:7]
	v_mov_b32_e32 v3, s10
	s_xor_b64 exec, exec, s[6:7]
	s_cbranch_execz .LBB15_222
.LBB15_2272:
	v_mov_b32_e32 v3, 0
	v_cmp_ne_u16_sdwa s[8:9], v4, v3 src0_sel:BYTE_3 src1_sel:DWORD
	s_andn2_b64 s[4:5], s[4:5], exec
	s_and_b64 s[8:9], s[8:9], exec
	s_or_b64 s[4:5], s[4:5], s[8:9]
	s_or_b64 exec, exec, s[6:7]
	s_and_saveexec_b64 s[6:7], s[4:5]
	s_cbranch_execnz .LBB15_223
	s_branch .LBB15_224
.LBB15_2273:
	s_movk_i32 s4, 0x80
	v_cmp_eq_u16_sdwa s[12:13], v9, s4 src0_sel:BYTE_0 src1_sel:DWORD
	s_mov_b64 s[4:5], -1
                                        ; implicit-def: $sgpr10
	s_and_saveexec_b64 s[8:9], s[12:13]
; %bb.2274:
	s_mov_b32 s10, 0x7f800001
	s_xor_b64 s[4:5], exec, -1
; %bb.2275:
	s_or_b64 exec, exec, s[8:9]
	s_and_b64 s[4:5], s[4:5], exec
	s_or_saveexec_b64 s[6:7], s[6:7]
	v_mov_b32_e32 v2, s10
	s_xor_b64 exec, exec, s[6:7]
	s_cbranch_execz .LBB15_226
.LBB15_2276:
	v_mov_b32_e32 v2, 0
	v_cmp_ne_u16_sdwa s[8:9], v9, v2 src0_sel:BYTE_0 src1_sel:DWORD
	s_andn2_b64 s[4:5], s[4:5], exec
	s_and_b64 s[8:9], s[8:9], exec
	s_or_b64 s[4:5], s[4:5], s[8:9]
	s_or_b64 exec, exec, s[6:7]
	s_and_saveexec_b64 s[6:7], s[4:5]
	s_cbranch_execnz .LBB15_227
	s_branch .LBB15_228
.LBB15_2277:
	s_movk_i32 s4, 0x80
	v_cmp_eq_u16_sdwa s[12:13], v5, s4 src0_sel:BYTE_0 src1_sel:DWORD
	s_mov_b64 s[4:5], -1
                                        ; implicit-def: $sgpr10
	s_and_saveexec_b64 s[8:9], s[12:13]
; %bb.2278:
	s_mov_b32 s10, 0x7f800001
	s_xor_b64 s[4:5], exec, -1
; %bb.2279:
	s_or_b64 exec, exec, s[8:9]
	s_and_b64 s[4:5], s[4:5], exec
	s_or_saveexec_b64 s[6:7], s[6:7]
	v_mov_b32_e32 v3, s10
	s_xor_b64 exec, exec, s[6:7]
	s_cbranch_execz .LBB15_230
.LBB15_2280:
	v_mov_b32_e32 v3, 0
	v_cmp_ne_u16_sdwa s[8:9], v5, v3 src0_sel:BYTE_0 src1_sel:DWORD
	s_andn2_b64 s[4:5], s[4:5], exec
	s_and_b64 s[8:9], s[8:9], exec
	s_or_b64 s[4:5], s[4:5], s[8:9]
	s_or_b64 exec, exec, s[6:7]
	s_and_saveexec_b64 s[6:7], s[4:5]
	s_cbranch_execnz .LBB15_231
	s_branch .LBB15_232
.LBB15_2281:
	s_movk_i32 s4, 0x80
	v_cmp_eq_u16_sdwa s[12:13], v3, s4 src0_sel:BYTE_0 src1_sel:DWORD
	s_mov_b64 s[4:5], -1
                                        ; implicit-def: $sgpr10
	s_and_saveexec_b64 s[8:9], s[12:13]
; %bb.2282:
	s_mov_b32 s10, 0x7f800001
	s_xor_b64 s[4:5], exec, -1
; %bb.2283:
	s_or_b64 exec, exec, s[8:9]
	s_and_b64 s[4:5], s[4:5], exec
	s_or_saveexec_b64 s[6:7], s[6:7]
	v_mov_b32_e32 v2, s10
	s_xor_b64 exec, exec, s[6:7]
	s_cbranch_execz .LBB15_234
.LBB15_2284:
	v_mov_b32_e32 v2, 0
	v_cmp_ne_u16_sdwa s[8:9], v3, v2 src0_sel:BYTE_0 src1_sel:DWORD
	s_andn2_b64 s[4:5], s[4:5], exec
	s_and_b64 s[8:9], s[8:9], exec
	s_or_b64 s[4:5], s[4:5], s[8:9]
	s_or_b64 exec, exec, s[6:7]
	s_and_saveexec_b64 s[6:7], s[4:5]
	s_cbranch_execnz .LBB15_235
	s_branch .LBB15_236
.LBB15_2285:
	s_movk_i32 s4, 0x80
	v_cmp_eq_u16_sdwa s[12:13], v3, s4 src0_sel:BYTE_0 src1_sel:DWORD
	s_mov_b64 s[4:5], -1
                                        ; implicit-def: $sgpr10
	s_and_saveexec_b64 s[8:9], s[12:13]
; %bb.2286:
	s_mov_b32 s10, 0x7f800001
	s_xor_b64 s[4:5], exec, -1
; %bb.2287:
	s_or_b64 exec, exec, s[8:9]
	s_and_b64 s[4:5], s[4:5], exec
	s_or_saveexec_b64 s[6:7], s[6:7]
	v_mov_b32_e32 v4, s10
	s_xor_b64 exec, exec, s[6:7]
	s_cbranch_execz .LBB15_238
.LBB15_2288:
	v_mov_b32_e32 v4, 0
	v_cmp_ne_u16_sdwa s[8:9], v3, v4 src0_sel:BYTE_0 src1_sel:DWORD
	s_andn2_b64 s[4:5], s[4:5], exec
	s_and_b64 s[8:9], s[8:9], exec
	s_or_b64 s[4:5], s[4:5], s[8:9]
	s_or_b64 exec, exec, s[6:7]
	s_and_saveexec_b64 s[6:7], s[4:5]
	s_cbranch_execnz .LBB15_239
	s_branch .LBB15_240
.LBB15_2289:
	s_movk_i32 s4, 0x80
	v_cmp_eq_u16_e32 vcc, s4, v3
	s_mov_b64 s[4:5], -1
                                        ; implicit-def: $sgpr10
	s_and_saveexec_b64 s[8:9], vcc
; %bb.2290:
	s_mov_b32 s10, 0x7f800001
	s_xor_b64 s[4:5], exec, -1
; %bb.2291:
	s_or_b64 exec, exec, s[8:9]
	s_and_b64 s[4:5], s[4:5], exec
                                        ; implicit-def: $vgpr3
	s_or_saveexec_b64 s[6:7], s[6:7]
	v_mov_b32_e32 v2, s10
	s_xor_b64 exec, exec, s[6:7]
	s_cbranch_execz .LBB15_242
.LBB15_2292:
	v_cmp_ne_u16_e32 vcc, 0, v3
	s_andn2_b64 s[4:5], s[4:5], exec
	s_and_b64 s[8:9], vcc, exec
	v_mov_b32_e32 v2, 0
	s_or_b64 s[4:5], s[4:5], s[8:9]
	s_or_b64 exec, exec, s[6:7]
	s_and_saveexec_b64 s[6:7], s[4:5]
	s_cbranch_execnz .LBB15_243
	s_branch .LBB15_244
.LBB15_2293:
	s_movk_i32 s4, 0x80
	v_cmp_eq_u16_e32 vcc, s4, v3
	s_mov_b64 s[4:5], -1
                                        ; implicit-def: $sgpr10
	s_and_saveexec_b64 s[8:9], vcc
; %bb.2294:
	s_mov_b32 s10, 0x7f800001
	s_xor_b64 s[4:5], exec, -1
; %bb.2295:
	s_or_b64 exec, exec, s[8:9]
	s_and_b64 s[4:5], s[4:5], exec
                                        ; implicit-def: $vgpr3
	s_or_saveexec_b64 s[6:7], s[6:7]
	v_mov_b32_e32 v4, s10
	s_xor_b64 exec, exec, s[6:7]
	s_cbranch_execz .LBB15_246
.LBB15_2296:
	v_cmp_ne_u16_e32 vcc, 0, v3
	s_andn2_b64 s[4:5], s[4:5], exec
	s_and_b64 s[8:9], vcc, exec
	v_mov_b32_e32 v4, 0
	s_or_b64 s[4:5], s[4:5], s[8:9]
	s_or_b64 exec, exec, s[6:7]
	s_and_saveexec_b64 s[6:7], s[4:5]
	s_cbranch_execnz .LBB15_247
	s_branch .LBB15_248
.LBB15_2297:
	s_movk_i32 s4, 0x80
	v_cmp_eq_u16_sdwa s[12:13], v9, s4 src0_sel:BYTE_3 src1_sel:DWORD
	s_mov_b64 s[4:5], -1
                                        ; implicit-def: $sgpr10
	s_and_saveexec_b64 s[8:9], s[12:13]
; %bb.2298:
	s_mov_b32 s10, 0x7f800001
	s_xor_b64 s[4:5], exec, -1
; %bb.2299:
	s_or_b64 exec, exec, s[8:9]
	s_and_b64 s[4:5], s[4:5], exec
	s_or_saveexec_b64 s[6:7], s[6:7]
	v_mov_b32_e32 v2, s10
	s_xor_b64 exec, exec, s[6:7]
	s_cbranch_execz .LBB15_250
.LBB15_2300:
	v_mov_b32_e32 v2, 0
	v_cmp_ne_u16_sdwa s[8:9], v9, v2 src0_sel:BYTE_3 src1_sel:DWORD
	s_andn2_b64 s[4:5], s[4:5], exec
	s_and_b64 s[8:9], s[8:9], exec
	s_or_b64 s[4:5], s[4:5], s[8:9]
	s_or_b64 exec, exec, s[6:7]
	s_and_saveexec_b64 s[6:7], s[4:5]
	s_cbranch_execnz .LBB15_251
	s_branch .LBB15_252
.LBB15_2301:
	s_movk_i32 s4, 0x80
	v_cmp_eq_u16_sdwa s[12:13], v5, s4 src0_sel:BYTE_3 src1_sel:DWORD
	s_mov_b64 s[4:5], -1
                                        ; implicit-def: $sgpr10
	s_and_saveexec_b64 s[8:9], s[12:13]
; %bb.2302:
	s_mov_b32 s10, 0x7f800001
	s_xor_b64 s[4:5], exec, -1
; %bb.2303:
	s_or_b64 exec, exec, s[8:9]
	s_and_b64 s[4:5], s[4:5], exec
	s_or_saveexec_b64 s[6:7], s[6:7]
	v_mov_b32_e32 v3, s10
	s_xor_b64 exec, exec, s[6:7]
	s_cbranch_execz .LBB15_254
.LBB15_2304:
	v_mov_b32_e32 v3, 0
	v_cmp_ne_u16_sdwa s[8:9], v5, v3 src0_sel:BYTE_3 src1_sel:DWORD
	s_andn2_b64 s[4:5], s[4:5], exec
	s_and_b64 s[8:9], s[8:9], exec
	s_or_b64 s[4:5], s[4:5], s[8:9]
	s_or_b64 exec, exec, s[6:7]
	s_and_saveexec_b64 s[6:7], s[4:5]
	s_cbranch_execnz .LBB15_255
	s_branch .LBB15_256
.LBB15_2305:
	s_movk_i32 s4, 0x80
	v_cmp_eq_u16_sdwa s[12:13], v6, s4 src0_sel:BYTE_0 src1_sel:DWORD
	s_mov_b64 s[4:5], -1
                                        ; implicit-def: $sgpr10
	s_and_saveexec_b64 s[8:9], s[12:13]
; %bb.2306:
	s_mov_b32 s10, 0x7f800001
	s_xor_b64 s[4:5], exec, -1
; %bb.2307:
	s_or_b64 exec, exec, s[8:9]
	s_and_b64 s[4:5], s[4:5], exec
	s_or_saveexec_b64 s[6:7], s[6:7]
	v_mov_b32_e32 v12, s10
	s_xor_b64 exec, exec, s[6:7]
	s_cbranch_execz .LBB15_258
.LBB15_2308:
	v_mov_b32_e32 v12, 0
	v_cmp_ne_u16_sdwa s[8:9], v6, v12 src0_sel:BYTE_0 src1_sel:DWORD
	s_andn2_b64 s[4:5], s[4:5], exec
	s_and_b64 s[8:9], s[8:9], exec
	s_or_b64 s[4:5], s[4:5], s[8:9]
	s_or_b64 exec, exec, s[6:7]
	s_and_saveexec_b64 s[6:7], s[4:5]
	s_cbranch_execnz .LBB15_259
	s_branch .LBB15_260
.LBB15_2309:
	s_movk_i32 s4, 0x80
	v_cmp_eq_u16_sdwa s[12:13], v2, s4 src0_sel:BYTE_0 src1_sel:DWORD
	s_mov_b64 s[4:5], -1
                                        ; implicit-def: $sgpr10
	s_and_saveexec_b64 s[8:9], s[12:13]
; %bb.2310:
	s_mov_b32 s10, 0x7f800001
	s_xor_b64 s[4:5], exec, -1
; %bb.2311:
	s_or_b64 exec, exec, s[8:9]
	s_and_b64 s[4:5], s[4:5], exec
	s_or_saveexec_b64 s[6:7], s[6:7]
	v_mov_b32_e32 v13, s10
	s_xor_b64 exec, exec, s[6:7]
	s_cbranch_execz .LBB15_262
.LBB15_2312:
	v_mov_b32_e32 v13, 0
	v_cmp_ne_u16_sdwa s[8:9], v2, v13 src0_sel:BYTE_0 src1_sel:DWORD
	s_andn2_b64 s[4:5], s[4:5], exec
	s_and_b64 s[8:9], s[8:9], exec
	s_or_b64 s[4:5], s[4:5], s[8:9]
	s_or_b64 exec, exec, s[6:7]
	s_and_saveexec_b64 s[6:7], s[4:5]
	s_cbranch_execnz .LBB15_263
	s_branch .LBB15_264
.LBB15_2313:
	s_movk_i32 s4, 0x80
	v_cmp_eq_u16_sdwa s[12:13], v13, s4 src0_sel:BYTE_0 src1_sel:DWORD
	s_mov_b64 s[4:5], -1
                                        ; implicit-def: $sgpr10
	s_and_saveexec_b64 s[8:9], s[12:13]
; %bb.2314:
	s_mov_b32 s10, 0x7f800001
	s_xor_b64 s[4:5], exec, -1
; %bb.2315:
	s_or_b64 exec, exec, s[8:9]
	s_and_b64 s[4:5], s[4:5], exec
	s_or_saveexec_b64 s[6:7], s[6:7]
	v_mov_b32_e32 v12, s10
	s_xor_b64 exec, exec, s[6:7]
	s_cbranch_execz .LBB15_266
.LBB15_2316:
	v_mov_b32_e32 v12, 0
	v_cmp_ne_u16_sdwa s[8:9], v13, v12 src0_sel:BYTE_0 src1_sel:DWORD
	s_andn2_b64 s[4:5], s[4:5], exec
	s_and_b64 s[8:9], s[8:9], exec
	s_or_b64 s[4:5], s[4:5], s[8:9]
	s_or_b64 exec, exec, s[6:7]
	s_and_saveexec_b64 s[6:7], s[4:5]
	s_cbranch_execnz .LBB15_267
	s_branch .LBB15_268
.LBB15_2317:
	s_movk_i32 s4, 0x80
	v_cmp_eq_u16_sdwa s[12:13], v13, s4 src0_sel:BYTE_0 src1_sel:DWORD
	s_mov_b64 s[4:5], -1
                                        ; implicit-def: $sgpr10
	s_and_saveexec_b64 s[8:9], s[12:13]
; %bb.2318:
	s_mov_b32 s10, 0x7f800001
	s_xor_b64 s[4:5], exec, -1
; %bb.2319:
	s_or_b64 exec, exec, s[8:9]
	s_and_b64 s[4:5], s[4:5], exec
	s_or_saveexec_b64 s[6:7], s[6:7]
	v_mov_b32_e32 v14, s10
	s_xor_b64 exec, exec, s[6:7]
	s_cbranch_execz .LBB15_270
.LBB15_2320:
	v_mov_b32_e32 v14, 0
	v_cmp_ne_u16_sdwa s[8:9], v13, v14 src0_sel:BYTE_0 src1_sel:DWORD
	s_andn2_b64 s[4:5], s[4:5], exec
	s_and_b64 s[8:9], s[8:9], exec
	s_or_b64 s[4:5], s[4:5], s[8:9]
	s_or_b64 exec, exec, s[6:7]
	s_and_saveexec_b64 s[6:7], s[4:5]
	s_cbranch_execnz .LBB15_271
	s_branch .LBB15_272
.LBB15_2321:
	s_movk_i32 s4, 0x80
	v_cmp_eq_u16_e32 vcc, s4, v13
	s_mov_b64 s[4:5], -1
                                        ; implicit-def: $sgpr10
	s_and_saveexec_b64 s[8:9], vcc
; %bb.2322:
	s_mov_b32 s10, 0x7f800001
	s_xor_b64 s[4:5], exec, -1
; %bb.2323:
	s_or_b64 exec, exec, s[8:9]
	s_and_b64 s[4:5], s[4:5], exec
                                        ; implicit-def: $vgpr13
	s_or_saveexec_b64 s[6:7], s[6:7]
	v_mov_b32_e32 v12, s10
	s_xor_b64 exec, exec, s[6:7]
	s_cbranch_execz .LBB15_274
.LBB15_2324:
	v_cmp_ne_u16_e32 vcc, 0, v13
	s_andn2_b64 s[4:5], s[4:5], exec
	s_and_b64 s[8:9], vcc, exec
	v_mov_b32_e32 v12, 0
	s_or_b64 s[4:5], s[4:5], s[8:9]
	s_or_b64 exec, exec, s[6:7]
	s_and_saveexec_b64 s[6:7], s[4:5]
	s_cbranch_execnz .LBB15_275
	s_branch .LBB15_276
.LBB15_2325:
	s_movk_i32 s4, 0x80
	v_cmp_eq_u16_e32 vcc, s4, v13
	s_mov_b64 s[4:5], -1
                                        ; implicit-def: $sgpr10
	s_and_saveexec_b64 s[8:9], vcc
; %bb.2326:
	s_mov_b32 s10, 0x7f800001
	s_xor_b64 s[4:5], exec, -1
; %bb.2327:
	s_or_b64 exec, exec, s[8:9]
	s_and_b64 s[4:5], s[4:5], exec
                                        ; implicit-def: $vgpr13
	s_or_saveexec_b64 s[6:7], s[6:7]
	v_mov_b32_e32 v14, s10
	s_xor_b64 exec, exec, s[6:7]
	s_cbranch_execz .LBB15_278
.LBB15_2328:
	v_cmp_ne_u16_e32 vcc, 0, v13
	s_andn2_b64 s[4:5], s[4:5], exec
	s_and_b64 s[8:9], vcc, exec
	v_mov_b32_e32 v14, 0
	s_or_b64 s[4:5], s[4:5], s[8:9]
	s_or_b64 exec, exec, s[6:7]
	s_and_saveexec_b64 s[6:7], s[4:5]
	s_cbranch_execnz .LBB15_279
	s_branch .LBB15_280
.LBB15_2329:
	s_movk_i32 s4, 0x80
	v_cmp_eq_u16_sdwa s[12:13], v6, s4 src0_sel:BYTE_3 src1_sel:DWORD
	s_mov_b64 s[4:5], -1
                                        ; implicit-def: $sgpr10
	s_and_saveexec_b64 s[8:9], s[12:13]
; %bb.2330:
	s_mov_b32 s10, 0x7f800001
	s_xor_b64 s[4:5], exec, -1
; %bb.2331:
	s_or_b64 exec, exec, s[8:9]
	s_and_b64 s[4:5], s[4:5], exec
	s_or_saveexec_b64 s[6:7], s[6:7]
	v_mov_b32_e32 v12, s10
	s_xor_b64 exec, exec, s[6:7]
	s_cbranch_execz .LBB15_282
.LBB15_2332:
	v_mov_b32_e32 v12, 0
	v_cmp_ne_u16_sdwa s[8:9], v6, v12 src0_sel:BYTE_3 src1_sel:DWORD
	s_andn2_b64 s[4:5], s[4:5], exec
	s_and_b64 s[8:9], s[8:9], exec
	s_or_b64 s[4:5], s[4:5], s[8:9]
	s_or_b64 exec, exec, s[6:7]
	s_and_saveexec_b64 s[6:7], s[4:5]
	s_cbranch_execnz .LBB15_283
	s_branch .LBB15_284
.LBB15_2333:
	s_movk_i32 s4, 0x80
	v_cmp_eq_u16_sdwa s[12:13], v2, s4 src0_sel:BYTE_3 src1_sel:DWORD
	s_mov_b64 s[4:5], -1
                                        ; implicit-def: $sgpr10
	s_and_saveexec_b64 s[8:9], s[12:13]
; %bb.2334:
	s_mov_b32 s10, 0x7f800001
	s_xor_b64 s[4:5], exec, -1
; %bb.2335:
	s_or_b64 exec, exec, s[8:9]
	s_and_b64 s[4:5], s[4:5], exec
	s_or_saveexec_b64 s[6:7], s[6:7]
	v_mov_b32_e32 v6, s10
	s_xor_b64 exec, exec, s[6:7]
	s_cbranch_execz .LBB15_286
.LBB15_2336:
	v_mov_b32_e32 v6, 0
	v_cmp_ne_u16_sdwa s[8:9], v2, v6 src0_sel:BYTE_3 src1_sel:DWORD
	s_andn2_b64 s[4:5], s[4:5], exec
	s_and_b64 s[8:9], s[8:9], exec
	s_or_b64 s[4:5], s[4:5], s[8:9]
	s_or_b64 exec, exec, s[6:7]
	s_and_saveexec_b64 s[6:7], s[4:5]
	s_cbranch_execnz .LBB15_287
	s_branch .LBB15_288
.LBB15_2337:
	s_movk_i32 s4, 0x80
	v_cmp_eq_u16_sdwa s[12:13], v7, s4 src0_sel:BYTE_0 src1_sel:DWORD
	s_mov_b64 s[4:5], -1
                                        ; implicit-def: $sgpr10
	s_and_saveexec_b64 s[8:9], s[12:13]
; %bb.2338:
	s_mov_b32 s10, 0x7f800001
	s_xor_b64 s[4:5], exec, -1
; %bb.2339:
	s_or_b64 exec, exec, s[8:9]
	s_and_b64 s[4:5], s[4:5], exec
	s_or_saveexec_b64 s[6:7], s[6:7]
	v_mov_b32_e32 v2, s10
	s_xor_b64 exec, exec, s[6:7]
	s_cbranch_execz .LBB15_290
.LBB15_2340:
	v_mov_b32_e32 v2, 0
	v_cmp_ne_u16_sdwa s[8:9], v7, v2 src0_sel:BYTE_0 src1_sel:DWORD
	s_andn2_b64 s[4:5], s[4:5], exec
	s_and_b64 s[8:9], s[8:9], exec
	s_or_b64 s[4:5], s[4:5], s[8:9]
	s_or_b64 exec, exec, s[6:7]
	s_and_saveexec_b64 s[6:7], s[4:5]
	s_cbranch_execnz .LBB15_291
	s_branch .LBB15_292
.LBB15_2341:
	s_movk_i32 s4, 0x80
	v_cmp_eq_u16_sdwa s[12:13], v3, s4 src0_sel:BYTE_0 src1_sel:DWORD
	s_mov_b64 s[4:5], -1
                                        ; implicit-def: $sgpr10
	s_and_saveexec_b64 s[8:9], s[12:13]
; %bb.2342:
	s_mov_b32 s10, 0x7f800001
	s_xor_b64 s[4:5], exec, -1
; %bb.2343:
	s_or_b64 exec, exec, s[8:9]
	s_and_b64 s[4:5], s[4:5], exec
	s_or_saveexec_b64 s[6:7], s[6:7]
	v_mov_b32_e32 v6, s10
	s_xor_b64 exec, exec, s[6:7]
	s_cbranch_execz .LBB15_294
.LBB15_2344:
	v_mov_b32_e32 v6, 0
	v_cmp_ne_u16_sdwa s[8:9], v3, v6 src0_sel:BYTE_0 src1_sel:DWORD
	s_andn2_b64 s[4:5], s[4:5], exec
	s_and_b64 s[8:9], s[8:9], exec
	s_or_b64 s[4:5], s[4:5], s[8:9]
	s_or_b64 exec, exec, s[6:7]
	s_and_saveexec_b64 s[6:7], s[4:5]
	s_cbranch_execnz .LBB15_295
	s_branch .LBB15_296
.LBB15_2345:
	s_movk_i32 s4, 0x80
	v_cmp_eq_u16_sdwa s[12:13], v6, s4 src0_sel:BYTE_0 src1_sel:DWORD
	s_mov_b64 s[4:5], -1
                                        ; implicit-def: $sgpr10
	s_and_saveexec_b64 s[8:9], s[12:13]
; %bb.2346:
	s_mov_b32 s10, 0x7f800001
	s_xor_b64 s[4:5], exec, -1
; %bb.2347:
	s_or_b64 exec, exec, s[8:9]
	s_and_b64 s[4:5], s[4:5], exec
	s_or_saveexec_b64 s[6:7], s[6:7]
	v_mov_b32_e32 v2, s10
	s_xor_b64 exec, exec, s[6:7]
	s_cbranch_execz .LBB15_298
.LBB15_2348:
	v_mov_b32_e32 v2, 0
	v_cmp_ne_u16_sdwa s[8:9], v6, v2 src0_sel:BYTE_0 src1_sel:DWORD
	s_andn2_b64 s[4:5], s[4:5], exec
	s_and_b64 s[8:9], s[8:9], exec
	s_or_b64 s[4:5], s[4:5], s[8:9]
	s_or_b64 exec, exec, s[6:7]
	s_and_saveexec_b64 s[6:7], s[4:5]
	s_cbranch_execnz .LBB15_299
	s_branch .LBB15_300
.LBB15_2349:
	s_movk_i32 s4, 0x80
	v_cmp_eq_u16_sdwa s[12:13], v6, s4 src0_sel:BYTE_0 src1_sel:DWORD
	s_mov_b64 s[4:5], -1
                                        ; implicit-def: $sgpr10
	s_and_saveexec_b64 s[8:9], s[12:13]
; %bb.2350:
	s_mov_b32 s10, 0x7f800001
	s_xor_b64 s[4:5], exec, -1
; %bb.2351:
	s_or_b64 exec, exec, s[8:9]
	s_and_b64 s[4:5], s[4:5], exec
	s_or_saveexec_b64 s[6:7], s[6:7]
	v_mov_b32_e32 v12, s10
	s_xor_b64 exec, exec, s[6:7]
	s_cbranch_execz .LBB15_302
.LBB15_2352:
	v_mov_b32_e32 v12, 0
	v_cmp_ne_u16_sdwa s[8:9], v6, v12 src0_sel:BYTE_0 src1_sel:DWORD
	s_andn2_b64 s[4:5], s[4:5], exec
	s_and_b64 s[8:9], s[8:9], exec
	s_or_b64 s[4:5], s[4:5], s[8:9]
	s_or_b64 exec, exec, s[6:7]
	s_and_saveexec_b64 s[6:7], s[4:5]
	s_cbranch_execnz .LBB15_303
	s_branch .LBB15_304
.LBB15_2353:
	s_movk_i32 s4, 0x80
	v_cmp_eq_u16_e32 vcc, s4, v6
	s_mov_b64 s[4:5], -1
                                        ; implicit-def: $sgpr10
	s_and_saveexec_b64 s[8:9], vcc
; %bb.2354:
	s_mov_b32 s10, 0x7f800001
	s_xor_b64 s[4:5], exec, -1
; %bb.2355:
	s_or_b64 exec, exec, s[8:9]
	s_and_b64 s[4:5], s[4:5], exec
                                        ; implicit-def: $vgpr6
	s_or_saveexec_b64 s[6:7], s[6:7]
	v_mov_b32_e32 v2, s10
	s_xor_b64 exec, exec, s[6:7]
	s_cbranch_execz .LBB15_306
.LBB15_2356:
	v_cmp_ne_u16_e32 vcc, 0, v6
	s_andn2_b64 s[4:5], s[4:5], exec
	s_and_b64 s[8:9], vcc, exec
	v_mov_b32_e32 v2, 0
	s_or_b64 s[4:5], s[4:5], s[8:9]
	s_or_b64 exec, exec, s[6:7]
	s_and_saveexec_b64 s[6:7], s[4:5]
	s_cbranch_execnz .LBB15_307
	s_branch .LBB15_308
.LBB15_2357:
	s_movk_i32 s4, 0x80
	v_cmp_eq_u16_e32 vcc, s4, v6
	s_mov_b64 s[4:5], -1
                                        ; implicit-def: $sgpr10
	s_and_saveexec_b64 s[8:9], vcc
; %bb.2358:
	s_mov_b32 s10, 0x7f800001
	s_xor_b64 s[4:5], exec, -1
; %bb.2359:
	s_or_b64 exec, exec, s[8:9]
	s_and_b64 s[4:5], s[4:5], exec
                                        ; implicit-def: $vgpr6
	s_or_saveexec_b64 s[6:7], s[6:7]
	v_mov_b32_e32 v12, s10
	s_xor_b64 exec, exec, s[6:7]
	s_cbranch_execz .LBB15_310
.LBB15_2360:
	v_cmp_ne_u16_e32 vcc, 0, v6
	s_andn2_b64 s[4:5], s[4:5], exec
	s_and_b64 s[8:9], vcc, exec
	v_mov_b32_e32 v12, 0
	s_or_b64 s[4:5], s[4:5], s[8:9]
	s_or_b64 exec, exec, s[6:7]
	s_and_saveexec_b64 s[6:7], s[4:5]
	s_cbranch_execnz .LBB15_311
	s_branch .LBB15_312
.LBB15_2361:
	s_movk_i32 s4, 0x80
	v_cmp_eq_u16_sdwa s[12:13], v7, s4 src0_sel:BYTE_3 src1_sel:DWORD
	s_mov_b64 s[4:5], -1
                                        ; implicit-def: $sgpr10
	s_and_saveexec_b64 s[8:9], s[12:13]
; %bb.2362:
	s_mov_b32 s10, 0x7f800001
	s_xor_b64 s[4:5], exec, -1
; %bb.2363:
	s_or_b64 exec, exec, s[8:9]
	s_and_b64 s[4:5], s[4:5], exec
	s_or_saveexec_b64 s[6:7], s[6:7]
	v_mov_b32_e32 v2, s10
	s_xor_b64 exec, exec, s[6:7]
	s_cbranch_execz .LBB15_314
.LBB15_2364:
	v_mov_b32_e32 v2, 0
	v_cmp_ne_u16_sdwa s[8:9], v7, v2 src0_sel:BYTE_3 src1_sel:DWORD
	s_andn2_b64 s[4:5], s[4:5], exec
	s_and_b64 s[8:9], s[8:9], exec
	s_or_b64 s[4:5], s[4:5], s[8:9]
	s_or_b64 exec, exec, s[6:7]
	s_and_saveexec_b64 s[6:7], s[4:5]
	s_cbranch_execnz .LBB15_315
	s_branch .LBB15_316
.LBB15_2365:
	s_movk_i32 s4, 0x80
	v_cmp_eq_u16_sdwa s[12:13], v3, s4 src0_sel:BYTE_3 src1_sel:DWORD
	s_mov_b64 s[4:5], -1
                                        ; implicit-def: $sgpr10
	s_and_saveexec_b64 s[8:9], s[12:13]
; %bb.2366:
	s_mov_b32 s10, 0x7f800001
	s_xor_b64 s[4:5], exec, -1
; %bb.2367:
	s_or_b64 exec, exec, s[8:9]
	s_and_b64 s[4:5], s[4:5], exec
	s_or_saveexec_b64 s[6:7], s[6:7]
	v_mov_b32_e32 v6, s10
	s_xor_b64 exec, exec, s[6:7]
	s_cbranch_execz .LBB15_318
.LBB15_2368:
	v_mov_b32_e32 v6, 0
	v_cmp_ne_u16_sdwa s[8:9], v3, v6 src0_sel:BYTE_3 src1_sel:DWORD
	s_andn2_b64 s[4:5], s[4:5], exec
	s_and_b64 s[8:9], s[8:9], exec
	s_or_b64 s[4:5], s[4:5], s[8:9]
	s_or_b64 exec, exec, s[6:7]
	s_and_saveexec_b64 s[6:7], s[4:5]
	s_cbranch_execnz .LBB15_319
	s_branch .LBB15_320
.LBB15_2369:
	s_movk_i32 s4, 0x80
	v_cmp_eq_u16_sdwa s[12:13], v8, s4 src0_sel:BYTE_0 src1_sel:DWORD
	s_mov_b64 s[4:5], -1
                                        ; implicit-def: $sgpr10
	s_and_saveexec_b64 s[8:9], s[12:13]
; %bb.2370:
	s_mov_b32 s10, 0x7f800001
	s_xor_b64 s[4:5], exec, -1
; %bb.2371:
	s_or_b64 exec, exec, s[8:9]
	s_and_b64 s[4:5], s[4:5], exec
	s_or_saveexec_b64 s[6:7], s[6:7]
	v_mov_b32_e32 v2, s10
	s_xor_b64 exec, exec, s[6:7]
	s_cbranch_execz .LBB15_322
.LBB15_2372:
	v_mov_b32_e32 v2, 0
	v_cmp_ne_u16_sdwa s[8:9], v8, v2 src0_sel:BYTE_0 src1_sel:DWORD
	s_andn2_b64 s[4:5], s[4:5], exec
	s_and_b64 s[8:9], s[8:9], exec
	s_or_b64 s[4:5], s[4:5], s[8:9]
	s_or_b64 exec, exec, s[6:7]
	s_and_saveexec_b64 s[6:7], s[4:5]
	s_cbranch_execnz .LBB15_323
	s_branch .LBB15_324
.LBB15_2373:
	s_movk_i32 s4, 0x80
	v_cmp_eq_u16_sdwa s[12:13], v4, s4 src0_sel:BYTE_0 src1_sel:DWORD
	s_mov_b64 s[4:5], -1
                                        ; implicit-def: $sgpr10
	s_and_saveexec_b64 s[8:9], s[12:13]
; %bb.2374:
	s_mov_b32 s10, 0x7f800001
	s_xor_b64 s[4:5], exec, -1
; %bb.2375:
	s_or_b64 exec, exec, s[8:9]
	s_and_b64 s[4:5], s[4:5], exec
	s_or_saveexec_b64 s[6:7], s[6:7]
	v_mov_b32_e32 v3, s10
	s_xor_b64 exec, exec, s[6:7]
	s_cbranch_execz .LBB15_326
.LBB15_2376:
	v_mov_b32_e32 v3, 0
	v_cmp_ne_u16_sdwa s[8:9], v4, v3 src0_sel:BYTE_0 src1_sel:DWORD
	s_andn2_b64 s[4:5], s[4:5], exec
	s_and_b64 s[8:9], s[8:9], exec
	s_or_b64 s[4:5], s[4:5], s[8:9]
	s_or_b64 exec, exec, s[6:7]
	s_and_saveexec_b64 s[6:7], s[4:5]
	s_cbranch_execnz .LBB15_327
	s_branch .LBB15_328
.LBB15_2377:
	s_movk_i32 s4, 0x80
	v_cmp_eq_u16_sdwa s[12:13], v3, s4 src0_sel:BYTE_0 src1_sel:DWORD
	s_mov_b64 s[4:5], -1
                                        ; implicit-def: $sgpr10
	s_and_saveexec_b64 s[8:9], s[12:13]
; %bb.2378:
	s_mov_b32 s10, 0x7f800001
	s_xor_b64 s[4:5], exec, -1
; %bb.2379:
	s_or_b64 exec, exec, s[8:9]
	s_and_b64 s[4:5], s[4:5], exec
	s_or_saveexec_b64 s[6:7], s[6:7]
	v_mov_b32_e32 v2, s10
	s_xor_b64 exec, exec, s[6:7]
	s_cbranch_execz .LBB15_330
.LBB15_2380:
	v_mov_b32_e32 v2, 0
	v_cmp_ne_u16_sdwa s[8:9], v3, v2 src0_sel:BYTE_0 src1_sel:DWORD
	s_andn2_b64 s[4:5], s[4:5], exec
	s_and_b64 s[8:9], s[8:9], exec
	s_or_b64 s[4:5], s[4:5], s[8:9]
	s_or_b64 exec, exec, s[6:7]
	s_and_saveexec_b64 s[6:7], s[4:5]
	s_cbranch_execnz .LBB15_331
	s_branch .LBB15_332
.LBB15_2381:
	s_movk_i32 s4, 0x80
	v_cmp_eq_u16_sdwa s[12:13], v3, s4 src0_sel:BYTE_0 src1_sel:DWORD
	s_mov_b64 s[4:5], -1
                                        ; implicit-def: $sgpr10
	s_and_saveexec_b64 s[8:9], s[12:13]
; %bb.2382:
	s_mov_b32 s10, 0x7f800001
	s_xor_b64 s[4:5], exec, -1
; %bb.2383:
	s_or_b64 exec, exec, s[8:9]
	s_and_b64 s[4:5], s[4:5], exec
	s_or_saveexec_b64 s[6:7], s[6:7]
	v_mov_b32_e32 v6, s10
	s_xor_b64 exec, exec, s[6:7]
	s_cbranch_execz .LBB15_334
.LBB15_2384:
	v_mov_b32_e32 v6, 0
	v_cmp_ne_u16_sdwa s[8:9], v3, v6 src0_sel:BYTE_0 src1_sel:DWORD
	s_andn2_b64 s[4:5], s[4:5], exec
	s_and_b64 s[8:9], s[8:9], exec
	s_or_b64 s[4:5], s[4:5], s[8:9]
	s_or_b64 exec, exec, s[6:7]
	s_and_saveexec_b64 s[6:7], s[4:5]
	s_cbranch_execnz .LBB15_335
	s_branch .LBB15_336
.LBB15_2385:
	s_movk_i32 s4, 0x80
	v_cmp_eq_u16_e32 vcc, s4, v3
	s_mov_b64 s[4:5], -1
                                        ; implicit-def: $sgpr10
	s_and_saveexec_b64 s[8:9], vcc
; %bb.2386:
	s_mov_b32 s10, 0x7f800001
	s_xor_b64 s[4:5], exec, -1
; %bb.2387:
	s_or_b64 exec, exec, s[8:9]
	s_and_b64 s[4:5], s[4:5], exec
                                        ; implicit-def: $vgpr3
	s_or_saveexec_b64 s[6:7], s[6:7]
	v_mov_b32_e32 v2, s10
	s_xor_b64 exec, exec, s[6:7]
	s_cbranch_execz .LBB15_338
.LBB15_2388:
	v_cmp_ne_u16_e32 vcc, 0, v3
	s_andn2_b64 s[4:5], s[4:5], exec
	s_and_b64 s[8:9], vcc, exec
	v_mov_b32_e32 v2, 0
	s_or_b64 s[4:5], s[4:5], s[8:9]
	s_or_b64 exec, exec, s[6:7]
	s_and_saveexec_b64 s[6:7], s[4:5]
	s_cbranch_execnz .LBB15_339
	s_branch .LBB15_340
.LBB15_2389:
	s_movk_i32 s4, 0x80
	v_cmp_eq_u16_e32 vcc, s4, v3
	s_mov_b64 s[4:5], -1
                                        ; implicit-def: $sgpr10
	s_and_saveexec_b64 s[8:9], vcc
; %bb.2390:
	s_mov_b32 s10, 0x7f800001
	s_xor_b64 s[4:5], exec, -1
; %bb.2391:
	s_or_b64 exec, exec, s[8:9]
	s_and_b64 s[4:5], s[4:5], exec
                                        ; implicit-def: $vgpr3
	s_or_saveexec_b64 s[6:7], s[6:7]
	v_mov_b32_e32 v6, s10
	s_xor_b64 exec, exec, s[6:7]
	s_cbranch_execz .LBB15_342
.LBB15_2392:
	v_cmp_ne_u16_e32 vcc, 0, v3
	s_andn2_b64 s[4:5], s[4:5], exec
	s_and_b64 s[8:9], vcc, exec
	v_mov_b32_e32 v6, 0
	s_or_b64 s[4:5], s[4:5], s[8:9]
	s_or_b64 exec, exec, s[6:7]
	s_and_saveexec_b64 s[6:7], s[4:5]
	s_cbranch_execnz .LBB15_343
	s_branch .LBB15_344
.LBB15_2393:
	s_movk_i32 s4, 0x80
	v_cmp_eq_u16_sdwa s[12:13], v8, s4 src0_sel:BYTE_3 src1_sel:DWORD
	s_mov_b64 s[4:5], -1
                                        ; implicit-def: $sgpr10
	s_and_saveexec_b64 s[8:9], s[12:13]
; %bb.2394:
	s_mov_b32 s10, 0x7f800001
	s_xor_b64 s[4:5], exec, -1
; %bb.2395:
	s_or_b64 exec, exec, s[8:9]
	s_and_b64 s[4:5], s[4:5], exec
	s_or_saveexec_b64 s[6:7], s[6:7]
	v_mov_b32_e32 v2, s10
	s_xor_b64 exec, exec, s[6:7]
	s_cbranch_execz .LBB15_346
.LBB15_2396:
	v_mov_b32_e32 v2, 0
	v_cmp_ne_u16_sdwa s[8:9], v8, v2 src0_sel:BYTE_3 src1_sel:DWORD
	s_andn2_b64 s[4:5], s[4:5], exec
	s_and_b64 s[8:9], s[8:9], exec
	s_or_b64 s[4:5], s[4:5], s[8:9]
	s_or_b64 exec, exec, s[6:7]
	s_and_saveexec_b64 s[6:7], s[4:5]
	s_cbranch_execnz .LBB15_347
	s_branch .LBB15_348
.LBB15_2397:
	s_movk_i32 s4, 0x80
	v_cmp_eq_u16_sdwa s[12:13], v4, s4 src0_sel:BYTE_3 src1_sel:DWORD
	s_mov_b64 s[4:5], -1
                                        ; implicit-def: $sgpr10
	s_and_saveexec_b64 s[8:9], s[12:13]
; %bb.2398:
	s_mov_b32 s10, 0x7f800001
	s_xor_b64 s[4:5], exec, -1
; %bb.2399:
	s_or_b64 exec, exec, s[8:9]
	s_and_b64 s[4:5], s[4:5], exec
	s_or_saveexec_b64 s[6:7], s[6:7]
	v_mov_b32_e32 v3, s10
	s_xor_b64 exec, exec, s[6:7]
	s_cbranch_execz .LBB15_350
.LBB15_2400:
	v_mov_b32_e32 v3, 0
	v_cmp_ne_u16_sdwa s[8:9], v4, v3 src0_sel:BYTE_3 src1_sel:DWORD
	s_andn2_b64 s[4:5], s[4:5], exec
	s_and_b64 s[8:9], s[8:9], exec
	s_or_b64 s[4:5], s[4:5], s[8:9]
	s_or_b64 exec, exec, s[6:7]
	s_and_saveexec_b64 s[6:7], s[4:5]
	s_cbranch_execnz .LBB15_351
	s_branch .LBB15_352
.LBB15_2401:
	s_movk_i32 s4, 0x80
	v_cmp_eq_u16_sdwa s[12:13], v9, s4 src0_sel:BYTE_0 src1_sel:DWORD
	s_mov_b64 s[4:5], -1
                                        ; implicit-def: $sgpr10
	s_and_saveexec_b64 s[8:9], s[12:13]
; %bb.2402:
	s_mov_b32 s10, 0x7f800001
	s_xor_b64 s[4:5], exec, -1
; %bb.2403:
	s_or_b64 exec, exec, s[8:9]
	s_and_b64 s[4:5], s[4:5], exec
	s_or_saveexec_b64 s[6:7], s[6:7]
	v_mov_b32_e32 v2, s10
	s_xor_b64 exec, exec, s[6:7]
	s_cbranch_execz .LBB15_354
.LBB15_2404:
	v_mov_b32_e32 v2, 0
	v_cmp_ne_u16_sdwa s[8:9], v9, v2 src0_sel:BYTE_0 src1_sel:DWORD
	s_andn2_b64 s[4:5], s[4:5], exec
	s_and_b64 s[8:9], s[8:9], exec
	s_or_b64 s[4:5], s[4:5], s[8:9]
	s_or_b64 exec, exec, s[6:7]
	s_and_saveexec_b64 s[6:7], s[4:5]
	s_cbranch_execnz .LBB15_355
	s_branch .LBB15_356
.LBB15_2405:
	s_movk_i32 s4, 0x80
	v_cmp_eq_u16_sdwa s[12:13], v5, s4 src0_sel:BYTE_0 src1_sel:DWORD
	s_mov_b64 s[4:5], -1
                                        ; implicit-def: $sgpr10
	s_and_saveexec_b64 s[8:9], s[12:13]
; %bb.2406:
	s_mov_b32 s10, 0x7f800001
	s_xor_b64 s[4:5], exec, -1
; %bb.2407:
	s_or_b64 exec, exec, s[8:9]
	s_and_b64 s[4:5], s[4:5], exec
	s_or_saveexec_b64 s[6:7], s[6:7]
	v_mov_b32_e32 v3, s10
	s_xor_b64 exec, exec, s[6:7]
	s_cbranch_execz .LBB15_358
.LBB15_2408:
	v_mov_b32_e32 v3, 0
	v_cmp_ne_u16_sdwa s[8:9], v5, v3 src0_sel:BYTE_0 src1_sel:DWORD
	s_andn2_b64 s[4:5], s[4:5], exec
	s_and_b64 s[8:9], s[8:9], exec
	s_or_b64 s[4:5], s[4:5], s[8:9]
	s_or_b64 exec, exec, s[6:7]
	s_and_saveexec_b64 s[6:7], s[4:5]
	s_cbranch_execnz .LBB15_359
	s_branch .LBB15_360
.LBB15_2409:
	s_movk_i32 s4, 0x80
	v_cmp_eq_u16_sdwa s[12:13], v3, s4 src0_sel:BYTE_0 src1_sel:DWORD
	s_mov_b64 s[4:5], -1
                                        ; implicit-def: $sgpr10
	s_and_saveexec_b64 s[8:9], s[12:13]
; %bb.2410:
	s_mov_b32 s10, 0x7f800001
	s_xor_b64 s[4:5], exec, -1
; %bb.2411:
	s_or_b64 exec, exec, s[8:9]
	s_and_b64 s[4:5], s[4:5], exec
	s_or_saveexec_b64 s[6:7], s[6:7]
	v_mov_b32_e32 v2, s10
	s_xor_b64 exec, exec, s[6:7]
	s_cbranch_execz .LBB15_362
.LBB15_2412:
	v_mov_b32_e32 v2, 0
	v_cmp_ne_u16_sdwa s[8:9], v3, v2 src0_sel:BYTE_0 src1_sel:DWORD
	s_andn2_b64 s[4:5], s[4:5], exec
	s_and_b64 s[8:9], s[8:9], exec
	s_or_b64 s[4:5], s[4:5], s[8:9]
	s_or_b64 exec, exec, s[6:7]
	s_and_saveexec_b64 s[6:7], s[4:5]
	s_cbranch_execnz .LBB15_363
	s_branch .LBB15_364
.LBB15_2413:
	s_movk_i32 s4, 0x80
	v_cmp_eq_u16_sdwa s[12:13], v3, s4 src0_sel:BYTE_0 src1_sel:DWORD
	s_mov_b64 s[4:5], -1
                                        ; implicit-def: $sgpr10
	s_and_saveexec_b64 s[8:9], s[12:13]
; %bb.2414:
	s_mov_b32 s10, 0x7f800001
	s_xor_b64 s[4:5], exec, -1
; %bb.2415:
	s_or_b64 exec, exec, s[8:9]
	s_and_b64 s[4:5], s[4:5], exec
	s_or_saveexec_b64 s[6:7], s[6:7]
	v_mov_b32_e32 v4, s10
	s_xor_b64 exec, exec, s[6:7]
	s_cbranch_execz .LBB15_366
.LBB15_2416:
	v_mov_b32_e32 v4, 0
	v_cmp_ne_u16_sdwa s[8:9], v3, v4 src0_sel:BYTE_0 src1_sel:DWORD
	s_andn2_b64 s[4:5], s[4:5], exec
	s_and_b64 s[8:9], s[8:9], exec
	s_or_b64 s[4:5], s[4:5], s[8:9]
	s_or_b64 exec, exec, s[6:7]
	s_and_saveexec_b64 s[6:7], s[4:5]
	s_cbranch_execnz .LBB15_367
	s_branch .LBB15_368
.LBB15_2417:
	s_movk_i32 s4, 0x80
	v_cmp_eq_u16_e32 vcc, s4, v3
	s_mov_b64 s[4:5], -1
                                        ; implicit-def: $sgpr10
	s_and_saveexec_b64 s[8:9], vcc
; %bb.2418:
	s_mov_b32 s10, 0x7f800001
	s_xor_b64 s[4:5], exec, -1
; %bb.2419:
	s_or_b64 exec, exec, s[8:9]
	s_and_b64 s[4:5], s[4:5], exec
                                        ; implicit-def: $vgpr3
	s_or_saveexec_b64 s[6:7], s[6:7]
	v_mov_b32_e32 v2, s10
	s_xor_b64 exec, exec, s[6:7]
	s_cbranch_execz .LBB15_370
.LBB15_2420:
	v_cmp_ne_u16_e32 vcc, 0, v3
	s_andn2_b64 s[4:5], s[4:5], exec
	s_and_b64 s[8:9], vcc, exec
	v_mov_b32_e32 v2, 0
	s_or_b64 s[4:5], s[4:5], s[8:9]
	s_or_b64 exec, exec, s[6:7]
	s_and_saveexec_b64 s[6:7], s[4:5]
	s_cbranch_execnz .LBB15_371
	s_branch .LBB15_372
.LBB15_2421:
	s_movk_i32 s4, 0x80
	v_cmp_eq_u16_e32 vcc, s4, v3
	s_mov_b64 s[4:5], -1
                                        ; implicit-def: $sgpr10
	s_and_saveexec_b64 s[8:9], vcc
; %bb.2422:
	s_mov_b32 s10, 0x7f800001
	s_xor_b64 s[4:5], exec, -1
; %bb.2423:
	s_or_b64 exec, exec, s[8:9]
	s_and_b64 s[4:5], s[4:5], exec
                                        ; implicit-def: $vgpr3
	s_or_saveexec_b64 s[6:7], s[6:7]
	v_mov_b32_e32 v4, s10
	s_xor_b64 exec, exec, s[6:7]
	s_cbranch_execz .LBB15_374
.LBB15_2424:
	v_cmp_ne_u16_e32 vcc, 0, v3
	s_andn2_b64 s[4:5], s[4:5], exec
	s_and_b64 s[8:9], vcc, exec
	v_mov_b32_e32 v4, 0
	s_or_b64 s[4:5], s[4:5], s[8:9]
	s_or_b64 exec, exec, s[6:7]
	s_and_saveexec_b64 s[6:7], s[4:5]
	s_cbranch_execnz .LBB15_375
	s_branch .LBB15_376
.LBB15_2425:
	s_movk_i32 s4, 0x80
	v_cmp_eq_u16_sdwa s[12:13], v9, s4 src0_sel:BYTE_3 src1_sel:DWORD
	s_mov_b64 s[4:5], -1
                                        ; implicit-def: $sgpr10
	s_and_saveexec_b64 s[8:9], s[12:13]
; %bb.2426:
	s_mov_b32 s10, 0x7f800001
	s_xor_b64 s[4:5], exec, -1
; %bb.2427:
	s_or_b64 exec, exec, s[8:9]
	s_and_b64 s[4:5], s[4:5], exec
	s_or_saveexec_b64 s[6:7], s[6:7]
	v_mov_b32_e32 v2, s10
	s_xor_b64 exec, exec, s[6:7]
	s_cbranch_execz .LBB15_378
.LBB15_2428:
	v_mov_b32_e32 v2, 0
	v_cmp_ne_u16_sdwa s[8:9], v9, v2 src0_sel:BYTE_3 src1_sel:DWORD
	s_andn2_b64 s[4:5], s[4:5], exec
	s_and_b64 s[8:9], s[8:9], exec
	s_or_b64 s[4:5], s[4:5], s[8:9]
	s_or_b64 exec, exec, s[6:7]
	s_and_saveexec_b64 s[6:7], s[4:5]
	s_cbranch_execnz .LBB15_379
	s_branch .LBB15_380
.LBB15_2429:
	s_movk_i32 s4, 0x80
	v_cmp_eq_u16_sdwa s[12:13], v5, s4 src0_sel:BYTE_3 src1_sel:DWORD
	s_mov_b64 s[4:5], -1
                                        ; implicit-def: $sgpr10
	s_and_saveexec_b64 s[8:9], s[12:13]
; %bb.2430:
	s_mov_b32 s10, 0x7f800001
	s_xor_b64 s[4:5], exec, -1
; %bb.2431:
	s_or_b64 exec, exec, s[8:9]
	s_and_b64 s[4:5], s[4:5], exec
	s_or_saveexec_b64 s[6:7], s[6:7]
	v_mov_b32_e32 v3, s10
	s_xor_b64 exec, exec, s[6:7]
	s_cbranch_execz .LBB15_382
.LBB15_2432:
	v_mov_b32_e32 v3, 0
	v_cmp_ne_u16_sdwa s[8:9], v5, v3 src0_sel:BYTE_3 src1_sel:DWORD
	s_andn2_b64 s[4:5], s[4:5], exec
	s_and_b64 s[8:9], s[8:9], exec
	s_or_b64 s[4:5], s[4:5], s[8:9]
	s_or_b64 exec, exec, s[6:7]
	s_and_saveexec_b64 s[6:7], s[4:5]
	s_cbranch_execnz .LBB15_383
	s_branch .LBB15_384
.LBB15_2433:
	s_movk_i32 s4, 0x80
	v_cmp_eq_u16_sdwa s[12:13], v6, s4 src0_sel:BYTE_0 src1_sel:DWORD
	s_mov_b64 s[4:5], -1
                                        ; implicit-def: $sgpr10
	s_and_saveexec_b64 s[8:9], s[12:13]
; %bb.2434:
	s_mov_b32 s10, 0x7f800001
	s_xor_b64 s[4:5], exec, -1
; %bb.2435:
	s_or_b64 exec, exec, s[8:9]
	s_and_b64 s[4:5], s[4:5], exec
	s_or_saveexec_b64 s[6:7], s[6:7]
	v_mov_b32_e32 v12, s10
	s_xor_b64 exec, exec, s[6:7]
	s_cbranch_execz .LBB15_386
.LBB15_2436:
	v_mov_b32_e32 v12, 0
	v_cmp_ne_u16_sdwa s[8:9], v6, v12 src0_sel:BYTE_0 src1_sel:DWORD
	s_andn2_b64 s[4:5], s[4:5], exec
	s_and_b64 s[8:9], s[8:9], exec
	s_or_b64 s[4:5], s[4:5], s[8:9]
	s_or_b64 exec, exec, s[6:7]
	s_and_saveexec_b64 s[6:7], s[4:5]
	s_cbranch_execnz .LBB15_387
	s_branch .LBB15_388
.LBB15_2437:
	s_movk_i32 s4, 0x80
	v_cmp_eq_u16_sdwa s[12:13], v2, s4 src0_sel:BYTE_0 src1_sel:DWORD
	s_mov_b64 s[4:5], -1
                                        ; implicit-def: $sgpr10
	s_and_saveexec_b64 s[8:9], s[12:13]
; %bb.2438:
	s_mov_b32 s10, 0x7f800001
	s_xor_b64 s[4:5], exec, -1
; %bb.2439:
	s_or_b64 exec, exec, s[8:9]
	s_and_b64 s[4:5], s[4:5], exec
	s_or_saveexec_b64 s[6:7], s[6:7]
	v_mov_b32_e32 v13, s10
	s_xor_b64 exec, exec, s[6:7]
	s_cbranch_execz .LBB15_390
.LBB15_2440:
	v_mov_b32_e32 v13, 0
	v_cmp_ne_u16_sdwa s[8:9], v2, v13 src0_sel:BYTE_0 src1_sel:DWORD
	s_andn2_b64 s[4:5], s[4:5], exec
	s_and_b64 s[8:9], s[8:9], exec
	s_or_b64 s[4:5], s[4:5], s[8:9]
	s_or_b64 exec, exec, s[6:7]
	s_and_saveexec_b64 s[6:7], s[4:5]
	s_cbranch_execnz .LBB15_391
	s_branch .LBB15_392
.LBB15_2441:
	s_movk_i32 s4, 0x80
	v_cmp_eq_u16_sdwa s[12:13], v13, s4 src0_sel:BYTE_0 src1_sel:DWORD
	s_mov_b64 s[4:5], -1
                                        ; implicit-def: $sgpr10
	s_and_saveexec_b64 s[8:9], s[12:13]
; %bb.2442:
	s_mov_b32 s10, 0x7f800001
	s_xor_b64 s[4:5], exec, -1
; %bb.2443:
	s_or_b64 exec, exec, s[8:9]
	s_and_b64 s[4:5], s[4:5], exec
	s_or_saveexec_b64 s[6:7], s[6:7]
	v_mov_b32_e32 v12, s10
	s_xor_b64 exec, exec, s[6:7]
	s_cbranch_execz .LBB15_394
.LBB15_2444:
	v_mov_b32_e32 v12, 0
	v_cmp_ne_u16_sdwa s[8:9], v13, v12 src0_sel:BYTE_0 src1_sel:DWORD
	s_andn2_b64 s[4:5], s[4:5], exec
	s_and_b64 s[8:9], s[8:9], exec
	s_or_b64 s[4:5], s[4:5], s[8:9]
	s_or_b64 exec, exec, s[6:7]
	s_and_saveexec_b64 s[6:7], s[4:5]
	s_cbranch_execnz .LBB15_395
	s_branch .LBB15_396
.LBB15_2445:
	s_movk_i32 s4, 0x80
	v_cmp_eq_u16_sdwa s[12:13], v13, s4 src0_sel:BYTE_0 src1_sel:DWORD
	s_mov_b64 s[4:5], -1
                                        ; implicit-def: $sgpr10
	s_and_saveexec_b64 s[8:9], s[12:13]
; %bb.2446:
	s_mov_b32 s10, 0x7f800001
	s_xor_b64 s[4:5], exec, -1
; %bb.2447:
	s_or_b64 exec, exec, s[8:9]
	s_and_b64 s[4:5], s[4:5], exec
	s_or_saveexec_b64 s[6:7], s[6:7]
	v_mov_b32_e32 v14, s10
	s_xor_b64 exec, exec, s[6:7]
	s_cbranch_execz .LBB15_398
.LBB15_2448:
	v_mov_b32_e32 v14, 0
	v_cmp_ne_u16_sdwa s[8:9], v13, v14 src0_sel:BYTE_0 src1_sel:DWORD
	s_andn2_b64 s[4:5], s[4:5], exec
	s_and_b64 s[8:9], s[8:9], exec
	s_or_b64 s[4:5], s[4:5], s[8:9]
	s_or_b64 exec, exec, s[6:7]
	s_and_saveexec_b64 s[6:7], s[4:5]
	s_cbranch_execnz .LBB15_399
	s_branch .LBB15_400
.LBB15_2449:
	s_movk_i32 s4, 0x80
	v_cmp_eq_u16_e32 vcc, s4, v13
	s_mov_b64 s[4:5], -1
                                        ; implicit-def: $sgpr10
	s_and_saveexec_b64 s[8:9], vcc
; %bb.2450:
	s_mov_b32 s10, 0x7f800001
	s_xor_b64 s[4:5], exec, -1
; %bb.2451:
	s_or_b64 exec, exec, s[8:9]
	s_and_b64 s[4:5], s[4:5], exec
                                        ; implicit-def: $vgpr13
	s_or_saveexec_b64 s[6:7], s[6:7]
	v_mov_b32_e32 v12, s10
	s_xor_b64 exec, exec, s[6:7]
	s_cbranch_execz .LBB15_402
.LBB15_2452:
	v_cmp_ne_u16_e32 vcc, 0, v13
	s_andn2_b64 s[4:5], s[4:5], exec
	s_and_b64 s[8:9], vcc, exec
	v_mov_b32_e32 v12, 0
	s_or_b64 s[4:5], s[4:5], s[8:9]
	s_or_b64 exec, exec, s[6:7]
	s_and_saveexec_b64 s[6:7], s[4:5]
	s_cbranch_execnz .LBB15_403
	s_branch .LBB15_404
.LBB15_2453:
	s_movk_i32 s4, 0x80
	v_cmp_eq_u16_e32 vcc, s4, v13
	s_mov_b64 s[4:5], -1
                                        ; implicit-def: $sgpr10
	s_and_saveexec_b64 s[8:9], vcc
; %bb.2454:
	s_mov_b32 s10, 0x7f800001
	s_xor_b64 s[4:5], exec, -1
; %bb.2455:
	s_or_b64 exec, exec, s[8:9]
	s_and_b64 s[4:5], s[4:5], exec
                                        ; implicit-def: $vgpr13
	s_or_saveexec_b64 s[6:7], s[6:7]
	v_mov_b32_e32 v14, s10
	s_xor_b64 exec, exec, s[6:7]
	s_cbranch_execz .LBB15_406
.LBB15_2456:
	v_cmp_ne_u16_e32 vcc, 0, v13
	s_andn2_b64 s[4:5], s[4:5], exec
	s_and_b64 s[8:9], vcc, exec
	v_mov_b32_e32 v14, 0
	s_or_b64 s[4:5], s[4:5], s[8:9]
	s_or_b64 exec, exec, s[6:7]
	s_and_saveexec_b64 s[6:7], s[4:5]
	s_cbranch_execnz .LBB15_407
	s_branch .LBB15_408
.LBB15_2457:
	s_movk_i32 s4, 0x80
	v_cmp_eq_u16_sdwa s[12:13], v6, s4 src0_sel:BYTE_3 src1_sel:DWORD
	s_mov_b64 s[4:5], -1
                                        ; implicit-def: $sgpr10
	s_and_saveexec_b64 s[8:9], s[12:13]
; %bb.2458:
	s_mov_b32 s10, 0x7f800001
	s_xor_b64 s[4:5], exec, -1
; %bb.2459:
	s_or_b64 exec, exec, s[8:9]
	s_and_b64 s[4:5], s[4:5], exec
	s_or_saveexec_b64 s[6:7], s[6:7]
	v_mov_b32_e32 v12, s10
	s_xor_b64 exec, exec, s[6:7]
	s_cbranch_execz .LBB15_410
.LBB15_2460:
	v_mov_b32_e32 v12, 0
	v_cmp_ne_u16_sdwa s[8:9], v6, v12 src0_sel:BYTE_3 src1_sel:DWORD
	s_andn2_b64 s[4:5], s[4:5], exec
	s_and_b64 s[8:9], s[8:9], exec
	s_or_b64 s[4:5], s[4:5], s[8:9]
	s_or_b64 exec, exec, s[6:7]
	s_and_saveexec_b64 s[6:7], s[4:5]
	s_cbranch_execnz .LBB15_411
	s_branch .LBB15_412
.LBB15_2461:
	s_movk_i32 s4, 0x80
	v_cmp_eq_u16_sdwa s[12:13], v2, s4 src0_sel:BYTE_3 src1_sel:DWORD
	s_mov_b64 s[4:5], -1
                                        ; implicit-def: $sgpr10
	s_and_saveexec_b64 s[8:9], s[12:13]
; %bb.2462:
	s_mov_b32 s10, 0x7f800001
	s_xor_b64 s[4:5], exec, -1
; %bb.2463:
	s_or_b64 exec, exec, s[8:9]
	s_and_b64 s[4:5], s[4:5], exec
	s_or_saveexec_b64 s[6:7], s[6:7]
	v_mov_b32_e32 v6, s10
	s_xor_b64 exec, exec, s[6:7]
	s_cbranch_execz .LBB15_414
.LBB15_2464:
	v_mov_b32_e32 v6, 0
	v_cmp_ne_u16_sdwa s[8:9], v2, v6 src0_sel:BYTE_3 src1_sel:DWORD
	s_andn2_b64 s[4:5], s[4:5], exec
	s_and_b64 s[8:9], s[8:9], exec
	s_or_b64 s[4:5], s[4:5], s[8:9]
	s_or_b64 exec, exec, s[6:7]
	s_and_saveexec_b64 s[6:7], s[4:5]
	s_cbranch_execnz .LBB15_415
	s_branch .LBB15_416
.LBB15_2465:
	s_movk_i32 s4, 0x80
	v_cmp_eq_u16_sdwa s[12:13], v7, s4 src0_sel:BYTE_0 src1_sel:DWORD
	s_mov_b64 s[4:5], -1
                                        ; implicit-def: $sgpr10
	s_and_saveexec_b64 s[8:9], s[12:13]
; %bb.2466:
	s_mov_b32 s10, 0x7f800001
	s_xor_b64 s[4:5], exec, -1
; %bb.2467:
	s_or_b64 exec, exec, s[8:9]
	s_and_b64 s[4:5], s[4:5], exec
	s_or_saveexec_b64 s[6:7], s[6:7]
	v_mov_b32_e32 v2, s10
	s_xor_b64 exec, exec, s[6:7]
	s_cbranch_execz .LBB15_418
.LBB15_2468:
	v_mov_b32_e32 v2, 0
	v_cmp_ne_u16_sdwa s[8:9], v7, v2 src0_sel:BYTE_0 src1_sel:DWORD
	s_andn2_b64 s[4:5], s[4:5], exec
	s_and_b64 s[8:9], s[8:9], exec
	s_or_b64 s[4:5], s[4:5], s[8:9]
	s_or_b64 exec, exec, s[6:7]
	s_and_saveexec_b64 s[6:7], s[4:5]
	s_cbranch_execnz .LBB15_419
	s_branch .LBB15_420
.LBB15_2469:
	s_movk_i32 s4, 0x80
	v_cmp_eq_u16_sdwa s[12:13], v3, s4 src0_sel:BYTE_0 src1_sel:DWORD
	s_mov_b64 s[4:5], -1
                                        ; implicit-def: $sgpr10
	s_and_saveexec_b64 s[8:9], s[12:13]
; %bb.2470:
	s_mov_b32 s10, 0x7f800001
	s_xor_b64 s[4:5], exec, -1
; %bb.2471:
	s_or_b64 exec, exec, s[8:9]
	s_and_b64 s[4:5], s[4:5], exec
	s_or_saveexec_b64 s[6:7], s[6:7]
	v_mov_b32_e32 v6, s10
	s_xor_b64 exec, exec, s[6:7]
	s_cbranch_execz .LBB15_422
.LBB15_2472:
	v_mov_b32_e32 v6, 0
	v_cmp_ne_u16_sdwa s[8:9], v3, v6 src0_sel:BYTE_0 src1_sel:DWORD
	s_andn2_b64 s[4:5], s[4:5], exec
	s_and_b64 s[8:9], s[8:9], exec
	s_or_b64 s[4:5], s[4:5], s[8:9]
	s_or_b64 exec, exec, s[6:7]
	s_and_saveexec_b64 s[6:7], s[4:5]
	s_cbranch_execnz .LBB15_423
	s_branch .LBB15_424
.LBB15_2473:
	s_movk_i32 s4, 0x80
	v_cmp_eq_u16_sdwa s[12:13], v6, s4 src0_sel:BYTE_0 src1_sel:DWORD
	s_mov_b64 s[4:5], -1
                                        ; implicit-def: $sgpr10
	s_and_saveexec_b64 s[8:9], s[12:13]
; %bb.2474:
	s_mov_b32 s10, 0x7f800001
	s_xor_b64 s[4:5], exec, -1
; %bb.2475:
	s_or_b64 exec, exec, s[8:9]
	s_and_b64 s[4:5], s[4:5], exec
	s_or_saveexec_b64 s[6:7], s[6:7]
	v_mov_b32_e32 v2, s10
	s_xor_b64 exec, exec, s[6:7]
	s_cbranch_execz .LBB15_426
.LBB15_2476:
	v_mov_b32_e32 v2, 0
	v_cmp_ne_u16_sdwa s[8:9], v6, v2 src0_sel:BYTE_0 src1_sel:DWORD
	s_andn2_b64 s[4:5], s[4:5], exec
	s_and_b64 s[8:9], s[8:9], exec
	s_or_b64 s[4:5], s[4:5], s[8:9]
	s_or_b64 exec, exec, s[6:7]
	s_and_saveexec_b64 s[6:7], s[4:5]
	s_cbranch_execnz .LBB15_427
	s_branch .LBB15_428
.LBB15_2477:
	s_movk_i32 s4, 0x80
	v_cmp_eq_u16_sdwa s[12:13], v6, s4 src0_sel:BYTE_0 src1_sel:DWORD
	s_mov_b64 s[4:5], -1
                                        ; implicit-def: $sgpr10
	s_and_saveexec_b64 s[8:9], s[12:13]
; %bb.2478:
	s_mov_b32 s10, 0x7f800001
	s_xor_b64 s[4:5], exec, -1
; %bb.2479:
	s_or_b64 exec, exec, s[8:9]
	s_and_b64 s[4:5], s[4:5], exec
	s_or_saveexec_b64 s[6:7], s[6:7]
	v_mov_b32_e32 v12, s10
	s_xor_b64 exec, exec, s[6:7]
	s_cbranch_execz .LBB15_430
.LBB15_2480:
	v_mov_b32_e32 v12, 0
	v_cmp_ne_u16_sdwa s[8:9], v6, v12 src0_sel:BYTE_0 src1_sel:DWORD
	s_andn2_b64 s[4:5], s[4:5], exec
	s_and_b64 s[8:9], s[8:9], exec
	s_or_b64 s[4:5], s[4:5], s[8:9]
	s_or_b64 exec, exec, s[6:7]
	s_and_saveexec_b64 s[6:7], s[4:5]
	s_cbranch_execnz .LBB15_431
	s_branch .LBB15_432
.LBB15_2481:
	s_movk_i32 s4, 0x80
	v_cmp_eq_u16_e32 vcc, s4, v6
	s_mov_b64 s[4:5], -1
                                        ; implicit-def: $sgpr10
	s_and_saveexec_b64 s[8:9], vcc
; %bb.2482:
	s_mov_b32 s10, 0x7f800001
	s_xor_b64 s[4:5], exec, -1
; %bb.2483:
	s_or_b64 exec, exec, s[8:9]
	s_and_b64 s[4:5], s[4:5], exec
                                        ; implicit-def: $vgpr6
	s_or_saveexec_b64 s[6:7], s[6:7]
	v_mov_b32_e32 v2, s10
	s_xor_b64 exec, exec, s[6:7]
	s_cbranch_execz .LBB15_434
.LBB15_2484:
	v_cmp_ne_u16_e32 vcc, 0, v6
	s_andn2_b64 s[4:5], s[4:5], exec
	s_and_b64 s[8:9], vcc, exec
	v_mov_b32_e32 v2, 0
	s_or_b64 s[4:5], s[4:5], s[8:9]
	s_or_b64 exec, exec, s[6:7]
	s_and_saveexec_b64 s[6:7], s[4:5]
	s_cbranch_execnz .LBB15_435
	s_branch .LBB15_436
.LBB15_2485:
	s_movk_i32 s4, 0x80
	v_cmp_eq_u16_e32 vcc, s4, v6
	s_mov_b64 s[4:5], -1
                                        ; implicit-def: $sgpr10
	s_and_saveexec_b64 s[8:9], vcc
; %bb.2486:
	s_mov_b32 s10, 0x7f800001
	s_xor_b64 s[4:5], exec, -1
; %bb.2487:
	s_or_b64 exec, exec, s[8:9]
	s_and_b64 s[4:5], s[4:5], exec
                                        ; implicit-def: $vgpr6
	s_or_saveexec_b64 s[6:7], s[6:7]
	v_mov_b32_e32 v12, s10
	s_xor_b64 exec, exec, s[6:7]
	s_cbranch_execz .LBB15_438
.LBB15_2488:
	v_cmp_ne_u16_e32 vcc, 0, v6
	s_andn2_b64 s[4:5], s[4:5], exec
	s_and_b64 s[8:9], vcc, exec
	v_mov_b32_e32 v12, 0
	s_or_b64 s[4:5], s[4:5], s[8:9]
	s_or_b64 exec, exec, s[6:7]
	s_and_saveexec_b64 s[6:7], s[4:5]
	s_cbranch_execnz .LBB15_439
	s_branch .LBB15_440
.LBB15_2489:
	s_movk_i32 s4, 0x80
	v_cmp_eq_u16_sdwa s[12:13], v7, s4 src0_sel:BYTE_3 src1_sel:DWORD
	s_mov_b64 s[4:5], -1
                                        ; implicit-def: $sgpr10
	s_and_saveexec_b64 s[8:9], s[12:13]
; %bb.2490:
	s_mov_b32 s10, 0x7f800001
	s_xor_b64 s[4:5], exec, -1
; %bb.2491:
	s_or_b64 exec, exec, s[8:9]
	s_and_b64 s[4:5], s[4:5], exec
	s_or_saveexec_b64 s[6:7], s[6:7]
	v_mov_b32_e32 v2, s10
	s_xor_b64 exec, exec, s[6:7]
	s_cbranch_execz .LBB15_442
.LBB15_2492:
	v_mov_b32_e32 v2, 0
	v_cmp_ne_u16_sdwa s[8:9], v7, v2 src0_sel:BYTE_3 src1_sel:DWORD
	s_andn2_b64 s[4:5], s[4:5], exec
	s_and_b64 s[8:9], s[8:9], exec
	s_or_b64 s[4:5], s[4:5], s[8:9]
	s_or_b64 exec, exec, s[6:7]
	s_and_saveexec_b64 s[6:7], s[4:5]
	s_cbranch_execnz .LBB15_443
	s_branch .LBB15_444
.LBB15_2493:
	s_movk_i32 s4, 0x80
	v_cmp_eq_u16_sdwa s[12:13], v3, s4 src0_sel:BYTE_3 src1_sel:DWORD
	s_mov_b64 s[4:5], -1
                                        ; implicit-def: $sgpr10
	s_and_saveexec_b64 s[8:9], s[12:13]
; %bb.2494:
	s_mov_b32 s10, 0x7f800001
	s_xor_b64 s[4:5], exec, -1
; %bb.2495:
	s_or_b64 exec, exec, s[8:9]
	s_and_b64 s[4:5], s[4:5], exec
	s_or_saveexec_b64 s[6:7], s[6:7]
	v_mov_b32_e32 v6, s10
	s_xor_b64 exec, exec, s[6:7]
	s_cbranch_execz .LBB15_446
.LBB15_2496:
	v_mov_b32_e32 v6, 0
	v_cmp_ne_u16_sdwa s[8:9], v3, v6 src0_sel:BYTE_3 src1_sel:DWORD
	s_andn2_b64 s[4:5], s[4:5], exec
	s_and_b64 s[8:9], s[8:9], exec
	s_or_b64 s[4:5], s[4:5], s[8:9]
	s_or_b64 exec, exec, s[6:7]
	s_and_saveexec_b64 s[6:7], s[4:5]
	s_cbranch_execnz .LBB15_447
	s_branch .LBB15_448
.LBB15_2497:
	s_movk_i32 s4, 0x80
	v_cmp_eq_u16_sdwa s[12:13], v8, s4 src0_sel:BYTE_0 src1_sel:DWORD
	s_mov_b64 s[4:5], -1
                                        ; implicit-def: $sgpr10
	s_and_saveexec_b64 s[8:9], s[12:13]
; %bb.2498:
	s_mov_b32 s10, 0x7f800001
	s_xor_b64 s[4:5], exec, -1
; %bb.2499:
	s_or_b64 exec, exec, s[8:9]
	s_and_b64 s[4:5], s[4:5], exec
	s_or_saveexec_b64 s[6:7], s[6:7]
	v_mov_b32_e32 v2, s10
	s_xor_b64 exec, exec, s[6:7]
	s_cbranch_execz .LBB15_450
.LBB15_2500:
	v_mov_b32_e32 v2, 0
	v_cmp_ne_u16_sdwa s[8:9], v8, v2 src0_sel:BYTE_0 src1_sel:DWORD
	s_andn2_b64 s[4:5], s[4:5], exec
	s_and_b64 s[8:9], s[8:9], exec
	s_or_b64 s[4:5], s[4:5], s[8:9]
	s_or_b64 exec, exec, s[6:7]
	s_and_saveexec_b64 s[6:7], s[4:5]
	s_cbranch_execnz .LBB15_451
	s_branch .LBB15_452
.LBB15_2501:
	s_movk_i32 s4, 0x80
	v_cmp_eq_u16_sdwa s[12:13], v4, s4 src0_sel:BYTE_0 src1_sel:DWORD
	s_mov_b64 s[4:5], -1
                                        ; implicit-def: $sgpr10
	s_and_saveexec_b64 s[8:9], s[12:13]
; %bb.2502:
	s_mov_b32 s10, 0x7f800001
	s_xor_b64 s[4:5], exec, -1
; %bb.2503:
	s_or_b64 exec, exec, s[8:9]
	s_and_b64 s[4:5], s[4:5], exec
	s_or_saveexec_b64 s[6:7], s[6:7]
	v_mov_b32_e32 v3, s10
	s_xor_b64 exec, exec, s[6:7]
	s_cbranch_execz .LBB15_454
.LBB15_2504:
	v_mov_b32_e32 v3, 0
	v_cmp_ne_u16_sdwa s[8:9], v4, v3 src0_sel:BYTE_0 src1_sel:DWORD
	s_andn2_b64 s[4:5], s[4:5], exec
	s_and_b64 s[8:9], s[8:9], exec
	s_or_b64 s[4:5], s[4:5], s[8:9]
	s_or_b64 exec, exec, s[6:7]
	s_and_saveexec_b64 s[6:7], s[4:5]
	s_cbranch_execnz .LBB15_455
	s_branch .LBB15_456
.LBB15_2505:
	s_movk_i32 s4, 0x80
	v_cmp_eq_u16_sdwa s[12:13], v3, s4 src0_sel:BYTE_0 src1_sel:DWORD
	s_mov_b64 s[4:5], -1
                                        ; implicit-def: $sgpr10
	s_and_saveexec_b64 s[8:9], s[12:13]
; %bb.2506:
	s_mov_b32 s10, 0x7f800001
	s_xor_b64 s[4:5], exec, -1
; %bb.2507:
	s_or_b64 exec, exec, s[8:9]
	s_and_b64 s[4:5], s[4:5], exec
	s_or_saveexec_b64 s[6:7], s[6:7]
	v_mov_b32_e32 v2, s10
	s_xor_b64 exec, exec, s[6:7]
	s_cbranch_execz .LBB15_458
.LBB15_2508:
	v_mov_b32_e32 v2, 0
	v_cmp_ne_u16_sdwa s[8:9], v3, v2 src0_sel:BYTE_0 src1_sel:DWORD
	s_andn2_b64 s[4:5], s[4:5], exec
	s_and_b64 s[8:9], s[8:9], exec
	s_or_b64 s[4:5], s[4:5], s[8:9]
	s_or_b64 exec, exec, s[6:7]
	s_and_saveexec_b64 s[6:7], s[4:5]
	s_cbranch_execnz .LBB15_459
	s_branch .LBB15_460
.LBB15_2509:
	s_movk_i32 s4, 0x80
	v_cmp_eq_u16_sdwa s[12:13], v3, s4 src0_sel:BYTE_0 src1_sel:DWORD
	s_mov_b64 s[4:5], -1
                                        ; implicit-def: $sgpr10
	s_and_saveexec_b64 s[8:9], s[12:13]
; %bb.2510:
	s_mov_b32 s10, 0x7f800001
	s_xor_b64 s[4:5], exec, -1
; %bb.2511:
	s_or_b64 exec, exec, s[8:9]
	s_and_b64 s[4:5], s[4:5], exec
	s_or_saveexec_b64 s[6:7], s[6:7]
	v_mov_b32_e32 v6, s10
	s_xor_b64 exec, exec, s[6:7]
	s_cbranch_execz .LBB15_462
.LBB15_2512:
	v_mov_b32_e32 v6, 0
	v_cmp_ne_u16_sdwa s[8:9], v3, v6 src0_sel:BYTE_0 src1_sel:DWORD
	s_andn2_b64 s[4:5], s[4:5], exec
	s_and_b64 s[8:9], s[8:9], exec
	s_or_b64 s[4:5], s[4:5], s[8:9]
	s_or_b64 exec, exec, s[6:7]
	s_and_saveexec_b64 s[6:7], s[4:5]
	s_cbranch_execnz .LBB15_463
	s_branch .LBB15_464
.LBB15_2513:
	s_movk_i32 s4, 0x80
	v_cmp_eq_u16_e32 vcc, s4, v3
	s_mov_b64 s[4:5], -1
                                        ; implicit-def: $sgpr10
	s_and_saveexec_b64 s[8:9], vcc
; %bb.2514:
	s_mov_b32 s10, 0x7f800001
	s_xor_b64 s[4:5], exec, -1
; %bb.2515:
	s_or_b64 exec, exec, s[8:9]
	s_and_b64 s[4:5], s[4:5], exec
                                        ; implicit-def: $vgpr3
	s_or_saveexec_b64 s[6:7], s[6:7]
	v_mov_b32_e32 v2, s10
	s_xor_b64 exec, exec, s[6:7]
	s_cbranch_execz .LBB15_466
.LBB15_2516:
	v_cmp_ne_u16_e32 vcc, 0, v3
	s_andn2_b64 s[4:5], s[4:5], exec
	s_and_b64 s[8:9], vcc, exec
	v_mov_b32_e32 v2, 0
	s_or_b64 s[4:5], s[4:5], s[8:9]
	s_or_b64 exec, exec, s[6:7]
	s_and_saveexec_b64 s[6:7], s[4:5]
	s_cbranch_execnz .LBB15_467
	s_branch .LBB15_468
.LBB15_2517:
	s_movk_i32 s4, 0x80
	v_cmp_eq_u16_e32 vcc, s4, v3
	s_mov_b64 s[4:5], -1
                                        ; implicit-def: $sgpr10
	s_and_saveexec_b64 s[8:9], vcc
; %bb.2518:
	s_mov_b32 s10, 0x7f800001
	s_xor_b64 s[4:5], exec, -1
; %bb.2519:
	s_or_b64 exec, exec, s[8:9]
	s_and_b64 s[4:5], s[4:5], exec
                                        ; implicit-def: $vgpr3
	s_or_saveexec_b64 s[6:7], s[6:7]
	v_mov_b32_e32 v6, s10
	s_xor_b64 exec, exec, s[6:7]
	s_cbranch_execz .LBB15_470
.LBB15_2520:
	v_cmp_ne_u16_e32 vcc, 0, v3
	s_andn2_b64 s[4:5], s[4:5], exec
	s_and_b64 s[8:9], vcc, exec
	v_mov_b32_e32 v6, 0
	s_or_b64 s[4:5], s[4:5], s[8:9]
	s_or_b64 exec, exec, s[6:7]
	s_and_saveexec_b64 s[6:7], s[4:5]
	s_cbranch_execnz .LBB15_471
	s_branch .LBB15_472
.LBB15_2521:
	s_movk_i32 s4, 0x80
	v_cmp_eq_u16_sdwa s[12:13], v8, s4 src0_sel:BYTE_3 src1_sel:DWORD
	s_mov_b64 s[4:5], -1
                                        ; implicit-def: $sgpr10
	s_and_saveexec_b64 s[8:9], s[12:13]
; %bb.2522:
	s_mov_b32 s10, 0x7f800001
	s_xor_b64 s[4:5], exec, -1
; %bb.2523:
	s_or_b64 exec, exec, s[8:9]
	s_and_b64 s[4:5], s[4:5], exec
	s_or_saveexec_b64 s[6:7], s[6:7]
	v_mov_b32_e32 v2, s10
	s_xor_b64 exec, exec, s[6:7]
	s_cbranch_execz .LBB15_474
.LBB15_2524:
	v_mov_b32_e32 v2, 0
	v_cmp_ne_u16_sdwa s[8:9], v8, v2 src0_sel:BYTE_3 src1_sel:DWORD
	s_andn2_b64 s[4:5], s[4:5], exec
	s_and_b64 s[8:9], s[8:9], exec
	s_or_b64 s[4:5], s[4:5], s[8:9]
	s_or_b64 exec, exec, s[6:7]
	s_and_saveexec_b64 s[6:7], s[4:5]
	s_cbranch_execnz .LBB15_475
	s_branch .LBB15_476
.LBB15_2525:
	s_movk_i32 s4, 0x80
	v_cmp_eq_u16_sdwa s[12:13], v4, s4 src0_sel:BYTE_3 src1_sel:DWORD
	s_mov_b64 s[4:5], -1
                                        ; implicit-def: $sgpr10
	s_and_saveexec_b64 s[8:9], s[12:13]
; %bb.2526:
	s_mov_b32 s10, 0x7f800001
	s_xor_b64 s[4:5], exec, -1
; %bb.2527:
	s_or_b64 exec, exec, s[8:9]
	s_and_b64 s[4:5], s[4:5], exec
	s_or_saveexec_b64 s[6:7], s[6:7]
	v_mov_b32_e32 v3, s10
	s_xor_b64 exec, exec, s[6:7]
	s_cbranch_execz .LBB15_478
.LBB15_2528:
	v_mov_b32_e32 v3, 0
	v_cmp_ne_u16_sdwa s[8:9], v4, v3 src0_sel:BYTE_3 src1_sel:DWORD
	s_andn2_b64 s[4:5], s[4:5], exec
	s_and_b64 s[8:9], s[8:9], exec
	s_or_b64 s[4:5], s[4:5], s[8:9]
	s_or_b64 exec, exec, s[6:7]
	s_and_saveexec_b64 s[6:7], s[4:5]
	s_cbranch_execnz .LBB15_479
	s_branch .LBB15_480
.LBB15_2529:
	s_movk_i32 s4, 0x80
	v_cmp_eq_u16_sdwa s[12:13], v9, s4 src0_sel:BYTE_0 src1_sel:DWORD
	s_mov_b64 s[4:5], -1
                                        ; implicit-def: $sgpr10
	s_and_saveexec_b64 s[8:9], s[12:13]
; %bb.2530:
	s_mov_b32 s10, 0x7f800001
	s_xor_b64 s[4:5], exec, -1
; %bb.2531:
	s_or_b64 exec, exec, s[8:9]
	s_and_b64 s[4:5], s[4:5], exec
	s_or_saveexec_b64 s[6:7], s[6:7]
	v_mov_b32_e32 v2, s10
	s_xor_b64 exec, exec, s[6:7]
	s_cbranch_execz .LBB15_482
.LBB15_2532:
	v_mov_b32_e32 v2, 0
	v_cmp_ne_u16_sdwa s[8:9], v9, v2 src0_sel:BYTE_0 src1_sel:DWORD
	s_andn2_b64 s[4:5], s[4:5], exec
	s_and_b64 s[8:9], s[8:9], exec
	s_or_b64 s[4:5], s[4:5], s[8:9]
	s_or_b64 exec, exec, s[6:7]
	s_and_saveexec_b64 s[6:7], s[4:5]
	s_cbranch_execnz .LBB15_483
	s_branch .LBB15_484
.LBB15_2533:
	s_movk_i32 s4, 0x80
	v_cmp_eq_u16_sdwa s[12:13], v5, s4 src0_sel:BYTE_0 src1_sel:DWORD
	s_mov_b64 s[4:5], -1
                                        ; implicit-def: $sgpr10
	s_and_saveexec_b64 s[8:9], s[12:13]
; %bb.2534:
	s_mov_b32 s10, 0x7f800001
	s_xor_b64 s[4:5], exec, -1
; %bb.2535:
	s_or_b64 exec, exec, s[8:9]
	s_and_b64 s[4:5], s[4:5], exec
	s_or_saveexec_b64 s[6:7], s[6:7]
	v_mov_b32_e32 v3, s10
	s_xor_b64 exec, exec, s[6:7]
	s_cbranch_execz .LBB15_486
.LBB15_2536:
	v_mov_b32_e32 v3, 0
	v_cmp_ne_u16_sdwa s[8:9], v5, v3 src0_sel:BYTE_0 src1_sel:DWORD
	s_andn2_b64 s[4:5], s[4:5], exec
	s_and_b64 s[8:9], s[8:9], exec
	s_or_b64 s[4:5], s[4:5], s[8:9]
	s_or_b64 exec, exec, s[6:7]
	s_and_saveexec_b64 s[6:7], s[4:5]
	s_cbranch_execnz .LBB15_487
	s_branch .LBB15_488
.LBB15_2537:
	s_movk_i32 s4, 0x80
	v_cmp_eq_u16_sdwa s[12:13], v3, s4 src0_sel:BYTE_0 src1_sel:DWORD
	s_mov_b64 s[4:5], -1
                                        ; implicit-def: $sgpr10
	s_and_saveexec_b64 s[8:9], s[12:13]
; %bb.2538:
	s_mov_b32 s10, 0x7f800001
	s_xor_b64 s[4:5], exec, -1
; %bb.2539:
	s_or_b64 exec, exec, s[8:9]
	s_and_b64 s[4:5], s[4:5], exec
	s_or_saveexec_b64 s[6:7], s[6:7]
	v_mov_b32_e32 v2, s10
	s_xor_b64 exec, exec, s[6:7]
	s_cbranch_execz .LBB15_490
.LBB15_2540:
	v_mov_b32_e32 v2, 0
	v_cmp_ne_u16_sdwa s[8:9], v3, v2 src0_sel:BYTE_0 src1_sel:DWORD
	s_andn2_b64 s[4:5], s[4:5], exec
	s_and_b64 s[8:9], s[8:9], exec
	s_or_b64 s[4:5], s[4:5], s[8:9]
	s_or_b64 exec, exec, s[6:7]
	s_and_saveexec_b64 s[6:7], s[4:5]
	s_cbranch_execnz .LBB15_491
	s_branch .LBB15_492
.LBB15_2541:
	s_movk_i32 s4, 0x80
	v_cmp_eq_u16_sdwa s[12:13], v3, s4 src0_sel:BYTE_0 src1_sel:DWORD
	s_mov_b64 s[4:5], -1
                                        ; implicit-def: $sgpr10
	s_and_saveexec_b64 s[8:9], s[12:13]
; %bb.2542:
	s_mov_b32 s10, 0x7f800001
	s_xor_b64 s[4:5], exec, -1
; %bb.2543:
	s_or_b64 exec, exec, s[8:9]
	s_and_b64 s[4:5], s[4:5], exec
	s_or_saveexec_b64 s[6:7], s[6:7]
	v_mov_b32_e32 v4, s10
	s_xor_b64 exec, exec, s[6:7]
	s_cbranch_execz .LBB15_494
.LBB15_2544:
	v_mov_b32_e32 v4, 0
	v_cmp_ne_u16_sdwa s[8:9], v3, v4 src0_sel:BYTE_0 src1_sel:DWORD
	s_andn2_b64 s[4:5], s[4:5], exec
	s_and_b64 s[8:9], s[8:9], exec
	s_or_b64 s[4:5], s[4:5], s[8:9]
	s_or_b64 exec, exec, s[6:7]
	s_and_saveexec_b64 s[6:7], s[4:5]
	s_cbranch_execnz .LBB15_495
	s_branch .LBB15_496
.LBB15_2545:
	s_movk_i32 s4, 0x80
	v_cmp_eq_u16_e32 vcc, s4, v3
	s_mov_b64 s[4:5], -1
                                        ; implicit-def: $sgpr10
	s_and_saveexec_b64 s[8:9], vcc
; %bb.2546:
	s_mov_b32 s10, 0x7f800001
	s_xor_b64 s[4:5], exec, -1
; %bb.2547:
	s_or_b64 exec, exec, s[8:9]
	s_and_b64 s[4:5], s[4:5], exec
                                        ; implicit-def: $vgpr3
	s_or_saveexec_b64 s[6:7], s[6:7]
	v_mov_b32_e32 v2, s10
	s_xor_b64 exec, exec, s[6:7]
	s_cbranch_execz .LBB15_498
.LBB15_2548:
	v_cmp_ne_u16_e32 vcc, 0, v3
	s_andn2_b64 s[4:5], s[4:5], exec
	s_and_b64 s[8:9], vcc, exec
	v_mov_b32_e32 v2, 0
	s_or_b64 s[4:5], s[4:5], s[8:9]
	s_or_b64 exec, exec, s[6:7]
	s_and_saveexec_b64 s[6:7], s[4:5]
	s_cbranch_execnz .LBB15_499
	s_branch .LBB15_500
.LBB15_2549:
	s_movk_i32 s4, 0x80
	v_cmp_eq_u16_e32 vcc, s4, v3
	s_mov_b64 s[4:5], -1
                                        ; implicit-def: $sgpr10
	s_and_saveexec_b64 s[8:9], vcc
; %bb.2550:
	s_mov_b32 s10, 0x7f800001
	s_xor_b64 s[4:5], exec, -1
; %bb.2551:
	s_or_b64 exec, exec, s[8:9]
	s_and_b64 s[4:5], s[4:5], exec
                                        ; implicit-def: $vgpr3
	s_or_saveexec_b64 s[6:7], s[6:7]
	v_mov_b32_e32 v4, s10
	s_xor_b64 exec, exec, s[6:7]
	s_cbranch_execz .LBB15_502
.LBB15_2552:
	v_cmp_ne_u16_e32 vcc, 0, v3
	s_andn2_b64 s[4:5], s[4:5], exec
	s_and_b64 s[8:9], vcc, exec
	v_mov_b32_e32 v4, 0
	s_or_b64 s[4:5], s[4:5], s[8:9]
	s_or_b64 exec, exec, s[6:7]
	s_and_saveexec_b64 s[6:7], s[4:5]
	s_cbranch_execnz .LBB15_503
	s_branch .LBB15_504
.LBB15_2553:
	s_movk_i32 s4, 0x80
	v_cmp_eq_u16_sdwa s[12:13], v9, s4 src0_sel:BYTE_3 src1_sel:DWORD
	s_mov_b64 s[4:5], -1
                                        ; implicit-def: $sgpr10
	s_and_saveexec_b64 s[8:9], s[12:13]
; %bb.2554:
	s_mov_b32 s10, 0x7f800001
	s_xor_b64 s[4:5], exec, -1
; %bb.2555:
	s_or_b64 exec, exec, s[8:9]
	s_and_b64 s[4:5], s[4:5], exec
	s_or_saveexec_b64 s[6:7], s[6:7]
	v_mov_b32_e32 v2, s10
	s_xor_b64 exec, exec, s[6:7]
	s_cbranch_execz .LBB15_506
.LBB15_2556:
	v_mov_b32_e32 v2, 0
	v_cmp_ne_u16_sdwa s[8:9], v9, v2 src0_sel:BYTE_3 src1_sel:DWORD
	s_andn2_b64 s[4:5], s[4:5], exec
	s_and_b64 s[8:9], s[8:9], exec
	s_or_b64 s[4:5], s[4:5], s[8:9]
	s_or_b64 exec, exec, s[6:7]
	s_and_saveexec_b64 s[6:7], s[4:5]
	s_cbranch_execnz .LBB15_507
	s_branch .LBB15_508
.LBB15_2557:
	s_movk_i32 s4, 0x80
	v_cmp_eq_u16_sdwa s[12:13], v5, s4 src0_sel:BYTE_3 src1_sel:DWORD
	s_mov_b64 s[4:5], -1
                                        ; implicit-def: $sgpr10
	s_and_saveexec_b64 s[8:9], s[12:13]
; %bb.2558:
	s_mov_b32 s10, 0x7f800001
	s_xor_b64 s[4:5], exec, -1
; %bb.2559:
	s_or_b64 exec, exec, s[8:9]
	s_and_b64 s[4:5], s[4:5], exec
	s_or_saveexec_b64 s[6:7], s[6:7]
	v_mov_b32_e32 v3, s10
	s_xor_b64 exec, exec, s[6:7]
	s_cbranch_execz .LBB15_510
.LBB15_2560:
	v_mov_b32_e32 v3, 0
	v_cmp_ne_u16_sdwa s[8:9], v5, v3 src0_sel:BYTE_3 src1_sel:DWORD
	s_andn2_b64 s[4:5], s[4:5], exec
	s_and_b64 s[8:9], s[8:9], exec
	s_or_b64 s[4:5], s[4:5], s[8:9]
	s_or_b64 exec, exec, s[6:7]
	s_and_saveexec_b64 s[6:7], s[4:5]
	s_cbranch_execnz .LBB15_511
	s_branch .LBB15_512
.LBB15_2561:
	s_movk_i32 s4, 0x80
	v_cmp_eq_u16_sdwa s[12:13], v6, s4 src0_sel:BYTE_0 src1_sel:DWORD
	s_mov_b64 s[4:5], -1
                                        ; implicit-def: $sgpr10
	s_and_saveexec_b64 s[8:9], s[12:13]
; %bb.2562:
	s_mov_b32 s10, 0x7f800001
	s_xor_b64 s[4:5], exec, -1
; %bb.2563:
	s_or_b64 exec, exec, s[8:9]
	s_and_b64 s[4:5], s[4:5], exec
	s_or_saveexec_b64 s[6:7], s[6:7]
	v_mov_b32_e32 v12, s10
	s_xor_b64 exec, exec, s[6:7]
	s_cbranch_execz .LBB15_514
.LBB15_2564:
	v_mov_b32_e32 v12, 0
	v_cmp_ne_u16_sdwa s[8:9], v6, v12 src0_sel:BYTE_0 src1_sel:DWORD
	s_andn2_b64 s[4:5], s[4:5], exec
	s_and_b64 s[8:9], s[8:9], exec
	s_or_b64 s[4:5], s[4:5], s[8:9]
	s_or_b64 exec, exec, s[6:7]
	s_and_saveexec_b64 s[6:7], s[4:5]
	s_cbranch_execnz .LBB15_515
	s_branch .LBB15_516
.LBB15_2565:
	s_movk_i32 s4, 0x80
	v_cmp_eq_u16_sdwa s[12:13], v2, s4 src0_sel:BYTE_0 src1_sel:DWORD
	s_mov_b64 s[4:5], -1
                                        ; implicit-def: $sgpr10
	s_and_saveexec_b64 s[8:9], s[12:13]
; %bb.2566:
	s_mov_b32 s10, 0x7f800001
	s_xor_b64 s[4:5], exec, -1
; %bb.2567:
	s_or_b64 exec, exec, s[8:9]
	s_and_b64 s[4:5], s[4:5], exec
	s_or_saveexec_b64 s[6:7], s[6:7]
	v_mov_b32_e32 v13, s10
	s_xor_b64 exec, exec, s[6:7]
	s_cbranch_execz .LBB15_518
.LBB15_2568:
	v_mov_b32_e32 v13, 0
	v_cmp_ne_u16_sdwa s[8:9], v2, v13 src0_sel:BYTE_0 src1_sel:DWORD
	s_andn2_b64 s[4:5], s[4:5], exec
	s_and_b64 s[8:9], s[8:9], exec
	s_or_b64 s[4:5], s[4:5], s[8:9]
	s_or_b64 exec, exec, s[6:7]
	s_and_saveexec_b64 s[6:7], s[4:5]
	s_cbranch_execnz .LBB15_519
	s_branch .LBB15_520
.LBB15_2569:
	s_movk_i32 s4, 0x80
	v_cmp_eq_u16_sdwa s[12:13], v13, s4 src0_sel:BYTE_0 src1_sel:DWORD
	s_mov_b64 s[4:5], -1
                                        ; implicit-def: $sgpr10
	s_and_saveexec_b64 s[8:9], s[12:13]
; %bb.2570:
	s_mov_b32 s10, 0x7f800001
	s_xor_b64 s[4:5], exec, -1
; %bb.2571:
	s_or_b64 exec, exec, s[8:9]
	s_and_b64 s[4:5], s[4:5], exec
	s_or_saveexec_b64 s[6:7], s[6:7]
	v_mov_b32_e32 v12, s10
	s_xor_b64 exec, exec, s[6:7]
	s_cbranch_execz .LBB15_522
.LBB15_2572:
	v_mov_b32_e32 v12, 0
	v_cmp_ne_u16_sdwa s[8:9], v13, v12 src0_sel:BYTE_0 src1_sel:DWORD
	s_andn2_b64 s[4:5], s[4:5], exec
	s_and_b64 s[8:9], s[8:9], exec
	s_or_b64 s[4:5], s[4:5], s[8:9]
	s_or_b64 exec, exec, s[6:7]
	s_and_saveexec_b64 s[6:7], s[4:5]
	s_cbranch_execnz .LBB15_523
	s_branch .LBB15_524
.LBB15_2573:
	s_movk_i32 s4, 0x80
	v_cmp_eq_u16_sdwa s[12:13], v13, s4 src0_sel:BYTE_0 src1_sel:DWORD
	s_mov_b64 s[4:5], -1
                                        ; implicit-def: $sgpr10
	s_and_saveexec_b64 s[8:9], s[12:13]
; %bb.2574:
	s_mov_b32 s10, 0x7f800001
	s_xor_b64 s[4:5], exec, -1
; %bb.2575:
	s_or_b64 exec, exec, s[8:9]
	s_and_b64 s[4:5], s[4:5], exec
	s_or_saveexec_b64 s[6:7], s[6:7]
	v_mov_b32_e32 v14, s10
	s_xor_b64 exec, exec, s[6:7]
	s_cbranch_execz .LBB15_526
.LBB15_2576:
	v_mov_b32_e32 v14, 0
	v_cmp_ne_u16_sdwa s[8:9], v13, v14 src0_sel:BYTE_0 src1_sel:DWORD
	s_andn2_b64 s[4:5], s[4:5], exec
	s_and_b64 s[8:9], s[8:9], exec
	s_or_b64 s[4:5], s[4:5], s[8:9]
	s_or_b64 exec, exec, s[6:7]
	s_and_saveexec_b64 s[6:7], s[4:5]
	s_cbranch_execnz .LBB15_527
	s_branch .LBB15_528
.LBB15_2577:
	s_movk_i32 s4, 0x80
	v_cmp_eq_u16_e32 vcc, s4, v13
	s_mov_b64 s[4:5], -1
                                        ; implicit-def: $sgpr10
	s_and_saveexec_b64 s[8:9], vcc
; %bb.2578:
	s_mov_b32 s10, 0x7f800001
	s_xor_b64 s[4:5], exec, -1
; %bb.2579:
	s_or_b64 exec, exec, s[8:9]
	s_and_b64 s[4:5], s[4:5], exec
                                        ; implicit-def: $vgpr13
	s_or_saveexec_b64 s[6:7], s[6:7]
	v_mov_b32_e32 v12, s10
	s_xor_b64 exec, exec, s[6:7]
	s_cbranch_execz .LBB15_530
.LBB15_2580:
	v_cmp_ne_u16_e32 vcc, 0, v13
	s_andn2_b64 s[4:5], s[4:5], exec
	s_and_b64 s[8:9], vcc, exec
	v_mov_b32_e32 v12, 0
	s_or_b64 s[4:5], s[4:5], s[8:9]
	s_or_b64 exec, exec, s[6:7]
	s_and_saveexec_b64 s[6:7], s[4:5]
	s_cbranch_execnz .LBB15_531
	s_branch .LBB15_532
.LBB15_2581:
	s_movk_i32 s4, 0x80
	v_cmp_eq_u16_e32 vcc, s4, v13
	s_mov_b64 s[4:5], -1
                                        ; implicit-def: $sgpr10
	s_and_saveexec_b64 s[8:9], vcc
; %bb.2582:
	s_mov_b32 s10, 0x7f800001
	s_xor_b64 s[4:5], exec, -1
; %bb.2583:
	s_or_b64 exec, exec, s[8:9]
	s_and_b64 s[4:5], s[4:5], exec
                                        ; implicit-def: $vgpr13
	s_or_saveexec_b64 s[6:7], s[6:7]
	v_mov_b32_e32 v14, s10
	s_xor_b64 exec, exec, s[6:7]
	s_cbranch_execz .LBB15_534
.LBB15_2584:
	v_cmp_ne_u16_e32 vcc, 0, v13
	s_andn2_b64 s[4:5], s[4:5], exec
	s_and_b64 s[8:9], vcc, exec
	v_mov_b32_e32 v14, 0
	s_or_b64 s[4:5], s[4:5], s[8:9]
	s_or_b64 exec, exec, s[6:7]
	s_and_saveexec_b64 s[6:7], s[4:5]
	s_cbranch_execnz .LBB15_535
	s_branch .LBB15_536
.LBB15_2585:
	s_movk_i32 s4, 0x80
	v_cmp_eq_u16_sdwa s[12:13], v6, s4 src0_sel:BYTE_3 src1_sel:DWORD
	s_mov_b64 s[4:5], -1
                                        ; implicit-def: $sgpr10
	s_and_saveexec_b64 s[8:9], s[12:13]
; %bb.2586:
	s_mov_b32 s10, 0x7f800001
	s_xor_b64 s[4:5], exec, -1
; %bb.2587:
	s_or_b64 exec, exec, s[8:9]
	s_and_b64 s[4:5], s[4:5], exec
	s_or_saveexec_b64 s[6:7], s[6:7]
	v_mov_b32_e32 v12, s10
	s_xor_b64 exec, exec, s[6:7]
	s_cbranch_execz .LBB15_538
.LBB15_2588:
	v_mov_b32_e32 v12, 0
	v_cmp_ne_u16_sdwa s[8:9], v6, v12 src0_sel:BYTE_3 src1_sel:DWORD
	s_andn2_b64 s[4:5], s[4:5], exec
	s_and_b64 s[8:9], s[8:9], exec
	s_or_b64 s[4:5], s[4:5], s[8:9]
	s_or_b64 exec, exec, s[6:7]
	s_and_saveexec_b64 s[6:7], s[4:5]
	s_cbranch_execnz .LBB15_539
	s_branch .LBB15_540
.LBB15_2589:
	s_movk_i32 s4, 0x80
	v_cmp_eq_u16_sdwa s[12:13], v2, s4 src0_sel:BYTE_3 src1_sel:DWORD
	s_mov_b64 s[4:5], -1
                                        ; implicit-def: $sgpr10
	s_and_saveexec_b64 s[8:9], s[12:13]
; %bb.2590:
	s_mov_b32 s10, 0x7f800001
	s_xor_b64 s[4:5], exec, -1
; %bb.2591:
	s_or_b64 exec, exec, s[8:9]
	s_and_b64 s[4:5], s[4:5], exec
	s_or_saveexec_b64 s[6:7], s[6:7]
	v_mov_b32_e32 v6, s10
	s_xor_b64 exec, exec, s[6:7]
	s_cbranch_execz .LBB15_542
.LBB15_2592:
	v_mov_b32_e32 v6, 0
	v_cmp_ne_u16_sdwa s[8:9], v2, v6 src0_sel:BYTE_3 src1_sel:DWORD
	s_andn2_b64 s[4:5], s[4:5], exec
	s_and_b64 s[8:9], s[8:9], exec
	s_or_b64 s[4:5], s[4:5], s[8:9]
	s_or_b64 exec, exec, s[6:7]
	s_and_saveexec_b64 s[6:7], s[4:5]
	s_cbranch_execnz .LBB15_543
	s_branch .LBB15_544
.LBB15_2593:
	s_movk_i32 s4, 0x80
	v_cmp_eq_u16_sdwa s[12:13], v7, s4 src0_sel:BYTE_0 src1_sel:DWORD
	s_mov_b64 s[4:5], -1
                                        ; implicit-def: $sgpr10
	s_and_saveexec_b64 s[8:9], s[12:13]
; %bb.2594:
	s_mov_b32 s10, 0x7f800001
	s_xor_b64 s[4:5], exec, -1
; %bb.2595:
	s_or_b64 exec, exec, s[8:9]
	s_and_b64 s[4:5], s[4:5], exec
	s_or_saveexec_b64 s[6:7], s[6:7]
	v_mov_b32_e32 v2, s10
	s_xor_b64 exec, exec, s[6:7]
	s_cbranch_execz .LBB15_546
.LBB15_2596:
	v_mov_b32_e32 v2, 0
	v_cmp_ne_u16_sdwa s[8:9], v7, v2 src0_sel:BYTE_0 src1_sel:DWORD
	s_andn2_b64 s[4:5], s[4:5], exec
	s_and_b64 s[8:9], s[8:9], exec
	s_or_b64 s[4:5], s[4:5], s[8:9]
	s_or_b64 exec, exec, s[6:7]
	s_and_saveexec_b64 s[6:7], s[4:5]
	s_cbranch_execnz .LBB15_547
	s_branch .LBB15_548
.LBB15_2597:
	s_movk_i32 s4, 0x80
	v_cmp_eq_u16_sdwa s[12:13], v3, s4 src0_sel:BYTE_0 src1_sel:DWORD
	s_mov_b64 s[4:5], -1
                                        ; implicit-def: $sgpr10
	s_and_saveexec_b64 s[8:9], s[12:13]
; %bb.2598:
	s_mov_b32 s10, 0x7f800001
	s_xor_b64 s[4:5], exec, -1
; %bb.2599:
	s_or_b64 exec, exec, s[8:9]
	s_and_b64 s[4:5], s[4:5], exec
	s_or_saveexec_b64 s[6:7], s[6:7]
	v_mov_b32_e32 v6, s10
	s_xor_b64 exec, exec, s[6:7]
	s_cbranch_execz .LBB15_550
.LBB15_2600:
	v_mov_b32_e32 v6, 0
	v_cmp_ne_u16_sdwa s[8:9], v3, v6 src0_sel:BYTE_0 src1_sel:DWORD
	s_andn2_b64 s[4:5], s[4:5], exec
	s_and_b64 s[8:9], s[8:9], exec
	s_or_b64 s[4:5], s[4:5], s[8:9]
	s_or_b64 exec, exec, s[6:7]
	s_and_saveexec_b64 s[6:7], s[4:5]
	s_cbranch_execnz .LBB15_551
	s_branch .LBB15_552
.LBB15_2601:
	s_movk_i32 s4, 0x80
	v_cmp_eq_u16_sdwa s[12:13], v6, s4 src0_sel:BYTE_0 src1_sel:DWORD
	s_mov_b64 s[4:5], -1
                                        ; implicit-def: $sgpr10
	s_and_saveexec_b64 s[8:9], s[12:13]
; %bb.2602:
	s_mov_b32 s10, 0x7f800001
	s_xor_b64 s[4:5], exec, -1
; %bb.2603:
	s_or_b64 exec, exec, s[8:9]
	s_and_b64 s[4:5], s[4:5], exec
	s_or_saveexec_b64 s[6:7], s[6:7]
	v_mov_b32_e32 v2, s10
	s_xor_b64 exec, exec, s[6:7]
	s_cbranch_execz .LBB15_554
.LBB15_2604:
	v_mov_b32_e32 v2, 0
	v_cmp_ne_u16_sdwa s[8:9], v6, v2 src0_sel:BYTE_0 src1_sel:DWORD
	s_andn2_b64 s[4:5], s[4:5], exec
	s_and_b64 s[8:9], s[8:9], exec
	s_or_b64 s[4:5], s[4:5], s[8:9]
	s_or_b64 exec, exec, s[6:7]
	s_and_saveexec_b64 s[6:7], s[4:5]
	s_cbranch_execnz .LBB15_555
	s_branch .LBB15_556
.LBB15_2605:
	s_movk_i32 s4, 0x80
	v_cmp_eq_u16_sdwa s[12:13], v6, s4 src0_sel:BYTE_0 src1_sel:DWORD
	s_mov_b64 s[4:5], -1
                                        ; implicit-def: $sgpr10
	s_and_saveexec_b64 s[8:9], s[12:13]
; %bb.2606:
	s_mov_b32 s10, 0x7f800001
	s_xor_b64 s[4:5], exec, -1
; %bb.2607:
	s_or_b64 exec, exec, s[8:9]
	s_and_b64 s[4:5], s[4:5], exec
	s_or_saveexec_b64 s[6:7], s[6:7]
	v_mov_b32_e32 v12, s10
	s_xor_b64 exec, exec, s[6:7]
	s_cbranch_execz .LBB15_558
.LBB15_2608:
	v_mov_b32_e32 v12, 0
	v_cmp_ne_u16_sdwa s[8:9], v6, v12 src0_sel:BYTE_0 src1_sel:DWORD
	s_andn2_b64 s[4:5], s[4:5], exec
	s_and_b64 s[8:9], s[8:9], exec
	s_or_b64 s[4:5], s[4:5], s[8:9]
	s_or_b64 exec, exec, s[6:7]
	s_and_saveexec_b64 s[6:7], s[4:5]
	s_cbranch_execnz .LBB15_559
	s_branch .LBB15_560
.LBB15_2609:
	s_movk_i32 s4, 0x80
	v_cmp_eq_u16_e32 vcc, s4, v6
	s_mov_b64 s[4:5], -1
                                        ; implicit-def: $sgpr10
	s_and_saveexec_b64 s[8:9], vcc
; %bb.2610:
	s_mov_b32 s10, 0x7f800001
	s_xor_b64 s[4:5], exec, -1
; %bb.2611:
	s_or_b64 exec, exec, s[8:9]
	s_and_b64 s[4:5], s[4:5], exec
                                        ; implicit-def: $vgpr6
	s_or_saveexec_b64 s[6:7], s[6:7]
	v_mov_b32_e32 v2, s10
	s_xor_b64 exec, exec, s[6:7]
	s_cbranch_execz .LBB15_562
.LBB15_2612:
	v_cmp_ne_u16_e32 vcc, 0, v6
	s_andn2_b64 s[4:5], s[4:5], exec
	s_and_b64 s[8:9], vcc, exec
	v_mov_b32_e32 v2, 0
	s_or_b64 s[4:5], s[4:5], s[8:9]
	s_or_b64 exec, exec, s[6:7]
	s_and_saveexec_b64 s[6:7], s[4:5]
	s_cbranch_execnz .LBB15_563
	s_branch .LBB15_564
.LBB15_2613:
	s_movk_i32 s4, 0x80
	v_cmp_eq_u16_e32 vcc, s4, v6
	s_mov_b64 s[4:5], -1
                                        ; implicit-def: $sgpr10
	s_and_saveexec_b64 s[8:9], vcc
; %bb.2614:
	s_mov_b32 s10, 0x7f800001
	s_xor_b64 s[4:5], exec, -1
; %bb.2615:
	s_or_b64 exec, exec, s[8:9]
	s_and_b64 s[4:5], s[4:5], exec
                                        ; implicit-def: $vgpr6
	s_or_saveexec_b64 s[6:7], s[6:7]
	v_mov_b32_e32 v12, s10
	s_xor_b64 exec, exec, s[6:7]
	s_cbranch_execz .LBB15_566
.LBB15_2616:
	v_cmp_ne_u16_e32 vcc, 0, v6
	s_andn2_b64 s[4:5], s[4:5], exec
	s_and_b64 s[8:9], vcc, exec
	v_mov_b32_e32 v12, 0
	s_or_b64 s[4:5], s[4:5], s[8:9]
	s_or_b64 exec, exec, s[6:7]
	s_and_saveexec_b64 s[6:7], s[4:5]
	s_cbranch_execnz .LBB15_567
	s_branch .LBB15_568
.LBB15_2617:
	s_movk_i32 s4, 0x80
	v_cmp_eq_u16_sdwa s[12:13], v7, s4 src0_sel:BYTE_3 src1_sel:DWORD
	s_mov_b64 s[4:5], -1
                                        ; implicit-def: $sgpr10
	s_and_saveexec_b64 s[8:9], s[12:13]
; %bb.2618:
	s_mov_b32 s10, 0x7f800001
	s_xor_b64 s[4:5], exec, -1
; %bb.2619:
	s_or_b64 exec, exec, s[8:9]
	s_and_b64 s[4:5], s[4:5], exec
	s_or_saveexec_b64 s[6:7], s[6:7]
	v_mov_b32_e32 v2, s10
	s_xor_b64 exec, exec, s[6:7]
	s_cbranch_execz .LBB15_570
.LBB15_2620:
	v_mov_b32_e32 v2, 0
	v_cmp_ne_u16_sdwa s[8:9], v7, v2 src0_sel:BYTE_3 src1_sel:DWORD
	s_andn2_b64 s[4:5], s[4:5], exec
	s_and_b64 s[8:9], s[8:9], exec
	s_or_b64 s[4:5], s[4:5], s[8:9]
	s_or_b64 exec, exec, s[6:7]
	s_and_saveexec_b64 s[6:7], s[4:5]
	s_cbranch_execnz .LBB15_571
	s_branch .LBB15_572
.LBB15_2621:
	s_movk_i32 s4, 0x80
	v_cmp_eq_u16_sdwa s[12:13], v3, s4 src0_sel:BYTE_3 src1_sel:DWORD
	s_mov_b64 s[4:5], -1
                                        ; implicit-def: $sgpr10
	s_and_saveexec_b64 s[8:9], s[12:13]
; %bb.2622:
	s_mov_b32 s10, 0x7f800001
	s_xor_b64 s[4:5], exec, -1
; %bb.2623:
	s_or_b64 exec, exec, s[8:9]
	s_and_b64 s[4:5], s[4:5], exec
	s_or_saveexec_b64 s[6:7], s[6:7]
	v_mov_b32_e32 v6, s10
	s_xor_b64 exec, exec, s[6:7]
	s_cbranch_execz .LBB15_574
.LBB15_2624:
	v_mov_b32_e32 v6, 0
	v_cmp_ne_u16_sdwa s[8:9], v3, v6 src0_sel:BYTE_3 src1_sel:DWORD
	s_andn2_b64 s[4:5], s[4:5], exec
	s_and_b64 s[8:9], s[8:9], exec
	s_or_b64 s[4:5], s[4:5], s[8:9]
	s_or_b64 exec, exec, s[6:7]
	s_and_saveexec_b64 s[6:7], s[4:5]
	s_cbranch_execnz .LBB15_575
	s_branch .LBB15_576
.LBB15_2625:
	s_movk_i32 s4, 0x80
	v_cmp_eq_u16_sdwa s[12:13], v8, s4 src0_sel:BYTE_0 src1_sel:DWORD
	s_mov_b64 s[4:5], -1
                                        ; implicit-def: $sgpr10
	s_and_saveexec_b64 s[8:9], s[12:13]
; %bb.2626:
	s_mov_b32 s10, 0x7f800001
	s_xor_b64 s[4:5], exec, -1
; %bb.2627:
	s_or_b64 exec, exec, s[8:9]
	s_and_b64 s[4:5], s[4:5], exec
	s_or_saveexec_b64 s[6:7], s[6:7]
	v_mov_b32_e32 v2, s10
	s_xor_b64 exec, exec, s[6:7]
	s_cbranch_execz .LBB15_578
.LBB15_2628:
	v_mov_b32_e32 v2, 0
	v_cmp_ne_u16_sdwa s[8:9], v8, v2 src0_sel:BYTE_0 src1_sel:DWORD
	s_andn2_b64 s[4:5], s[4:5], exec
	s_and_b64 s[8:9], s[8:9], exec
	s_or_b64 s[4:5], s[4:5], s[8:9]
	s_or_b64 exec, exec, s[6:7]
	s_and_saveexec_b64 s[6:7], s[4:5]
	s_cbranch_execnz .LBB15_579
	s_branch .LBB15_580
.LBB15_2629:
	s_movk_i32 s4, 0x80
	v_cmp_eq_u16_sdwa s[12:13], v4, s4 src0_sel:BYTE_0 src1_sel:DWORD
	s_mov_b64 s[4:5], -1
                                        ; implicit-def: $sgpr10
	s_and_saveexec_b64 s[8:9], s[12:13]
; %bb.2630:
	s_mov_b32 s10, 0x7f800001
	s_xor_b64 s[4:5], exec, -1
; %bb.2631:
	s_or_b64 exec, exec, s[8:9]
	s_and_b64 s[4:5], s[4:5], exec
	s_or_saveexec_b64 s[6:7], s[6:7]
	v_mov_b32_e32 v3, s10
	s_xor_b64 exec, exec, s[6:7]
	s_cbranch_execz .LBB15_582
.LBB15_2632:
	v_mov_b32_e32 v3, 0
	v_cmp_ne_u16_sdwa s[8:9], v4, v3 src0_sel:BYTE_0 src1_sel:DWORD
	s_andn2_b64 s[4:5], s[4:5], exec
	s_and_b64 s[8:9], s[8:9], exec
	s_or_b64 s[4:5], s[4:5], s[8:9]
	s_or_b64 exec, exec, s[6:7]
	s_and_saveexec_b64 s[6:7], s[4:5]
	s_cbranch_execnz .LBB15_583
	s_branch .LBB15_584
.LBB15_2633:
	s_movk_i32 s4, 0x80
	v_cmp_eq_u16_sdwa s[12:13], v3, s4 src0_sel:BYTE_0 src1_sel:DWORD
	s_mov_b64 s[4:5], -1
                                        ; implicit-def: $sgpr10
	s_and_saveexec_b64 s[8:9], s[12:13]
; %bb.2634:
	s_mov_b32 s10, 0x7f800001
	s_xor_b64 s[4:5], exec, -1
; %bb.2635:
	s_or_b64 exec, exec, s[8:9]
	s_and_b64 s[4:5], s[4:5], exec
	s_or_saveexec_b64 s[6:7], s[6:7]
	v_mov_b32_e32 v2, s10
	s_xor_b64 exec, exec, s[6:7]
	s_cbranch_execz .LBB15_586
.LBB15_2636:
	v_mov_b32_e32 v2, 0
	v_cmp_ne_u16_sdwa s[8:9], v3, v2 src0_sel:BYTE_0 src1_sel:DWORD
	s_andn2_b64 s[4:5], s[4:5], exec
	s_and_b64 s[8:9], s[8:9], exec
	s_or_b64 s[4:5], s[4:5], s[8:9]
	s_or_b64 exec, exec, s[6:7]
	s_and_saveexec_b64 s[6:7], s[4:5]
	s_cbranch_execnz .LBB15_587
	s_branch .LBB15_588
.LBB15_2637:
	s_movk_i32 s4, 0x80
	v_cmp_eq_u16_sdwa s[12:13], v3, s4 src0_sel:BYTE_0 src1_sel:DWORD
	s_mov_b64 s[4:5], -1
                                        ; implicit-def: $sgpr10
	s_and_saveexec_b64 s[8:9], s[12:13]
; %bb.2638:
	s_mov_b32 s10, 0x7f800001
	s_xor_b64 s[4:5], exec, -1
; %bb.2639:
	s_or_b64 exec, exec, s[8:9]
	s_and_b64 s[4:5], s[4:5], exec
	s_or_saveexec_b64 s[6:7], s[6:7]
	v_mov_b32_e32 v6, s10
	s_xor_b64 exec, exec, s[6:7]
	s_cbranch_execz .LBB15_590
.LBB15_2640:
	v_mov_b32_e32 v6, 0
	v_cmp_ne_u16_sdwa s[8:9], v3, v6 src0_sel:BYTE_0 src1_sel:DWORD
	s_andn2_b64 s[4:5], s[4:5], exec
	s_and_b64 s[8:9], s[8:9], exec
	s_or_b64 s[4:5], s[4:5], s[8:9]
	s_or_b64 exec, exec, s[6:7]
	s_and_saveexec_b64 s[6:7], s[4:5]
	s_cbranch_execnz .LBB15_591
	s_branch .LBB15_592
.LBB15_2641:
	s_movk_i32 s4, 0x80
	v_cmp_eq_u16_e32 vcc, s4, v3
	s_mov_b64 s[4:5], -1
                                        ; implicit-def: $sgpr10
	s_and_saveexec_b64 s[8:9], vcc
; %bb.2642:
	s_mov_b32 s10, 0x7f800001
	s_xor_b64 s[4:5], exec, -1
; %bb.2643:
	s_or_b64 exec, exec, s[8:9]
	s_and_b64 s[4:5], s[4:5], exec
                                        ; implicit-def: $vgpr3
	s_or_saveexec_b64 s[6:7], s[6:7]
	v_mov_b32_e32 v2, s10
	s_xor_b64 exec, exec, s[6:7]
	s_cbranch_execz .LBB15_594
.LBB15_2644:
	v_cmp_ne_u16_e32 vcc, 0, v3
	s_andn2_b64 s[4:5], s[4:5], exec
	s_and_b64 s[8:9], vcc, exec
	v_mov_b32_e32 v2, 0
	s_or_b64 s[4:5], s[4:5], s[8:9]
	s_or_b64 exec, exec, s[6:7]
	s_and_saveexec_b64 s[6:7], s[4:5]
	s_cbranch_execnz .LBB15_595
	s_branch .LBB15_596
.LBB15_2645:
	s_movk_i32 s4, 0x80
	v_cmp_eq_u16_e32 vcc, s4, v3
	s_mov_b64 s[4:5], -1
                                        ; implicit-def: $sgpr10
	s_and_saveexec_b64 s[8:9], vcc
; %bb.2646:
	s_mov_b32 s10, 0x7f800001
	s_xor_b64 s[4:5], exec, -1
; %bb.2647:
	s_or_b64 exec, exec, s[8:9]
	s_and_b64 s[4:5], s[4:5], exec
                                        ; implicit-def: $vgpr3
	s_or_saveexec_b64 s[6:7], s[6:7]
	v_mov_b32_e32 v6, s10
	s_xor_b64 exec, exec, s[6:7]
	s_cbranch_execz .LBB15_598
.LBB15_2648:
	v_cmp_ne_u16_e32 vcc, 0, v3
	s_andn2_b64 s[4:5], s[4:5], exec
	s_and_b64 s[8:9], vcc, exec
	v_mov_b32_e32 v6, 0
	s_or_b64 s[4:5], s[4:5], s[8:9]
	s_or_b64 exec, exec, s[6:7]
	s_and_saveexec_b64 s[6:7], s[4:5]
	s_cbranch_execnz .LBB15_599
	s_branch .LBB15_600
.LBB15_2649:
	s_movk_i32 s4, 0x80
	v_cmp_eq_u16_sdwa s[12:13], v8, s4 src0_sel:BYTE_3 src1_sel:DWORD
	s_mov_b64 s[4:5], -1
                                        ; implicit-def: $sgpr10
	s_and_saveexec_b64 s[8:9], s[12:13]
; %bb.2650:
	s_mov_b32 s10, 0x7f800001
	s_xor_b64 s[4:5], exec, -1
; %bb.2651:
	s_or_b64 exec, exec, s[8:9]
	s_and_b64 s[4:5], s[4:5], exec
	s_or_saveexec_b64 s[6:7], s[6:7]
	v_mov_b32_e32 v2, s10
	s_xor_b64 exec, exec, s[6:7]
	s_cbranch_execz .LBB15_602
.LBB15_2652:
	v_mov_b32_e32 v2, 0
	v_cmp_ne_u16_sdwa s[8:9], v8, v2 src0_sel:BYTE_3 src1_sel:DWORD
	s_andn2_b64 s[4:5], s[4:5], exec
	s_and_b64 s[8:9], s[8:9], exec
	s_or_b64 s[4:5], s[4:5], s[8:9]
	s_or_b64 exec, exec, s[6:7]
	s_and_saveexec_b64 s[6:7], s[4:5]
	s_cbranch_execnz .LBB15_603
	s_branch .LBB15_604
.LBB15_2653:
	s_movk_i32 s4, 0x80
	v_cmp_eq_u16_sdwa s[12:13], v4, s4 src0_sel:BYTE_3 src1_sel:DWORD
	s_mov_b64 s[4:5], -1
                                        ; implicit-def: $sgpr10
	s_and_saveexec_b64 s[8:9], s[12:13]
; %bb.2654:
	s_mov_b32 s10, 0x7f800001
	s_xor_b64 s[4:5], exec, -1
; %bb.2655:
	s_or_b64 exec, exec, s[8:9]
	s_and_b64 s[4:5], s[4:5], exec
	s_or_saveexec_b64 s[6:7], s[6:7]
	v_mov_b32_e32 v3, s10
	s_xor_b64 exec, exec, s[6:7]
	s_cbranch_execz .LBB15_606
.LBB15_2656:
	v_mov_b32_e32 v3, 0
	v_cmp_ne_u16_sdwa s[8:9], v4, v3 src0_sel:BYTE_3 src1_sel:DWORD
	s_andn2_b64 s[4:5], s[4:5], exec
	s_and_b64 s[8:9], s[8:9], exec
	s_or_b64 s[4:5], s[4:5], s[8:9]
	s_or_b64 exec, exec, s[6:7]
	s_and_saveexec_b64 s[6:7], s[4:5]
	s_cbranch_execnz .LBB15_607
	s_branch .LBB15_608
.LBB15_2657:
	s_movk_i32 s4, 0x80
	v_cmp_eq_u16_sdwa s[12:13], v9, s4 src0_sel:BYTE_0 src1_sel:DWORD
	s_mov_b64 s[4:5], -1
                                        ; implicit-def: $sgpr10
	s_and_saveexec_b64 s[8:9], s[12:13]
; %bb.2658:
	s_mov_b32 s10, 0x7f800001
	s_xor_b64 s[4:5], exec, -1
; %bb.2659:
	s_or_b64 exec, exec, s[8:9]
	s_and_b64 s[4:5], s[4:5], exec
	s_or_saveexec_b64 s[6:7], s[6:7]
	v_mov_b32_e32 v2, s10
	s_xor_b64 exec, exec, s[6:7]
	s_cbranch_execz .LBB15_610
.LBB15_2660:
	v_mov_b32_e32 v2, 0
	v_cmp_ne_u16_sdwa s[8:9], v9, v2 src0_sel:BYTE_0 src1_sel:DWORD
	s_andn2_b64 s[4:5], s[4:5], exec
	s_and_b64 s[8:9], s[8:9], exec
	s_or_b64 s[4:5], s[4:5], s[8:9]
	s_or_b64 exec, exec, s[6:7]
	s_and_saveexec_b64 s[6:7], s[4:5]
	s_cbranch_execnz .LBB15_611
	s_branch .LBB15_612
.LBB15_2661:
	s_movk_i32 s4, 0x80
	v_cmp_eq_u16_sdwa s[12:13], v5, s4 src0_sel:BYTE_0 src1_sel:DWORD
	s_mov_b64 s[4:5], -1
                                        ; implicit-def: $sgpr10
	s_and_saveexec_b64 s[8:9], s[12:13]
; %bb.2662:
	s_mov_b32 s10, 0x7f800001
	s_xor_b64 s[4:5], exec, -1
; %bb.2663:
	s_or_b64 exec, exec, s[8:9]
	s_and_b64 s[4:5], s[4:5], exec
	s_or_saveexec_b64 s[6:7], s[6:7]
	v_mov_b32_e32 v3, s10
	s_xor_b64 exec, exec, s[6:7]
	s_cbranch_execz .LBB15_614
.LBB15_2664:
	v_mov_b32_e32 v3, 0
	v_cmp_ne_u16_sdwa s[8:9], v5, v3 src0_sel:BYTE_0 src1_sel:DWORD
	s_andn2_b64 s[4:5], s[4:5], exec
	s_and_b64 s[8:9], s[8:9], exec
	s_or_b64 s[4:5], s[4:5], s[8:9]
	s_or_b64 exec, exec, s[6:7]
	s_and_saveexec_b64 s[6:7], s[4:5]
	s_cbranch_execnz .LBB15_615
	s_branch .LBB15_616
.LBB15_2665:
	s_movk_i32 s4, 0x80
	v_cmp_eq_u16_sdwa s[12:13], v3, s4 src0_sel:BYTE_0 src1_sel:DWORD
	s_mov_b64 s[4:5], -1
                                        ; implicit-def: $sgpr10
	s_and_saveexec_b64 s[8:9], s[12:13]
; %bb.2666:
	s_mov_b32 s10, 0x7f800001
	s_xor_b64 s[4:5], exec, -1
; %bb.2667:
	s_or_b64 exec, exec, s[8:9]
	s_and_b64 s[4:5], s[4:5], exec
	s_or_saveexec_b64 s[6:7], s[6:7]
	v_mov_b32_e32 v2, s10
	s_xor_b64 exec, exec, s[6:7]
	s_cbranch_execz .LBB15_618
.LBB15_2668:
	v_mov_b32_e32 v2, 0
	v_cmp_ne_u16_sdwa s[8:9], v3, v2 src0_sel:BYTE_0 src1_sel:DWORD
	s_andn2_b64 s[4:5], s[4:5], exec
	s_and_b64 s[8:9], s[8:9], exec
	s_or_b64 s[4:5], s[4:5], s[8:9]
	s_or_b64 exec, exec, s[6:7]
	s_and_saveexec_b64 s[6:7], s[4:5]
	s_cbranch_execnz .LBB15_619
	s_branch .LBB15_620
.LBB15_2669:
	s_movk_i32 s4, 0x80
	v_cmp_eq_u16_sdwa s[12:13], v3, s4 src0_sel:BYTE_0 src1_sel:DWORD
	s_mov_b64 s[4:5], -1
                                        ; implicit-def: $sgpr10
	s_and_saveexec_b64 s[8:9], s[12:13]
; %bb.2670:
	s_mov_b32 s10, 0x7f800001
	s_xor_b64 s[4:5], exec, -1
; %bb.2671:
	s_or_b64 exec, exec, s[8:9]
	s_and_b64 s[4:5], s[4:5], exec
	s_or_saveexec_b64 s[6:7], s[6:7]
	v_mov_b32_e32 v4, s10
	s_xor_b64 exec, exec, s[6:7]
	s_cbranch_execz .LBB15_622
.LBB15_2672:
	v_mov_b32_e32 v4, 0
	v_cmp_ne_u16_sdwa s[8:9], v3, v4 src0_sel:BYTE_0 src1_sel:DWORD
	s_andn2_b64 s[4:5], s[4:5], exec
	s_and_b64 s[8:9], s[8:9], exec
	s_or_b64 s[4:5], s[4:5], s[8:9]
	s_or_b64 exec, exec, s[6:7]
	s_and_saveexec_b64 s[6:7], s[4:5]
	s_cbranch_execnz .LBB15_623
	s_branch .LBB15_624
.LBB15_2673:
	s_movk_i32 s4, 0x80
	v_cmp_eq_u16_e32 vcc, s4, v3
	s_mov_b64 s[4:5], -1
                                        ; implicit-def: $sgpr10
	s_and_saveexec_b64 s[8:9], vcc
; %bb.2674:
	s_mov_b32 s10, 0x7f800001
	s_xor_b64 s[4:5], exec, -1
; %bb.2675:
	s_or_b64 exec, exec, s[8:9]
	s_and_b64 s[4:5], s[4:5], exec
                                        ; implicit-def: $vgpr3
	s_or_saveexec_b64 s[6:7], s[6:7]
	v_mov_b32_e32 v2, s10
	s_xor_b64 exec, exec, s[6:7]
	s_cbranch_execz .LBB15_626
.LBB15_2676:
	v_cmp_ne_u16_e32 vcc, 0, v3
	s_andn2_b64 s[4:5], s[4:5], exec
	s_and_b64 s[8:9], vcc, exec
	v_mov_b32_e32 v2, 0
	s_or_b64 s[4:5], s[4:5], s[8:9]
	s_or_b64 exec, exec, s[6:7]
	s_and_saveexec_b64 s[6:7], s[4:5]
	s_cbranch_execnz .LBB15_627
	s_branch .LBB15_628
.LBB15_2677:
	s_movk_i32 s4, 0x80
	v_cmp_eq_u16_e32 vcc, s4, v3
	s_mov_b64 s[4:5], -1
                                        ; implicit-def: $sgpr10
	s_and_saveexec_b64 s[8:9], vcc
; %bb.2678:
	s_mov_b32 s10, 0x7f800001
	s_xor_b64 s[4:5], exec, -1
; %bb.2679:
	s_or_b64 exec, exec, s[8:9]
	s_and_b64 s[4:5], s[4:5], exec
                                        ; implicit-def: $vgpr3
	s_or_saveexec_b64 s[6:7], s[6:7]
	v_mov_b32_e32 v4, s10
	s_xor_b64 exec, exec, s[6:7]
	s_cbranch_execz .LBB15_630
.LBB15_2680:
	v_cmp_ne_u16_e32 vcc, 0, v3
	s_andn2_b64 s[4:5], s[4:5], exec
	s_and_b64 s[8:9], vcc, exec
	v_mov_b32_e32 v4, 0
	s_or_b64 s[4:5], s[4:5], s[8:9]
	s_or_b64 exec, exec, s[6:7]
	s_and_saveexec_b64 s[6:7], s[4:5]
	s_cbranch_execnz .LBB15_631
	s_branch .LBB15_632
.LBB15_2681:
	s_movk_i32 s4, 0x80
	v_cmp_eq_u16_sdwa s[12:13], v9, s4 src0_sel:BYTE_3 src1_sel:DWORD
	s_mov_b64 s[4:5], -1
                                        ; implicit-def: $sgpr10
	s_and_saveexec_b64 s[8:9], s[12:13]
; %bb.2682:
	s_mov_b32 s10, 0x7f800001
	s_xor_b64 s[4:5], exec, -1
; %bb.2683:
	s_or_b64 exec, exec, s[8:9]
	s_and_b64 s[4:5], s[4:5], exec
	s_or_saveexec_b64 s[6:7], s[6:7]
	v_mov_b32_e32 v2, s10
	s_xor_b64 exec, exec, s[6:7]
	s_cbranch_execz .LBB15_634
.LBB15_2684:
	v_mov_b32_e32 v2, 0
	v_cmp_ne_u16_sdwa s[8:9], v9, v2 src0_sel:BYTE_3 src1_sel:DWORD
	s_andn2_b64 s[4:5], s[4:5], exec
	s_and_b64 s[8:9], s[8:9], exec
	s_or_b64 s[4:5], s[4:5], s[8:9]
	s_or_b64 exec, exec, s[6:7]
	s_and_saveexec_b64 s[6:7], s[4:5]
	s_cbranch_execnz .LBB15_635
	s_branch .LBB15_636
.LBB15_2685:
	s_movk_i32 s4, 0x80
	v_cmp_eq_u16_sdwa s[12:13], v5, s4 src0_sel:BYTE_3 src1_sel:DWORD
	s_mov_b64 s[4:5], -1
                                        ; implicit-def: $sgpr10
	s_and_saveexec_b64 s[8:9], s[12:13]
; %bb.2686:
	s_mov_b32 s10, 0x7f800001
	s_xor_b64 s[4:5], exec, -1
; %bb.2687:
	s_or_b64 exec, exec, s[8:9]
	s_and_b64 s[4:5], s[4:5], exec
	s_or_saveexec_b64 s[6:7], s[6:7]
	v_mov_b32_e32 v3, s10
	s_xor_b64 exec, exec, s[6:7]
	s_cbranch_execz .LBB15_638
.LBB15_2688:
	v_mov_b32_e32 v3, 0
	v_cmp_ne_u16_sdwa s[8:9], v5, v3 src0_sel:BYTE_3 src1_sel:DWORD
	s_andn2_b64 s[4:5], s[4:5], exec
	s_and_b64 s[8:9], s[8:9], exec
	s_or_b64 s[4:5], s[4:5], s[8:9]
	s_or_b64 exec, exec, s[6:7]
	s_and_saveexec_b64 s[6:7], s[4:5]
	s_cbranch_execnz .LBB15_639
	s_branch .LBB15_640
.LBB15_2689:
	s_movk_i32 s4, 0x80
	v_cmp_eq_u16_sdwa s[12:13], v6, s4 src0_sel:BYTE_0 src1_sel:DWORD
	s_mov_b64 s[4:5], -1
                                        ; implicit-def: $sgpr10
	s_and_saveexec_b64 s[8:9], s[12:13]
; %bb.2690:
	s_mov_b32 s10, 0x7f800001
	s_xor_b64 s[4:5], exec, -1
; %bb.2691:
	s_or_b64 exec, exec, s[8:9]
	s_and_b64 s[4:5], s[4:5], exec
	s_or_saveexec_b64 s[6:7], s[6:7]
	v_mov_b32_e32 v12, s10
	s_xor_b64 exec, exec, s[6:7]
	s_cbranch_execz .LBB15_642
.LBB15_2692:
	v_mov_b32_e32 v12, 0
	v_cmp_ne_u16_sdwa s[8:9], v6, v12 src0_sel:BYTE_0 src1_sel:DWORD
	s_andn2_b64 s[4:5], s[4:5], exec
	s_and_b64 s[8:9], s[8:9], exec
	s_or_b64 s[4:5], s[4:5], s[8:9]
	s_or_b64 exec, exec, s[6:7]
	s_and_saveexec_b64 s[6:7], s[4:5]
	s_cbranch_execnz .LBB15_643
	s_branch .LBB15_644
.LBB15_2693:
	s_movk_i32 s4, 0x80
	v_cmp_eq_u16_sdwa s[12:13], v2, s4 src0_sel:BYTE_0 src1_sel:DWORD
	s_mov_b64 s[4:5], -1
                                        ; implicit-def: $sgpr10
	s_and_saveexec_b64 s[8:9], s[12:13]
; %bb.2694:
	s_mov_b32 s10, 0x7f800001
	s_xor_b64 s[4:5], exec, -1
; %bb.2695:
	s_or_b64 exec, exec, s[8:9]
	s_and_b64 s[4:5], s[4:5], exec
	s_or_saveexec_b64 s[6:7], s[6:7]
	v_mov_b32_e32 v13, s10
	s_xor_b64 exec, exec, s[6:7]
	s_cbranch_execz .LBB15_646
.LBB15_2696:
	v_mov_b32_e32 v13, 0
	v_cmp_ne_u16_sdwa s[8:9], v2, v13 src0_sel:BYTE_0 src1_sel:DWORD
	s_andn2_b64 s[4:5], s[4:5], exec
	s_and_b64 s[8:9], s[8:9], exec
	s_or_b64 s[4:5], s[4:5], s[8:9]
	s_or_b64 exec, exec, s[6:7]
	s_and_saveexec_b64 s[6:7], s[4:5]
	s_cbranch_execnz .LBB15_647
	s_branch .LBB15_648
.LBB15_2697:
	s_movk_i32 s4, 0x80
	v_cmp_eq_u16_sdwa s[12:13], v13, s4 src0_sel:BYTE_0 src1_sel:DWORD
	s_mov_b64 s[4:5], -1
                                        ; implicit-def: $sgpr10
	s_and_saveexec_b64 s[8:9], s[12:13]
; %bb.2698:
	s_mov_b32 s10, 0x7f800001
	s_xor_b64 s[4:5], exec, -1
; %bb.2699:
	s_or_b64 exec, exec, s[8:9]
	s_and_b64 s[4:5], s[4:5], exec
	s_or_saveexec_b64 s[6:7], s[6:7]
	v_mov_b32_e32 v12, s10
	s_xor_b64 exec, exec, s[6:7]
	s_cbranch_execz .LBB15_650
.LBB15_2700:
	v_mov_b32_e32 v12, 0
	v_cmp_ne_u16_sdwa s[8:9], v13, v12 src0_sel:BYTE_0 src1_sel:DWORD
	s_andn2_b64 s[4:5], s[4:5], exec
	s_and_b64 s[8:9], s[8:9], exec
	s_or_b64 s[4:5], s[4:5], s[8:9]
	s_or_b64 exec, exec, s[6:7]
	s_and_saveexec_b64 s[6:7], s[4:5]
	s_cbranch_execnz .LBB15_651
	s_branch .LBB15_652
.LBB15_2701:
	s_movk_i32 s4, 0x80
	v_cmp_eq_u16_sdwa s[12:13], v13, s4 src0_sel:BYTE_0 src1_sel:DWORD
	s_mov_b64 s[4:5], -1
                                        ; implicit-def: $sgpr10
	s_and_saveexec_b64 s[8:9], s[12:13]
; %bb.2702:
	s_mov_b32 s10, 0x7f800001
	s_xor_b64 s[4:5], exec, -1
; %bb.2703:
	s_or_b64 exec, exec, s[8:9]
	s_and_b64 s[4:5], s[4:5], exec
	s_or_saveexec_b64 s[6:7], s[6:7]
	v_mov_b32_e32 v14, s10
	s_xor_b64 exec, exec, s[6:7]
	s_cbranch_execz .LBB15_654
.LBB15_2704:
	v_mov_b32_e32 v14, 0
	v_cmp_ne_u16_sdwa s[8:9], v13, v14 src0_sel:BYTE_0 src1_sel:DWORD
	s_andn2_b64 s[4:5], s[4:5], exec
	s_and_b64 s[8:9], s[8:9], exec
	s_or_b64 s[4:5], s[4:5], s[8:9]
	s_or_b64 exec, exec, s[6:7]
	s_and_saveexec_b64 s[6:7], s[4:5]
	s_cbranch_execnz .LBB15_655
	s_branch .LBB15_656
.LBB15_2705:
	s_movk_i32 s4, 0x80
	v_cmp_eq_u16_e32 vcc, s4, v13
	s_mov_b64 s[4:5], -1
                                        ; implicit-def: $sgpr10
	s_and_saveexec_b64 s[8:9], vcc
; %bb.2706:
	s_mov_b32 s10, 0x7f800001
	s_xor_b64 s[4:5], exec, -1
; %bb.2707:
	s_or_b64 exec, exec, s[8:9]
	s_and_b64 s[4:5], s[4:5], exec
                                        ; implicit-def: $vgpr13
	s_or_saveexec_b64 s[6:7], s[6:7]
	v_mov_b32_e32 v12, s10
	s_xor_b64 exec, exec, s[6:7]
	s_cbranch_execz .LBB15_658
.LBB15_2708:
	v_cmp_ne_u16_e32 vcc, 0, v13
	s_andn2_b64 s[4:5], s[4:5], exec
	s_and_b64 s[8:9], vcc, exec
	v_mov_b32_e32 v12, 0
	s_or_b64 s[4:5], s[4:5], s[8:9]
	s_or_b64 exec, exec, s[6:7]
	s_and_saveexec_b64 s[6:7], s[4:5]
	s_cbranch_execnz .LBB15_659
	s_branch .LBB15_660
.LBB15_2709:
	s_movk_i32 s4, 0x80
	v_cmp_eq_u16_e32 vcc, s4, v13
	s_mov_b64 s[4:5], -1
                                        ; implicit-def: $sgpr10
	s_and_saveexec_b64 s[8:9], vcc
; %bb.2710:
	s_mov_b32 s10, 0x7f800001
	s_xor_b64 s[4:5], exec, -1
; %bb.2711:
	s_or_b64 exec, exec, s[8:9]
	s_and_b64 s[4:5], s[4:5], exec
                                        ; implicit-def: $vgpr13
	s_or_saveexec_b64 s[6:7], s[6:7]
	v_mov_b32_e32 v14, s10
	s_xor_b64 exec, exec, s[6:7]
	s_cbranch_execz .LBB15_662
.LBB15_2712:
	v_cmp_ne_u16_e32 vcc, 0, v13
	s_andn2_b64 s[4:5], s[4:5], exec
	s_and_b64 s[8:9], vcc, exec
	v_mov_b32_e32 v14, 0
	s_or_b64 s[4:5], s[4:5], s[8:9]
	s_or_b64 exec, exec, s[6:7]
	s_and_saveexec_b64 s[6:7], s[4:5]
	s_cbranch_execnz .LBB15_663
	s_branch .LBB15_664
.LBB15_2713:
	s_movk_i32 s4, 0x80
	v_cmp_eq_u16_sdwa s[12:13], v6, s4 src0_sel:BYTE_3 src1_sel:DWORD
	s_mov_b64 s[4:5], -1
                                        ; implicit-def: $sgpr10
	s_and_saveexec_b64 s[8:9], s[12:13]
; %bb.2714:
	s_mov_b32 s10, 0x7f800001
	s_xor_b64 s[4:5], exec, -1
; %bb.2715:
	s_or_b64 exec, exec, s[8:9]
	s_and_b64 s[4:5], s[4:5], exec
	s_or_saveexec_b64 s[6:7], s[6:7]
	v_mov_b32_e32 v12, s10
	s_xor_b64 exec, exec, s[6:7]
	s_cbranch_execz .LBB15_666
.LBB15_2716:
	v_mov_b32_e32 v12, 0
	v_cmp_ne_u16_sdwa s[8:9], v6, v12 src0_sel:BYTE_3 src1_sel:DWORD
	s_andn2_b64 s[4:5], s[4:5], exec
	s_and_b64 s[8:9], s[8:9], exec
	s_or_b64 s[4:5], s[4:5], s[8:9]
	s_or_b64 exec, exec, s[6:7]
	s_and_saveexec_b64 s[6:7], s[4:5]
	s_cbranch_execnz .LBB15_667
	s_branch .LBB15_668
.LBB15_2717:
	s_movk_i32 s4, 0x80
	v_cmp_eq_u16_sdwa s[12:13], v2, s4 src0_sel:BYTE_3 src1_sel:DWORD
	s_mov_b64 s[4:5], -1
                                        ; implicit-def: $sgpr10
	s_and_saveexec_b64 s[8:9], s[12:13]
; %bb.2718:
	s_mov_b32 s10, 0x7f800001
	s_xor_b64 s[4:5], exec, -1
; %bb.2719:
	s_or_b64 exec, exec, s[8:9]
	s_and_b64 s[4:5], s[4:5], exec
	s_or_saveexec_b64 s[6:7], s[6:7]
	v_mov_b32_e32 v6, s10
	s_xor_b64 exec, exec, s[6:7]
	s_cbranch_execz .LBB15_670
.LBB15_2720:
	v_mov_b32_e32 v6, 0
	v_cmp_ne_u16_sdwa s[8:9], v2, v6 src0_sel:BYTE_3 src1_sel:DWORD
	s_andn2_b64 s[4:5], s[4:5], exec
	s_and_b64 s[8:9], s[8:9], exec
	s_or_b64 s[4:5], s[4:5], s[8:9]
	s_or_b64 exec, exec, s[6:7]
	s_and_saveexec_b64 s[6:7], s[4:5]
	s_cbranch_execnz .LBB15_671
	s_branch .LBB15_672
.LBB15_2721:
	s_movk_i32 s4, 0x80
	v_cmp_eq_u16_sdwa s[12:13], v7, s4 src0_sel:BYTE_0 src1_sel:DWORD
	s_mov_b64 s[4:5], -1
                                        ; implicit-def: $sgpr10
	s_and_saveexec_b64 s[8:9], s[12:13]
; %bb.2722:
	s_mov_b32 s10, 0x7f800001
	s_xor_b64 s[4:5], exec, -1
; %bb.2723:
	s_or_b64 exec, exec, s[8:9]
	s_and_b64 s[4:5], s[4:5], exec
	s_or_saveexec_b64 s[6:7], s[6:7]
	v_mov_b32_e32 v2, s10
	s_xor_b64 exec, exec, s[6:7]
	s_cbranch_execz .LBB15_674
.LBB15_2724:
	v_mov_b32_e32 v2, 0
	v_cmp_ne_u16_sdwa s[8:9], v7, v2 src0_sel:BYTE_0 src1_sel:DWORD
	s_andn2_b64 s[4:5], s[4:5], exec
	s_and_b64 s[8:9], s[8:9], exec
	s_or_b64 s[4:5], s[4:5], s[8:9]
	s_or_b64 exec, exec, s[6:7]
	s_and_saveexec_b64 s[6:7], s[4:5]
	s_cbranch_execnz .LBB15_675
	s_branch .LBB15_676
.LBB15_2725:
	s_movk_i32 s4, 0x80
	v_cmp_eq_u16_sdwa s[12:13], v3, s4 src0_sel:BYTE_0 src1_sel:DWORD
	s_mov_b64 s[4:5], -1
                                        ; implicit-def: $sgpr10
	s_and_saveexec_b64 s[8:9], s[12:13]
; %bb.2726:
	s_mov_b32 s10, 0x7f800001
	s_xor_b64 s[4:5], exec, -1
; %bb.2727:
	s_or_b64 exec, exec, s[8:9]
	s_and_b64 s[4:5], s[4:5], exec
	s_or_saveexec_b64 s[6:7], s[6:7]
	v_mov_b32_e32 v6, s10
	s_xor_b64 exec, exec, s[6:7]
	s_cbranch_execz .LBB15_678
.LBB15_2728:
	v_mov_b32_e32 v6, 0
	v_cmp_ne_u16_sdwa s[8:9], v3, v6 src0_sel:BYTE_0 src1_sel:DWORD
	s_andn2_b64 s[4:5], s[4:5], exec
	s_and_b64 s[8:9], s[8:9], exec
	s_or_b64 s[4:5], s[4:5], s[8:9]
	s_or_b64 exec, exec, s[6:7]
	s_and_saveexec_b64 s[6:7], s[4:5]
	s_cbranch_execnz .LBB15_679
	s_branch .LBB15_680
.LBB15_2729:
	s_movk_i32 s4, 0x80
	v_cmp_eq_u16_sdwa s[12:13], v6, s4 src0_sel:BYTE_0 src1_sel:DWORD
	s_mov_b64 s[4:5], -1
                                        ; implicit-def: $sgpr10
	s_and_saveexec_b64 s[8:9], s[12:13]
; %bb.2730:
	s_mov_b32 s10, 0x7f800001
	s_xor_b64 s[4:5], exec, -1
; %bb.2731:
	s_or_b64 exec, exec, s[8:9]
	s_and_b64 s[4:5], s[4:5], exec
	s_or_saveexec_b64 s[6:7], s[6:7]
	v_mov_b32_e32 v2, s10
	s_xor_b64 exec, exec, s[6:7]
	s_cbranch_execz .LBB15_682
.LBB15_2732:
	v_mov_b32_e32 v2, 0
	v_cmp_ne_u16_sdwa s[8:9], v6, v2 src0_sel:BYTE_0 src1_sel:DWORD
	s_andn2_b64 s[4:5], s[4:5], exec
	s_and_b64 s[8:9], s[8:9], exec
	s_or_b64 s[4:5], s[4:5], s[8:9]
	s_or_b64 exec, exec, s[6:7]
	s_and_saveexec_b64 s[6:7], s[4:5]
	s_cbranch_execnz .LBB15_683
	s_branch .LBB15_684
.LBB15_2733:
	s_movk_i32 s4, 0x80
	v_cmp_eq_u16_sdwa s[12:13], v6, s4 src0_sel:BYTE_0 src1_sel:DWORD
	s_mov_b64 s[4:5], -1
                                        ; implicit-def: $sgpr10
	s_and_saveexec_b64 s[8:9], s[12:13]
; %bb.2734:
	s_mov_b32 s10, 0x7f800001
	s_xor_b64 s[4:5], exec, -1
; %bb.2735:
	s_or_b64 exec, exec, s[8:9]
	s_and_b64 s[4:5], s[4:5], exec
	s_or_saveexec_b64 s[6:7], s[6:7]
	v_mov_b32_e32 v12, s10
	s_xor_b64 exec, exec, s[6:7]
	s_cbranch_execz .LBB15_686
.LBB15_2736:
	v_mov_b32_e32 v12, 0
	v_cmp_ne_u16_sdwa s[8:9], v6, v12 src0_sel:BYTE_0 src1_sel:DWORD
	s_andn2_b64 s[4:5], s[4:5], exec
	s_and_b64 s[8:9], s[8:9], exec
	s_or_b64 s[4:5], s[4:5], s[8:9]
	s_or_b64 exec, exec, s[6:7]
	s_and_saveexec_b64 s[6:7], s[4:5]
	s_cbranch_execnz .LBB15_687
	s_branch .LBB15_688
.LBB15_2737:
	s_movk_i32 s4, 0x80
	v_cmp_eq_u16_e32 vcc, s4, v6
	s_mov_b64 s[4:5], -1
                                        ; implicit-def: $sgpr10
	s_and_saveexec_b64 s[8:9], vcc
; %bb.2738:
	s_mov_b32 s10, 0x7f800001
	s_xor_b64 s[4:5], exec, -1
; %bb.2739:
	s_or_b64 exec, exec, s[8:9]
	s_and_b64 s[4:5], s[4:5], exec
                                        ; implicit-def: $vgpr6
	s_or_saveexec_b64 s[6:7], s[6:7]
	v_mov_b32_e32 v2, s10
	s_xor_b64 exec, exec, s[6:7]
	s_cbranch_execz .LBB15_690
.LBB15_2740:
	v_cmp_ne_u16_e32 vcc, 0, v6
	s_andn2_b64 s[4:5], s[4:5], exec
	s_and_b64 s[8:9], vcc, exec
	v_mov_b32_e32 v2, 0
	s_or_b64 s[4:5], s[4:5], s[8:9]
	s_or_b64 exec, exec, s[6:7]
	s_and_saveexec_b64 s[6:7], s[4:5]
	s_cbranch_execnz .LBB15_691
	s_branch .LBB15_692
.LBB15_2741:
	s_movk_i32 s4, 0x80
	v_cmp_eq_u16_e32 vcc, s4, v6
	s_mov_b64 s[4:5], -1
                                        ; implicit-def: $sgpr10
	s_and_saveexec_b64 s[8:9], vcc
; %bb.2742:
	s_mov_b32 s10, 0x7f800001
	s_xor_b64 s[4:5], exec, -1
; %bb.2743:
	s_or_b64 exec, exec, s[8:9]
	s_and_b64 s[4:5], s[4:5], exec
                                        ; implicit-def: $vgpr6
	s_or_saveexec_b64 s[6:7], s[6:7]
	v_mov_b32_e32 v12, s10
	s_xor_b64 exec, exec, s[6:7]
	s_cbranch_execz .LBB15_694
.LBB15_2744:
	v_cmp_ne_u16_e32 vcc, 0, v6
	s_andn2_b64 s[4:5], s[4:5], exec
	s_and_b64 s[8:9], vcc, exec
	v_mov_b32_e32 v12, 0
	s_or_b64 s[4:5], s[4:5], s[8:9]
	s_or_b64 exec, exec, s[6:7]
	s_and_saveexec_b64 s[6:7], s[4:5]
	s_cbranch_execnz .LBB15_695
	s_branch .LBB15_696
.LBB15_2745:
	s_movk_i32 s4, 0x80
	v_cmp_eq_u16_sdwa s[12:13], v7, s4 src0_sel:BYTE_3 src1_sel:DWORD
	s_mov_b64 s[4:5], -1
                                        ; implicit-def: $sgpr10
	s_and_saveexec_b64 s[8:9], s[12:13]
; %bb.2746:
	s_mov_b32 s10, 0x7f800001
	s_xor_b64 s[4:5], exec, -1
; %bb.2747:
	s_or_b64 exec, exec, s[8:9]
	s_and_b64 s[4:5], s[4:5], exec
	s_or_saveexec_b64 s[6:7], s[6:7]
	v_mov_b32_e32 v2, s10
	s_xor_b64 exec, exec, s[6:7]
	s_cbranch_execz .LBB15_698
.LBB15_2748:
	v_mov_b32_e32 v2, 0
	v_cmp_ne_u16_sdwa s[8:9], v7, v2 src0_sel:BYTE_3 src1_sel:DWORD
	s_andn2_b64 s[4:5], s[4:5], exec
	s_and_b64 s[8:9], s[8:9], exec
	s_or_b64 s[4:5], s[4:5], s[8:9]
	s_or_b64 exec, exec, s[6:7]
	s_and_saveexec_b64 s[6:7], s[4:5]
	s_cbranch_execnz .LBB15_699
	s_branch .LBB15_700
.LBB15_2749:
	s_movk_i32 s4, 0x80
	v_cmp_eq_u16_sdwa s[12:13], v3, s4 src0_sel:BYTE_3 src1_sel:DWORD
	s_mov_b64 s[4:5], -1
                                        ; implicit-def: $sgpr10
	s_and_saveexec_b64 s[8:9], s[12:13]
; %bb.2750:
	s_mov_b32 s10, 0x7f800001
	s_xor_b64 s[4:5], exec, -1
; %bb.2751:
	s_or_b64 exec, exec, s[8:9]
	s_and_b64 s[4:5], s[4:5], exec
	s_or_saveexec_b64 s[6:7], s[6:7]
	v_mov_b32_e32 v6, s10
	s_xor_b64 exec, exec, s[6:7]
	s_cbranch_execz .LBB15_702
.LBB15_2752:
	v_mov_b32_e32 v6, 0
	v_cmp_ne_u16_sdwa s[8:9], v3, v6 src0_sel:BYTE_3 src1_sel:DWORD
	s_andn2_b64 s[4:5], s[4:5], exec
	s_and_b64 s[8:9], s[8:9], exec
	s_or_b64 s[4:5], s[4:5], s[8:9]
	s_or_b64 exec, exec, s[6:7]
	s_and_saveexec_b64 s[6:7], s[4:5]
	s_cbranch_execnz .LBB15_703
	s_branch .LBB15_704
.LBB15_2753:
	s_movk_i32 s4, 0x80
	v_cmp_eq_u16_sdwa s[12:13], v8, s4 src0_sel:BYTE_0 src1_sel:DWORD
	s_mov_b64 s[4:5], -1
                                        ; implicit-def: $sgpr10
	s_and_saveexec_b64 s[8:9], s[12:13]
; %bb.2754:
	s_mov_b32 s10, 0x7f800001
	s_xor_b64 s[4:5], exec, -1
; %bb.2755:
	s_or_b64 exec, exec, s[8:9]
	s_and_b64 s[4:5], s[4:5], exec
	s_or_saveexec_b64 s[6:7], s[6:7]
	v_mov_b32_e32 v2, s10
	s_xor_b64 exec, exec, s[6:7]
	s_cbranch_execz .LBB15_706
.LBB15_2756:
	v_mov_b32_e32 v2, 0
	v_cmp_ne_u16_sdwa s[8:9], v8, v2 src0_sel:BYTE_0 src1_sel:DWORD
	s_andn2_b64 s[4:5], s[4:5], exec
	s_and_b64 s[8:9], s[8:9], exec
	s_or_b64 s[4:5], s[4:5], s[8:9]
	s_or_b64 exec, exec, s[6:7]
	s_and_saveexec_b64 s[6:7], s[4:5]
	s_cbranch_execnz .LBB15_707
	s_branch .LBB15_708
.LBB15_2757:
	s_movk_i32 s4, 0x80
	v_cmp_eq_u16_sdwa s[12:13], v4, s4 src0_sel:BYTE_0 src1_sel:DWORD
	s_mov_b64 s[4:5], -1
                                        ; implicit-def: $sgpr10
	s_and_saveexec_b64 s[8:9], s[12:13]
; %bb.2758:
	s_mov_b32 s10, 0x7f800001
	s_xor_b64 s[4:5], exec, -1
; %bb.2759:
	s_or_b64 exec, exec, s[8:9]
	s_and_b64 s[4:5], s[4:5], exec
	s_or_saveexec_b64 s[6:7], s[6:7]
	v_mov_b32_e32 v3, s10
	s_xor_b64 exec, exec, s[6:7]
	s_cbranch_execz .LBB15_710
.LBB15_2760:
	v_mov_b32_e32 v3, 0
	v_cmp_ne_u16_sdwa s[8:9], v4, v3 src0_sel:BYTE_0 src1_sel:DWORD
	s_andn2_b64 s[4:5], s[4:5], exec
	s_and_b64 s[8:9], s[8:9], exec
	s_or_b64 s[4:5], s[4:5], s[8:9]
	s_or_b64 exec, exec, s[6:7]
	s_and_saveexec_b64 s[6:7], s[4:5]
	s_cbranch_execnz .LBB15_711
	s_branch .LBB15_712
.LBB15_2761:
	s_movk_i32 s4, 0x80
	v_cmp_eq_u16_sdwa s[12:13], v3, s4 src0_sel:BYTE_0 src1_sel:DWORD
	s_mov_b64 s[4:5], -1
                                        ; implicit-def: $sgpr10
	s_and_saveexec_b64 s[8:9], s[12:13]
; %bb.2762:
	s_mov_b32 s10, 0x7f800001
	s_xor_b64 s[4:5], exec, -1
; %bb.2763:
	s_or_b64 exec, exec, s[8:9]
	s_and_b64 s[4:5], s[4:5], exec
	s_or_saveexec_b64 s[6:7], s[6:7]
	v_mov_b32_e32 v2, s10
	s_xor_b64 exec, exec, s[6:7]
	s_cbranch_execz .LBB15_714
.LBB15_2764:
	v_mov_b32_e32 v2, 0
	v_cmp_ne_u16_sdwa s[8:9], v3, v2 src0_sel:BYTE_0 src1_sel:DWORD
	s_andn2_b64 s[4:5], s[4:5], exec
	s_and_b64 s[8:9], s[8:9], exec
	s_or_b64 s[4:5], s[4:5], s[8:9]
	s_or_b64 exec, exec, s[6:7]
	s_and_saveexec_b64 s[6:7], s[4:5]
	s_cbranch_execnz .LBB15_715
	s_branch .LBB15_716
.LBB15_2765:
	s_movk_i32 s4, 0x80
	v_cmp_eq_u16_sdwa s[12:13], v3, s4 src0_sel:BYTE_0 src1_sel:DWORD
	s_mov_b64 s[4:5], -1
                                        ; implicit-def: $sgpr10
	s_and_saveexec_b64 s[8:9], s[12:13]
; %bb.2766:
	s_mov_b32 s10, 0x7f800001
	s_xor_b64 s[4:5], exec, -1
; %bb.2767:
	s_or_b64 exec, exec, s[8:9]
	s_and_b64 s[4:5], s[4:5], exec
	s_or_saveexec_b64 s[6:7], s[6:7]
	v_mov_b32_e32 v6, s10
	s_xor_b64 exec, exec, s[6:7]
	s_cbranch_execz .LBB15_718
.LBB15_2768:
	v_mov_b32_e32 v6, 0
	v_cmp_ne_u16_sdwa s[8:9], v3, v6 src0_sel:BYTE_0 src1_sel:DWORD
	s_andn2_b64 s[4:5], s[4:5], exec
	s_and_b64 s[8:9], s[8:9], exec
	s_or_b64 s[4:5], s[4:5], s[8:9]
	s_or_b64 exec, exec, s[6:7]
	s_and_saveexec_b64 s[6:7], s[4:5]
	s_cbranch_execnz .LBB15_719
	s_branch .LBB15_720
.LBB15_2769:
	s_movk_i32 s4, 0x80
	v_cmp_eq_u16_e32 vcc, s4, v3
	s_mov_b64 s[4:5], -1
                                        ; implicit-def: $sgpr10
	s_and_saveexec_b64 s[8:9], vcc
; %bb.2770:
	s_mov_b32 s10, 0x7f800001
	s_xor_b64 s[4:5], exec, -1
; %bb.2771:
	s_or_b64 exec, exec, s[8:9]
	s_and_b64 s[4:5], s[4:5], exec
                                        ; implicit-def: $vgpr3
	s_or_saveexec_b64 s[6:7], s[6:7]
	v_mov_b32_e32 v2, s10
	s_xor_b64 exec, exec, s[6:7]
	s_cbranch_execz .LBB15_722
.LBB15_2772:
	v_cmp_ne_u16_e32 vcc, 0, v3
	s_andn2_b64 s[4:5], s[4:5], exec
	s_and_b64 s[8:9], vcc, exec
	v_mov_b32_e32 v2, 0
	s_or_b64 s[4:5], s[4:5], s[8:9]
	s_or_b64 exec, exec, s[6:7]
	s_and_saveexec_b64 s[6:7], s[4:5]
	s_cbranch_execnz .LBB15_723
	s_branch .LBB15_724
.LBB15_2773:
	s_movk_i32 s4, 0x80
	v_cmp_eq_u16_e32 vcc, s4, v3
	s_mov_b64 s[4:5], -1
                                        ; implicit-def: $sgpr10
	s_and_saveexec_b64 s[8:9], vcc
; %bb.2774:
	s_mov_b32 s10, 0x7f800001
	s_xor_b64 s[4:5], exec, -1
; %bb.2775:
	s_or_b64 exec, exec, s[8:9]
	s_and_b64 s[4:5], s[4:5], exec
                                        ; implicit-def: $vgpr3
	s_or_saveexec_b64 s[6:7], s[6:7]
	v_mov_b32_e32 v6, s10
	s_xor_b64 exec, exec, s[6:7]
	s_cbranch_execz .LBB15_726
.LBB15_2776:
	v_cmp_ne_u16_e32 vcc, 0, v3
	s_andn2_b64 s[4:5], s[4:5], exec
	s_and_b64 s[8:9], vcc, exec
	v_mov_b32_e32 v6, 0
	s_or_b64 s[4:5], s[4:5], s[8:9]
	s_or_b64 exec, exec, s[6:7]
	s_and_saveexec_b64 s[6:7], s[4:5]
	s_cbranch_execnz .LBB15_727
	s_branch .LBB15_728
.LBB15_2777:
	s_movk_i32 s4, 0x80
	v_cmp_eq_u16_sdwa s[12:13], v8, s4 src0_sel:BYTE_3 src1_sel:DWORD
	s_mov_b64 s[4:5], -1
                                        ; implicit-def: $sgpr10
	s_and_saveexec_b64 s[8:9], s[12:13]
; %bb.2778:
	s_mov_b32 s10, 0x7f800001
	s_xor_b64 s[4:5], exec, -1
; %bb.2779:
	s_or_b64 exec, exec, s[8:9]
	s_and_b64 s[4:5], s[4:5], exec
	s_or_saveexec_b64 s[6:7], s[6:7]
	v_mov_b32_e32 v2, s10
	s_xor_b64 exec, exec, s[6:7]
	s_cbranch_execz .LBB15_730
.LBB15_2780:
	v_mov_b32_e32 v2, 0
	v_cmp_ne_u16_sdwa s[8:9], v8, v2 src0_sel:BYTE_3 src1_sel:DWORD
	s_andn2_b64 s[4:5], s[4:5], exec
	s_and_b64 s[8:9], s[8:9], exec
	s_or_b64 s[4:5], s[4:5], s[8:9]
	s_or_b64 exec, exec, s[6:7]
	s_and_saveexec_b64 s[6:7], s[4:5]
	s_cbranch_execnz .LBB15_731
	s_branch .LBB15_732
.LBB15_2781:
	s_movk_i32 s4, 0x80
	v_cmp_eq_u16_sdwa s[12:13], v4, s4 src0_sel:BYTE_3 src1_sel:DWORD
	s_mov_b64 s[4:5], -1
                                        ; implicit-def: $sgpr10
	s_and_saveexec_b64 s[8:9], s[12:13]
; %bb.2782:
	s_mov_b32 s10, 0x7f800001
	s_xor_b64 s[4:5], exec, -1
; %bb.2783:
	s_or_b64 exec, exec, s[8:9]
	s_and_b64 s[4:5], s[4:5], exec
	s_or_saveexec_b64 s[6:7], s[6:7]
	v_mov_b32_e32 v3, s10
	s_xor_b64 exec, exec, s[6:7]
	s_cbranch_execz .LBB15_734
.LBB15_2784:
	v_mov_b32_e32 v3, 0
	v_cmp_ne_u16_sdwa s[8:9], v4, v3 src0_sel:BYTE_3 src1_sel:DWORD
	s_andn2_b64 s[4:5], s[4:5], exec
	s_and_b64 s[8:9], s[8:9], exec
	s_or_b64 s[4:5], s[4:5], s[8:9]
	s_or_b64 exec, exec, s[6:7]
	s_and_saveexec_b64 s[6:7], s[4:5]
	s_cbranch_execnz .LBB15_735
	s_branch .LBB15_736
.LBB15_2785:
	s_movk_i32 s4, 0x80
	v_cmp_eq_u16_sdwa s[12:13], v9, s4 src0_sel:BYTE_0 src1_sel:DWORD
	s_mov_b64 s[4:5], -1
                                        ; implicit-def: $sgpr10
	s_and_saveexec_b64 s[8:9], s[12:13]
; %bb.2786:
	s_mov_b32 s10, 0x7f800001
	s_xor_b64 s[4:5], exec, -1
; %bb.2787:
	s_or_b64 exec, exec, s[8:9]
	s_and_b64 s[4:5], s[4:5], exec
	s_or_saveexec_b64 s[6:7], s[6:7]
	v_mov_b32_e32 v2, s10
	s_xor_b64 exec, exec, s[6:7]
	s_cbranch_execz .LBB15_738
.LBB15_2788:
	v_mov_b32_e32 v2, 0
	v_cmp_ne_u16_sdwa s[8:9], v9, v2 src0_sel:BYTE_0 src1_sel:DWORD
	s_andn2_b64 s[4:5], s[4:5], exec
	s_and_b64 s[8:9], s[8:9], exec
	s_or_b64 s[4:5], s[4:5], s[8:9]
	s_or_b64 exec, exec, s[6:7]
	s_and_saveexec_b64 s[6:7], s[4:5]
	s_cbranch_execnz .LBB15_739
	s_branch .LBB15_740
.LBB15_2789:
	s_movk_i32 s4, 0x80
	v_cmp_eq_u16_sdwa s[12:13], v5, s4 src0_sel:BYTE_0 src1_sel:DWORD
	s_mov_b64 s[4:5], -1
                                        ; implicit-def: $sgpr10
	s_and_saveexec_b64 s[8:9], s[12:13]
; %bb.2790:
	s_mov_b32 s10, 0x7f800001
	s_xor_b64 s[4:5], exec, -1
; %bb.2791:
	s_or_b64 exec, exec, s[8:9]
	s_and_b64 s[4:5], s[4:5], exec
	s_or_saveexec_b64 s[6:7], s[6:7]
	v_mov_b32_e32 v3, s10
	s_xor_b64 exec, exec, s[6:7]
	s_cbranch_execz .LBB15_742
.LBB15_2792:
	v_mov_b32_e32 v3, 0
	v_cmp_ne_u16_sdwa s[8:9], v5, v3 src0_sel:BYTE_0 src1_sel:DWORD
	s_andn2_b64 s[4:5], s[4:5], exec
	s_and_b64 s[8:9], s[8:9], exec
	s_or_b64 s[4:5], s[4:5], s[8:9]
	s_or_b64 exec, exec, s[6:7]
	s_and_saveexec_b64 s[6:7], s[4:5]
	s_cbranch_execnz .LBB15_743
	s_branch .LBB15_744
.LBB15_2793:
	s_movk_i32 s4, 0x80
	v_cmp_eq_u16_sdwa s[12:13], v3, s4 src0_sel:BYTE_0 src1_sel:DWORD
	s_mov_b64 s[4:5], -1
                                        ; implicit-def: $sgpr10
	s_and_saveexec_b64 s[8:9], s[12:13]
; %bb.2794:
	s_mov_b32 s10, 0x7f800001
	s_xor_b64 s[4:5], exec, -1
; %bb.2795:
	s_or_b64 exec, exec, s[8:9]
	s_and_b64 s[4:5], s[4:5], exec
	s_or_saveexec_b64 s[6:7], s[6:7]
	v_mov_b32_e32 v2, s10
	s_xor_b64 exec, exec, s[6:7]
	s_cbranch_execz .LBB15_746
.LBB15_2796:
	v_mov_b32_e32 v2, 0
	v_cmp_ne_u16_sdwa s[8:9], v3, v2 src0_sel:BYTE_0 src1_sel:DWORD
	s_andn2_b64 s[4:5], s[4:5], exec
	s_and_b64 s[8:9], s[8:9], exec
	s_or_b64 s[4:5], s[4:5], s[8:9]
	s_or_b64 exec, exec, s[6:7]
	s_and_saveexec_b64 s[6:7], s[4:5]
	s_cbranch_execnz .LBB15_747
	s_branch .LBB15_748
.LBB15_2797:
	s_movk_i32 s4, 0x80
	v_cmp_eq_u16_sdwa s[12:13], v3, s4 src0_sel:BYTE_0 src1_sel:DWORD
	s_mov_b64 s[4:5], -1
                                        ; implicit-def: $sgpr10
	s_and_saveexec_b64 s[8:9], s[12:13]
; %bb.2798:
	s_mov_b32 s10, 0x7f800001
	s_xor_b64 s[4:5], exec, -1
; %bb.2799:
	s_or_b64 exec, exec, s[8:9]
	s_and_b64 s[4:5], s[4:5], exec
	s_or_saveexec_b64 s[6:7], s[6:7]
	v_mov_b32_e32 v4, s10
	s_xor_b64 exec, exec, s[6:7]
	s_cbranch_execz .LBB15_750
.LBB15_2800:
	v_mov_b32_e32 v4, 0
	v_cmp_ne_u16_sdwa s[8:9], v3, v4 src0_sel:BYTE_0 src1_sel:DWORD
	s_andn2_b64 s[4:5], s[4:5], exec
	s_and_b64 s[8:9], s[8:9], exec
	s_or_b64 s[4:5], s[4:5], s[8:9]
	s_or_b64 exec, exec, s[6:7]
	s_and_saveexec_b64 s[6:7], s[4:5]
	s_cbranch_execnz .LBB15_751
	s_branch .LBB15_752
.LBB15_2801:
	s_movk_i32 s4, 0x80
	v_cmp_eq_u16_e32 vcc, s4, v3
	s_mov_b64 s[4:5], -1
                                        ; implicit-def: $sgpr10
	s_and_saveexec_b64 s[8:9], vcc
; %bb.2802:
	s_mov_b32 s10, 0x7f800001
	s_xor_b64 s[4:5], exec, -1
; %bb.2803:
	s_or_b64 exec, exec, s[8:9]
	s_and_b64 s[4:5], s[4:5], exec
                                        ; implicit-def: $vgpr3
	s_or_saveexec_b64 s[6:7], s[6:7]
	v_mov_b32_e32 v2, s10
	s_xor_b64 exec, exec, s[6:7]
	s_cbranch_execz .LBB15_754
.LBB15_2804:
	v_cmp_ne_u16_e32 vcc, 0, v3
	s_andn2_b64 s[4:5], s[4:5], exec
	s_and_b64 s[8:9], vcc, exec
	v_mov_b32_e32 v2, 0
	s_or_b64 s[4:5], s[4:5], s[8:9]
	s_or_b64 exec, exec, s[6:7]
	s_and_saveexec_b64 s[6:7], s[4:5]
	s_cbranch_execnz .LBB15_755
	s_branch .LBB15_756
.LBB15_2805:
	s_movk_i32 s4, 0x80
	v_cmp_eq_u16_e32 vcc, s4, v3
	s_mov_b64 s[4:5], -1
                                        ; implicit-def: $sgpr10
	s_and_saveexec_b64 s[8:9], vcc
; %bb.2806:
	s_mov_b32 s10, 0x7f800001
	s_xor_b64 s[4:5], exec, -1
; %bb.2807:
	s_or_b64 exec, exec, s[8:9]
	s_and_b64 s[4:5], s[4:5], exec
                                        ; implicit-def: $vgpr3
	s_or_saveexec_b64 s[6:7], s[6:7]
	v_mov_b32_e32 v4, s10
	s_xor_b64 exec, exec, s[6:7]
	s_cbranch_execz .LBB15_758
.LBB15_2808:
	v_cmp_ne_u16_e32 vcc, 0, v3
	s_andn2_b64 s[4:5], s[4:5], exec
	s_and_b64 s[8:9], vcc, exec
	v_mov_b32_e32 v4, 0
	s_or_b64 s[4:5], s[4:5], s[8:9]
	s_or_b64 exec, exec, s[6:7]
	s_and_saveexec_b64 s[6:7], s[4:5]
	s_cbranch_execnz .LBB15_759
	s_branch .LBB15_760
.LBB15_2809:
	s_movk_i32 s4, 0x80
	v_cmp_eq_u16_sdwa s[12:13], v9, s4 src0_sel:BYTE_3 src1_sel:DWORD
	s_mov_b64 s[4:5], -1
                                        ; implicit-def: $sgpr10
	s_and_saveexec_b64 s[8:9], s[12:13]
; %bb.2810:
	s_mov_b32 s10, 0x7f800001
	s_xor_b64 s[4:5], exec, -1
; %bb.2811:
	s_or_b64 exec, exec, s[8:9]
	s_and_b64 s[4:5], s[4:5], exec
	s_or_saveexec_b64 s[6:7], s[6:7]
	v_mov_b32_e32 v2, s10
	s_xor_b64 exec, exec, s[6:7]
	s_cbranch_execz .LBB15_762
.LBB15_2812:
	v_mov_b32_e32 v2, 0
	v_cmp_ne_u16_sdwa s[8:9], v9, v2 src0_sel:BYTE_3 src1_sel:DWORD
	s_andn2_b64 s[4:5], s[4:5], exec
	s_and_b64 s[8:9], s[8:9], exec
	s_or_b64 s[4:5], s[4:5], s[8:9]
	s_or_b64 exec, exec, s[6:7]
	s_and_saveexec_b64 s[6:7], s[4:5]
	s_cbranch_execnz .LBB15_763
	s_branch .LBB15_764
.LBB15_2813:
	s_movk_i32 s4, 0x80
	v_cmp_eq_u16_sdwa s[12:13], v5, s4 src0_sel:BYTE_3 src1_sel:DWORD
	s_mov_b64 s[4:5], -1
                                        ; implicit-def: $sgpr10
	s_and_saveexec_b64 s[8:9], s[12:13]
; %bb.2814:
	s_mov_b32 s10, 0x7f800001
	s_xor_b64 s[4:5], exec, -1
; %bb.2815:
	s_or_b64 exec, exec, s[8:9]
	s_and_b64 s[4:5], s[4:5], exec
	s_or_saveexec_b64 s[6:7], s[6:7]
	v_mov_b32_e32 v3, s10
	s_xor_b64 exec, exec, s[6:7]
	s_cbranch_execz .LBB15_766
.LBB15_2816:
	v_mov_b32_e32 v3, 0
	v_cmp_ne_u16_sdwa s[8:9], v5, v3 src0_sel:BYTE_3 src1_sel:DWORD
	s_andn2_b64 s[4:5], s[4:5], exec
	s_and_b64 s[8:9], s[8:9], exec
	s_or_b64 s[4:5], s[4:5], s[8:9]
	s_or_b64 exec, exec, s[6:7]
	s_and_saveexec_b64 s[6:7], s[4:5]
	s_cbranch_execnz .LBB15_767
	s_branch .LBB15_768
.LBB15_2817:
	s_movk_i32 s4, 0x80
	v_cmp_eq_u16_sdwa s[12:13], v6, s4 src0_sel:BYTE_0 src1_sel:DWORD
	s_mov_b64 s[4:5], -1
                                        ; implicit-def: $sgpr10
	s_and_saveexec_b64 s[8:9], s[12:13]
; %bb.2818:
	s_mov_b32 s10, 0x7f800001
	s_xor_b64 s[4:5], exec, -1
; %bb.2819:
	s_or_b64 exec, exec, s[8:9]
	s_and_b64 s[4:5], s[4:5], exec
	s_or_saveexec_b64 s[6:7], s[6:7]
	v_mov_b32_e32 v12, s10
	s_xor_b64 exec, exec, s[6:7]
	s_cbranch_execz .LBB15_770
.LBB15_2820:
	v_mov_b32_e32 v12, 0
	v_cmp_ne_u16_sdwa s[8:9], v6, v12 src0_sel:BYTE_0 src1_sel:DWORD
	s_andn2_b64 s[4:5], s[4:5], exec
	s_and_b64 s[8:9], s[8:9], exec
	s_or_b64 s[4:5], s[4:5], s[8:9]
	s_or_b64 exec, exec, s[6:7]
	s_and_saveexec_b64 s[6:7], s[4:5]
	s_cbranch_execnz .LBB15_771
	s_branch .LBB15_772
.LBB15_2821:
	s_movk_i32 s4, 0x80
	v_cmp_eq_u16_sdwa s[12:13], v2, s4 src0_sel:BYTE_0 src1_sel:DWORD
	s_mov_b64 s[4:5], -1
                                        ; implicit-def: $sgpr10
	s_and_saveexec_b64 s[8:9], s[12:13]
; %bb.2822:
	s_mov_b32 s10, 0x7f800001
	s_xor_b64 s[4:5], exec, -1
; %bb.2823:
	s_or_b64 exec, exec, s[8:9]
	s_and_b64 s[4:5], s[4:5], exec
	s_or_saveexec_b64 s[6:7], s[6:7]
	v_mov_b32_e32 v13, s10
	s_xor_b64 exec, exec, s[6:7]
	s_cbranch_execz .LBB15_774
.LBB15_2824:
	v_mov_b32_e32 v13, 0
	v_cmp_ne_u16_sdwa s[8:9], v2, v13 src0_sel:BYTE_0 src1_sel:DWORD
	s_andn2_b64 s[4:5], s[4:5], exec
	s_and_b64 s[8:9], s[8:9], exec
	s_or_b64 s[4:5], s[4:5], s[8:9]
	s_or_b64 exec, exec, s[6:7]
	s_and_saveexec_b64 s[6:7], s[4:5]
	s_cbranch_execnz .LBB15_775
	s_branch .LBB15_776
.LBB15_2825:
	s_movk_i32 s4, 0x80
	v_cmp_eq_u16_sdwa s[12:13], v13, s4 src0_sel:BYTE_0 src1_sel:DWORD
	s_mov_b64 s[4:5], -1
                                        ; implicit-def: $sgpr10
	s_and_saveexec_b64 s[8:9], s[12:13]
; %bb.2826:
	s_mov_b32 s10, 0x7f800001
	s_xor_b64 s[4:5], exec, -1
; %bb.2827:
	s_or_b64 exec, exec, s[8:9]
	s_and_b64 s[4:5], s[4:5], exec
	s_or_saveexec_b64 s[6:7], s[6:7]
	v_mov_b32_e32 v12, s10
	s_xor_b64 exec, exec, s[6:7]
	s_cbranch_execz .LBB15_778
.LBB15_2828:
	v_mov_b32_e32 v12, 0
	v_cmp_ne_u16_sdwa s[8:9], v13, v12 src0_sel:BYTE_0 src1_sel:DWORD
	s_andn2_b64 s[4:5], s[4:5], exec
	s_and_b64 s[8:9], s[8:9], exec
	s_or_b64 s[4:5], s[4:5], s[8:9]
	s_or_b64 exec, exec, s[6:7]
	s_and_saveexec_b64 s[6:7], s[4:5]
	s_cbranch_execnz .LBB15_779
	s_branch .LBB15_780
.LBB15_2829:
	s_movk_i32 s4, 0x80
	v_cmp_eq_u16_sdwa s[12:13], v13, s4 src0_sel:BYTE_0 src1_sel:DWORD
	s_mov_b64 s[4:5], -1
                                        ; implicit-def: $sgpr10
	s_and_saveexec_b64 s[8:9], s[12:13]
; %bb.2830:
	s_mov_b32 s10, 0x7f800001
	s_xor_b64 s[4:5], exec, -1
; %bb.2831:
	s_or_b64 exec, exec, s[8:9]
	s_and_b64 s[4:5], s[4:5], exec
	s_or_saveexec_b64 s[6:7], s[6:7]
	v_mov_b32_e32 v14, s10
	s_xor_b64 exec, exec, s[6:7]
	s_cbranch_execz .LBB15_782
.LBB15_2832:
	v_mov_b32_e32 v14, 0
	v_cmp_ne_u16_sdwa s[8:9], v13, v14 src0_sel:BYTE_0 src1_sel:DWORD
	s_andn2_b64 s[4:5], s[4:5], exec
	s_and_b64 s[8:9], s[8:9], exec
	s_or_b64 s[4:5], s[4:5], s[8:9]
	s_or_b64 exec, exec, s[6:7]
	s_and_saveexec_b64 s[6:7], s[4:5]
	s_cbranch_execnz .LBB15_783
	s_branch .LBB15_784
.LBB15_2833:
	s_movk_i32 s4, 0x80
	v_cmp_eq_u16_e32 vcc, s4, v13
	s_mov_b64 s[4:5], -1
                                        ; implicit-def: $sgpr10
	s_and_saveexec_b64 s[8:9], vcc
; %bb.2834:
	s_mov_b32 s10, 0x7f800001
	s_xor_b64 s[4:5], exec, -1
; %bb.2835:
	s_or_b64 exec, exec, s[8:9]
	s_and_b64 s[4:5], s[4:5], exec
                                        ; implicit-def: $vgpr13
	s_or_saveexec_b64 s[6:7], s[6:7]
	v_mov_b32_e32 v12, s10
	s_xor_b64 exec, exec, s[6:7]
	s_cbranch_execz .LBB15_786
.LBB15_2836:
	v_cmp_ne_u16_e32 vcc, 0, v13
	s_andn2_b64 s[4:5], s[4:5], exec
	s_and_b64 s[8:9], vcc, exec
	v_mov_b32_e32 v12, 0
	s_or_b64 s[4:5], s[4:5], s[8:9]
	s_or_b64 exec, exec, s[6:7]
	s_and_saveexec_b64 s[6:7], s[4:5]
	s_cbranch_execnz .LBB15_787
	s_branch .LBB15_788
.LBB15_2837:
	s_movk_i32 s4, 0x80
	v_cmp_eq_u16_e32 vcc, s4, v13
	s_mov_b64 s[4:5], -1
                                        ; implicit-def: $sgpr10
	s_and_saveexec_b64 s[8:9], vcc
; %bb.2838:
	s_mov_b32 s10, 0x7f800001
	s_xor_b64 s[4:5], exec, -1
; %bb.2839:
	s_or_b64 exec, exec, s[8:9]
	s_and_b64 s[4:5], s[4:5], exec
                                        ; implicit-def: $vgpr13
	s_or_saveexec_b64 s[6:7], s[6:7]
	v_mov_b32_e32 v14, s10
	s_xor_b64 exec, exec, s[6:7]
	s_cbranch_execz .LBB15_790
.LBB15_2840:
	v_cmp_ne_u16_e32 vcc, 0, v13
	s_andn2_b64 s[4:5], s[4:5], exec
	s_and_b64 s[8:9], vcc, exec
	v_mov_b32_e32 v14, 0
	s_or_b64 s[4:5], s[4:5], s[8:9]
	s_or_b64 exec, exec, s[6:7]
	s_and_saveexec_b64 s[6:7], s[4:5]
	s_cbranch_execnz .LBB15_791
	s_branch .LBB15_792
.LBB15_2841:
	s_movk_i32 s4, 0x80
	v_cmp_eq_u16_sdwa s[12:13], v6, s4 src0_sel:BYTE_3 src1_sel:DWORD
	s_mov_b64 s[4:5], -1
                                        ; implicit-def: $sgpr10
	s_and_saveexec_b64 s[8:9], s[12:13]
; %bb.2842:
	s_mov_b32 s10, 0x7f800001
	s_xor_b64 s[4:5], exec, -1
; %bb.2843:
	s_or_b64 exec, exec, s[8:9]
	s_and_b64 s[4:5], s[4:5], exec
	s_or_saveexec_b64 s[6:7], s[6:7]
	v_mov_b32_e32 v12, s10
	s_xor_b64 exec, exec, s[6:7]
	s_cbranch_execz .LBB15_794
.LBB15_2844:
	v_mov_b32_e32 v12, 0
	v_cmp_ne_u16_sdwa s[8:9], v6, v12 src0_sel:BYTE_3 src1_sel:DWORD
	s_andn2_b64 s[4:5], s[4:5], exec
	s_and_b64 s[8:9], s[8:9], exec
	s_or_b64 s[4:5], s[4:5], s[8:9]
	s_or_b64 exec, exec, s[6:7]
	s_and_saveexec_b64 s[6:7], s[4:5]
	s_cbranch_execnz .LBB15_795
	s_branch .LBB15_796
.LBB15_2845:
	s_movk_i32 s4, 0x80
	v_cmp_eq_u16_sdwa s[12:13], v2, s4 src0_sel:BYTE_3 src1_sel:DWORD
	s_mov_b64 s[4:5], -1
                                        ; implicit-def: $sgpr10
	s_and_saveexec_b64 s[8:9], s[12:13]
; %bb.2846:
	s_mov_b32 s10, 0x7f800001
	s_xor_b64 s[4:5], exec, -1
; %bb.2847:
	s_or_b64 exec, exec, s[8:9]
	s_and_b64 s[4:5], s[4:5], exec
	s_or_saveexec_b64 s[6:7], s[6:7]
	v_mov_b32_e32 v6, s10
	s_xor_b64 exec, exec, s[6:7]
	s_cbranch_execz .LBB15_798
.LBB15_2848:
	v_mov_b32_e32 v6, 0
	v_cmp_ne_u16_sdwa s[8:9], v2, v6 src0_sel:BYTE_3 src1_sel:DWORD
	s_andn2_b64 s[4:5], s[4:5], exec
	s_and_b64 s[8:9], s[8:9], exec
	s_or_b64 s[4:5], s[4:5], s[8:9]
	s_or_b64 exec, exec, s[6:7]
	s_and_saveexec_b64 s[6:7], s[4:5]
	s_cbranch_execnz .LBB15_799
	s_branch .LBB15_800
.LBB15_2849:
	s_movk_i32 s4, 0x80
	v_cmp_eq_u16_sdwa s[12:13], v7, s4 src0_sel:BYTE_0 src1_sel:DWORD
	s_mov_b64 s[4:5], -1
                                        ; implicit-def: $sgpr10
	s_and_saveexec_b64 s[8:9], s[12:13]
; %bb.2850:
	s_mov_b32 s10, 0x7f800001
	s_xor_b64 s[4:5], exec, -1
; %bb.2851:
	s_or_b64 exec, exec, s[8:9]
	s_and_b64 s[4:5], s[4:5], exec
	s_or_saveexec_b64 s[6:7], s[6:7]
	v_mov_b32_e32 v2, s10
	s_xor_b64 exec, exec, s[6:7]
	s_cbranch_execz .LBB15_802
.LBB15_2852:
	v_mov_b32_e32 v2, 0
	v_cmp_ne_u16_sdwa s[8:9], v7, v2 src0_sel:BYTE_0 src1_sel:DWORD
	s_andn2_b64 s[4:5], s[4:5], exec
	s_and_b64 s[8:9], s[8:9], exec
	s_or_b64 s[4:5], s[4:5], s[8:9]
	s_or_b64 exec, exec, s[6:7]
	s_and_saveexec_b64 s[6:7], s[4:5]
	s_cbranch_execnz .LBB15_803
	s_branch .LBB15_804
.LBB15_2853:
	s_movk_i32 s4, 0x80
	v_cmp_eq_u16_sdwa s[12:13], v3, s4 src0_sel:BYTE_0 src1_sel:DWORD
	s_mov_b64 s[4:5], -1
                                        ; implicit-def: $sgpr10
	s_and_saveexec_b64 s[8:9], s[12:13]
; %bb.2854:
	s_mov_b32 s10, 0x7f800001
	s_xor_b64 s[4:5], exec, -1
; %bb.2855:
	s_or_b64 exec, exec, s[8:9]
	s_and_b64 s[4:5], s[4:5], exec
	s_or_saveexec_b64 s[6:7], s[6:7]
	v_mov_b32_e32 v6, s10
	s_xor_b64 exec, exec, s[6:7]
	s_cbranch_execz .LBB15_806
.LBB15_2856:
	v_mov_b32_e32 v6, 0
	v_cmp_ne_u16_sdwa s[8:9], v3, v6 src0_sel:BYTE_0 src1_sel:DWORD
	s_andn2_b64 s[4:5], s[4:5], exec
	s_and_b64 s[8:9], s[8:9], exec
	s_or_b64 s[4:5], s[4:5], s[8:9]
	s_or_b64 exec, exec, s[6:7]
	s_and_saveexec_b64 s[6:7], s[4:5]
	s_cbranch_execnz .LBB15_807
	s_branch .LBB15_808
.LBB15_2857:
	s_movk_i32 s4, 0x80
	v_cmp_eq_u16_sdwa s[12:13], v6, s4 src0_sel:BYTE_0 src1_sel:DWORD
	s_mov_b64 s[4:5], -1
                                        ; implicit-def: $sgpr10
	s_and_saveexec_b64 s[8:9], s[12:13]
; %bb.2858:
	s_mov_b32 s10, 0x7f800001
	s_xor_b64 s[4:5], exec, -1
; %bb.2859:
	s_or_b64 exec, exec, s[8:9]
	s_and_b64 s[4:5], s[4:5], exec
	s_or_saveexec_b64 s[6:7], s[6:7]
	v_mov_b32_e32 v2, s10
	s_xor_b64 exec, exec, s[6:7]
	s_cbranch_execz .LBB15_810
.LBB15_2860:
	v_mov_b32_e32 v2, 0
	v_cmp_ne_u16_sdwa s[8:9], v6, v2 src0_sel:BYTE_0 src1_sel:DWORD
	s_andn2_b64 s[4:5], s[4:5], exec
	s_and_b64 s[8:9], s[8:9], exec
	s_or_b64 s[4:5], s[4:5], s[8:9]
	s_or_b64 exec, exec, s[6:7]
	s_and_saveexec_b64 s[6:7], s[4:5]
	s_cbranch_execnz .LBB15_811
	s_branch .LBB15_812
.LBB15_2861:
	s_movk_i32 s4, 0x80
	v_cmp_eq_u16_sdwa s[12:13], v6, s4 src0_sel:BYTE_0 src1_sel:DWORD
	s_mov_b64 s[4:5], -1
                                        ; implicit-def: $sgpr10
	s_and_saveexec_b64 s[8:9], s[12:13]
; %bb.2862:
	s_mov_b32 s10, 0x7f800001
	s_xor_b64 s[4:5], exec, -1
; %bb.2863:
	s_or_b64 exec, exec, s[8:9]
	s_and_b64 s[4:5], s[4:5], exec
	s_or_saveexec_b64 s[6:7], s[6:7]
	v_mov_b32_e32 v12, s10
	s_xor_b64 exec, exec, s[6:7]
	s_cbranch_execz .LBB15_814
.LBB15_2864:
	v_mov_b32_e32 v12, 0
	v_cmp_ne_u16_sdwa s[8:9], v6, v12 src0_sel:BYTE_0 src1_sel:DWORD
	s_andn2_b64 s[4:5], s[4:5], exec
	s_and_b64 s[8:9], s[8:9], exec
	s_or_b64 s[4:5], s[4:5], s[8:9]
	s_or_b64 exec, exec, s[6:7]
	s_and_saveexec_b64 s[6:7], s[4:5]
	s_cbranch_execnz .LBB15_815
	s_branch .LBB15_816
.LBB15_2865:
	s_movk_i32 s4, 0x80
	v_cmp_eq_u16_e32 vcc, s4, v6
	s_mov_b64 s[4:5], -1
                                        ; implicit-def: $sgpr10
	s_and_saveexec_b64 s[8:9], vcc
; %bb.2866:
	s_mov_b32 s10, 0x7f800001
	s_xor_b64 s[4:5], exec, -1
; %bb.2867:
	s_or_b64 exec, exec, s[8:9]
	s_and_b64 s[4:5], s[4:5], exec
                                        ; implicit-def: $vgpr6
	s_or_saveexec_b64 s[6:7], s[6:7]
	v_mov_b32_e32 v2, s10
	s_xor_b64 exec, exec, s[6:7]
	s_cbranch_execz .LBB15_818
.LBB15_2868:
	v_cmp_ne_u16_e32 vcc, 0, v6
	s_andn2_b64 s[4:5], s[4:5], exec
	s_and_b64 s[8:9], vcc, exec
	v_mov_b32_e32 v2, 0
	s_or_b64 s[4:5], s[4:5], s[8:9]
	s_or_b64 exec, exec, s[6:7]
	s_and_saveexec_b64 s[6:7], s[4:5]
	s_cbranch_execnz .LBB15_819
	s_branch .LBB15_820
.LBB15_2869:
	s_movk_i32 s4, 0x80
	v_cmp_eq_u16_e32 vcc, s4, v6
	s_mov_b64 s[4:5], -1
                                        ; implicit-def: $sgpr10
	s_and_saveexec_b64 s[8:9], vcc
; %bb.2870:
	s_mov_b32 s10, 0x7f800001
	s_xor_b64 s[4:5], exec, -1
; %bb.2871:
	s_or_b64 exec, exec, s[8:9]
	s_and_b64 s[4:5], s[4:5], exec
                                        ; implicit-def: $vgpr6
	s_or_saveexec_b64 s[6:7], s[6:7]
	v_mov_b32_e32 v12, s10
	s_xor_b64 exec, exec, s[6:7]
	s_cbranch_execz .LBB15_822
.LBB15_2872:
	v_cmp_ne_u16_e32 vcc, 0, v6
	s_andn2_b64 s[4:5], s[4:5], exec
	s_and_b64 s[8:9], vcc, exec
	v_mov_b32_e32 v12, 0
	s_or_b64 s[4:5], s[4:5], s[8:9]
	s_or_b64 exec, exec, s[6:7]
	s_and_saveexec_b64 s[6:7], s[4:5]
	s_cbranch_execnz .LBB15_823
	s_branch .LBB15_824
.LBB15_2873:
	s_movk_i32 s4, 0x80
	v_cmp_eq_u16_sdwa s[12:13], v7, s4 src0_sel:BYTE_3 src1_sel:DWORD
	s_mov_b64 s[4:5], -1
                                        ; implicit-def: $sgpr10
	s_and_saveexec_b64 s[8:9], s[12:13]
; %bb.2874:
	s_mov_b32 s10, 0x7f800001
	s_xor_b64 s[4:5], exec, -1
; %bb.2875:
	s_or_b64 exec, exec, s[8:9]
	s_and_b64 s[4:5], s[4:5], exec
	s_or_saveexec_b64 s[6:7], s[6:7]
	v_mov_b32_e32 v2, s10
	s_xor_b64 exec, exec, s[6:7]
	s_cbranch_execz .LBB15_826
.LBB15_2876:
	v_mov_b32_e32 v2, 0
	v_cmp_ne_u16_sdwa s[8:9], v7, v2 src0_sel:BYTE_3 src1_sel:DWORD
	s_andn2_b64 s[4:5], s[4:5], exec
	s_and_b64 s[8:9], s[8:9], exec
	s_or_b64 s[4:5], s[4:5], s[8:9]
	s_or_b64 exec, exec, s[6:7]
	s_and_saveexec_b64 s[6:7], s[4:5]
	s_cbranch_execnz .LBB15_827
	s_branch .LBB15_828
.LBB15_2877:
	s_movk_i32 s4, 0x80
	v_cmp_eq_u16_sdwa s[12:13], v3, s4 src0_sel:BYTE_3 src1_sel:DWORD
	s_mov_b64 s[4:5], -1
                                        ; implicit-def: $sgpr10
	s_and_saveexec_b64 s[8:9], s[12:13]
; %bb.2878:
	s_mov_b32 s10, 0x7f800001
	s_xor_b64 s[4:5], exec, -1
; %bb.2879:
	s_or_b64 exec, exec, s[8:9]
	s_and_b64 s[4:5], s[4:5], exec
	s_or_saveexec_b64 s[6:7], s[6:7]
	v_mov_b32_e32 v6, s10
	s_xor_b64 exec, exec, s[6:7]
	s_cbranch_execz .LBB15_830
.LBB15_2880:
	v_mov_b32_e32 v6, 0
	v_cmp_ne_u16_sdwa s[8:9], v3, v6 src0_sel:BYTE_3 src1_sel:DWORD
	s_andn2_b64 s[4:5], s[4:5], exec
	s_and_b64 s[8:9], s[8:9], exec
	s_or_b64 s[4:5], s[4:5], s[8:9]
	s_or_b64 exec, exec, s[6:7]
	s_and_saveexec_b64 s[6:7], s[4:5]
	s_cbranch_execnz .LBB15_831
	s_branch .LBB15_832
.LBB15_2881:
	s_movk_i32 s4, 0x80
	v_cmp_eq_u16_sdwa s[12:13], v8, s4 src0_sel:BYTE_0 src1_sel:DWORD
	s_mov_b64 s[4:5], -1
                                        ; implicit-def: $sgpr10
	s_and_saveexec_b64 s[8:9], s[12:13]
; %bb.2882:
	s_mov_b32 s10, 0x7f800001
	s_xor_b64 s[4:5], exec, -1
; %bb.2883:
	s_or_b64 exec, exec, s[8:9]
	s_and_b64 s[4:5], s[4:5], exec
	s_or_saveexec_b64 s[6:7], s[6:7]
	v_mov_b32_e32 v2, s10
	s_xor_b64 exec, exec, s[6:7]
	s_cbranch_execz .LBB15_834
.LBB15_2884:
	v_mov_b32_e32 v2, 0
	v_cmp_ne_u16_sdwa s[8:9], v8, v2 src0_sel:BYTE_0 src1_sel:DWORD
	s_andn2_b64 s[4:5], s[4:5], exec
	s_and_b64 s[8:9], s[8:9], exec
	s_or_b64 s[4:5], s[4:5], s[8:9]
	s_or_b64 exec, exec, s[6:7]
	s_and_saveexec_b64 s[6:7], s[4:5]
	s_cbranch_execnz .LBB15_835
	s_branch .LBB15_836
.LBB15_2885:
	s_movk_i32 s4, 0x80
	v_cmp_eq_u16_sdwa s[12:13], v4, s4 src0_sel:BYTE_0 src1_sel:DWORD
	s_mov_b64 s[4:5], -1
                                        ; implicit-def: $sgpr10
	s_and_saveexec_b64 s[8:9], s[12:13]
; %bb.2886:
	s_mov_b32 s10, 0x7f800001
	s_xor_b64 s[4:5], exec, -1
; %bb.2887:
	s_or_b64 exec, exec, s[8:9]
	s_and_b64 s[4:5], s[4:5], exec
	s_or_saveexec_b64 s[6:7], s[6:7]
	v_mov_b32_e32 v3, s10
	s_xor_b64 exec, exec, s[6:7]
	s_cbranch_execz .LBB15_838
.LBB15_2888:
	v_mov_b32_e32 v3, 0
	v_cmp_ne_u16_sdwa s[8:9], v4, v3 src0_sel:BYTE_0 src1_sel:DWORD
	s_andn2_b64 s[4:5], s[4:5], exec
	s_and_b64 s[8:9], s[8:9], exec
	s_or_b64 s[4:5], s[4:5], s[8:9]
	s_or_b64 exec, exec, s[6:7]
	s_and_saveexec_b64 s[6:7], s[4:5]
	s_cbranch_execnz .LBB15_839
	s_branch .LBB15_840
.LBB15_2889:
	s_movk_i32 s4, 0x80
	v_cmp_eq_u16_sdwa s[12:13], v3, s4 src0_sel:BYTE_0 src1_sel:DWORD
	s_mov_b64 s[4:5], -1
                                        ; implicit-def: $sgpr10
	s_and_saveexec_b64 s[8:9], s[12:13]
; %bb.2890:
	s_mov_b32 s10, 0x7f800001
	s_xor_b64 s[4:5], exec, -1
; %bb.2891:
	s_or_b64 exec, exec, s[8:9]
	s_and_b64 s[4:5], s[4:5], exec
	s_or_saveexec_b64 s[6:7], s[6:7]
	v_mov_b32_e32 v2, s10
	s_xor_b64 exec, exec, s[6:7]
	s_cbranch_execz .LBB15_842
.LBB15_2892:
	v_mov_b32_e32 v2, 0
	v_cmp_ne_u16_sdwa s[8:9], v3, v2 src0_sel:BYTE_0 src1_sel:DWORD
	s_andn2_b64 s[4:5], s[4:5], exec
	s_and_b64 s[8:9], s[8:9], exec
	s_or_b64 s[4:5], s[4:5], s[8:9]
	s_or_b64 exec, exec, s[6:7]
	s_and_saveexec_b64 s[6:7], s[4:5]
	s_cbranch_execnz .LBB15_843
	s_branch .LBB15_844
.LBB15_2893:
	s_movk_i32 s4, 0x80
	v_cmp_eq_u16_sdwa s[12:13], v3, s4 src0_sel:BYTE_0 src1_sel:DWORD
	s_mov_b64 s[4:5], -1
                                        ; implicit-def: $sgpr10
	s_and_saveexec_b64 s[8:9], s[12:13]
; %bb.2894:
	s_mov_b32 s10, 0x7f800001
	s_xor_b64 s[4:5], exec, -1
; %bb.2895:
	s_or_b64 exec, exec, s[8:9]
	s_and_b64 s[4:5], s[4:5], exec
	s_or_saveexec_b64 s[6:7], s[6:7]
	v_mov_b32_e32 v6, s10
	s_xor_b64 exec, exec, s[6:7]
	s_cbranch_execz .LBB15_846
.LBB15_2896:
	v_mov_b32_e32 v6, 0
	v_cmp_ne_u16_sdwa s[8:9], v3, v6 src0_sel:BYTE_0 src1_sel:DWORD
	s_andn2_b64 s[4:5], s[4:5], exec
	s_and_b64 s[8:9], s[8:9], exec
	s_or_b64 s[4:5], s[4:5], s[8:9]
	s_or_b64 exec, exec, s[6:7]
	s_and_saveexec_b64 s[6:7], s[4:5]
	s_cbranch_execnz .LBB15_847
	s_branch .LBB15_848
.LBB15_2897:
	s_movk_i32 s4, 0x80
	v_cmp_eq_u16_e32 vcc, s4, v3
	s_mov_b64 s[4:5], -1
                                        ; implicit-def: $sgpr10
	s_and_saveexec_b64 s[8:9], vcc
; %bb.2898:
	s_mov_b32 s10, 0x7f800001
	s_xor_b64 s[4:5], exec, -1
; %bb.2899:
	s_or_b64 exec, exec, s[8:9]
	s_and_b64 s[4:5], s[4:5], exec
                                        ; implicit-def: $vgpr3
	s_or_saveexec_b64 s[6:7], s[6:7]
	v_mov_b32_e32 v2, s10
	s_xor_b64 exec, exec, s[6:7]
	s_cbranch_execz .LBB15_850
.LBB15_2900:
	v_cmp_ne_u16_e32 vcc, 0, v3
	s_andn2_b64 s[4:5], s[4:5], exec
	s_and_b64 s[8:9], vcc, exec
	v_mov_b32_e32 v2, 0
	s_or_b64 s[4:5], s[4:5], s[8:9]
	s_or_b64 exec, exec, s[6:7]
	s_and_saveexec_b64 s[6:7], s[4:5]
	s_cbranch_execnz .LBB15_851
	s_branch .LBB15_852
.LBB15_2901:
	s_movk_i32 s4, 0x80
	v_cmp_eq_u16_e32 vcc, s4, v3
	s_mov_b64 s[4:5], -1
                                        ; implicit-def: $sgpr10
	s_and_saveexec_b64 s[8:9], vcc
; %bb.2902:
	s_mov_b32 s10, 0x7f800001
	s_xor_b64 s[4:5], exec, -1
; %bb.2903:
	s_or_b64 exec, exec, s[8:9]
	s_and_b64 s[4:5], s[4:5], exec
                                        ; implicit-def: $vgpr3
	s_or_saveexec_b64 s[6:7], s[6:7]
	v_mov_b32_e32 v6, s10
	s_xor_b64 exec, exec, s[6:7]
	s_cbranch_execz .LBB15_854
.LBB15_2904:
	v_cmp_ne_u16_e32 vcc, 0, v3
	s_andn2_b64 s[4:5], s[4:5], exec
	s_and_b64 s[8:9], vcc, exec
	v_mov_b32_e32 v6, 0
	s_or_b64 s[4:5], s[4:5], s[8:9]
	s_or_b64 exec, exec, s[6:7]
	s_and_saveexec_b64 s[6:7], s[4:5]
	s_cbranch_execnz .LBB15_855
	s_branch .LBB15_856
.LBB15_2905:
	s_movk_i32 s4, 0x80
	v_cmp_eq_u16_sdwa s[12:13], v8, s4 src0_sel:BYTE_3 src1_sel:DWORD
	s_mov_b64 s[4:5], -1
                                        ; implicit-def: $sgpr10
	s_and_saveexec_b64 s[8:9], s[12:13]
; %bb.2906:
	s_mov_b32 s10, 0x7f800001
	s_xor_b64 s[4:5], exec, -1
; %bb.2907:
	s_or_b64 exec, exec, s[8:9]
	s_and_b64 s[4:5], s[4:5], exec
	s_or_saveexec_b64 s[6:7], s[6:7]
	v_mov_b32_e32 v2, s10
	s_xor_b64 exec, exec, s[6:7]
	s_cbranch_execz .LBB15_858
.LBB15_2908:
	v_mov_b32_e32 v2, 0
	v_cmp_ne_u16_sdwa s[8:9], v8, v2 src0_sel:BYTE_3 src1_sel:DWORD
	s_andn2_b64 s[4:5], s[4:5], exec
	s_and_b64 s[8:9], s[8:9], exec
	s_or_b64 s[4:5], s[4:5], s[8:9]
	s_or_b64 exec, exec, s[6:7]
	s_and_saveexec_b64 s[6:7], s[4:5]
	s_cbranch_execnz .LBB15_859
	s_branch .LBB15_860
.LBB15_2909:
	s_movk_i32 s4, 0x80
	v_cmp_eq_u16_sdwa s[12:13], v4, s4 src0_sel:BYTE_3 src1_sel:DWORD
	s_mov_b64 s[4:5], -1
                                        ; implicit-def: $sgpr10
	s_and_saveexec_b64 s[8:9], s[12:13]
; %bb.2910:
	s_mov_b32 s10, 0x7f800001
	s_xor_b64 s[4:5], exec, -1
; %bb.2911:
	s_or_b64 exec, exec, s[8:9]
	s_and_b64 s[4:5], s[4:5], exec
	s_or_saveexec_b64 s[6:7], s[6:7]
	v_mov_b32_e32 v3, s10
	s_xor_b64 exec, exec, s[6:7]
	s_cbranch_execz .LBB15_862
.LBB15_2912:
	v_mov_b32_e32 v3, 0
	v_cmp_ne_u16_sdwa s[8:9], v4, v3 src0_sel:BYTE_3 src1_sel:DWORD
	s_andn2_b64 s[4:5], s[4:5], exec
	s_and_b64 s[8:9], s[8:9], exec
	s_or_b64 s[4:5], s[4:5], s[8:9]
	s_or_b64 exec, exec, s[6:7]
	s_and_saveexec_b64 s[6:7], s[4:5]
	s_cbranch_execnz .LBB15_863
	s_branch .LBB15_864
.LBB15_2913:
	s_movk_i32 s4, 0x80
	v_cmp_eq_u16_sdwa s[12:13], v9, s4 src0_sel:BYTE_0 src1_sel:DWORD
	s_mov_b64 s[4:5], -1
                                        ; implicit-def: $sgpr10
	s_and_saveexec_b64 s[8:9], s[12:13]
; %bb.2914:
	s_mov_b32 s10, 0x7f800001
	s_xor_b64 s[4:5], exec, -1
; %bb.2915:
	s_or_b64 exec, exec, s[8:9]
	s_and_b64 s[4:5], s[4:5], exec
	s_or_saveexec_b64 s[6:7], s[6:7]
	v_mov_b32_e32 v2, s10
	s_xor_b64 exec, exec, s[6:7]
	s_cbranch_execz .LBB15_866
.LBB15_2916:
	v_mov_b32_e32 v2, 0
	v_cmp_ne_u16_sdwa s[8:9], v9, v2 src0_sel:BYTE_0 src1_sel:DWORD
	s_andn2_b64 s[4:5], s[4:5], exec
	s_and_b64 s[8:9], s[8:9], exec
	s_or_b64 s[4:5], s[4:5], s[8:9]
	s_or_b64 exec, exec, s[6:7]
	s_and_saveexec_b64 s[6:7], s[4:5]
	s_cbranch_execnz .LBB15_867
	s_branch .LBB15_868
.LBB15_2917:
	s_movk_i32 s4, 0x80
	v_cmp_eq_u16_sdwa s[12:13], v5, s4 src0_sel:BYTE_0 src1_sel:DWORD
	s_mov_b64 s[4:5], -1
                                        ; implicit-def: $sgpr10
	s_and_saveexec_b64 s[8:9], s[12:13]
; %bb.2918:
	s_mov_b32 s10, 0x7f800001
	s_xor_b64 s[4:5], exec, -1
; %bb.2919:
	s_or_b64 exec, exec, s[8:9]
	s_and_b64 s[4:5], s[4:5], exec
	s_or_saveexec_b64 s[6:7], s[6:7]
	v_mov_b32_e32 v3, s10
	s_xor_b64 exec, exec, s[6:7]
	s_cbranch_execz .LBB15_870
.LBB15_2920:
	v_mov_b32_e32 v3, 0
	v_cmp_ne_u16_sdwa s[8:9], v5, v3 src0_sel:BYTE_0 src1_sel:DWORD
	s_andn2_b64 s[4:5], s[4:5], exec
	s_and_b64 s[8:9], s[8:9], exec
	s_or_b64 s[4:5], s[4:5], s[8:9]
	s_or_b64 exec, exec, s[6:7]
	s_and_saveexec_b64 s[6:7], s[4:5]
	s_cbranch_execnz .LBB15_871
	s_branch .LBB15_872
.LBB15_2921:
	s_movk_i32 s4, 0x80
	v_cmp_eq_u16_sdwa s[12:13], v3, s4 src0_sel:BYTE_0 src1_sel:DWORD
	s_mov_b64 s[4:5], -1
                                        ; implicit-def: $sgpr10
	s_and_saveexec_b64 s[8:9], s[12:13]
; %bb.2922:
	s_mov_b32 s10, 0x7f800001
	s_xor_b64 s[4:5], exec, -1
; %bb.2923:
	s_or_b64 exec, exec, s[8:9]
	s_and_b64 s[4:5], s[4:5], exec
	s_or_saveexec_b64 s[6:7], s[6:7]
	v_mov_b32_e32 v2, s10
	s_xor_b64 exec, exec, s[6:7]
	s_cbranch_execz .LBB15_874
.LBB15_2924:
	v_mov_b32_e32 v2, 0
	v_cmp_ne_u16_sdwa s[8:9], v3, v2 src0_sel:BYTE_0 src1_sel:DWORD
	s_andn2_b64 s[4:5], s[4:5], exec
	s_and_b64 s[8:9], s[8:9], exec
	s_or_b64 s[4:5], s[4:5], s[8:9]
	s_or_b64 exec, exec, s[6:7]
	s_and_saveexec_b64 s[6:7], s[4:5]
	s_cbranch_execnz .LBB15_875
	s_branch .LBB15_876
.LBB15_2925:
	s_movk_i32 s4, 0x80
	v_cmp_eq_u16_sdwa s[12:13], v3, s4 src0_sel:BYTE_0 src1_sel:DWORD
	s_mov_b64 s[4:5], -1
                                        ; implicit-def: $sgpr10
	s_and_saveexec_b64 s[8:9], s[12:13]
; %bb.2926:
	s_mov_b32 s10, 0x7f800001
	s_xor_b64 s[4:5], exec, -1
; %bb.2927:
	s_or_b64 exec, exec, s[8:9]
	s_and_b64 s[4:5], s[4:5], exec
	s_or_saveexec_b64 s[6:7], s[6:7]
	v_mov_b32_e32 v4, s10
	s_xor_b64 exec, exec, s[6:7]
	s_cbranch_execz .LBB15_878
.LBB15_2928:
	v_mov_b32_e32 v4, 0
	v_cmp_ne_u16_sdwa s[8:9], v3, v4 src0_sel:BYTE_0 src1_sel:DWORD
	s_andn2_b64 s[4:5], s[4:5], exec
	s_and_b64 s[8:9], s[8:9], exec
	s_or_b64 s[4:5], s[4:5], s[8:9]
	s_or_b64 exec, exec, s[6:7]
	s_and_saveexec_b64 s[6:7], s[4:5]
	s_cbranch_execnz .LBB15_879
	s_branch .LBB15_880
.LBB15_2929:
	s_movk_i32 s4, 0x80
	v_cmp_eq_u16_e32 vcc, s4, v3
	s_mov_b64 s[4:5], -1
                                        ; implicit-def: $sgpr10
	s_and_saveexec_b64 s[8:9], vcc
; %bb.2930:
	s_mov_b32 s10, 0x7f800001
	s_xor_b64 s[4:5], exec, -1
; %bb.2931:
	s_or_b64 exec, exec, s[8:9]
	s_and_b64 s[4:5], s[4:5], exec
                                        ; implicit-def: $vgpr3
	s_or_saveexec_b64 s[6:7], s[6:7]
	v_mov_b32_e32 v2, s10
	s_xor_b64 exec, exec, s[6:7]
	s_cbranch_execz .LBB15_882
.LBB15_2932:
	v_cmp_ne_u16_e32 vcc, 0, v3
	s_andn2_b64 s[4:5], s[4:5], exec
	s_and_b64 s[8:9], vcc, exec
	v_mov_b32_e32 v2, 0
	s_or_b64 s[4:5], s[4:5], s[8:9]
	s_or_b64 exec, exec, s[6:7]
	s_and_saveexec_b64 s[6:7], s[4:5]
	s_cbranch_execnz .LBB15_883
	s_branch .LBB15_884
.LBB15_2933:
	s_movk_i32 s4, 0x80
	v_cmp_eq_u16_e32 vcc, s4, v3
	s_mov_b64 s[4:5], -1
                                        ; implicit-def: $sgpr10
	s_and_saveexec_b64 s[8:9], vcc
; %bb.2934:
	s_mov_b32 s10, 0x7f800001
	s_xor_b64 s[4:5], exec, -1
; %bb.2935:
	s_or_b64 exec, exec, s[8:9]
	s_and_b64 s[4:5], s[4:5], exec
                                        ; implicit-def: $vgpr3
	s_or_saveexec_b64 s[6:7], s[6:7]
	v_mov_b32_e32 v4, s10
	s_xor_b64 exec, exec, s[6:7]
	s_cbranch_execz .LBB15_886
.LBB15_2936:
	v_cmp_ne_u16_e32 vcc, 0, v3
	s_andn2_b64 s[4:5], s[4:5], exec
	s_and_b64 s[8:9], vcc, exec
	v_mov_b32_e32 v4, 0
	s_or_b64 s[4:5], s[4:5], s[8:9]
	s_or_b64 exec, exec, s[6:7]
	s_and_saveexec_b64 s[6:7], s[4:5]
	s_cbranch_execnz .LBB15_887
	s_branch .LBB15_888
.LBB15_2937:
	s_movk_i32 s4, 0x80
	v_cmp_eq_u16_sdwa s[12:13], v9, s4 src0_sel:BYTE_3 src1_sel:DWORD
	s_mov_b64 s[4:5], -1
                                        ; implicit-def: $sgpr10
	s_and_saveexec_b64 s[8:9], s[12:13]
; %bb.2938:
	s_mov_b32 s10, 0x7f800001
	s_xor_b64 s[4:5], exec, -1
; %bb.2939:
	s_or_b64 exec, exec, s[8:9]
	s_and_b64 s[4:5], s[4:5], exec
	s_or_saveexec_b64 s[6:7], s[6:7]
	v_mov_b32_e32 v2, s10
	s_xor_b64 exec, exec, s[6:7]
	s_cbranch_execz .LBB15_890
.LBB15_2940:
	v_mov_b32_e32 v2, 0
	v_cmp_ne_u16_sdwa s[8:9], v9, v2 src0_sel:BYTE_3 src1_sel:DWORD
	s_andn2_b64 s[4:5], s[4:5], exec
	s_and_b64 s[8:9], s[8:9], exec
	s_or_b64 s[4:5], s[4:5], s[8:9]
	s_or_b64 exec, exec, s[6:7]
	s_and_saveexec_b64 s[6:7], s[4:5]
	s_cbranch_execnz .LBB15_891
	s_branch .LBB15_892
.LBB15_2941:
	s_movk_i32 s4, 0x80
	v_cmp_eq_u16_sdwa s[12:13], v5, s4 src0_sel:BYTE_3 src1_sel:DWORD
	s_mov_b64 s[4:5], -1
                                        ; implicit-def: $sgpr10
	s_and_saveexec_b64 s[8:9], s[12:13]
; %bb.2942:
	s_mov_b32 s10, 0x7f800001
	s_xor_b64 s[4:5], exec, -1
; %bb.2943:
	s_or_b64 exec, exec, s[8:9]
	s_and_b64 s[4:5], s[4:5], exec
	s_or_saveexec_b64 s[6:7], s[6:7]
	v_mov_b32_e32 v3, s10
	s_xor_b64 exec, exec, s[6:7]
	s_cbranch_execz .LBB15_894
.LBB15_2944:
	v_mov_b32_e32 v3, 0
	v_cmp_ne_u16_sdwa s[8:9], v5, v3 src0_sel:BYTE_3 src1_sel:DWORD
	s_andn2_b64 s[4:5], s[4:5], exec
	s_and_b64 s[8:9], s[8:9], exec
	s_or_b64 s[4:5], s[4:5], s[8:9]
	s_or_b64 exec, exec, s[6:7]
	s_and_saveexec_b64 s[6:7], s[4:5]
	s_cbranch_execnz .LBB15_895
	s_branch .LBB15_896
.LBB15_2945:
	s_movk_i32 s4, 0x80
	v_cmp_eq_u16_sdwa s[12:13], v6, s4 src0_sel:BYTE_0 src1_sel:DWORD
	s_mov_b64 s[4:5], -1
                                        ; implicit-def: $sgpr10
	s_and_saveexec_b64 s[8:9], s[12:13]
; %bb.2946:
	s_mov_b32 s10, 0x7f800001
	s_xor_b64 s[4:5], exec, -1
; %bb.2947:
	s_or_b64 exec, exec, s[8:9]
	s_and_b64 s[4:5], s[4:5], exec
	s_or_saveexec_b64 s[6:7], s[6:7]
	v_mov_b32_e32 v12, s10
	s_xor_b64 exec, exec, s[6:7]
	s_cbranch_execz .LBB15_898
.LBB15_2948:
	v_mov_b32_e32 v12, 0
	v_cmp_ne_u16_sdwa s[8:9], v6, v12 src0_sel:BYTE_0 src1_sel:DWORD
	s_andn2_b64 s[4:5], s[4:5], exec
	s_and_b64 s[8:9], s[8:9], exec
	s_or_b64 s[4:5], s[4:5], s[8:9]
	s_or_b64 exec, exec, s[6:7]
	s_and_saveexec_b64 s[6:7], s[4:5]
	s_cbranch_execnz .LBB15_899
	s_branch .LBB15_900
.LBB15_2949:
	s_movk_i32 s4, 0x80
	v_cmp_eq_u16_sdwa s[12:13], v2, s4 src0_sel:BYTE_0 src1_sel:DWORD
	s_mov_b64 s[4:5], -1
                                        ; implicit-def: $sgpr10
	s_and_saveexec_b64 s[8:9], s[12:13]
; %bb.2950:
	s_mov_b32 s10, 0x7f800001
	s_xor_b64 s[4:5], exec, -1
; %bb.2951:
	s_or_b64 exec, exec, s[8:9]
	s_and_b64 s[4:5], s[4:5], exec
	s_or_saveexec_b64 s[6:7], s[6:7]
	v_mov_b32_e32 v13, s10
	s_xor_b64 exec, exec, s[6:7]
	s_cbranch_execz .LBB15_902
.LBB15_2952:
	v_mov_b32_e32 v13, 0
	v_cmp_ne_u16_sdwa s[8:9], v2, v13 src0_sel:BYTE_0 src1_sel:DWORD
	s_andn2_b64 s[4:5], s[4:5], exec
	s_and_b64 s[8:9], s[8:9], exec
	s_or_b64 s[4:5], s[4:5], s[8:9]
	s_or_b64 exec, exec, s[6:7]
	s_and_saveexec_b64 s[6:7], s[4:5]
	s_cbranch_execnz .LBB15_903
	s_branch .LBB15_904
.LBB15_2953:
	s_movk_i32 s4, 0x80
	v_cmp_eq_u16_sdwa s[12:13], v13, s4 src0_sel:BYTE_0 src1_sel:DWORD
	s_mov_b64 s[4:5], -1
                                        ; implicit-def: $sgpr10
	s_and_saveexec_b64 s[8:9], s[12:13]
; %bb.2954:
	s_mov_b32 s10, 0x7f800001
	s_xor_b64 s[4:5], exec, -1
; %bb.2955:
	s_or_b64 exec, exec, s[8:9]
	s_and_b64 s[4:5], s[4:5], exec
	s_or_saveexec_b64 s[6:7], s[6:7]
	v_mov_b32_e32 v12, s10
	s_xor_b64 exec, exec, s[6:7]
	s_cbranch_execz .LBB15_906
.LBB15_2956:
	v_mov_b32_e32 v12, 0
	v_cmp_ne_u16_sdwa s[8:9], v13, v12 src0_sel:BYTE_0 src1_sel:DWORD
	s_andn2_b64 s[4:5], s[4:5], exec
	s_and_b64 s[8:9], s[8:9], exec
	s_or_b64 s[4:5], s[4:5], s[8:9]
	s_or_b64 exec, exec, s[6:7]
	s_and_saveexec_b64 s[6:7], s[4:5]
	s_cbranch_execnz .LBB15_907
	s_branch .LBB15_908
.LBB15_2957:
	s_movk_i32 s4, 0x80
	v_cmp_eq_u16_sdwa s[12:13], v13, s4 src0_sel:BYTE_0 src1_sel:DWORD
	s_mov_b64 s[4:5], -1
                                        ; implicit-def: $sgpr10
	s_and_saveexec_b64 s[8:9], s[12:13]
; %bb.2958:
	s_mov_b32 s10, 0x7f800001
	s_xor_b64 s[4:5], exec, -1
; %bb.2959:
	s_or_b64 exec, exec, s[8:9]
	s_and_b64 s[4:5], s[4:5], exec
	s_or_saveexec_b64 s[6:7], s[6:7]
	v_mov_b32_e32 v14, s10
	s_xor_b64 exec, exec, s[6:7]
	s_cbranch_execz .LBB15_910
.LBB15_2960:
	v_mov_b32_e32 v14, 0
	v_cmp_ne_u16_sdwa s[8:9], v13, v14 src0_sel:BYTE_0 src1_sel:DWORD
	s_andn2_b64 s[4:5], s[4:5], exec
	s_and_b64 s[8:9], s[8:9], exec
	s_or_b64 s[4:5], s[4:5], s[8:9]
	s_or_b64 exec, exec, s[6:7]
	s_and_saveexec_b64 s[6:7], s[4:5]
	s_cbranch_execnz .LBB15_911
	s_branch .LBB15_912
.LBB15_2961:
	s_movk_i32 s4, 0x80
	v_cmp_eq_u16_e32 vcc, s4, v13
	s_mov_b64 s[4:5], -1
                                        ; implicit-def: $sgpr10
	s_and_saveexec_b64 s[8:9], vcc
; %bb.2962:
	s_mov_b32 s10, 0x7f800001
	s_xor_b64 s[4:5], exec, -1
; %bb.2963:
	s_or_b64 exec, exec, s[8:9]
	s_and_b64 s[4:5], s[4:5], exec
                                        ; implicit-def: $vgpr13
	s_or_saveexec_b64 s[6:7], s[6:7]
	v_mov_b32_e32 v12, s10
	s_xor_b64 exec, exec, s[6:7]
	s_cbranch_execz .LBB15_914
.LBB15_2964:
	v_cmp_ne_u16_e32 vcc, 0, v13
	s_andn2_b64 s[4:5], s[4:5], exec
	s_and_b64 s[8:9], vcc, exec
	v_mov_b32_e32 v12, 0
	s_or_b64 s[4:5], s[4:5], s[8:9]
	s_or_b64 exec, exec, s[6:7]
	s_and_saveexec_b64 s[6:7], s[4:5]
	s_cbranch_execnz .LBB15_915
	s_branch .LBB15_916
.LBB15_2965:
	s_movk_i32 s4, 0x80
	v_cmp_eq_u16_e32 vcc, s4, v13
	s_mov_b64 s[4:5], -1
                                        ; implicit-def: $sgpr10
	s_and_saveexec_b64 s[8:9], vcc
; %bb.2966:
	s_mov_b32 s10, 0x7f800001
	s_xor_b64 s[4:5], exec, -1
; %bb.2967:
	s_or_b64 exec, exec, s[8:9]
	s_and_b64 s[4:5], s[4:5], exec
                                        ; implicit-def: $vgpr13
	s_or_saveexec_b64 s[6:7], s[6:7]
	v_mov_b32_e32 v14, s10
	s_xor_b64 exec, exec, s[6:7]
	s_cbranch_execz .LBB15_918
.LBB15_2968:
	v_cmp_ne_u16_e32 vcc, 0, v13
	s_andn2_b64 s[4:5], s[4:5], exec
	s_and_b64 s[8:9], vcc, exec
	v_mov_b32_e32 v14, 0
	s_or_b64 s[4:5], s[4:5], s[8:9]
	s_or_b64 exec, exec, s[6:7]
	s_and_saveexec_b64 s[6:7], s[4:5]
	s_cbranch_execnz .LBB15_919
	s_branch .LBB15_920
.LBB15_2969:
	s_movk_i32 s4, 0x80
	v_cmp_eq_u16_sdwa s[12:13], v6, s4 src0_sel:BYTE_3 src1_sel:DWORD
	s_mov_b64 s[4:5], -1
                                        ; implicit-def: $sgpr10
	s_and_saveexec_b64 s[8:9], s[12:13]
; %bb.2970:
	s_mov_b32 s10, 0x7f800001
	s_xor_b64 s[4:5], exec, -1
; %bb.2971:
	s_or_b64 exec, exec, s[8:9]
	s_and_b64 s[4:5], s[4:5], exec
	s_or_saveexec_b64 s[6:7], s[6:7]
	v_mov_b32_e32 v12, s10
	s_xor_b64 exec, exec, s[6:7]
	s_cbranch_execz .LBB15_922
.LBB15_2972:
	v_mov_b32_e32 v12, 0
	v_cmp_ne_u16_sdwa s[8:9], v6, v12 src0_sel:BYTE_3 src1_sel:DWORD
	s_andn2_b64 s[4:5], s[4:5], exec
	s_and_b64 s[8:9], s[8:9], exec
	s_or_b64 s[4:5], s[4:5], s[8:9]
	s_or_b64 exec, exec, s[6:7]
	s_and_saveexec_b64 s[6:7], s[4:5]
	s_cbranch_execnz .LBB15_923
	s_branch .LBB15_924
.LBB15_2973:
	s_movk_i32 s4, 0x80
	v_cmp_eq_u16_sdwa s[12:13], v2, s4 src0_sel:BYTE_3 src1_sel:DWORD
	s_mov_b64 s[4:5], -1
                                        ; implicit-def: $sgpr10
	s_and_saveexec_b64 s[8:9], s[12:13]
; %bb.2974:
	s_mov_b32 s10, 0x7f800001
	s_xor_b64 s[4:5], exec, -1
; %bb.2975:
	s_or_b64 exec, exec, s[8:9]
	s_and_b64 s[4:5], s[4:5], exec
	s_or_saveexec_b64 s[6:7], s[6:7]
	v_mov_b32_e32 v6, s10
	s_xor_b64 exec, exec, s[6:7]
	s_cbranch_execz .LBB15_926
.LBB15_2976:
	v_mov_b32_e32 v6, 0
	v_cmp_ne_u16_sdwa s[8:9], v2, v6 src0_sel:BYTE_3 src1_sel:DWORD
	s_andn2_b64 s[4:5], s[4:5], exec
	s_and_b64 s[8:9], s[8:9], exec
	s_or_b64 s[4:5], s[4:5], s[8:9]
	s_or_b64 exec, exec, s[6:7]
	s_and_saveexec_b64 s[6:7], s[4:5]
	s_cbranch_execnz .LBB15_927
	s_branch .LBB15_928
.LBB15_2977:
	s_movk_i32 s4, 0x80
	v_cmp_eq_u16_sdwa s[12:13], v7, s4 src0_sel:BYTE_0 src1_sel:DWORD
	s_mov_b64 s[4:5], -1
                                        ; implicit-def: $sgpr10
	s_and_saveexec_b64 s[8:9], s[12:13]
; %bb.2978:
	s_mov_b32 s10, 0x7f800001
	s_xor_b64 s[4:5], exec, -1
; %bb.2979:
	s_or_b64 exec, exec, s[8:9]
	s_and_b64 s[4:5], s[4:5], exec
	s_or_saveexec_b64 s[6:7], s[6:7]
	v_mov_b32_e32 v2, s10
	s_xor_b64 exec, exec, s[6:7]
	s_cbranch_execz .LBB15_930
.LBB15_2980:
	v_mov_b32_e32 v2, 0
	v_cmp_ne_u16_sdwa s[8:9], v7, v2 src0_sel:BYTE_0 src1_sel:DWORD
	s_andn2_b64 s[4:5], s[4:5], exec
	s_and_b64 s[8:9], s[8:9], exec
	s_or_b64 s[4:5], s[4:5], s[8:9]
	s_or_b64 exec, exec, s[6:7]
	s_and_saveexec_b64 s[6:7], s[4:5]
	s_cbranch_execnz .LBB15_931
	s_branch .LBB15_932
.LBB15_2981:
	s_movk_i32 s4, 0x80
	v_cmp_eq_u16_sdwa s[12:13], v3, s4 src0_sel:BYTE_0 src1_sel:DWORD
	s_mov_b64 s[4:5], -1
                                        ; implicit-def: $sgpr10
	s_and_saveexec_b64 s[8:9], s[12:13]
; %bb.2982:
	s_mov_b32 s10, 0x7f800001
	s_xor_b64 s[4:5], exec, -1
; %bb.2983:
	s_or_b64 exec, exec, s[8:9]
	s_and_b64 s[4:5], s[4:5], exec
	s_or_saveexec_b64 s[6:7], s[6:7]
	v_mov_b32_e32 v6, s10
	s_xor_b64 exec, exec, s[6:7]
	s_cbranch_execz .LBB15_934
.LBB15_2984:
	v_mov_b32_e32 v6, 0
	v_cmp_ne_u16_sdwa s[8:9], v3, v6 src0_sel:BYTE_0 src1_sel:DWORD
	s_andn2_b64 s[4:5], s[4:5], exec
	s_and_b64 s[8:9], s[8:9], exec
	s_or_b64 s[4:5], s[4:5], s[8:9]
	s_or_b64 exec, exec, s[6:7]
	s_and_saveexec_b64 s[6:7], s[4:5]
	s_cbranch_execnz .LBB15_935
	s_branch .LBB15_936
.LBB15_2985:
	s_movk_i32 s4, 0x80
	v_cmp_eq_u16_sdwa s[12:13], v6, s4 src0_sel:BYTE_0 src1_sel:DWORD
	s_mov_b64 s[4:5], -1
                                        ; implicit-def: $sgpr10
	s_and_saveexec_b64 s[8:9], s[12:13]
; %bb.2986:
	s_mov_b32 s10, 0x7f800001
	s_xor_b64 s[4:5], exec, -1
; %bb.2987:
	s_or_b64 exec, exec, s[8:9]
	s_and_b64 s[4:5], s[4:5], exec
	s_or_saveexec_b64 s[6:7], s[6:7]
	v_mov_b32_e32 v2, s10
	s_xor_b64 exec, exec, s[6:7]
	s_cbranch_execz .LBB15_938
.LBB15_2988:
	v_mov_b32_e32 v2, 0
	v_cmp_ne_u16_sdwa s[8:9], v6, v2 src0_sel:BYTE_0 src1_sel:DWORD
	s_andn2_b64 s[4:5], s[4:5], exec
	s_and_b64 s[8:9], s[8:9], exec
	s_or_b64 s[4:5], s[4:5], s[8:9]
	s_or_b64 exec, exec, s[6:7]
	s_and_saveexec_b64 s[6:7], s[4:5]
	s_cbranch_execnz .LBB15_939
	s_branch .LBB15_940
.LBB15_2989:
	s_movk_i32 s4, 0x80
	v_cmp_eq_u16_sdwa s[12:13], v6, s4 src0_sel:BYTE_0 src1_sel:DWORD
	s_mov_b64 s[4:5], -1
                                        ; implicit-def: $sgpr10
	s_and_saveexec_b64 s[8:9], s[12:13]
; %bb.2990:
	s_mov_b32 s10, 0x7f800001
	s_xor_b64 s[4:5], exec, -1
; %bb.2991:
	s_or_b64 exec, exec, s[8:9]
	s_and_b64 s[4:5], s[4:5], exec
	s_or_saveexec_b64 s[6:7], s[6:7]
	v_mov_b32_e32 v12, s10
	s_xor_b64 exec, exec, s[6:7]
	s_cbranch_execz .LBB15_942
.LBB15_2992:
	v_mov_b32_e32 v12, 0
	v_cmp_ne_u16_sdwa s[8:9], v6, v12 src0_sel:BYTE_0 src1_sel:DWORD
	s_andn2_b64 s[4:5], s[4:5], exec
	s_and_b64 s[8:9], s[8:9], exec
	s_or_b64 s[4:5], s[4:5], s[8:9]
	s_or_b64 exec, exec, s[6:7]
	s_and_saveexec_b64 s[6:7], s[4:5]
	s_cbranch_execnz .LBB15_943
	s_branch .LBB15_944
.LBB15_2993:
	s_movk_i32 s4, 0x80
	v_cmp_eq_u16_e32 vcc, s4, v6
	s_mov_b64 s[4:5], -1
                                        ; implicit-def: $sgpr10
	s_and_saveexec_b64 s[8:9], vcc
; %bb.2994:
	s_mov_b32 s10, 0x7f800001
	s_xor_b64 s[4:5], exec, -1
; %bb.2995:
	s_or_b64 exec, exec, s[8:9]
	s_and_b64 s[4:5], s[4:5], exec
                                        ; implicit-def: $vgpr6
	s_or_saveexec_b64 s[6:7], s[6:7]
	v_mov_b32_e32 v2, s10
	s_xor_b64 exec, exec, s[6:7]
	s_cbranch_execz .LBB15_946
.LBB15_2996:
	v_cmp_ne_u16_e32 vcc, 0, v6
	s_andn2_b64 s[4:5], s[4:5], exec
	s_and_b64 s[8:9], vcc, exec
	v_mov_b32_e32 v2, 0
	s_or_b64 s[4:5], s[4:5], s[8:9]
	s_or_b64 exec, exec, s[6:7]
	s_and_saveexec_b64 s[6:7], s[4:5]
	s_cbranch_execnz .LBB15_947
	s_branch .LBB15_948
.LBB15_2997:
	s_movk_i32 s4, 0x80
	v_cmp_eq_u16_e32 vcc, s4, v6
	s_mov_b64 s[4:5], -1
                                        ; implicit-def: $sgpr10
	s_and_saveexec_b64 s[8:9], vcc
; %bb.2998:
	s_mov_b32 s10, 0x7f800001
	s_xor_b64 s[4:5], exec, -1
; %bb.2999:
	s_or_b64 exec, exec, s[8:9]
	s_and_b64 s[4:5], s[4:5], exec
                                        ; implicit-def: $vgpr6
	s_or_saveexec_b64 s[6:7], s[6:7]
	v_mov_b32_e32 v12, s10
	s_xor_b64 exec, exec, s[6:7]
	s_cbranch_execz .LBB15_950
.LBB15_3000:
	v_cmp_ne_u16_e32 vcc, 0, v6
	s_andn2_b64 s[4:5], s[4:5], exec
	s_and_b64 s[8:9], vcc, exec
	v_mov_b32_e32 v12, 0
	s_or_b64 s[4:5], s[4:5], s[8:9]
	s_or_b64 exec, exec, s[6:7]
	s_and_saveexec_b64 s[6:7], s[4:5]
	s_cbranch_execnz .LBB15_951
	s_branch .LBB15_952
.LBB15_3001:
	s_movk_i32 s4, 0x80
	v_cmp_eq_u16_sdwa s[12:13], v7, s4 src0_sel:BYTE_3 src1_sel:DWORD
	s_mov_b64 s[4:5], -1
                                        ; implicit-def: $sgpr10
	s_and_saveexec_b64 s[8:9], s[12:13]
; %bb.3002:
	s_mov_b32 s10, 0x7f800001
	s_xor_b64 s[4:5], exec, -1
; %bb.3003:
	s_or_b64 exec, exec, s[8:9]
	s_and_b64 s[4:5], s[4:5], exec
	s_or_saveexec_b64 s[6:7], s[6:7]
	v_mov_b32_e32 v2, s10
	s_xor_b64 exec, exec, s[6:7]
	s_cbranch_execz .LBB15_954
.LBB15_3004:
	v_mov_b32_e32 v2, 0
	v_cmp_ne_u16_sdwa s[8:9], v7, v2 src0_sel:BYTE_3 src1_sel:DWORD
	s_andn2_b64 s[4:5], s[4:5], exec
	s_and_b64 s[8:9], s[8:9], exec
	s_or_b64 s[4:5], s[4:5], s[8:9]
	s_or_b64 exec, exec, s[6:7]
	s_and_saveexec_b64 s[6:7], s[4:5]
	s_cbranch_execnz .LBB15_955
	s_branch .LBB15_956
.LBB15_3005:
	s_movk_i32 s4, 0x80
	v_cmp_eq_u16_sdwa s[12:13], v3, s4 src0_sel:BYTE_3 src1_sel:DWORD
	s_mov_b64 s[4:5], -1
                                        ; implicit-def: $sgpr10
	s_and_saveexec_b64 s[8:9], s[12:13]
; %bb.3006:
	s_mov_b32 s10, 0x7f800001
	s_xor_b64 s[4:5], exec, -1
; %bb.3007:
	s_or_b64 exec, exec, s[8:9]
	s_and_b64 s[4:5], s[4:5], exec
	s_or_saveexec_b64 s[6:7], s[6:7]
	v_mov_b32_e32 v6, s10
	s_xor_b64 exec, exec, s[6:7]
	s_cbranch_execz .LBB15_958
.LBB15_3008:
	v_mov_b32_e32 v6, 0
	v_cmp_ne_u16_sdwa s[8:9], v3, v6 src0_sel:BYTE_3 src1_sel:DWORD
	s_andn2_b64 s[4:5], s[4:5], exec
	s_and_b64 s[8:9], s[8:9], exec
	s_or_b64 s[4:5], s[4:5], s[8:9]
	s_or_b64 exec, exec, s[6:7]
	s_and_saveexec_b64 s[6:7], s[4:5]
	s_cbranch_execnz .LBB15_959
	s_branch .LBB15_960
.LBB15_3009:
	s_movk_i32 s4, 0x80
	v_cmp_eq_u16_sdwa s[12:13], v8, s4 src0_sel:BYTE_0 src1_sel:DWORD
	s_mov_b64 s[4:5], -1
                                        ; implicit-def: $sgpr10
	s_and_saveexec_b64 s[8:9], s[12:13]
; %bb.3010:
	s_mov_b32 s10, 0x7f800001
	s_xor_b64 s[4:5], exec, -1
; %bb.3011:
	s_or_b64 exec, exec, s[8:9]
	s_and_b64 s[4:5], s[4:5], exec
	s_or_saveexec_b64 s[6:7], s[6:7]
	v_mov_b32_e32 v2, s10
	s_xor_b64 exec, exec, s[6:7]
	s_cbranch_execz .LBB15_962
.LBB15_3012:
	v_mov_b32_e32 v2, 0
	v_cmp_ne_u16_sdwa s[8:9], v8, v2 src0_sel:BYTE_0 src1_sel:DWORD
	s_andn2_b64 s[4:5], s[4:5], exec
	s_and_b64 s[8:9], s[8:9], exec
	s_or_b64 s[4:5], s[4:5], s[8:9]
	s_or_b64 exec, exec, s[6:7]
	s_and_saveexec_b64 s[6:7], s[4:5]
	s_cbranch_execnz .LBB15_963
	s_branch .LBB15_964
.LBB15_3013:
	s_movk_i32 s4, 0x80
	v_cmp_eq_u16_sdwa s[12:13], v4, s4 src0_sel:BYTE_0 src1_sel:DWORD
	s_mov_b64 s[4:5], -1
                                        ; implicit-def: $sgpr10
	s_and_saveexec_b64 s[8:9], s[12:13]
; %bb.3014:
	s_mov_b32 s10, 0x7f800001
	s_xor_b64 s[4:5], exec, -1
; %bb.3015:
	s_or_b64 exec, exec, s[8:9]
	s_and_b64 s[4:5], s[4:5], exec
	s_or_saveexec_b64 s[6:7], s[6:7]
	v_mov_b32_e32 v3, s10
	s_xor_b64 exec, exec, s[6:7]
	s_cbranch_execz .LBB15_966
.LBB15_3016:
	v_mov_b32_e32 v3, 0
	v_cmp_ne_u16_sdwa s[8:9], v4, v3 src0_sel:BYTE_0 src1_sel:DWORD
	s_andn2_b64 s[4:5], s[4:5], exec
	s_and_b64 s[8:9], s[8:9], exec
	s_or_b64 s[4:5], s[4:5], s[8:9]
	s_or_b64 exec, exec, s[6:7]
	s_and_saveexec_b64 s[6:7], s[4:5]
	s_cbranch_execnz .LBB15_967
	s_branch .LBB15_968
.LBB15_3017:
	s_movk_i32 s4, 0x80
	v_cmp_eq_u16_sdwa s[12:13], v3, s4 src0_sel:BYTE_0 src1_sel:DWORD
	s_mov_b64 s[4:5], -1
                                        ; implicit-def: $sgpr10
	s_and_saveexec_b64 s[8:9], s[12:13]
; %bb.3018:
	s_mov_b32 s10, 0x7f800001
	s_xor_b64 s[4:5], exec, -1
; %bb.3019:
	s_or_b64 exec, exec, s[8:9]
	s_and_b64 s[4:5], s[4:5], exec
	s_or_saveexec_b64 s[6:7], s[6:7]
	v_mov_b32_e32 v2, s10
	s_xor_b64 exec, exec, s[6:7]
	s_cbranch_execz .LBB15_970
.LBB15_3020:
	v_mov_b32_e32 v2, 0
	v_cmp_ne_u16_sdwa s[8:9], v3, v2 src0_sel:BYTE_0 src1_sel:DWORD
	s_andn2_b64 s[4:5], s[4:5], exec
	s_and_b64 s[8:9], s[8:9], exec
	s_or_b64 s[4:5], s[4:5], s[8:9]
	s_or_b64 exec, exec, s[6:7]
	s_and_saveexec_b64 s[6:7], s[4:5]
	s_cbranch_execnz .LBB15_971
	s_branch .LBB15_972
.LBB15_3021:
	s_movk_i32 s4, 0x80
	v_cmp_eq_u16_sdwa s[12:13], v3, s4 src0_sel:BYTE_0 src1_sel:DWORD
	s_mov_b64 s[4:5], -1
                                        ; implicit-def: $sgpr10
	s_and_saveexec_b64 s[8:9], s[12:13]
; %bb.3022:
	s_mov_b32 s10, 0x7f800001
	s_xor_b64 s[4:5], exec, -1
; %bb.3023:
	s_or_b64 exec, exec, s[8:9]
	s_and_b64 s[4:5], s[4:5], exec
	s_or_saveexec_b64 s[6:7], s[6:7]
	v_mov_b32_e32 v6, s10
	s_xor_b64 exec, exec, s[6:7]
	s_cbranch_execz .LBB15_974
.LBB15_3024:
	v_mov_b32_e32 v6, 0
	v_cmp_ne_u16_sdwa s[8:9], v3, v6 src0_sel:BYTE_0 src1_sel:DWORD
	s_andn2_b64 s[4:5], s[4:5], exec
	s_and_b64 s[8:9], s[8:9], exec
	s_or_b64 s[4:5], s[4:5], s[8:9]
	s_or_b64 exec, exec, s[6:7]
	s_and_saveexec_b64 s[6:7], s[4:5]
	s_cbranch_execnz .LBB15_975
	s_branch .LBB15_976
.LBB15_3025:
	s_movk_i32 s4, 0x80
	v_cmp_eq_u16_e32 vcc, s4, v3
	s_mov_b64 s[4:5], -1
                                        ; implicit-def: $sgpr10
	s_and_saveexec_b64 s[8:9], vcc
; %bb.3026:
	s_mov_b32 s10, 0x7f800001
	s_xor_b64 s[4:5], exec, -1
; %bb.3027:
	s_or_b64 exec, exec, s[8:9]
	s_and_b64 s[4:5], s[4:5], exec
                                        ; implicit-def: $vgpr3
	s_or_saveexec_b64 s[6:7], s[6:7]
	v_mov_b32_e32 v2, s10
	s_xor_b64 exec, exec, s[6:7]
	s_cbranch_execz .LBB15_978
.LBB15_3028:
	v_cmp_ne_u16_e32 vcc, 0, v3
	s_andn2_b64 s[4:5], s[4:5], exec
	s_and_b64 s[8:9], vcc, exec
	v_mov_b32_e32 v2, 0
	s_or_b64 s[4:5], s[4:5], s[8:9]
	s_or_b64 exec, exec, s[6:7]
	s_and_saveexec_b64 s[6:7], s[4:5]
	s_cbranch_execnz .LBB15_979
	s_branch .LBB15_980
.LBB15_3029:
	s_movk_i32 s4, 0x80
	v_cmp_eq_u16_e32 vcc, s4, v3
	s_mov_b64 s[4:5], -1
                                        ; implicit-def: $sgpr10
	s_and_saveexec_b64 s[8:9], vcc
; %bb.3030:
	s_mov_b32 s10, 0x7f800001
	s_xor_b64 s[4:5], exec, -1
; %bb.3031:
	s_or_b64 exec, exec, s[8:9]
	s_and_b64 s[4:5], s[4:5], exec
                                        ; implicit-def: $vgpr3
	s_or_saveexec_b64 s[6:7], s[6:7]
	v_mov_b32_e32 v6, s10
	s_xor_b64 exec, exec, s[6:7]
	s_cbranch_execz .LBB15_982
.LBB15_3032:
	v_cmp_ne_u16_e32 vcc, 0, v3
	s_andn2_b64 s[4:5], s[4:5], exec
	s_and_b64 s[8:9], vcc, exec
	v_mov_b32_e32 v6, 0
	s_or_b64 s[4:5], s[4:5], s[8:9]
	s_or_b64 exec, exec, s[6:7]
	s_and_saveexec_b64 s[6:7], s[4:5]
	s_cbranch_execnz .LBB15_983
	s_branch .LBB15_984
.LBB15_3033:
	s_movk_i32 s4, 0x80
	v_cmp_eq_u16_sdwa s[12:13], v8, s4 src0_sel:BYTE_3 src1_sel:DWORD
	s_mov_b64 s[4:5], -1
                                        ; implicit-def: $sgpr10
	s_and_saveexec_b64 s[8:9], s[12:13]
; %bb.3034:
	s_mov_b32 s10, 0x7f800001
	s_xor_b64 s[4:5], exec, -1
; %bb.3035:
	s_or_b64 exec, exec, s[8:9]
	s_and_b64 s[4:5], s[4:5], exec
	s_or_saveexec_b64 s[6:7], s[6:7]
	v_mov_b32_e32 v2, s10
	s_xor_b64 exec, exec, s[6:7]
	s_cbranch_execz .LBB15_986
.LBB15_3036:
	v_mov_b32_e32 v2, 0
	v_cmp_ne_u16_sdwa s[8:9], v8, v2 src0_sel:BYTE_3 src1_sel:DWORD
	s_andn2_b64 s[4:5], s[4:5], exec
	s_and_b64 s[8:9], s[8:9], exec
	s_or_b64 s[4:5], s[4:5], s[8:9]
	s_or_b64 exec, exec, s[6:7]
	s_and_saveexec_b64 s[6:7], s[4:5]
	s_cbranch_execnz .LBB15_987
	s_branch .LBB15_988
.LBB15_3037:
	s_movk_i32 s4, 0x80
	v_cmp_eq_u16_sdwa s[12:13], v4, s4 src0_sel:BYTE_3 src1_sel:DWORD
	s_mov_b64 s[4:5], -1
                                        ; implicit-def: $sgpr10
	s_and_saveexec_b64 s[8:9], s[12:13]
; %bb.3038:
	s_mov_b32 s10, 0x7f800001
	s_xor_b64 s[4:5], exec, -1
; %bb.3039:
	s_or_b64 exec, exec, s[8:9]
	s_and_b64 s[4:5], s[4:5], exec
	s_or_saveexec_b64 s[6:7], s[6:7]
	v_mov_b32_e32 v3, s10
	s_xor_b64 exec, exec, s[6:7]
	s_cbranch_execz .LBB15_990
.LBB15_3040:
	v_mov_b32_e32 v3, 0
	v_cmp_ne_u16_sdwa s[8:9], v4, v3 src0_sel:BYTE_3 src1_sel:DWORD
	s_andn2_b64 s[4:5], s[4:5], exec
	s_and_b64 s[8:9], s[8:9], exec
	s_or_b64 s[4:5], s[4:5], s[8:9]
	s_or_b64 exec, exec, s[6:7]
	s_and_saveexec_b64 s[6:7], s[4:5]
	s_cbranch_execnz .LBB15_991
	s_branch .LBB15_992
.LBB15_3041:
	s_movk_i32 s4, 0x80
	v_cmp_eq_u16_sdwa s[12:13], v9, s4 src0_sel:BYTE_0 src1_sel:DWORD
	s_mov_b64 s[4:5], -1
                                        ; implicit-def: $sgpr10
	s_and_saveexec_b64 s[8:9], s[12:13]
; %bb.3042:
	s_mov_b32 s10, 0x7f800001
	s_xor_b64 s[4:5], exec, -1
; %bb.3043:
	s_or_b64 exec, exec, s[8:9]
	s_and_b64 s[4:5], s[4:5], exec
	s_or_saveexec_b64 s[6:7], s[6:7]
	v_mov_b32_e32 v2, s10
	s_xor_b64 exec, exec, s[6:7]
	s_cbranch_execz .LBB15_994
.LBB15_3044:
	v_mov_b32_e32 v2, 0
	v_cmp_ne_u16_sdwa s[8:9], v9, v2 src0_sel:BYTE_0 src1_sel:DWORD
	s_andn2_b64 s[4:5], s[4:5], exec
	s_and_b64 s[8:9], s[8:9], exec
	s_or_b64 s[4:5], s[4:5], s[8:9]
	s_or_b64 exec, exec, s[6:7]
	s_and_saveexec_b64 s[6:7], s[4:5]
	s_cbranch_execnz .LBB15_995
	s_branch .LBB15_996
.LBB15_3045:
	s_movk_i32 s4, 0x80
	v_cmp_eq_u16_sdwa s[12:13], v5, s4 src0_sel:BYTE_0 src1_sel:DWORD
	s_mov_b64 s[4:5], -1
                                        ; implicit-def: $sgpr10
	s_and_saveexec_b64 s[8:9], s[12:13]
; %bb.3046:
	s_mov_b32 s10, 0x7f800001
	s_xor_b64 s[4:5], exec, -1
; %bb.3047:
	s_or_b64 exec, exec, s[8:9]
	s_and_b64 s[4:5], s[4:5], exec
	s_or_saveexec_b64 s[6:7], s[6:7]
	v_mov_b32_e32 v3, s10
	s_xor_b64 exec, exec, s[6:7]
	s_cbranch_execz .LBB15_998
.LBB15_3048:
	v_mov_b32_e32 v3, 0
	v_cmp_ne_u16_sdwa s[8:9], v5, v3 src0_sel:BYTE_0 src1_sel:DWORD
	s_andn2_b64 s[4:5], s[4:5], exec
	s_and_b64 s[8:9], s[8:9], exec
	s_or_b64 s[4:5], s[4:5], s[8:9]
	s_or_b64 exec, exec, s[6:7]
	s_and_saveexec_b64 s[6:7], s[4:5]
	s_cbranch_execnz .LBB15_999
	s_branch .LBB15_1000
.LBB15_3049:
	s_movk_i32 s4, 0x80
	v_cmp_eq_u16_sdwa s[12:13], v3, s4 src0_sel:BYTE_0 src1_sel:DWORD
	s_mov_b64 s[4:5], -1
                                        ; implicit-def: $sgpr10
	s_and_saveexec_b64 s[8:9], s[12:13]
; %bb.3050:
	s_mov_b32 s10, 0x7f800001
	s_xor_b64 s[4:5], exec, -1
; %bb.3051:
	s_or_b64 exec, exec, s[8:9]
	s_and_b64 s[4:5], s[4:5], exec
	s_or_saveexec_b64 s[6:7], s[6:7]
	v_mov_b32_e32 v2, s10
	s_xor_b64 exec, exec, s[6:7]
	s_cbranch_execz .LBB15_1002
.LBB15_3052:
	v_mov_b32_e32 v2, 0
	v_cmp_ne_u16_sdwa s[8:9], v3, v2 src0_sel:BYTE_0 src1_sel:DWORD
	s_andn2_b64 s[4:5], s[4:5], exec
	s_and_b64 s[8:9], s[8:9], exec
	s_or_b64 s[4:5], s[4:5], s[8:9]
	s_or_b64 exec, exec, s[6:7]
	s_and_saveexec_b64 s[6:7], s[4:5]
	s_cbranch_execnz .LBB15_1003
	s_branch .LBB15_1004
.LBB15_3053:
	s_movk_i32 s4, 0x80
	v_cmp_eq_u16_sdwa s[12:13], v3, s4 src0_sel:BYTE_0 src1_sel:DWORD
	s_mov_b64 s[4:5], -1
                                        ; implicit-def: $sgpr10
	s_and_saveexec_b64 s[8:9], s[12:13]
; %bb.3054:
	s_mov_b32 s10, 0x7f800001
	s_xor_b64 s[4:5], exec, -1
; %bb.3055:
	s_or_b64 exec, exec, s[8:9]
	s_and_b64 s[4:5], s[4:5], exec
	s_or_saveexec_b64 s[6:7], s[6:7]
	v_mov_b32_e32 v4, s10
	s_xor_b64 exec, exec, s[6:7]
	s_cbranch_execz .LBB15_1006
.LBB15_3056:
	v_mov_b32_e32 v4, 0
	v_cmp_ne_u16_sdwa s[8:9], v3, v4 src0_sel:BYTE_0 src1_sel:DWORD
	s_andn2_b64 s[4:5], s[4:5], exec
	s_and_b64 s[8:9], s[8:9], exec
	s_or_b64 s[4:5], s[4:5], s[8:9]
	s_or_b64 exec, exec, s[6:7]
	s_and_saveexec_b64 s[6:7], s[4:5]
	s_cbranch_execnz .LBB15_1007
	s_branch .LBB15_1008
.LBB15_3057:
	s_movk_i32 s4, 0x80
	v_cmp_eq_u16_e32 vcc, s4, v3
	s_mov_b64 s[4:5], -1
                                        ; implicit-def: $sgpr10
	s_and_saveexec_b64 s[8:9], vcc
; %bb.3058:
	s_mov_b32 s10, 0x7f800001
	s_xor_b64 s[4:5], exec, -1
; %bb.3059:
	s_or_b64 exec, exec, s[8:9]
	s_and_b64 s[4:5], s[4:5], exec
                                        ; implicit-def: $vgpr3
	s_or_saveexec_b64 s[6:7], s[6:7]
	v_mov_b32_e32 v2, s10
	s_xor_b64 exec, exec, s[6:7]
	s_cbranch_execz .LBB15_1010
.LBB15_3060:
	v_cmp_ne_u16_e32 vcc, 0, v3
	s_andn2_b64 s[4:5], s[4:5], exec
	s_and_b64 s[8:9], vcc, exec
	v_mov_b32_e32 v2, 0
	s_or_b64 s[4:5], s[4:5], s[8:9]
	s_or_b64 exec, exec, s[6:7]
	s_and_saveexec_b64 s[6:7], s[4:5]
	s_cbranch_execnz .LBB15_1011
	s_branch .LBB15_1012
.LBB15_3061:
	s_movk_i32 s4, 0x80
	v_cmp_eq_u16_e32 vcc, s4, v3
	s_mov_b64 s[4:5], -1
                                        ; implicit-def: $sgpr10
	s_and_saveexec_b64 s[8:9], vcc
; %bb.3062:
	s_mov_b32 s10, 0x7f800001
	s_xor_b64 s[4:5], exec, -1
; %bb.3063:
	s_or_b64 exec, exec, s[8:9]
	s_and_b64 s[4:5], s[4:5], exec
                                        ; implicit-def: $vgpr3
	s_or_saveexec_b64 s[6:7], s[6:7]
	v_mov_b32_e32 v4, s10
	s_xor_b64 exec, exec, s[6:7]
	s_cbranch_execz .LBB15_1014
.LBB15_3064:
	v_cmp_ne_u16_e32 vcc, 0, v3
	s_andn2_b64 s[4:5], s[4:5], exec
	s_and_b64 s[8:9], vcc, exec
	v_mov_b32_e32 v4, 0
	s_or_b64 s[4:5], s[4:5], s[8:9]
	s_or_b64 exec, exec, s[6:7]
	s_and_saveexec_b64 s[6:7], s[4:5]
	s_cbranch_execnz .LBB15_1015
	s_branch .LBB15_1016
.LBB15_3065:
	s_movk_i32 s4, 0x80
	v_cmp_eq_u16_sdwa s[12:13], v9, s4 src0_sel:BYTE_3 src1_sel:DWORD
	s_mov_b64 s[4:5], -1
                                        ; implicit-def: $sgpr10
	s_and_saveexec_b64 s[8:9], s[12:13]
; %bb.3066:
	s_mov_b32 s10, 0x7f800001
	s_xor_b64 s[4:5], exec, -1
; %bb.3067:
	s_or_b64 exec, exec, s[8:9]
	s_and_b64 s[4:5], s[4:5], exec
	s_or_saveexec_b64 s[6:7], s[6:7]
	v_mov_b32_e32 v2, s10
	s_xor_b64 exec, exec, s[6:7]
	s_cbranch_execz .LBB15_1018
.LBB15_3068:
	v_mov_b32_e32 v2, 0
	v_cmp_ne_u16_sdwa s[8:9], v9, v2 src0_sel:BYTE_3 src1_sel:DWORD
	s_andn2_b64 s[4:5], s[4:5], exec
	s_and_b64 s[8:9], s[8:9], exec
	s_or_b64 s[4:5], s[4:5], s[8:9]
	s_or_b64 exec, exec, s[6:7]
	s_and_saveexec_b64 s[6:7], s[4:5]
	s_cbranch_execnz .LBB15_1019
	s_branch .LBB15_1020
.LBB15_3069:
	s_movk_i32 s4, 0x80
	v_cmp_eq_u16_sdwa s[12:13], v5, s4 src0_sel:BYTE_3 src1_sel:DWORD
	s_mov_b64 s[4:5], -1
                                        ; implicit-def: $sgpr10
	s_and_saveexec_b64 s[8:9], s[12:13]
; %bb.3070:
	s_mov_b32 s10, 0x7f800001
	s_xor_b64 s[4:5], exec, -1
; %bb.3071:
	s_or_b64 exec, exec, s[8:9]
	s_and_b64 s[4:5], s[4:5], exec
	s_or_saveexec_b64 s[6:7], s[6:7]
	v_mov_b32_e32 v3, s10
	s_xor_b64 exec, exec, s[6:7]
	s_cbranch_execz .LBB15_1022
.LBB15_3072:
	v_mov_b32_e32 v3, 0
	v_cmp_ne_u16_sdwa s[8:9], v5, v3 src0_sel:BYTE_3 src1_sel:DWORD
	s_andn2_b64 s[4:5], s[4:5], exec
	s_and_b64 s[8:9], s[8:9], exec
	s_or_b64 s[4:5], s[4:5], s[8:9]
	s_or_b64 exec, exec, s[6:7]
	s_and_saveexec_b64 s[6:7], s[4:5]
	s_cbranch_execnz .LBB15_1023
	s_branch .LBB15_1024
.LBB15_3073:
	s_movk_i32 s4, 0x80
	v_cmp_eq_u16_sdwa s[12:13], v6, s4 src0_sel:BYTE_0 src1_sel:DWORD
	s_mov_b64 s[4:5], -1
                                        ; implicit-def: $sgpr10
	s_and_saveexec_b64 s[8:9], s[12:13]
; %bb.3074:
	s_mov_b32 s10, 0x7f800001
	s_xor_b64 s[4:5], exec, -1
; %bb.3075:
	s_or_b64 exec, exec, s[8:9]
	s_and_b64 s[4:5], s[4:5], exec
	s_or_saveexec_b64 s[6:7], s[6:7]
	v_mov_b32_e32 v12, s10
	s_xor_b64 exec, exec, s[6:7]
	s_cbranch_execz .LBB15_1026
.LBB15_3076:
	v_mov_b32_e32 v12, 0
	v_cmp_ne_u16_sdwa s[8:9], v6, v12 src0_sel:BYTE_0 src1_sel:DWORD
	s_andn2_b64 s[4:5], s[4:5], exec
	s_and_b64 s[8:9], s[8:9], exec
	s_or_b64 s[4:5], s[4:5], s[8:9]
	s_or_b64 exec, exec, s[6:7]
	s_and_saveexec_b64 s[6:7], s[4:5]
	s_cbranch_execnz .LBB15_1027
	s_branch .LBB15_1028
.LBB15_3077:
	s_movk_i32 s4, 0x80
	v_cmp_eq_u16_sdwa s[12:13], v2, s4 src0_sel:BYTE_0 src1_sel:DWORD
	s_mov_b64 s[4:5], -1
                                        ; implicit-def: $sgpr10
	s_and_saveexec_b64 s[8:9], s[12:13]
; %bb.3078:
	s_mov_b32 s10, 0x7f800001
	s_xor_b64 s[4:5], exec, -1
; %bb.3079:
	s_or_b64 exec, exec, s[8:9]
	s_and_b64 s[4:5], s[4:5], exec
	s_or_saveexec_b64 s[6:7], s[6:7]
	v_mov_b32_e32 v13, s10
	s_xor_b64 exec, exec, s[6:7]
	s_cbranch_execz .LBB15_1030
.LBB15_3080:
	v_mov_b32_e32 v13, 0
	v_cmp_ne_u16_sdwa s[8:9], v2, v13 src0_sel:BYTE_0 src1_sel:DWORD
	s_andn2_b64 s[4:5], s[4:5], exec
	s_and_b64 s[8:9], s[8:9], exec
	s_or_b64 s[4:5], s[4:5], s[8:9]
	s_or_b64 exec, exec, s[6:7]
	s_and_saveexec_b64 s[6:7], s[4:5]
	s_cbranch_execnz .LBB15_1031
	s_branch .LBB15_1032
.LBB15_3081:
	s_movk_i32 s4, 0x80
	v_cmp_eq_u16_sdwa s[12:13], v13, s4 src0_sel:BYTE_0 src1_sel:DWORD
	s_mov_b64 s[4:5], -1
                                        ; implicit-def: $sgpr10
	s_and_saveexec_b64 s[8:9], s[12:13]
; %bb.3082:
	s_mov_b32 s10, 0x7f800001
	s_xor_b64 s[4:5], exec, -1
; %bb.3083:
	s_or_b64 exec, exec, s[8:9]
	s_and_b64 s[4:5], s[4:5], exec
	s_or_saveexec_b64 s[6:7], s[6:7]
	v_mov_b32_e32 v12, s10
	s_xor_b64 exec, exec, s[6:7]
	s_cbranch_execz .LBB15_1034
.LBB15_3084:
	v_mov_b32_e32 v12, 0
	v_cmp_ne_u16_sdwa s[8:9], v13, v12 src0_sel:BYTE_0 src1_sel:DWORD
	s_andn2_b64 s[4:5], s[4:5], exec
	s_and_b64 s[8:9], s[8:9], exec
	s_or_b64 s[4:5], s[4:5], s[8:9]
	s_or_b64 exec, exec, s[6:7]
	s_and_saveexec_b64 s[6:7], s[4:5]
	s_cbranch_execnz .LBB15_1035
	s_branch .LBB15_1036
.LBB15_3085:
	s_movk_i32 s4, 0x80
	v_cmp_eq_u16_sdwa s[12:13], v13, s4 src0_sel:BYTE_0 src1_sel:DWORD
	s_mov_b64 s[4:5], -1
                                        ; implicit-def: $sgpr10
	s_and_saveexec_b64 s[8:9], s[12:13]
; %bb.3086:
	s_mov_b32 s10, 0x7f800001
	s_xor_b64 s[4:5], exec, -1
; %bb.3087:
	s_or_b64 exec, exec, s[8:9]
	s_and_b64 s[4:5], s[4:5], exec
	s_or_saveexec_b64 s[6:7], s[6:7]
	v_mov_b32_e32 v14, s10
	s_xor_b64 exec, exec, s[6:7]
	s_cbranch_execz .LBB15_1038
.LBB15_3088:
	v_mov_b32_e32 v14, 0
	v_cmp_ne_u16_sdwa s[8:9], v13, v14 src0_sel:BYTE_0 src1_sel:DWORD
	s_andn2_b64 s[4:5], s[4:5], exec
	s_and_b64 s[8:9], s[8:9], exec
	s_or_b64 s[4:5], s[4:5], s[8:9]
	s_or_b64 exec, exec, s[6:7]
	s_and_saveexec_b64 s[6:7], s[4:5]
	s_cbranch_execnz .LBB15_1039
	s_branch .LBB15_1040
.LBB15_3089:
	s_movk_i32 s4, 0x80
	v_cmp_eq_u16_e32 vcc, s4, v13
	s_mov_b64 s[4:5], -1
                                        ; implicit-def: $sgpr10
	s_and_saveexec_b64 s[8:9], vcc
; %bb.3090:
	s_mov_b32 s10, 0x7f800001
	s_xor_b64 s[4:5], exec, -1
; %bb.3091:
	s_or_b64 exec, exec, s[8:9]
	s_and_b64 s[4:5], s[4:5], exec
                                        ; implicit-def: $vgpr13
	s_or_saveexec_b64 s[6:7], s[6:7]
	v_mov_b32_e32 v12, s10
	s_xor_b64 exec, exec, s[6:7]
	s_cbranch_execz .LBB15_1042
.LBB15_3092:
	v_cmp_ne_u16_e32 vcc, 0, v13
	s_andn2_b64 s[4:5], s[4:5], exec
	s_and_b64 s[8:9], vcc, exec
	v_mov_b32_e32 v12, 0
	s_or_b64 s[4:5], s[4:5], s[8:9]
	s_or_b64 exec, exec, s[6:7]
	s_and_saveexec_b64 s[6:7], s[4:5]
	s_cbranch_execnz .LBB15_1043
	s_branch .LBB15_1044
.LBB15_3093:
	s_movk_i32 s4, 0x80
	v_cmp_eq_u16_e32 vcc, s4, v13
	s_mov_b64 s[4:5], -1
                                        ; implicit-def: $sgpr10
	s_and_saveexec_b64 s[8:9], vcc
; %bb.3094:
	s_mov_b32 s10, 0x7f800001
	s_xor_b64 s[4:5], exec, -1
; %bb.3095:
	s_or_b64 exec, exec, s[8:9]
	s_and_b64 s[4:5], s[4:5], exec
                                        ; implicit-def: $vgpr13
	s_or_saveexec_b64 s[6:7], s[6:7]
	v_mov_b32_e32 v14, s10
	s_xor_b64 exec, exec, s[6:7]
	s_cbranch_execz .LBB15_1046
.LBB15_3096:
	v_cmp_ne_u16_e32 vcc, 0, v13
	s_andn2_b64 s[4:5], s[4:5], exec
	s_and_b64 s[8:9], vcc, exec
	v_mov_b32_e32 v14, 0
	s_or_b64 s[4:5], s[4:5], s[8:9]
	s_or_b64 exec, exec, s[6:7]
	s_and_saveexec_b64 s[6:7], s[4:5]
	s_cbranch_execnz .LBB15_1047
	s_branch .LBB15_1048
.LBB15_3097:
	s_movk_i32 s4, 0x80
	v_cmp_eq_u16_sdwa s[12:13], v6, s4 src0_sel:BYTE_3 src1_sel:DWORD
	s_mov_b64 s[4:5], -1
                                        ; implicit-def: $sgpr10
	s_and_saveexec_b64 s[8:9], s[12:13]
; %bb.3098:
	s_mov_b32 s10, 0x7f800001
	s_xor_b64 s[4:5], exec, -1
; %bb.3099:
	s_or_b64 exec, exec, s[8:9]
	s_and_b64 s[4:5], s[4:5], exec
	s_or_saveexec_b64 s[6:7], s[6:7]
	v_mov_b32_e32 v12, s10
	s_xor_b64 exec, exec, s[6:7]
	s_cbranch_execz .LBB15_1050
.LBB15_3100:
	v_mov_b32_e32 v12, 0
	v_cmp_ne_u16_sdwa s[8:9], v6, v12 src0_sel:BYTE_3 src1_sel:DWORD
	s_andn2_b64 s[4:5], s[4:5], exec
	s_and_b64 s[8:9], s[8:9], exec
	s_or_b64 s[4:5], s[4:5], s[8:9]
	s_or_b64 exec, exec, s[6:7]
	s_and_saveexec_b64 s[6:7], s[4:5]
	s_cbranch_execnz .LBB15_1051
	s_branch .LBB15_1052
.LBB15_3101:
	s_movk_i32 s4, 0x80
	v_cmp_eq_u16_sdwa s[12:13], v2, s4 src0_sel:BYTE_3 src1_sel:DWORD
	s_mov_b64 s[4:5], -1
                                        ; implicit-def: $sgpr10
	s_and_saveexec_b64 s[8:9], s[12:13]
; %bb.3102:
	s_mov_b32 s10, 0x7f800001
	s_xor_b64 s[4:5], exec, -1
; %bb.3103:
	s_or_b64 exec, exec, s[8:9]
	s_and_b64 s[4:5], s[4:5], exec
	s_or_saveexec_b64 s[6:7], s[6:7]
	v_mov_b32_e32 v6, s10
	s_xor_b64 exec, exec, s[6:7]
	s_cbranch_execz .LBB15_1054
.LBB15_3104:
	v_mov_b32_e32 v6, 0
	v_cmp_ne_u16_sdwa s[8:9], v2, v6 src0_sel:BYTE_3 src1_sel:DWORD
	s_andn2_b64 s[4:5], s[4:5], exec
	s_and_b64 s[8:9], s[8:9], exec
	s_or_b64 s[4:5], s[4:5], s[8:9]
	s_or_b64 exec, exec, s[6:7]
	s_and_saveexec_b64 s[6:7], s[4:5]
	s_cbranch_execnz .LBB15_1055
	s_branch .LBB15_1056
.LBB15_3105:
	s_movk_i32 s4, 0x80
	v_cmp_eq_u16_sdwa s[12:13], v7, s4 src0_sel:BYTE_0 src1_sel:DWORD
	s_mov_b64 s[4:5], -1
                                        ; implicit-def: $sgpr10
	s_and_saveexec_b64 s[8:9], s[12:13]
; %bb.3106:
	s_mov_b32 s10, 0x7f800001
	s_xor_b64 s[4:5], exec, -1
; %bb.3107:
	s_or_b64 exec, exec, s[8:9]
	s_and_b64 s[4:5], s[4:5], exec
	s_or_saveexec_b64 s[6:7], s[6:7]
	v_mov_b32_e32 v2, s10
	s_xor_b64 exec, exec, s[6:7]
	s_cbranch_execz .LBB15_1058
.LBB15_3108:
	v_mov_b32_e32 v2, 0
	v_cmp_ne_u16_sdwa s[8:9], v7, v2 src0_sel:BYTE_0 src1_sel:DWORD
	s_andn2_b64 s[4:5], s[4:5], exec
	s_and_b64 s[8:9], s[8:9], exec
	s_or_b64 s[4:5], s[4:5], s[8:9]
	s_or_b64 exec, exec, s[6:7]
	s_and_saveexec_b64 s[6:7], s[4:5]
	s_cbranch_execnz .LBB15_1059
	s_branch .LBB15_1060
.LBB15_3109:
	s_movk_i32 s4, 0x80
	v_cmp_eq_u16_sdwa s[12:13], v3, s4 src0_sel:BYTE_0 src1_sel:DWORD
	s_mov_b64 s[4:5], -1
                                        ; implicit-def: $sgpr10
	s_and_saveexec_b64 s[8:9], s[12:13]
; %bb.3110:
	s_mov_b32 s10, 0x7f800001
	s_xor_b64 s[4:5], exec, -1
; %bb.3111:
	s_or_b64 exec, exec, s[8:9]
	s_and_b64 s[4:5], s[4:5], exec
	s_or_saveexec_b64 s[6:7], s[6:7]
	v_mov_b32_e32 v6, s10
	s_xor_b64 exec, exec, s[6:7]
	s_cbranch_execz .LBB15_1062
.LBB15_3112:
	v_mov_b32_e32 v6, 0
	v_cmp_ne_u16_sdwa s[8:9], v3, v6 src0_sel:BYTE_0 src1_sel:DWORD
	s_andn2_b64 s[4:5], s[4:5], exec
	s_and_b64 s[8:9], s[8:9], exec
	s_or_b64 s[4:5], s[4:5], s[8:9]
	s_or_b64 exec, exec, s[6:7]
	s_and_saveexec_b64 s[6:7], s[4:5]
	s_cbranch_execnz .LBB15_1063
	s_branch .LBB15_1064
.LBB15_3113:
	s_movk_i32 s4, 0x80
	v_cmp_eq_u16_sdwa s[12:13], v6, s4 src0_sel:BYTE_0 src1_sel:DWORD
	s_mov_b64 s[4:5], -1
                                        ; implicit-def: $sgpr10
	s_and_saveexec_b64 s[8:9], s[12:13]
; %bb.3114:
	s_mov_b32 s10, 0x7f800001
	s_xor_b64 s[4:5], exec, -1
; %bb.3115:
	s_or_b64 exec, exec, s[8:9]
	s_and_b64 s[4:5], s[4:5], exec
	s_or_saveexec_b64 s[6:7], s[6:7]
	v_mov_b32_e32 v2, s10
	s_xor_b64 exec, exec, s[6:7]
	s_cbranch_execz .LBB15_1066
.LBB15_3116:
	v_mov_b32_e32 v2, 0
	v_cmp_ne_u16_sdwa s[8:9], v6, v2 src0_sel:BYTE_0 src1_sel:DWORD
	s_andn2_b64 s[4:5], s[4:5], exec
	s_and_b64 s[8:9], s[8:9], exec
	s_or_b64 s[4:5], s[4:5], s[8:9]
	s_or_b64 exec, exec, s[6:7]
	s_and_saveexec_b64 s[6:7], s[4:5]
	s_cbranch_execnz .LBB15_1067
	s_branch .LBB15_1068
.LBB15_3117:
	s_movk_i32 s4, 0x80
	v_cmp_eq_u16_sdwa s[12:13], v6, s4 src0_sel:BYTE_0 src1_sel:DWORD
	s_mov_b64 s[4:5], -1
                                        ; implicit-def: $sgpr10
	s_and_saveexec_b64 s[8:9], s[12:13]
; %bb.3118:
	s_mov_b32 s10, 0x7f800001
	s_xor_b64 s[4:5], exec, -1
; %bb.3119:
	s_or_b64 exec, exec, s[8:9]
	s_and_b64 s[4:5], s[4:5], exec
	s_or_saveexec_b64 s[6:7], s[6:7]
	v_mov_b32_e32 v12, s10
	s_xor_b64 exec, exec, s[6:7]
	s_cbranch_execz .LBB15_1070
.LBB15_3120:
	v_mov_b32_e32 v12, 0
	v_cmp_ne_u16_sdwa s[8:9], v6, v12 src0_sel:BYTE_0 src1_sel:DWORD
	s_andn2_b64 s[4:5], s[4:5], exec
	s_and_b64 s[8:9], s[8:9], exec
	s_or_b64 s[4:5], s[4:5], s[8:9]
	s_or_b64 exec, exec, s[6:7]
	s_and_saveexec_b64 s[6:7], s[4:5]
	s_cbranch_execnz .LBB15_1071
	s_branch .LBB15_1072
.LBB15_3121:
	s_movk_i32 s4, 0x80
	v_cmp_eq_u16_e32 vcc, s4, v6
	s_mov_b64 s[4:5], -1
                                        ; implicit-def: $sgpr10
	s_and_saveexec_b64 s[8:9], vcc
; %bb.3122:
	s_mov_b32 s10, 0x7f800001
	s_xor_b64 s[4:5], exec, -1
; %bb.3123:
	s_or_b64 exec, exec, s[8:9]
	s_and_b64 s[4:5], s[4:5], exec
                                        ; implicit-def: $vgpr6
	s_or_saveexec_b64 s[6:7], s[6:7]
	v_mov_b32_e32 v2, s10
	s_xor_b64 exec, exec, s[6:7]
	s_cbranch_execz .LBB15_1074
.LBB15_3124:
	v_cmp_ne_u16_e32 vcc, 0, v6
	s_andn2_b64 s[4:5], s[4:5], exec
	s_and_b64 s[8:9], vcc, exec
	v_mov_b32_e32 v2, 0
	s_or_b64 s[4:5], s[4:5], s[8:9]
	s_or_b64 exec, exec, s[6:7]
	s_and_saveexec_b64 s[6:7], s[4:5]
	s_cbranch_execnz .LBB15_1075
	s_branch .LBB15_1076
.LBB15_3125:
	s_movk_i32 s4, 0x80
	v_cmp_eq_u16_e32 vcc, s4, v6
	s_mov_b64 s[4:5], -1
                                        ; implicit-def: $sgpr10
	s_and_saveexec_b64 s[8:9], vcc
; %bb.3126:
	s_mov_b32 s10, 0x7f800001
	s_xor_b64 s[4:5], exec, -1
; %bb.3127:
	s_or_b64 exec, exec, s[8:9]
	s_and_b64 s[4:5], s[4:5], exec
                                        ; implicit-def: $vgpr6
	s_or_saveexec_b64 s[6:7], s[6:7]
	v_mov_b32_e32 v12, s10
	s_xor_b64 exec, exec, s[6:7]
	s_cbranch_execz .LBB15_1078
.LBB15_3128:
	v_cmp_ne_u16_e32 vcc, 0, v6
	s_andn2_b64 s[4:5], s[4:5], exec
	s_and_b64 s[8:9], vcc, exec
	v_mov_b32_e32 v12, 0
	s_or_b64 s[4:5], s[4:5], s[8:9]
	s_or_b64 exec, exec, s[6:7]
	s_and_saveexec_b64 s[6:7], s[4:5]
	s_cbranch_execnz .LBB15_1079
	s_branch .LBB15_1080
.LBB15_3129:
	s_movk_i32 s4, 0x80
	v_cmp_eq_u16_sdwa s[12:13], v7, s4 src0_sel:BYTE_3 src1_sel:DWORD
	s_mov_b64 s[4:5], -1
                                        ; implicit-def: $sgpr10
	s_and_saveexec_b64 s[8:9], s[12:13]
; %bb.3130:
	s_mov_b32 s10, 0x7f800001
	s_xor_b64 s[4:5], exec, -1
; %bb.3131:
	s_or_b64 exec, exec, s[8:9]
	s_and_b64 s[4:5], s[4:5], exec
	s_or_saveexec_b64 s[6:7], s[6:7]
	v_mov_b32_e32 v2, s10
	s_xor_b64 exec, exec, s[6:7]
	s_cbranch_execz .LBB15_1082
.LBB15_3132:
	v_mov_b32_e32 v2, 0
	v_cmp_ne_u16_sdwa s[8:9], v7, v2 src0_sel:BYTE_3 src1_sel:DWORD
	s_andn2_b64 s[4:5], s[4:5], exec
	s_and_b64 s[8:9], s[8:9], exec
	s_or_b64 s[4:5], s[4:5], s[8:9]
	s_or_b64 exec, exec, s[6:7]
	s_and_saveexec_b64 s[6:7], s[4:5]
	s_cbranch_execnz .LBB15_1083
	s_branch .LBB15_1084
.LBB15_3133:
	s_movk_i32 s4, 0x80
	v_cmp_eq_u16_sdwa s[12:13], v3, s4 src0_sel:BYTE_3 src1_sel:DWORD
	s_mov_b64 s[4:5], -1
                                        ; implicit-def: $sgpr10
	s_and_saveexec_b64 s[8:9], s[12:13]
; %bb.3134:
	s_mov_b32 s10, 0x7f800001
	s_xor_b64 s[4:5], exec, -1
; %bb.3135:
	s_or_b64 exec, exec, s[8:9]
	s_and_b64 s[4:5], s[4:5], exec
	s_or_saveexec_b64 s[6:7], s[6:7]
	v_mov_b32_e32 v6, s10
	s_xor_b64 exec, exec, s[6:7]
	s_cbranch_execz .LBB15_1086
.LBB15_3136:
	v_mov_b32_e32 v6, 0
	v_cmp_ne_u16_sdwa s[8:9], v3, v6 src0_sel:BYTE_3 src1_sel:DWORD
	s_andn2_b64 s[4:5], s[4:5], exec
	s_and_b64 s[8:9], s[8:9], exec
	s_or_b64 s[4:5], s[4:5], s[8:9]
	s_or_b64 exec, exec, s[6:7]
	s_and_saveexec_b64 s[6:7], s[4:5]
	s_cbranch_execnz .LBB15_1087
	s_branch .LBB15_1088
.LBB15_3137:
	s_movk_i32 s4, 0x80
	v_cmp_eq_u16_sdwa s[12:13], v8, s4 src0_sel:BYTE_0 src1_sel:DWORD
	s_mov_b64 s[4:5], -1
                                        ; implicit-def: $sgpr10
	s_and_saveexec_b64 s[8:9], s[12:13]
; %bb.3138:
	s_mov_b32 s10, 0x7f800001
	s_xor_b64 s[4:5], exec, -1
; %bb.3139:
	s_or_b64 exec, exec, s[8:9]
	s_and_b64 s[4:5], s[4:5], exec
	s_or_saveexec_b64 s[6:7], s[6:7]
	v_mov_b32_e32 v2, s10
	s_xor_b64 exec, exec, s[6:7]
	s_cbranch_execz .LBB15_1090
.LBB15_3140:
	v_mov_b32_e32 v2, 0
	v_cmp_ne_u16_sdwa s[8:9], v8, v2 src0_sel:BYTE_0 src1_sel:DWORD
	s_andn2_b64 s[4:5], s[4:5], exec
	s_and_b64 s[8:9], s[8:9], exec
	s_or_b64 s[4:5], s[4:5], s[8:9]
	s_or_b64 exec, exec, s[6:7]
	s_and_saveexec_b64 s[6:7], s[4:5]
	s_cbranch_execnz .LBB15_1091
	s_branch .LBB15_1092
.LBB15_3141:
	s_movk_i32 s4, 0x80
	v_cmp_eq_u16_sdwa s[12:13], v4, s4 src0_sel:BYTE_0 src1_sel:DWORD
	s_mov_b64 s[4:5], -1
                                        ; implicit-def: $sgpr10
	s_and_saveexec_b64 s[8:9], s[12:13]
; %bb.3142:
	s_mov_b32 s10, 0x7f800001
	s_xor_b64 s[4:5], exec, -1
; %bb.3143:
	s_or_b64 exec, exec, s[8:9]
	s_and_b64 s[4:5], s[4:5], exec
	s_or_saveexec_b64 s[6:7], s[6:7]
	v_mov_b32_e32 v3, s10
	s_xor_b64 exec, exec, s[6:7]
	s_cbranch_execz .LBB15_1094
.LBB15_3144:
	v_mov_b32_e32 v3, 0
	v_cmp_ne_u16_sdwa s[8:9], v4, v3 src0_sel:BYTE_0 src1_sel:DWORD
	s_andn2_b64 s[4:5], s[4:5], exec
	s_and_b64 s[8:9], s[8:9], exec
	s_or_b64 s[4:5], s[4:5], s[8:9]
	s_or_b64 exec, exec, s[6:7]
	s_and_saveexec_b64 s[6:7], s[4:5]
	s_cbranch_execnz .LBB15_1095
	s_branch .LBB15_1096
.LBB15_3145:
	s_movk_i32 s4, 0x80
	v_cmp_eq_u16_sdwa s[12:13], v3, s4 src0_sel:BYTE_0 src1_sel:DWORD
	s_mov_b64 s[4:5], -1
                                        ; implicit-def: $sgpr10
	s_and_saveexec_b64 s[8:9], s[12:13]
; %bb.3146:
	s_mov_b32 s10, 0x7f800001
	s_xor_b64 s[4:5], exec, -1
; %bb.3147:
	s_or_b64 exec, exec, s[8:9]
	s_and_b64 s[4:5], s[4:5], exec
	s_or_saveexec_b64 s[6:7], s[6:7]
	v_mov_b32_e32 v2, s10
	s_xor_b64 exec, exec, s[6:7]
	s_cbranch_execz .LBB15_1098
.LBB15_3148:
	v_mov_b32_e32 v2, 0
	v_cmp_ne_u16_sdwa s[8:9], v3, v2 src0_sel:BYTE_0 src1_sel:DWORD
	s_andn2_b64 s[4:5], s[4:5], exec
	s_and_b64 s[8:9], s[8:9], exec
	s_or_b64 s[4:5], s[4:5], s[8:9]
	s_or_b64 exec, exec, s[6:7]
	s_and_saveexec_b64 s[6:7], s[4:5]
	s_cbranch_execnz .LBB15_1099
	s_branch .LBB15_1100
.LBB15_3149:
	s_movk_i32 s4, 0x80
	v_cmp_eq_u16_sdwa s[12:13], v3, s4 src0_sel:BYTE_0 src1_sel:DWORD
	s_mov_b64 s[4:5], -1
                                        ; implicit-def: $sgpr10
	s_and_saveexec_b64 s[8:9], s[12:13]
; %bb.3150:
	s_mov_b32 s10, 0x7f800001
	s_xor_b64 s[4:5], exec, -1
; %bb.3151:
	s_or_b64 exec, exec, s[8:9]
	s_and_b64 s[4:5], s[4:5], exec
	s_or_saveexec_b64 s[6:7], s[6:7]
	v_mov_b32_e32 v6, s10
	s_xor_b64 exec, exec, s[6:7]
	s_cbranch_execz .LBB15_1102
.LBB15_3152:
	v_mov_b32_e32 v6, 0
	v_cmp_ne_u16_sdwa s[8:9], v3, v6 src0_sel:BYTE_0 src1_sel:DWORD
	s_andn2_b64 s[4:5], s[4:5], exec
	s_and_b64 s[8:9], s[8:9], exec
	s_or_b64 s[4:5], s[4:5], s[8:9]
	s_or_b64 exec, exec, s[6:7]
	s_and_saveexec_b64 s[6:7], s[4:5]
	s_cbranch_execnz .LBB15_1103
	s_branch .LBB15_1104
.LBB15_3153:
	s_movk_i32 s4, 0x80
	v_cmp_eq_u16_e32 vcc, s4, v3
	s_mov_b64 s[4:5], -1
                                        ; implicit-def: $sgpr10
	s_and_saveexec_b64 s[8:9], vcc
; %bb.3154:
	s_mov_b32 s10, 0x7f800001
	s_xor_b64 s[4:5], exec, -1
; %bb.3155:
	s_or_b64 exec, exec, s[8:9]
	s_and_b64 s[4:5], s[4:5], exec
                                        ; implicit-def: $vgpr3
	s_or_saveexec_b64 s[6:7], s[6:7]
	v_mov_b32_e32 v2, s10
	s_xor_b64 exec, exec, s[6:7]
	s_cbranch_execz .LBB15_1106
.LBB15_3156:
	v_cmp_ne_u16_e32 vcc, 0, v3
	s_andn2_b64 s[4:5], s[4:5], exec
	s_and_b64 s[8:9], vcc, exec
	v_mov_b32_e32 v2, 0
	s_or_b64 s[4:5], s[4:5], s[8:9]
	s_or_b64 exec, exec, s[6:7]
	s_and_saveexec_b64 s[6:7], s[4:5]
	s_cbranch_execnz .LBB15_1107
	s_branch .LBB15_1108
.LBB15_3157:
	s_movk_i32 s4, 0x80
	v_cmp_eq_u16_e32 vcc, s4, v3
	s_mov_b64 s[4:5], -1
                                        ; implicit-def: $sgpr10
	s_and_saveexec_b64 s[8:9], vcc
; %bb.3158:
	s_mov_b32 s10, 0x7f800001
	s_xor_b64 s[4:5], exec, -1
; %bb.3159:
	s_or_b64 exec, exec, s[8:9]
	s_and_b64 s[4:5], s[4:5], exec
                                        ; implicit-def: $vgpr3
	s_or_saveexec_b64 s[6:7], s[6:7]
	v_mov_b32_e32 v6, s10
	s_xor_b64 exec, exec, s[6:7]
	s_cbranch_execz .LBB15_1110
.LBB15_3160:
	v_cmp_ne_u16_e32 vcc, 0, v3
	s_andn2_b64 s[4:5], s[4:5], exec
	s_and_b64 s[8:9], vcc, exec
	v_mov_b32_e32 v6, 0
	s_or_b64 s[4:5], s[4:5], s[8:9]
	s_or_b64 exec, exec, s[6:7]
	s_and_saveexec_b64 s[6:7], s[4:5]
	s_cbranch_execnz .LBB15_1111
	s_branch .LBB15_1112
.LBB15_3161:
	s_movk_i32 s4, 0x80
	v_cmp_eq_u16_sdwa s[12:13], v8, s4 src0_sel:BYTE_3 src1_sel:DWORD
	s_mov_b64 s[4:5], -1
                                        ; implicit-def: $sgpr10
	s_and_saveexec_b64 s[8:9], s[12:13]
; %bb.3162:
	s_mov_b32 s10, 0x7f800001
	s_xor_b64 s[4:5], exec, -1
; %bb.3163:
	s_or_b64 exec, exec, s[8:9]
	s_and_b64 s[4:5], s[4:5], exec
	s_or_saveexec_b64 s[6:7], s[6:7]
	v_mov_b32_e32 v2, s10
	s_xor_b64 exec, exec, s[6:7]
	s_cbranch_execz .LBB15_1114
.LBB15_3164:
	v_mov_b32_e32 v2, 0
	v_cmp_ne_u16_sdwa s[8:9], v8, v2 src0_sel:BYTE_3 src1_sel:DWORD
	s_andn2_b64 s[4:5], s[4:5], exec
	s_and_b64 s[8:9], s[8:9], exec
	s_or_b64 s[4:5], s[4:5], s[8:9]
	s_or_b64 exec, exec, s[6:7]
	s_and_saveexec_b64 s[6:7], s[4:5]
	s_cbranch_execnz .LBB15_1115
	s_branch .LBB15_1116
.LBB15_3165:
	s_movk_i32 s4, 0x80
	v_cmp_eq_u16_sdwa s[12:13], v4, s4 src0_sel:BYTE_3 src1_sel:DWORD
	s_mov_b64 s[4:5], -1
                                        ; implicit-def: $sgpr10
	s_and_saveexec_b64 s[8:9], s[12:13]
; %bb.3166:
	s_mov_b32 s10, 0x7f800001
	s_xor_b64 s[4:5], exec, -1
; %bb.3167:
	s_or_b64 exec, exec, s[8:9]
	s_and_b64 s[4:5], s[4:5], exec
	s_or_saveexec_b64 s[6:7], s[6:7]
	v_mov_b32_e32 v3, s10
	s_xor_b64 exec, exec, s[6:7]
	s_cbranch_execz .LBB15_1118
.LBB15_3168:
	v_mov_b32_e32 v3, 0
	v_cmp_ne_u16_sdwa s[8:9], v4, v3 src0_sel:BYTE_3 src1_sel:DWORD
	s_andn2_b64 s[4:5], s[4:5], exec
	s_and_b64 s[8:9], s[8:9], exec
	s_or_b64 s[4:5], s[4:5], s[8:9]
	s_or_b64 exec, exec, s[6:7]
	s_and_saveexec_b64 s[6:7], s[4:5]
	s_cbranch_execnz .LBB15_1119
	s_branch .LBB15_1120
.LBB15_3169:
	s_movk_i32 s4, 0x80
	v_cmp_eq_u16_sdwa s[12:13], v9, s4 src0_sel:BYTE_0 src1_sel:DWORD
	s_mov_b64 s[4:5], -1
                                        ; implicit-def: $sgpr10
	s_and_saveexec_b64 s[8:9], s[12:13]
; %bb.3170:
	s_mov_b32 s10, 0x7f800001
	s_xor_b64 s[4:5], exec, -1
; %bb.3171:
	s_or_b64 exec, exec, s[8:9]
	s_and_b64 s[4:5], s[4:5], exec
	s_or_saveexec_b64 s[6:7], s[6:7]
	v_mov_b32_e32 v2, s10
	s_xor_b64 exec, exec, s[6:7]
	s_cbranch_execz .LBB15_1122
.LBB15_3172:
	v_mov_b32_e32 v2, 0
	v_cmp_ne_u16_sdwa s[8:9], v9, v2 src0_sel:BYTE_0 src1_sel:DWORD
	s_andn2_b64 s[4:5], s[4:5], exec
	s_and_b64 s[8:9], s[8:9], exec
	s_or_b64 s[4:5], s[4:5], s[8:9]
	s_or_b64 exec, exec, s[6:7]
	s_and_saveexec_b64 s[6:7], s[4:5]
	s_cbranch_execnz .LBB15_1123
	s_branch .LBB15_1124
.LBB15_3173:
	s_movk_i32 s4, 0x80
	v_cmp_eq_u16_sdwa s[12:13], v5, s4 src0_sel:BYTE_0 src1_sel:DWORD
	s_mov_b64 s[4:5], -1
                                        ; implicit-def: $sgpr10
	s_and_saveexec_b64 s[8:9], s[12:13]
; %bb.3174:
	s_mov_b32 s10, 0x7f800001
	s_xor_b64 s[4:5], exec, -1
; %bb.3175:
	s_or_b64 exec, exec, s[8:9]
	s_and_b64 s[4:5], s[4:5], exec
	s_or_saveexec_b64 s[6:7], s[6:7]
	v_mov_b32_e32 v3, s10
	s_xor_b64 exec, exec, s[6:7]
	s_cbranch_execz .LBB15_1126
.LBB15_3176:
	v_mov_b32_e32 v3, 0
	v_cmp_ne_u16_sdwa s[8:9], v5, v3 src0_sel:BYTE_0 src1_sel:DWORD
	s_andn2_b64 s[4:5], s[4:5], exec
	s_and_b64 s[8:9], s[8:9], exec
	s_or_b64 s[4:5], s[4:5], s[8:9]
	s_or_b64 exec, exec, s[6:7]
	s_and_saveexec_b64 s[6:7], s[4:5]
	s_cbranch_execnz .LBB15_1127
	s_branch .LBB15_1128
.LBB15_3177:
	s_movk_i32 s4, 0x80
	v_cmp_eq_u16_sdwa s[12:13], v3, s4 src0_sel:BYTE_0 src1_sel:DWORD
	s_mov_b64 s[4:5], -1
                                        ; implicit-def: $sgpr10
	s_and_saveexec_b64 s[8:9], s[12:13]
; %bb.3178:
	s_mov_b32 s10, 0x7f800001
	s_xor_b64 s[4:5], exec, -1
; %bb.3179:
	s_or_b64 exec, exec, s[8:9]
	s_and_b64 s[4:5], s[4:5], exec
	s_or_saveexec_b64 s[6:7], s[6:7]
	v_mov_b32_e32 v2, s10
	s_xor_b64 exec, exec, s[6:7]
	s_cbranch_execz .LBB15_1130
.LBB15_3180:
	v_mov_b32_e32 v2, 0
	v_cmp_ne_u16_sdwa s[8:9], v3, v2 src0_sel:BYTE_0 src1_sel:DWORD
	s_andn2_b64 s[4:5], s[4:5], exec
	s_and_b64 s[8:9], s[8:9], exec
	s_or_b64 s[4:5], s[4:5], s[8:9]
	s_or_b64 exec, exec, s[6:7]
	s_and_saveexec_b64 s[6:7], s[4:5]
	s_cbranch_execnz .LBB15_1131
	s_branch .LBB15_1132
.LBB15_3181:
	s_movk_i32 s4, 0x80
	v_cmp_eq_u16_sdwa s[12:13], v3, s4 src0_sel:BYTE_0 src1_sel:DWORD
	s_mov_b64 s[4:5], -1
                                        ; implicit-def: $sgpr10
	s_and_saveexec_b64 s[8:9], s[12:13]
; %bb.3182:
	s_mov_b32 s10, 0x7f800001
	s_xor_b64 s[4:5], exec, -1
; %bb.3183:
	s_or_b64 exec, exec, s[8:9]
	s_and_b64 s[4:5], s[4:5], exec
	s_or_saveexec_b64 s[6:7], s[6:7]
	v_mov_b32_e32 v4, s10
	s_xor_b64 exec, exec, s[6:7]
	s_cbranch_execz .LBB15_1134
.LBB15_3184:
	v_mov_b32_e32 v4, 0
	v_cmp_ne_u16_sdwa s[8:9], v3, v4 src0_sel:BYTE_0 src1_sel:DWORD
	s_andn2_b64 s[4:5], s[4:5], exec
	s_and_b64 s[8:9], s[8:9], exec
	s_or_b64 s[4:5], s[4:5], s[8:9]
	s_or_b64 exec, exec, s[6:7]
	s_and_saveexec_b64 s[6:7], s[4:5]
	s_cbranch_execnz .LBB15_1135
	s_branch .LBB15_1136
.LBB15_3185:
	s_movk_i32 s4, 0x80
	v_cmp_eq_u16_e32 vcc, s4, v3
	s_mov_b64 s[4:5], -1
                                        ; implicit-def: $sgpr10
	s_and_saveexec_b64 s[8:9], vcc
; %bb.3186:
	s_mov_b32 s10, 0x7f800001
	s_xor_b64 s[4:5], exec, -1
; %bb.3187:
	s_or_b64 exec, exec, s[8:9]
	s_and_b64 s[4:5], s[4:5], exec
                                        ; implicit-def: $vgpr3
	s_or_saveexec_b64 s[6:7], s[6:7]
	v_mov_b32_e32 v2, s10
	s_xor_b64 exec, exec, s[6:7]
	s_cbranch_execz .LBB15_1138
.LBB15_3188:
	v_cmp_ne_u16_e32 vcc, 0, v3
	s_andn2_b64 s[4:5], s[4:5], exec
	s_and_b64 s[8:9], vcc, exec
	v_mov_b32_e32 v2, 0
	s_or_b64 s[4:5], s[4:5], s[8:9]
	s_or_b64 exec, exec, s[6:7]
	s_and_saveexec_b64 s[6:7], s[4:5]
	s_cbranch_execnz .LBB15_1139
	s_branch .LBB15_1140
.LBB15_3189:
	s_movk_i32 s4, 0x80
	v_cmp_eq_u16_e32 vcc, s4, v3
	s_mov_b64 s[4:5], -1
                                        ; implicit-def: $sgpr10
	s_and_saveexec_b64 s[8:9], vcc
; %bb.3190:
	s_mov_b32 s10, 0x7f800001
	s_xor_b64 s[4:5], exec, -1
; %bb.3191:
	s_or_b64 exec, exec, s[8:9]
	s_and_b64 s[4:5], s[4:5], exec
                                        ; implicit-def: $vgpr3
	s_or_saveexec_b64 s[6:7], s[6:7]
	v_mov_b32_e32 v4, s10
	s_xor_b64 exec, exec, s[6:7]
	s_cbranch_execz .LBB15_1142
.LBB15_3192:
	v_cmp_ne_u16_e32 vcc, 0, v3
	s_andn2_b64 s[4:5], s[4:5], exec
	s_and_b64 s[8:9], vcc, exec
	v_mov_b32_e32 v4, 0
	s_or_b64 s[4:5], s[4:5], s[8:9]
	s_or_b64 exec, exec, s[6:7]
	s_and_saveexec_b64 s[6:7], s[4:5]
	s_cbranch_execnz .LBB15_1143
	s_branch .LBB15_1144
.LBB15_3193:
	s_movk_i32 s4, 0x80
	v_cmp_eq_u16_sdwa s[12:13], v9, s4 src0_sel:BYTE_3 src1_sel:DWORD
	s_mov_b64 s[4:5], -1
                                        ; implicit-def: $sgpr10
	s_and_saveexec_b64 s[8:9], s[12:13]
; %bb.3194:
	s_mov_b32 s10, 0x7f800001
	s_xor_b64 s[4:5], exec, -1
; %bb.3195:
	s_or_b64 exec, exec, s[8:9]
	s_and_b64 s[4:5], s[4:5], exec
	s_or_saveexec_b64 s[6:7], s[6:7]
	v_mov_b32_e32 v2, s10
	s_xor_b64 exec, exec, s[6:7]
	s_cbranch_execz .LBB15_1146
.LBB15_3196:
	v_mov_b32_e32 v2, 0
	v_cmp_ne_u16_sdwa s[8:9], v9, v2 src0_sel:BYTE_3 src1_sel:DWORD
	s_andn2_b64 s[4:5], s[4:5], exec
	s_and_b64 s[8:9], s[8:9], exec
	s_or_b64 s[4:5], s[4:5], s[8:9]
	s_or_b64 exec, exec, s[6:7]
	s_and_saveexec_b64 s[6:7], s[4:5]
	s_cbranch_execnz .LBB15_1147
	s_branch .LBB15_1148
.LBB15_3197:
	s_movk_i32 s4, 0x80
	v_cmp_eq_u16_sdwa s[12:13], v5, s4 src0_sel:BYTE_3 src1_sel:DWORD
	s_mov_b64 s[4:5], -1
                                        ; implicit-def: $sgpr10
	s_and_saveexec_b64 s[8:9], s[12:13]
; %bb.3198:
	s_mov_b32 s10, 0x7f800001
	s_xor_b64 s[4:5], exec, -1
; %bb.3199:
	s_or_b64 exec, exec, s[8:9]
	s_and_b64 s[4:5], s[4:5], exec
	s_or_saveexec_b64 s[6:7], s[6:7]
	v_mov_b32_e32 v3, s10
	s_xor_b64 exec, exec, s[6:7]
	s_cbranch_execz .LBB15_1150
.LBB15_3200:
	v_mov_b32_e32 v3, 0
	v_cmp_ne_u16_sdwa s[8:9], v5, v3 src0_sel:BYTE_3 src1_sel:DWORD
	s_andn2_b64 s[4:5], s[4:5], exec
	s_and_b64 s[8:9], s[8:9], exec
	s_or_b64 s[4:5], s[4:5], s[8:9]
	s_or_b64 exec, exec, s[6:7]
	s_and_saveexec_b64 s[6:7], s[4:5]
	s_cbranch_execnz .LBB15_1151
	s_branch .LBB15_1152
.LBB15_3201:
	s_movk_i32 s4, 0x80
	v_cmp_eq_u16_sdwa s[12:13], v6, s4 src0_sel:BYTE_0 src1_sel:DWORD
	s_mov_b64 s[4:5], -1
                                        ; implicit-def: $sgpr10
	s_and_saveexec_b64 s[8:9], s[12:13]
; %bb.3202:
	s_mov_b32 s10, 0x7f800001
	s_xor_b64 s[4:5], exec, -1
; %bb.3203:
	s_or_b64 exec, exec, s[8:9]
	s_and_b64 s[4:5], s[4:5], exec
	s_or_saveexec_b64 s[6:7], s[6:7]
	v_mov_b32_e32 v12, s10
	s_xor_b64 exec, exec, s[6:7]
	s_cbranch_execz .LBB15_1154
.LBB15_3204:
	v_mov_b32_e32 v12, 0
	v_cmp_ne_u16_sdwa s[8:9], v6, v12 src0_sel:BYTE_0 src1_sel:DWORD
	s_andn2_b64 s[4:5], s[4:5], exec
	s_and_b64 s[8:9], s[8:9], exec
	s_or_b64 s[4:5], s[4:5], s[8:9]
	s_or_b64 exec, exec, s[6:7]
	s_and_saveexec_b64 s[6:7], s[4:5]
	s_cbranch_execnz .LBB15_1155
	s_branch .LBB15_1156
.LBB15_3205:
	s_movk_i32 s4, 0x80
	v_cmp_eq_u16_sdwa s[12:13], v2, s4 src0_sel:BYTE_0 src1_sel:DWORD
	s_mov_b64 s[4:5], -1
                                        ; implicit-def: $sgpr10
	s_and_saveexec_b64 s[8:9], s[12:13]
; %bb.3206:
	s_mov_b32 s10, 0x7f800001
	s_xor_b64 s[4:5], exec, -1
; %bb.3207:
	s_or_b64 exec, exec, s[8:9]
	s_and_b64 s[4:5], s[4:5], exec
	s_or_saveexec_b64 s[6:7], s[6:7]
	v_mov_b32_e32 v13, s10
	s_xor_b64 exec, exec, s[6:7]
	s_cbranch_execz .LBB15_1158
.LBB15_3208:
	v_mov_b32_e32 v13, 0
	v_cmp_ne_u16_sdwa s[8:9], v2, v13 src0_sel:BYTE_0 src1_sel:DWORD
	s_andn2_b64 s[4:5], s[4:5], exec
	s_and_b64 s[8:9], s[8:9], exec
	s_or_b64 s[4:5], s[4:5], s[8:9]
	s_or_b64 exec, exec, s[6:7]
	s_and_saveexec_b64 s[6:7], s[4:5]
	s_cbranch_execnz .LBB15_1159
	s_branch .LBB15_1160
.LBB15_3209:
	s_movk_i32 s4, 0x80
	v_cmp_eq_u16_sdwa s[12:13], v13, s4 src0_sel:BYTE_0 src1_sel:DWORD
	s_mov_b64 s[4:5], -1
                                        ; implicit-def: $sgpr10
	s_and_saveexec_b64 s[8:9], s[12:13]
; %bb.3210:
	s_mov_b32 s10, 0x7f800001
	s_xor_b64 s[4:5], exec, -1
; %bb.3211:
	s_or_b64 exec, exec, s[8:9]
	s_and_b64 s[4:5], s[4:5], exec
	s_or_saveexec_b64 s[6:7], s[6:7]
	v_mov_b32_e32 v12, s10
	s_xor_b64 exec, exec, s[6:7]
	s_cbranch_execz .LBB15_1162
.LBB15_3212:
	v_mov_b32_e32 v12, 0
	v_cmp_ne_u16_sdwa s[8:9], v13, v12 src0_sel:BYTE_0 src1_sel:DWORD
	s_andn2_b64 s[4:5], s[4:5], exec
	s_and_b64 s[8:9], s[8:9], exec
	s_or_b64 s[4:5], s[4:5], s[8:9]
	s_or_b64 exec, exec, s[6:7]
	s_and_saveexec_b64 s[6:7], s[4:5]
	s_cbranch_execnz .LBB15_1163
	s_branch .LBB15_1164
.LBB15_3213:
	s_movk_i32 s4, 0x80
	v_cmp_eq_u16_sdwa s[12:13], v13, s4 src0_sel:BYTE_0 src1_sel:DWORD
	s_mov_b64 s[4:5], -1
                                        ; implicit-def: $sgpr10
	s_and_saveexec_b64 s[8:9], s[12:13]
; %bb.3214:
	s_mov_b32 s10, 0x7f800001
	s_xor_b64 s[4:5], exec, -1
; %bb.3215:
	s_or_b64 exec, exec, s[8:9]
	s_and_b64 s[4:5], s[4:5], exec
	s_or_saveexec_b64 s[6:7], s[6:7]
	v_mov_b32_e32 v14, s10
	s_xor_b64 exec, exec, s[6:7]
	s_cbranch_execz .LBB15_1166
.LBB15_3216:
	v_mov_b32_e32 v14, 0
	v_cmp_ne_u16_sdwa s[8:9], v13, v14 src0_sel:BYTE_0 src1_sel:DWORD
	s_andn2_b64 s[4:5], s[4:5], exec
	s_and_b64 s[8:9], s[8:9], exec
	s_or_b64 s[4:5], s[4:5], s[8:9]
	s_or_b64 exec, exec, s[6:7]
	s_and_saveexec_b64 s[6:7], s[4:5]
	s_cbranch_execnz .LBB15_1167
	s_branch .LBB15_1168
.LBB15_3217:
	s_movk_i32 s4, 0x80
	v_cmp_eq_u16_e32 vcc, s4, v13
	s_mov_b64 s[4:5], -1
                                        ; implicit-def: $sgpr10
	s_and_saveexec_b64 s[8:9], vcc
; %bb.3218:
	s_mov_b32 s10, 0x7f800001
	s_xor_b64 s[4:5], exec, -1
; %bb.3219:
	s_or_b64 exec, exec, s[8:9]
	s_and_b64 s[4:5], s[4:5], exec
                                        ; implicit-def: $vgpr13
	s_or_saveexec_b64 s[6:7], s[6:7]
	v_mov_b32_e32 v12, s10
	s_xor_b64 exec, exec, s[6:7]
	s_cbranch_execz .LBB15_1170
.LBB15_3220:
	v_cmp_ne_u16_e32 vcc, 0, v13
	s_andn2_b64 s[4:5], s[4:5], exec
	s_and_b64 s[8:9], vcc, exec
	v_mov_b32_e32 v12, 0
	s_or_b64 s[4:5], s[4:5], s[8:9]
	s_or_b64 exec, exec, s[6:7]
	s_and_saveexec_b64 s[6:7], s[4:5]
	s_cbranch_execnz .LBB15_1171
	s_branch .LBB15_1172
.LBB15_3221:
	s_movk_i32 s4, 0x80
	v_cmp_eq_u16_e32 vcc, s4, v13
	s_mov_b64 s[4:5], -1
                                        ; implicit-def: $sgpr10
	s_and_saveexec_b64 s[8:9], vcc
; %bb.3222:
	s_mov_b32 s10, 0x7f800001
	s_xor_b64 s[4:5], exec, -1
; %bb.3223:
	s_or_b64 exec, exec, s[8:9]
	s_and_b64 s[4:5], s[4:5], exec
                                        ; implicit-def: $vgpr13
	s_or_saveexec_b64 s[6:7], s[6:7]
	v_mov_b32_e32 v14, s10
	s_xor_b64 exec, exec, s[6:7]
	s_cbranch_execz .LBB15_1174
.LBB15_3224:
	v_cmp_ne_u16_e32 vcc, 0, v13
	s_andn2_b64 s[4:5], s[4:5], exec
	s_and_b64 s[8:9], vcc, exec
	v_mov_b32_e32 v14, 0
	s_or_b64 s[4:5], s[4:5], s[8:9]
	s_or_b64 exec, exec, s[6:7]
	s_and_saveexec_b64 s[6:7], s[4:5]
	s_cbranch_execnz .LBB15_1175
	s_branch .LBB15_1176
.LBB15_3225:
	s_movk_i32 s4, 0x80
	v_cmp_eq_u16_sdwa s[12:13], v6, s4 src0_sel:BYTE_3 src1_sel:DWORD
	s_mov_b64 s[4:5], -1
                                        ; implicit-def: $sgpr10
	s_and_saveexec_b64 s[8:9], s[12:13]
; %bb.3226:
	s_mov_b32 s10, 0x7f800001
	s_xor_b64 s[4:5], exec, -1
; %bb.3227:
	s_or_b64 exec, exec, s[8:9]
	s_and_b64 s[4:5], s[4:5], exec
	s_or_saveexec_b64 s[6:7], s[6:7]
	v_mov_b32_e32 v12, s10
	s_xor_b64 exec, exec, s[6:7]
	s_cbranch_execz .LBB15_1178
.LBB15_3228:
	v_mov_b32_e32 v12, 0
	v_cmp_ne_u16_sdwa s[8:9], v6, v12 src0_sel:BYTE_3 src1_sel:DWORD
	s_andn2_b64 s[4:5], s[4:5], exec
	s_and_b64 s[8:9], s[8:9], exec
	s_or_b64 s[4:5], s[4:5], s[8:9]
	s_or_b64 exec, exec, s[6:7]
	s_and_saveexec_b64 s[6:7], s[4:5]
	s_cbranch_execnz .LBB15_1179
	s_branch .LBB15_1180
.LBB15_3229:
	s_movk_i32 s4, 0x80
	v_cmp_eq_u16_sdwa s[12:13], v2, s4 src0_sel:BYTE_3 src1_sel:DWORD
	s_mov_b64 s[4:5], -1
                                        ; implicit-def: $sgpr10
	s_and_saveexec_b64 s[8:9], s[12:13]
; %bb.3230:
	s_mov_b32 s10, 0x7f800001
	s_xor_b64 s[4:5], exec, -1
; %bb.3231:
	s_or_b64 exec, exec, s[8:9]
	s_and_b64 s[4:5], s[4:5], exec
	s_or_saveexec_b64 s[6:7], s[6:7]
	v_mov_b32_e32 v6, s10
	s_xor_b64 exec, exec, s[6:7]
	s_cbranch_execz .LBB15_1182
.LBB15_3232:
	v_mov_b32_e32 v6, 0
	v_cmp_ne_u16_sdwa s[8:9], v2, v6 src0_sel:BYTE_3 src1_sel:DWORD
	s_andn2_b64 s[4:5], s[4:5], exec
	s_and_b64 s[8:9], s[8:9], exec
	s_or_b64 s[4:5], s[4:5], s[8:9]
	s_or_b64 exec, exec, s[6:7]
	s_and_saveexec_b64 s[6:7], s[4:5]
	s_cbranch_execnz .LBB15_1183
	s_branch .LBB15_1184
.LBB15_3233:
	s_movk_i32 s4, 0x80
	v_cmp_eq_u16_sdwa s[12:13], v7, s4 src0_sel:BYTE_0 src1_sel:DWORD
	s_mov_b64 s[4:5], -1
                                        ; implicit-def: $sgpr10
	s_and_saveexec_b64 s[8:9], s[12:13]
; %bb.3234:
	s_mov_b32 s10, 0x7f800001
	s_xor_b64 s[4:5], exec, -1
; %bb.3235:
	s_or_b64 exec, exec, s[8:9]
	s_and_b64 s[4:5], s[4:5], exec
	s_or_saveexec_b64 s[6:7], s[6:7]
	v_mov_b32_e32 v2, s10
	s_xor_b64 exec, exec, s[6:7]
	s_cbranch_execz .LBB15_1186
.LBB15_3236:
	v_mov_b32_e32 v2, 0
	v_cmp_ne_u16_sdwa s[8:9], v7, v2 src0_sel:BYTE_0 src1_sel:DWORD
	s_andn2_b64 s[4:5], s[4:5], exec
	s_and_b64 s[8:9], s[8:9], exec
	s_or_b64 s[4:5], s[4:5], s[8:9]
	s_or_b64 exec, exec, s[6:7]
	s_and_saveexec_b64 s[6:7], s[4:5]
	s_cbranch_execnz .LBB15_1187
	s_branch .LBB15_1188
.LBB15_3237:
	s_movk_i32 s4, 0x80
	v_cmp_eq_u16_sdwa s[12:13], v3, s4 src0_sel:BYTE_0 src1_sel:DWORD
	s_mov_b64 s[4:5], -1
                                        ; implicit-def: $sgpr10
	s_and_saveexec_b64 s[8:9], s[12:13]
; %bb.3238:
	s_mov_b32 s10, 0x7f800001
	s_xor_b64 s[4:5], exec, -1
; %bb.3239:
	s_or_b64 exec, exec, s[8:9]
	s_and_b64 s[4:5], s[4:5], exec
	s_or_saveexec_b64 s[6:7], s[6:7]
	v_mov_b32_e32 v6, s10
	s_xor_b64 exec, exec, s[6:7]
	s_cbranch_execz .LBB15_1190
.LBB15_3240:
	v_mov_b32_e32 v6, 0
	v_cmp_ne_u16_sdwa s[8:9], v3, v6 src0_sel:BYTE_0 src1_sel:DWORD
	s_andn2_b64 s[4:5], s[4:5], exec
	s_and_b64 s[8:9], s[8:9], exec
	s_or_b64 s[4:5], s[4:5], s[8:9]
	s_or_b64 exec, exec, s[6:7]
	s_and_saveexec_b64 s[6:7], s[4:5]
	s_cbranch_execnz .LBB15_1191
	s_branch .LBB15_1192
.LBB15_3241:
	s_movk_i32 s4, 0x80
	v_cmp_eq_u16_sdwa s[12:13], v6, s4 src0_sel:BYTE_0 src1_sel:DWORD
	s_mov_b64 s[4:5], -1
                                        ; implicit-def: $sgpr10
	s_and_saveexec_b64 s[8:9], s[12:13]
; %bb.3242:
	s_mov_b32 s10, 0x7f800001
	s_xor_b64 s[4:5], exec, -1
; %bb.3243:
	s_or_b64 exec, exec, s[8:9]
	s_and_b64 s[4:5], s[4:5], exec
	s_or_saveexec_b64 s[6:7], s[6:7]
	v_mov_b32_e32 v2, s10
	s_xor_b64 exec, exec, s[6:7]
	s_cbranch_execz .LBB15_1194
.LBB15_3244:
	v_mov_b32_e32 v2, 0
	v_cmp_ne_u16_sdwa s[8:9], v6, v2 src0_sel:BYTE_0 src1_sel:DWORD
	s_andn2_b64 s[4:5], s[4:5], exec
	s_and_b64 s[8:9], s[8:9], exec
	s_or_b64 s[4:5], s[4:5], s[8:9]
	s_or_b64 exec, exec, s[6:7]
	s_and_saveexec_b64 s[6:7], s[4:5]
	s_cbranch_execnz .LBB15_1195
	s_branch .LBB15_1196
.LBB15_3245:
	s_movk_i32 s4, 0x80
	v_cmp_eq_u16_sdwa s[12:13], v6, s4 src0_sel:BYTE_0 src1_sel:DWORD
	s_mov_b64 s[4:5], -1
                                        ; implicit-def: $sgpr10
	s_and_saveexec_b64 s[8:9], s[12:13]
; %bb.3246:
	s_mov_b32 s10, 0x7f800001
	s_xor_b64 s[4:5], exec, -1
; %bb.3247:
	s_or_b64 exec, exec, s[8:9]
	s_and_b64 s[4:5], s[4:5], exec
	s_or_saveexec_b64 s[6:7], s[6:7]
	v_mov_b32_e32 v12, s10
	s_xor_b64 exec, exec, s[6:7]
	s_cbranch_execz .LBB15_1198
.LBB15_3248:
	v_mov_b32_e32 v12, 0
	v_cmp_ne_u16_sdwa s[8:9], v6, v12 src0_sel:BYTE_0 src1_sel:DWORD
	s_andn2_b64 s[4:5], s[4:5], exec
	s_and_b64 s[8:9], s[8:9], exec
	s_or_b64 s[4:5], s[4:5], s[8:9]
	s_or_b64 exec, exec, s[6:7]
	s_and_saveexec_b64 s[6:7], s[4:5]
	s_cbranch_execnz .LBB15_1199
	s_branch .LBB15_1200
.LBB15_3249:
	s_movk_i32 s4, 0x80
	v_cmp_eq_u16_e32 vcc, s4, v6
	s_mov_b64 s[4:5], -1
                                        ; implicit-def: $sgpr10
	s_and_saveexec_b64 s[8:9], vcc
; %bb.3250:
	s_mov_b32 s10, 0x7f800001
	s_xor_b64 s[4:5], exec, -1
; %bb.3251:
	s_or_b64 exec, exec, s[8:9]
	s_and_b64 s[4:5], s[4:5], exec
                                        ; implicit-def: $vgpr6
	s_or_saveexec_b64 s[6:7], s[6:7]
	v_mov_b32_e32 v2, s10
	s_xor_b64 exec, exec, s[6:7]
	s_cbranch_execz .LBB15_1202
.LBB15_3252:
	v_cmp_ne_u16_e32 vcc, 0, v6
	s_andn2_b64 s[4:5], s[4:5], exec
	s_and_b64 s[8:9], vcc, exec
	v_mov_b32_e32 v2, 0
	s_or_b64 s[4:5], s[4:5], s[8:9]
	s_or_b64 exec, exec, s[6:7]
	s_and_saveexec_b64 s[6:7], s[4:5]
	s_cbranch_execnz .LBB15_1203
	s_branch .LBB15_1204
.LBB15_3253:
	s_movk_i32 s4, 0x80
	v_cmp_eq_u16_e32 vcc, s4, v6
	s_mov_b64 s[4:5], -1
                                        ; implicit-def: $sgpr10
	s_and_saveexec_b64 s[8:9], vcc
; %bb.3254:
	s_mov_b32 s10, 0x7f800001
	s_xor_b64 s[4:5], exec, -1
; %bb.3255:
	s_or_b64 exec, exec, s[8:9]
	s_and_b64 s[4:5], s[4:5], exec
                                        ; implicit-def: $vgpr6
	s_or_saveexec_b64 s[6:7], s[6:7]
	v_mov_b32_e32 v12, s10
	s_xor_b64 exec, exec, s[6:7]
	s_cbranch_execz .LBB15_1206
.LBB15_3256:
	v_cmp_ne_u16_e32 vcc, 0, v6
	s_andn2_b64 s[4:5], s[4:5], exec
	s_and_b64 s[8:9], vcc, exec
	v_mov_b32_e32 v12, 0
	s_or_b64 s[4:5], s[4:5], s[8:9]
	s_or_b64 exec, exec, s[6:7]
	s_and_saveexec_b64 s[6:7], s[4:5]
	s_cbranch_execnz .LBB15_1207
	s_branch .LBB15_1208
.LBB15_3257:
	s_movk_i32 s4, 0x80
	v_cmp_eq_u16_sdwa s[12:13], v7, s4 src0_sel:BYTE_3 src1_sel:DWORD
	s_mov_b64 s[4:5], -1
                                        ; implicit-def: $sgpr10
	s_and_saveexec_b64 s[8:9], s[12:13]
; %bb.3258:
	s_mov_b32 s10, 0x7f800001
	s_xor_b64 s[4:5], exec, -1
; %bb.3259:
	s_or_b64 exec, exec, s[8:9]
	s_and_b64 s[4:5], s[4:5], exec
	s_or_saveexec_b64 s[6:7], s[6:7]
	v_mov_b32_e32 v2, s10
	s_xor_b64 exec, exec, s[6:7]
	s_cbranch_execz .LBB15_1210
.LBB15_3260:
	v_mov_b32_e32 v2, 0
	v_cmp_ne_u16_sdwa s[8:9], v7, v2 src0_sel:BYTE_3 src1_sel:DWORD
	s_andn2_b64 s[4:5], s[4:5], exec
	s_and_b64 s[8:9], s[8:9], exec
	s_or_b64 s[4:5], s[4:5], s[8:9]
	s_or_b64 exec, exec, s[6:7]
	s_and_saveexec_b64 s[6:7], s[4:5]
	s_cbranch_execnz .LBB15_1211
	s_branch .LBB15_1212
.LBB15_3261:
	s_movk_i32 s4, 0x80
	v_cmp_eq_u16_sdwa s[12:13], v3, s4 src0_sel:BYTE_3 src1_sel:DWORD
	s_mov_b64 s[4:5], -1
                                        ; implicit-def: $sgpr10
	s_and_saveexec_b64 s[8:9], s[12:13]
; %bb.3262:
	s_mov_b32 s10, 0x7f800001
	s_xor_b64 s[4:5], exec, -1
; %bb.3263:
	s_or_b64 exec, exec, s[8:9]
	s_and_b64 s[4:5], s[4:5], exec
	s_or_saveexec_b64 s[6:7], s[6:7]
	v_mov_b32_e32 v6, s10
	s_xor_b64 exec, exec, s[6:7]
	s_cbranch_execz .LBB15_1214
.LBB15_3264:
	v_mov_b32_e32 v6, 0
	v_cmp_ne_u16_sdwa s[8:9], v3, v6 src0_sel:BYTE_3 src1_sel:DWORD
	s_andn2_b64 s[4:5], s[4:5], exec
	s_and_b64 s[8:9], s[8:9], exec
	s_or_b64 s[4:5], s[4:5], s[8:9]
	s_or_b64 exec, exec, s[6:7]
	s_and_saveexec_b64 s[6:7], s[4:5]
	s_cbranch_execnz .LBB15_1215
	s_branch .LBB15_1216
.LBB15_3265:
	s_movk_i32 s4, 0x80
	v_cmp_eq_u16_sdwa s[12:13], v8, s4 src0_sel:BYTE_0 src1_sel:DWORD
	s_mov_b64 s[4:5], -1
                                        ; implicit-def: $sgpr10
	s_and_saveexec_b64 s[8:9], s[12:13]
; %bb.3266:
	s_mov_b32 s10, 0x7f800001
	s_xor_b64 s[4:5], exec, -1
; %bb.3267:
	s_or_b64 exec, exec, s[8:9]
	s_and_b64 s[4:5], s[4:5], exec
	s_or_saveexec_b64 s[6:7], s[6:7]
	v_mov_b32_e32 v2, s10
	s_xor_b64 exec, exec, s[6:7]
	s_cbranch_execz .LBB15_1218
.LBB15_3268:
	v_mov_b32_e32 v2, 0
	v_cmp_ne_u16_sdwa s[8:9], v8, v2 src0_sel:BYTE_0 src1_sel:DWORD
	s_andn2_b64 s[4:5], s[4:5], exec
	s_and_b64 s[8:9], s[8:9], exec
	s_or_b64 s[4:5], s[4:5], s[8:9]
	s_or_b64 exec, exec, s[6:7]
	s_and_saveexec_b64 s[6:7], s[4:5]
	s_cbranch_execnz .LBB15_1219
	s_branch .LBB15_1220
.LBB15_3269:
	s_movk_i32 s4, 0x80
	v_cmp_eq_u16_sdwa s[12:13], v4, s4 src0_sel:BYTE_0 src1_sel:DWORD
	s_mov_b64 s[4:5], -1
                                        ; implicit-def: $sgpr10
	s_and_saveexec_b64 s[8:9], s[12:13]
; %bb.3270:
	s_mov_b32 s10, 0x7f800001
	s_xor_b64 s[4:5], exec, -1
; %bb.3271:
	s_or_b64 exec, exec, s[8:9]
	s_and_b64 s[4:5], s[4:5], exec
	s_or_saveexec_b64 s[6:7], s[6:7]
	v_mov_b32_e32 v3, s10
	s_xor_b64 exec, exec, s[6:7]
	s_cbranch_execz .LBB15_1222
.LBB15_3272:
	v_mov_b32_e32 v3, 0
	v_cmp_ne_u16_sdwa s[8:9], v4, v3 src0_sel:BYTE_0 src1_sel:DWORD
	s_andn2_b64 s[4:5], s[4:5], exec
	s_and_b64 s[8:9], s[8:9], exec
	s_or_b64 s[4:5], s[4:5], s[8:9]
	s_or_b64 exec, exec, s[6:7]
	s_and_saveexec_b64 s[6:7], s[4:5]
	s_cbranch_execnz .LBB15_1223
	s_branch .LBB15_1224
.LBB15_3273:
	s_movk_i32 s4, 0x80
	v_cmp_eq_u16_sdwa s[12:13], v3, s4 src0_sel:BYTE_0 src1_sel:DWORD
	s_mov_b64 s[4:5], -1
                                        ; implicit-def: $sgpr10
	s_and_saveexec_b64 s[8:9], s[12:13]
; %bb.3274:
	s_mov_b32 s10, 0x7f800001
	s_xor_b64 s[4:5], exec, -1
; %bb.3275:
	s_or_b64 exec, exec, s[8:9]
	s_and_b64 s[4:5], s[4:5], exec
	s_or_saveexec_b64 s[6:7], s[6:7]
	v_mov_b32_e32 v2, s10
	s_xor_b64 exec, exec, s[6:7]
	s_cbranch_execz .LBB15_1226
.LBB15_3276:
	v_mov_b32_e32 v2, 0
	v_cmp_ne_u16_sdwa s[8:9], v3, v2 src0_sel:BYTE_0 src1_sel:DWORD
	s_andn2_b64 s[4:5], s[4:5], exec
	s_and_b64 s[8:9], s[8:9], exec
	s_or_b64 s[4:5], s[4:5], s[8:9]
	s_or_b64 exec, exec, s[6:7]
	s_and_saveexec_b64 s[6:7], s[4:5]
	s_cbranch_execnz .LBB15_1227
	s_branch .LBB15_1228
.LBB15_3277:
	s_movk_i32 s4, 0x80
	v_cmp_eq_u16_sdwa s[12:13], v3, s4 src0_sel:BYTE_0 src1_sel:DWORD
	s_mov_b64 s[4:5], -1
                                        ; implicit-def: $sgpr10
	s_and_saveexec_b64 s[8:9], s[12:13]
; %bb.3278:
	s_mov_b32 s10, 0x7f800001
	s_xor_b64 s[4:5], exec, -1
; %bb.3279:
	s_or_b64 exec, exec, s[8:9]
	s_and_b64 s[4:5], s[4:5], exec
	s_or_saveexec_b64 s[6:7], s[6:7]
	v_mov_b32_e32 v6, s10
	s_xor_b64 exec, exec, s[6:7]
	s_cbranch_execz .LBB15_1230
.LBB15_3280:
	v_mov_b32_e32 v6, 0
	v_cmp_ne_u16_sdwa s[8:9], v3, v6 src0_sel:BYTE_0 src1_sel:DWORD
	s_andn2_b64 s[4:5], s[4:5], exec
	s_and_b64 s[8:9], s[8:9], exec
	s_or_b64 s[4:5], s[4:5], s[8:9]
	s_or_b64 exec, exec, s[6:7]
	s_and_saveexec_b64 s[6:7], s[4:5]
	s_cbranch_execnz .LBB15_1231
	s_branch .LBB15_1232
.LBB15_3281:
	s_movk_i32 s4, 0x80
	v_cmp_eq_u16_e32 vcc, s4, v3
	s_mov_b64 s[4:5], -1
                                        ; implicit-def: $sgpr10
	s_and_saveexec_b64 s[8:9], vcc
; %bb.3282:
	s_mov_b32 s10, 0x7f800001
	s_xor_b64 s[4:5], exec, -1
; %bb.3283:
	s_or_b64 exec, exec, s[8:9]
	s_and_b64 s[4:5], s[4:5], exec
                                        ; implicit-def: $vgpr3
	s_or_saveexec_b64 s[6:7], s[6:7]
	v_mov_b32_e32 v2, s10
	s_xor_b64 exec, exec, s[6:7]
	s_cbranch_execz .LBB15_1234
.LBB15_3284:
	v_cmp_ne_u16_e32 vcc, 0, v3
	s_andn2_b64 s[4:5], s[4:5], exec
	s_and_b64 s[8:9], vcc, exec
	v_mov_b32_e32 v2, 0
	s_or_b64 s[4:5], s[4:5], s[8:9]
	s_or_b64 exec, exec, s[6:7]
	s_and_saveexec_b64 s[6:7], s[4:5]
	s_cbranch_execnz .LBB15_1235
	s_branch .LBB15_1236
.LBB15_3285:
	s_movk_i32 s4, 0x80
	v_cmp_eq_u16_e32 vcc, s4, v3
	s_mov_b64 s[4:5], -1
                                        ; implicit-def: $sgpr10
	s_and_saveexec_b64 s[8:9], vcc
; %bb.3286:
	s_mov_b32 s10, 0x7f800001
	s_xor_b64 s[4:5], exec, -1
; %bb.3287:
	s_or_b64 exec, exec, s[8:9]
	s_and_b64 s[4:5], s[4:5], exec
                                        ; implicit-def: $vgpr3
	s_or_saveexec_b64 s[6:7], s[6:7]
	v_mov_b32_e32 v6, s10
	s_xor_b64 exec, exec, s[6:7]
	s_cbranch_execz .LBB15_1238
.LBB15_3288:
	v_cmp_ne_u16_e32 vcc, 0, v3
	s_andn2_b64 s[4:5], s[4:5], exec
	s_and_b64 s[8:9], vcc, exec
	v_mov_b32_e32 v6, 0
	s_or_b64 s[4:5], s[4:5], s[8:9]
	s_or_b64 exec, exec, s[6:7]
	s_and_saveexec_b64 s[6:7], s[4:5]
	s_cbranch_execnz .LBB15_1239
	s_branch .LBB15_1240
.LBB15_3289:
	s_movk_i32 s4, 0x80
	v_cmp_eq_u16_sdwa s[12:13], v8, s4 src0_sel:BYTE_3 src1_sel:DWORD
	s_mov_b64 s[4:5], -1
                                        ; implicit-def: $sgpr10
	s_and_saveexec_b64 s[8:9], s[12:13]
; %bb.3290:
	s_mov_b32 s10, 0x7f800001
	s_xor_b64 s[4:5], exec, -1
; %bb.3291:
	s_or_b64 exec, exec, s[8:9]
	s_and_b64 s[4:5], s[4:5], exec
	s_or_saveexec_b64 s[6:7], s[6:7]
	v_mov_b32_e32 v2, s10
	s_xor_b64 exec, exec, s[6:7]
	s_cbranch_execz .LBB15_1242
.LBB15_3292:
	v_mov_b32_e32 v2, 0
	v_cmp_ne_u16_sdwa s[8:9], v8, v2 src0_sel:BYTE_3 src1_sel:DWORD
	s_andn2_b64 s[4:5], s[4:5], exec
	s_and_b64 s[8:9], s[8:9], exec
	s_or_b64 s[4:5], s[4:5], s[8:9]
	s_or_b64 exec, exec, s[6:7]
	s_and_saveexec_b64 s[6:7], s[4:5]
	s_cbranch_execnz .LBB15_1243
	s_branch .LBB15_1244
.LBB15_3293:
	s_movk_i32 s4, 0x80
	v_cmp_eq_u16_sdwa s[12:13], v4, s4 src0_sel:BYTE_3 src1_sel:DWORD
	s_mov_b64 s[4:5], -1
                                        ; implicit-def: $sgpr10
	s_and_saveexec_b64 s[8:9], s[12:13]
; %bb.3294:
	s_mov_b32 s10, 0x7f800001
	s_xor_b64 s[4:5], exec, -1
; %bb.3295:
	s_or_b64 exec, exec, s[8:9]
	s_and_b64 s[4:5], s[4:5], exec
	s_or_saveexec_b64 s[6:7], s[6:7]
	v_mov_b32_e32 v3, s10
	s_xor_b64 exec, exec, s[6:7]
	s_cbranch_execz .LBB15_1246
.LBB15_3296:
	v_mov_b32_e32 v3, 0
	v_cmp_ne_u16_sdwa s[8:9], v4, v3 src0_sel:BYTE_3 src1_sel:DWORD
	s_andn2_b64 s[4:5], s[4:5], exec
	s_and_b64 s[8:9], s[8:9], exec
	s_or_b64 s[4:5], s[4:5], s[8:9]
	s_or_b64 exec, exec, s[6:7]
	s_and_saveexec_b64 s[6:7], s[4:5]
	s_cbranch_execnz .LBB15_1247
	s_branch .LBB15_1248
.LBB15_3297:
	s_movk_i32 s4, 0x80
	v_cmp_eq_u16_sdwa s[12:13], v9, s4 src0_sel:BYTE_0 src1_sel:DWORD
	s_mov_b64 s[4:5], -1
                                        ; implicit-def: $sgpr10
	s_and_saveexec_b64 s[8:9], s[12:13]
; %bb.3298:
	s_mov_b32 s10, 0x7f800001
	s_xor_b64 s[4:5], exec, -1
; %bb.3299:
	s_or_b64 exec, exec, s[8:9]
	s_and_b64 s[4:5], s[4:5], exec
	s_or_saveexec_b64 s[6:7], s[6:7]
	v_mov_b32_e32 v2, s10
	s_xor_b64 exec, exec, s[6:7]
	s_cbranch_execz .LBB15_1250
.LBB15_3300:
	v_mov_b32_e32 v2, 0
	v_cmp_ne_u16_sdwa s[8:9], v9, v2 src0_sel:BYTE_0 src1_sel:DWORD
	s_andn2_b64 s[4:5], s[4:5], exec
	s_and_b64 s[8:9], s[8:9], exec
	s_or_b64 s[4:5], s[4:5], s[8:9]
	s_or_b64 exec, exec, s[6:7]
	s_and_saveexec_b64 s[6:7], s[4:5]
	s_cbranch_execnz .LBB15_1251
	s_branch .LBB15_1252
.LBB15_3301:
	s_movk_i32 s4, 0x80
	v_cmp_eq_u16_sdwa s[12:13], v5, s4 src0_sel:BYTE_0 src1_sel:DWORD
	s_mov_b64 s[4:5], -1
                                        ; implicit-def: $sgpr10
	s_and_saveexec_b64 s[8:9], s[12:13]
; %bb.3302:
	s_mov_b32 s10, 0x7f800001
	s_xor_b64 s[4:5], exec, -1
; %bb.3303:
	s_or_b64 exec, exec, s[8:9]
	s_and_b64 s[4:5], s[4:5], exec
	s_or_saveexec_b64 s[6:7], s[6:7]
	v_mov_b32_e32 v3, s10
	s_xor_b64 exec, exec, s[6:7]
	s_cbranch_execz .LBB15_1254
.LBB15_3304:
	v_mov_b32_e32 v3, 0
	v_cmp_ne_u16_sdwa s[8:9], v5, v3 src0_sel:BYTE_0 src1_sel:DWORD
	s_andn2_b64 s[4:5], s[4:5], exec
	s_and_b64 s[8:9], s[8:9], exec
	s_or_b64 s[4:5], s[4:5], s[8:9]
	s_or_b64 exec, exec, s[6:7]
	s_and_saveexec_b64 s[6:7], s[4:5]
	s_cbranch_execnz .LBB15_1255
	s_branch .LBB15_1256
.LBB15_3305:
	s_movk_i32 s4, 0x80
	v_cmp_eq_u16_sdwa s[12:13], v3, s4 src0_sel:BYTE_0 src1_sel:DWORD
	s_mov_b64 s[4:5], -1
                                        ; implicit-def: $sgpr10
	s_and_saveexec_b64 s[8:9], s[12:13]
; %bb.3306:
	s_mov_b32 s10, 0x7f800001
	s_xor_b64 s[4:5], exec, -1
; %bb.3307:
	s_or_b64 exec, exec, s[8:9]
	s_and_b64 s[4:5], s[4:5], exec
	s_or_saveexec_b64 s[6:7], s[6:7]
	v_mov_b32_e32 v2, s10
	s_xor_b64 exec, exec, s[6:7]
	s_cbranch_execz .LBB15_1258
.LBB15_3308:
	v_mov_b32_e32 v2, 0
	v_cmp_ne_u16_sdwa s[8:9], v3, v2 src0_sel:BYTE_0 src1_sel:DWORD
	s_andn2_b64 s[4:5], s[4:5], exec
	s_and_b64 s[8:9], s[8:9], exec
	s_or_b64 s[4:5], s[4:5], s[8:9]
	s_or_b64 exec, exec, s[6:7]
	s_and_saveexec_b64 s[6:7], s[4:5]
	s_cbranch_execnz .LBB15_1259
	s_branch .LBB15_1260
.LBB15_3309:
	s_movk_i32 s4, 0x80
	v_cmp_eq_u16_sdwa s[12:13], v3, s4 src0_sel:BYTE_0 src1_sel:DWORD
	s_mov_b64 s[4:5], -1
                                        ; implicit-def: $sgpr10
	s_and_saveexec_b64 s[8:9], s[12:13]
; %bb.3310:
	s_mov_b32 s10, 0x7f800001
	s_xor_b64 s[4:5], exec, -1
; %bb.3311:
	s_or_b64 exec, exec, s[8:9]
	s_and_b64 s[4:5], s[4:5], exec
	s_or_saveexec_b64 s[6:7], s[6:7]
	v_mov_b32_e32 v4, s10
	s_xor_b64 exec, exec, s[6:7]
	s_cbranch_execz .LBB15_1262
.LBB15_3312:
	v_mov_b32_e32 v4, 0
	v_cmp_ne_u16_sdwa s[8:9], v3, v4 src0_sel:BYTE_0 src1_sel:DWORD
	s_andn2_b64 s[4:5], s[4:5], exec
	s_and_b64 s[8:9], s[8:9], exec
	s_or_b64 s[4:5], s[4:5], s[8:9]
	s_or_b64 exec, exec, s[6:7]
	s_and_saveexec_b64 s[6:7], s[4:5]
	s_cbranch_execnz .LBB15_1263
	s_branch .LBB15_1264
.LBB15_3313:
	s_movk_i32 s4, 0x80
	v_cmp_eq_u16_e32 vcc, s4, v3
	s_mov_b64 s[4:5], -1
                                        ; implicit-def: $sgpr10
	s_and_saveexec_b64 s[8:9], vcc
; %bb.3314:
	s_mov_b32 s10, 0x7f800001
	s_xor_b64 s[4:5], exec, -1
; %bb.3315:
	s_or_b64 exec, exec, s[8:9]
	s_and_b64 s[4:5], s[4:5], exec
                                        ; implicit-def: $vgpr3
	s_or_saveexec_b64 s[6:7], s[6:7]
	v_mov_b32_e32 v2, s10
	s_xor_b64 exec, exec, s[6:7]
	s_cbranch_execz .LBB15_1266
.LBB15_3316:
	v_cmp_ne_u16_e32 vcc, 0, v3
	s_andn2_b64 s[4:5], s[4:5], exec
	s_and_b64 s[8:9], vcc, exec
	v_mov_b32_e32 v2, 0
	s_or_b64 s[4:5], s[4:5], s[8:9]
	s_or_b64 exec, exec, s[6:7]
	s_and_saveexec_b64 s[6:7], s[4:5]
	s_cbranch_execnz .LBB15_1267
	s_branch .LBB15_1268
.LBB15_3317:
	s_movk_i32 s4, 0x80
	v_cmp_eq_u16_e32 vcc, s4, v3
	s_mov_b64 s[4:5], -1
                                        ; implicit-def: $sgpr10
	s_and_saveexec_b64 s[8:9], vcc
; %bb.3318:
	s_mov_b32 s10, 0x7f800001
	s_xor_b64 s[4:5], exec, -1
; %bb.3319:
	s_or_b64 exec, exec, s[8:9]
	s_and_b64 s[4:5], s[4:5], exec
                                        ; implicit-def: $vgpr3
	s_or_saveexec_b64 s[6:7], s[6:7]
	v_mov_b32_e32 v4, s10
	s_xor_b64 exec, exec, s[6:7]
	s_cbranch_execz .LBB15_1270
.LBB15_3320:
	v_cmp_ne_u16_e32 vcc, 0, v3
	s_andn2_b64 s[4:5], s[4:5], exec
	s_and_b64 s[8:9], vcc, exec
	v_mov_b32_e32 v4, 0
	s_or_b64 s[4:5], s[4:5], s[8:9]
	s_or_b64 exec, exec, s[6:7]
	s_and_saveexec_b64 s[6:7], s[4:5]
	s_cbranch_execnz .LBB15_1271
	s_branch .LBB15_1272
.LBB15_3321:
	s_movk_i32 s4, 0x80
	v_cmp_eq_u16_sdwa s[12:13], v9, s4 src0_sel:BYTE_3 src1_sel:DWORD
	s_mov_b64 s[4:5], -1
                                        ; implicit-def: $sgpr10
	s_and_saveexec_b64 s[8:9], s[12:13]
; %bb.3322:
	s_mov_b32 s10, 0x7f800001
	s_xor_b64 s[4:5], exec, -1
; %bb.3323:
	s_or_b64 exec, exec, s[8:9]
	s_and_b64 s[4:5], s[4:5], exec
	s_or_saveexec_b64 s[6:7], s[6:7]
	v_mov_b32_e32 v2, s10
	s_xor_b64 exec, exec, s[6:7]
	s_cbranch_execz .LBB15_1274
.LBB15_3324:
	v_mov_b32_e32 v2, 0
	v_cmp_ne_u16_sdwa s[8:9], v9, v2 src0_sel:BYTE_3 src1_sel:DWORD
	s_andn2_b64 s[4:5], s[4:5], exec
	s_and_b64 s[8:9], s[8:9], exec
	s_or_b64 s[4:5], s[4:5], s[8:9]
	s_or_b64 exec, exec, s[6:7]
	s_and_saveexec_b64 s[6:7], s[4:5]
	s_cbranch_execnz .LBB15_1275
	s_branch .LBB15_1276
.LBB15_3325:
	s_movk_i32 s4, 0x80
	v_cmp_eq_u16_sdwa s[12:13], v5, s4 src0_sel:BYTE_3 src1_sel:DWORD
	s_mov_b64 s[4:5], -1
                                        ; implicit-def: $sgpr10
	s_and_saveexec_b64 s[8:9], s[12:13]
; %bb.3326:
	s_mov_b32 s10, 0x7f800001
	s_xor_b64 s[4:5], exec, -1
; %bb.3327:
	s_or_b64 exec, exec, s[8:9]
	s_and_b64 s[4:5], s[4:5], exec
	s_or_saveexec_b64 s[6:7], s[6:7]
	v_mov_b32_e32 v3, s10
	s_xor_b64 exec, exec, s[6:7]
	s_cbranch_execz .LBB15_1278
.LBB15_3328:
	v_mov_b32_e32 v3, 0
	v_cmp_ne_u16_sdwa s[8:9], v5, v3 src0_sel:BYTE_3 src1_sel:DWORD
	s_andn2_b64 s[4:5], s[4:5], exec
	s_and_b64 s[8:9], s[8:9], exec
	s_or_b64 s[4:5], s[4:5], s[8:9]
	s_or_b64 exec, exec, s[6:7]
	s_and_saveexec_b64 s[6:7], s[4:5]
	s_cbranch_execnz .LBB15_1279
	s_branch .LBB15_1280
.LBB15_3329:
	s_movk_i32 s4, 0x80
	v_cmp_eq_u16_sdwa s[12:13], v6, s4 src0_sel:BYTE_0 src1_sel:DWORD
	s_mov_b64 s[4:5], -1
                                        ; implicit-def: $sgpr10
	s_and_saveexec_b64 s[8:9], s[12:13]
; %bb.3330:
	s_mov_b32 s10, 0x7f800001
	s_xor_b64 s[4:5], exec, -1
; %bb.3331:
	s_or_b64 exec, exec, s[8:9]
	s_and_b64 s[4:5], s[4:5], exec
	s_or_saveexec_b64 s[6:7], s[6:7]
	v_mov_b32_e32 v12, s10
	s_xor_b64 exec, exec, s[6:7]
	s_cbranch_execz .LBB15_1282
.LBB15_3332:
	v_mov_b32_e32 v12, 0
	v_cmp_ne_u16_sdwa s[8:9], v6, v12 src0_sel:BYTE_0 src1_sel:DWORD
	s_andn2_b64 s[4:5], s[4:5], exec
	s_and_b64 s[8:9], s[8:9], exec
	s_or_b64 s[4:5], s[4:5], s[8:9]
	s_or_b64 exec, exec, s[6:7]
	s_and_saveexec_b64 s[6:7], s[4:5]
	s_cbranch_execnz .LBB15_1283
	s_branch .LBB15_1284
.LBB15_3333:
	s_movk_i32 s4, 0x80
	v_cmp_eq_u16_sdwa s[12:13], v2, s4 src0_sel:BYTE_0 src1_sel:DWORD
	s_mov_b64 s[4:5], -1
                                        ; implicit-def: $sgpr10
	s_and_saveexec_b64 s[8:9], s[12:13]
; %bb.3334:
	s_mov_b32 s10, 0x7f800001
	s_xor_b64 s[4:5], exec, -1
; %bb.3335:
	s_or_b64 exec, exec, s[8:9]
	s_and_b64 s[4:5], s[4:5], exec
	s_or_saveexec_b64 s[6:7], s[6:7]
	v_mov_b32_e32 v13, s10
	s_xor_b64 exec, exec, s[6:7]
	s_cbranch_execz .LBB15_1286
.LBB15_3336:
	v_mov_b32_e32 v13, 0
	v_cmp_ne_u16_sdwa s[8:9], v2, v13 src0_sel:BYTE_0 src1_sel:DWORD
	s_andn2_b64 s[4:5], s[4:5], exec
	s_and_b64 s[8:9], s[8:9], exec
	s_or_b64 s[4:5], s[4:5], s[8:9]
	s_or_b64 exec, exec, s[6:7]
	s_and_saveexec_b64 s[6:7], s[4:5]
	s_cbranch_execnz .LBB15_1287
	s_branch .LBB15_1288
.LBB15_3337:
	s_movk_i32 s4, 0x80
	v_cmp_eq_u16_sdwa s[12:13], v13, s4 src0_sel:BYTE_0 src1_sel:DWORD
	s_mov_b64 s[4:5], -1
                                        ; implicit-def: $sgpr10
	s_and_saveexec_b64 s[8:9], s[12:13]
; %bb.3338:
	s_mov_b32 s10, 0x7f800001
	s_xor_b64 s[4:5], exec, -1
; %bb.3339:
	s_or_b64 exec, exec, s[8:9]
	s_and_b64 s[4:5], s[4:5], exec
	s_or_saveexec_b64 s[6:7], s[6:7]
	v_mov_b32_e32 v12, s10
	s_xor_b64 exec, exec, s[6:7]
	s_cbranch_execz .LBB15_1290
.LBB15_3340:
	v_mov_b32_e32 v12, 0
	v_cmp_ne_u16_sdwa s[8:9], v13, v12 src0_sel:BYTE_0 src1_sel:DWORD
	s_andn2_b64 s[4:5], s[4:5], exec
	s_and_b64 s[8:9], s[8:9], exec
	s_or_b64 s[4:5], s[4:5], s[8:9]
	s_or_b64 exec, exec, s[6:7]
	s_and_saveexec_b64 s[6:7], s[4:5]
	s_cbranch_execnz .LBB15_1291
	s_branch .LBB15_1292
.LBB15_3341:
	s_movk_i32 s4, 0x80
	v_cmp_eq_u16_sdwa s[12:13], v13, s4 src0_sel:BYTE_0 src1_sel:DWORD
	s_mov_b64 s[4:5], -1
                                        ; implicit-def: $sgpr10
	s_and_saveexec_b64 s[8:9], s[12:13]
; %bb.3342:
	s_mov_b32 s10, 0x7f800001
	s_xor_b64 s[4:5], exec, -1
; %bb.3343:
	s_or_b64 exec, exec, s[8:9]
	s_and_b64 s[4:5], s[4:5], exec
	s_or_saveexec_b64 s[6:7], s[6:7]
	v_mov_b32_e32 v14, s10
	s_xor_b64 exec, exec, s[6:7]
	s_cbranch_execz .LBB15_1294
.LBB15_3344:
	v_mov_b32_e32 v14, 0
	v_cmp_ne_u16_sdwa s[8:9], v13, v14 src0_sel:BYTE_0 src1_sel:DWORD
	s_andn2_b64 s[4:5], s[4:5], exec
	s_and_b64 s[8:9], s[8:9], exec
	s_or_b64 s[4:5], s[4:5], s[8:9]
	s_or_b64 exec, exec, s[6:7]
	s_and_saveexec_b64 s[6:7], s[4:5]
	s_cbranch_execnz .LBB15_1295
	s_branch .LBB15_1296
.LBB15_3345:
	s_movk_i32 s4, 0x80
	v_cmp_eq_u16_e32 vcc, s4, v13
	s_mov_b64 s[4:5], -1
                                        ; implicit-def: $sgpr10
	s_and_saveexec_b64 s[8:9], vcc
; %bb.3346:
	s_mov_b32 s10, 0x7f800001
	s_xor_b64 s[4:5], exec, -1
; %bb.3347:
	s_or_b64 exec, exec, s[8:9]
	s_and_b64 s[4:5], s[4:5], exec
                                        ; implicit-def: $vgpr13
	s_or_saveexec_b64 s[6:7], s[6:7]
	v_mov_b32_e32 v12, s10
	s_xor_b64 exec, exec, s[6:7]
	s_cbranch_execz .LBB15_1298
.LBB15_3348:
	v_cmp_ne_u16_e32 vcc, 0, v13
	s_andn2_b64 s[4:5], s[4:5], exec
	s_and_b64 s[8:9], vcc, exec
	v_mov_b32_e32 v12, 0
	s_or_b64 s[4:5], s[4:5], s[8:9]
	s_or_b64 exec, exec, s[6:7]
	s_and_saveexec_b64 s[6:7], s[4:5]
	s_cbranch_execnz .LBB15_1299
	s_branch .LBB15_1300
.LBB15_3349:
	s_movk_i32 s4, 0x80
	v_cmp_eq_u16_e32 vcc, s4, v13
	s_mov_b64 s[4:5], -1
                                        ; implicit-def: $sgpr10
	s_and_saveexec_b64 s[8:9], vcc
; %bb.3350:
	s_mov_b32 s10, 0x7f800001
	s_xor_b64 s[4:5], exec, -1
; %bb.3351:
	s_or_b64 exec, exec, s[8:9]
	s_and_b64 s[4:5], s[4:5], exec
                                        ; implicit-def: $vgpr13
	s_or_saveexec_b64 s[6:7], s[6:7]
	v_mov_b32_e32 v14, s10
	s_xor_b64 exec, exec, s[6:7]
	s_cbranch_execz .LBB15_1302
.LBB15_3352:
	v_cmp_ne_u16_e32 vcc, 0, v13
	s_andn2_b64 s[4:5], s[4:5], exec
	s_and_b64 s[8:9], vcc, exec
	v_mov_b32_e32 v14, 0
	s_or_b64 s[4:5], s[4:5], s[8:9]
	s_or_b64 exec, exec, s[6:7]
	s_and_saveexec_b64 s[6:7], s[4:5]
	s_cbranch_execnz .LBB15_1303
	s_branch .LBB15_1304
.LBB15_3353:
	s_movk_i32 s4, 0x80
	v_cmp_eq_u16_sdwa s[12:13], v6, s4 src0_sel:BYTE_3 src1_sel:DWORD
	s_mov_b64 s[4:5], -1
                                        ; implicit-def: $sgpr10
	s_and_saveexec_b64 s[8:9], s[12:13]
; %bb.3354:
	s_mov_b32 s10, 0x7f800001
	s_xor_b64 s[4:5], exec, -1
; %bb.3355:
	s_or_b64 exec, exec, s[8:9]
	s_and_b64 s[4:5], s[4:5], exec
	s_or_saveexec_b64 s[6:7], s[6:7]
	v_mov_b32_e32 v12, s10
	s_xor_b64 exec, exec, s[6:7]
	s_cbranch_execz .LBB15_1306
.LBB15_3356:
	v_mov_b32_e32 v12, 0
	v_cmp_ne_u16_sdwa s[8:9], v6, v12 src0_sel:BYTE_3 src1_sel:DWORD
	s_andn2_b64 s[4:5], s[4:5], exec
	s_and_b64 s[8:9], s[8:9], exec
	s_or_b64 s[4:5], s[4:5], s[8:9]
	s_or_b64 exec, exec, s[6:7]
	s_and_saveexec_b64 s[6:7], s[4:5]
	s_cbranch_execnz .LBB15_1307
	s_branch .LBB15_1308
.LBB15_3357:
	s_movk_i32 s4, 0x80
	v_cmp_eq_u16_sdwa s[12:13], v2, s4 src0_sel:BYTE_3 src1_sel:DWORD
	s_mov_b64 s[4:5], -1
                                        ; implicit-def: $sgpr10
	s_and_saveexec_b64 s[8:9], s[12:13]
; %bb.3358:
	s_mov_b32 s10, 0x7f800001
	s_xor_b64 s[4:5], exec, -1
; %bb.3359:
	s_or_b64 exec, exec, s[8:9]
	s_and_b64 s[4:5], s[4:5], exec
	s_or_saveexec_b64 s[6:7], s[6:7]
	v_mov_b32_e32 v6, s10
	s_xor_b64 exec, exec, s[6:7]
	s_cbranch_execz .LBB15_1310
.LBB15_3360:
	v_mov_b32_e32 v6, 0
	v_cmp_ne_u16_sdwa s[8:9], v2, v6 src0_sel:BYTE_3 src1_sel:DWORD
	s_andn2_b64 s[4:5], s[4:5], exec
	s_and_b64 s[8:9], s[8:9], exec
	s_or_b64 s[4:5], s[4:5], s[8:9]
	s_or_b64 exec, exec, s[6:7]
	s_and_saveexec_b64 s[6:7], s[4:5]
	s_cbranch_execnz .LBB15_1311
	s_branch .LBB15_1312
.LBB15_3361:
	s_movk_i32 s4, 0x80
	v_cmp_eq_u16_sdwa s[12:13], v7, s4 src0_sel:BYTE_0 src1_sel:DWORD
	s_mov_b64 s[4:5], -1
                                        ; implicit-def: $sgpr10
	s_and_saveexec_b64 s[8:9], s[12:13]
; %bb.3362:
	s_mov_b32 s10, 0x7f800001
	s_xor_b64 s[4:5], exec, -1
; %bb.3363:
	s_or_b64 exec, exec, s[8:9]
	s_and_b64 s[4:5], s[4:5], exec
	s_or_saveexec_b64 s[6:7], s[6:7]
	v_mov_b32_e32 v2, s10
	s_xor_b64 exec, exec, s[6:7]
	s_cbranch_execz .LBB15_1314
.LBB15_3364:
	v_mov_b32_e32 v2, 0
	v_cmp_ne_u16_sdwa s[8:9], v7, v2 src0_sel:BYTE_0 src1_sel:DWORD
	s_andn2_b64 s[4:5], s[4:5], exec
	s_and_b64 s[8:9], s[8:9], exec
	s_or_b64 s[4:5], s[4:5], s[8:9]
	s_or_b64 exec, exec, s[6:7]
	s_and_saveexec_b64 s[6:7], s[4:5]
	s_cbranch_execnz .LBB15_1315
	s_branch .LBB15_1316
.LBB15_3365:
	s_movk_i32 s4, 0x80
	v_cmp_eq_u16_sdwa s[12:13], v3, s4 src0_sel:BYTE_0 src1_sel:DWORD
	s_mov_b64 s[4:5], -1
                                        ; implicit-def: $sgpr10
	s_and_saveexec_b64 s[8:9], s[12:13]
; %bb.3366:
	s_mov_b32 s10, 0x7f800001
	s_xor_b64 s[4:5], exec, -1
; %bb.3367:
	s_or_b64 exec, exec, s[8:9]
	s_and_b64 s[4:5], s[4:5], exec
	s_or_saveexec_b64 s[6:7], s[6:7]
	v_mov_b32_e32 v6, s10
	s_xor_b64 exec, exec, s[6:7]
	s_cbranch_execz .LBB15_1318
.LBB15_3368:
	v_mov_b32_e32 v6, 0
	v_cmp_ne_u16_sdwa s[8:9], v3, v6 src0_sel:BYTE_0 src1_sel:DWORD
	s_andn2_b64 s[4:5], s[4:5], exec
	s_and_b64 s[8:9], s[8:9], exec
	s_or_b64 s[4:5], s[4:5], s[8:9]
	s_or_b64 exec, exec, s[6:7]
	s_and_saveexec_b64 s[6:7], s[4:5]
	s_cbranch_execnz .LBB15_1319
	s_branch .LBB15_1320
.LBB15_3369:
	s_movk_i32 s4, 0x80
	v_cmp_eq_u16_sdwa s[12:13], v6, s4 src0_sel:BYTE_0 src1_sel:DWORD
	s_mov_b64 s[4:5], -1
                                        ; implicit-def: $sgpr10
	s_and_saveexec_b64 s[8:9], s[12:13]
; %bb.3370:
	s_mov_b32 s10, 0x7f800001
	s_xor_b64 s[4:5], exec, -1
; %bb.3371:
	s_or_b64 exec, exec, s[8:9]
	s_and_b64 s[4:5], s[4:5], exec
	s_or_saveexec_b64 s[6:7], s[6:7]
	v_mov_b32_e32 v2, s10
	s_xor_b64 exec, exec, s[6:7]
	s_cbranch_execz .LBB15_1322
.LBB15_3372:
	v_mov_b32_e32 v2, 0
	v_cmp_ne_u16_sdwa s[8:9], v6, v2 src0_sel:BYTE_0 src1_sel:DWORD
	s_andn2_b64 s[4:5], s[4:5], exec
	s_and_b64 s[8:9], s[8:9], exec
	s_or_b64 s[4:5], s[4:5], s[8:9]
	s_or_b64 exec, exec, s[6:7]
	s_and_saveexec_b64 s[6:7], s[4:5]
	s_cbranch_execnz .LBB15_1323
	s_branch .LBB15_1324
.LBB15_3373:
	s_movk_i32 s4, 0x80
	v_cmp_eq_u16_sdwa s[12:13], v6, s4 src0_sel:BYTE_0 src1_sel:DWORD
	s_mov_b64 s[4:5], -1
                                        ; implicit-def: $sgpr10
	s_and_saveexec_b64 s[8:9], s[12:13]
; %bb.3374:
	s_mov_b32 s10, 0x7f800001
	s_xor_b64 s[4:5], exec, -1
; %bb.3375:
	s_or_b64 exec, exec, s[8:9]
	s_and_b64 s[4:5], s[4:5], exec
	s_or_saveexec_b64 s[6:7], s[6:7]
	v_mov_b32_e32 v12, s10
	s_xor_b64 exec, exec, s[6:7]
	s_cbranch_execz .LBB15_1326
.LBB15_3376:
	v_mov_b32_e32 v12, 0
	v_cmp_ne_u16_sdwa s[8:9], v6, v12 src0_sel:BYTE_0 src1_sel:DWORD
	s_andn2_b64 s[4:5], s[4:5], exec
	s_and_b64 s[8:9], s[8:9], exec
	s_or_b64 s[4:5], s[4:5], s[8:9]
	s_or_b64 exec, exec, s[6:7]
	s_and_saveexec_b64 s[6:7], s[4:5]
	s_cbranch_execnz .LBB15_1327
	s_branch .LBB15_1328
.LBB15_3377:
	s_movk_i32 s4, 0x80
	v_cmp_eq_u16_e32 vcc, s4, v6
	s_mov_b64 s[4:5], -1
                                        ; implicit-def: $sgpr10
	s_and_saveexec_b64 s[8:9], vcc
; %bb.3378:
	s_mov_b32 s10, 0x7f800001
	s_xor_b64 s[4:5], exec, -1
; %bb.3379:
	s_or_b64 exec, exec, s[8:9]
	s_and_b64 s[4:5], s[4:5], exec
                                        ; implicit-def: $vgpr6
	s_or_saveexec_b64 s[6:7], s[6:7]
	v_mov_b32_e32 v2, s10
	s_xor_b64 exec, exec, s[6:7]
	s_cbranch_execz .LBB15_1330
.LBB15_3380:
	v_cmp_ne_u16_e32 vcc, 0, v6
	s_andn2_b64 s[4:5], s[4:5], exec
	s_and_b64 s[8:9], vcc, exec
	v_mov_b32_e32 v2, 0
	s_or_b64 s[4:5], s[4:5], s[8:9]
	s_or_b64 exec, exec, s[6:7]
	s_and_saveexec_b64 s[6:7], s[4:5]
	s_cbranch_execnz .LBB15_1331
	s_branch .LBB15_1332
.LBB15_3381:
	s_movk_i32 s4, 0x80
	v_cmp_eq_u16_e32 vcc, s4, v6
	s_mov_b64 s[4:5], -1
                                        ; implicit-def: $sgpr10
	s_and_saveexec_b64 s[8:9], vcc
; %bb.3382:
	s_mov_b32 s10, 0x7f800001
	s_xor_b64 s[4:5], exec, -1
; %bb.3383:
	s_or_b64 exec, exec, s[8:9]
	s_and_b64 s[4:5], s[4:5], exec
                                        ; implicit-def: $vgpr6
	s_or_saveexec_b64 s[6:7], s[6:7]
	v_mov_b32_e32 v12, s10
	s_xor_b64 exec, exec, s[6:7]
	s_cbranch_execz .LBB15_1334
.LBB15_3384:
	v_cmp_ne_u16_e32 vcc, 0, v6
	s_andn2_b64 s[4:5], s[4:5], exec
	s_and_b64 s[8:9], vcc, exec
	v_mov_b32_e32 v12, 0
	s_or_b64 s[4:5], s[4:5], s[8:9]
	s_or_b64 exec, exec, s[6:7]
	s_and_saveexec_b64 s[6:7], s[4:5]
	s_cbranch_execnz .LBB15_1335
	s_branch .LBB15_1336
.LBB15_3385:
	s_movk_i32 s4, 0x80
	v_cmp_eq_u16_sdwa s[12:13], v7, s4 src0_sel:BYTE_3 src1_sel:DWORD
	s_mov_b64 s[4:5], -1
                                        ; implicit-def: $sgpr10
	s_and_saveexec_b64 s[8:9], s[12:13]
; %bb.3386:
	s_mov_b32 s10, 0x7f800001
	s_xor_b64 s[4:5], exec, -1
; %bb.3387:
	s_or_b64 exec, exec, s[8:9]
	s_and_b64 s[4:5], s[4:5], exec
	s_or_saveexec_b64 s[6:7], s[6:7]
	v_mov_b32_e32 v2, s10
	s_xor_b64 exec, exec, s[6:7]
	s_cbranch_execz .LBB15_1338
.LBB15_3388:
	v_mov_b32_e32 v2, 0
	v_cmp_ne_u16_sdwa s[8:9], v7, v2 src0_sel:BYTE_3 src1_sel:DWORD
	s_andn2_b64 s[4:5], s[4:5], exec
	s_and_b64 s[8:9], s[8:9], exec
	s_or_b64 s[4:5], s[4:5], s[8:9]
	s_or_b64 exec, exec, s[6:7]
	s_and_saveexec_b64 s[6:7], s[4:5]
	s_cbranch_execnz .LBB15_1339
	s_branch .LBB15_1340
.LBB15_3389:
	s_movk_i32 s4, 0x80
	v_cmp_eq_u16_sdwa s[12:13], v3, s4 src0_sel:BYTE_3 src1_sel:DWORD
	s_mov_b64 s[4:5], -1
                                        ; implicit-def: $sgpr10
	s_and_saveexec_b64 s[8:9], s[12:13]
; %bb.3390:
	s_mov_b32 s10, 0x7f800001
	s_xor_b64 s[4:5], exec, -1
; %bb.3391:
	s_or_b64 exec, exec, s[8:9]
	s_and_b64 s[4:5], s[4:5], exec
	s_or_saveexec_b64 s[6:7], s[6:7]
	v_mov_b32_e32 v6, s10
	s_xor_b64 exec, exec, s[6:7]
	s_cbranch_execz .LBB15_1342
.LBB15_3392:
	v_mov_b32_e32 v6, 0
	v_cmp_ne_u16_sdwa s[8:9], v3, v6 src0_sel:BYTE_3 src1_sel:DWORD
	s_andn2_b64 s[4:5], s[4:5], exec
	s_and_b64 s[8:9], s[8:9], exec
	s_or_b64 s[4:5], s[4:5], s[8:9]
	s_or_b64 exec, exec, s[6:7]
	s_and_saveexec_b64 s[6:7], s[4:5]
	s_cbranch_execnz .LBB15_1343
	s_branch .LBB15_1344
.LBB15_3393:
	s_movk_i32 s4, 0x80
	v_cmp_eq_u16_sdwa s[12:13], v8, s4 src0_sel:BYTE_0 src1_sel:DWORD
	s_mov_b64 s[4:5], -1
                                        ; implicit-def: $sgpr10
	s_and_saveexec_b64 s[8:9], s[12:13]
; %bb.3394:
	s_mov_b32 s10, 0x7f800001
	s_xor_b64 s[4:5], exec, -1
; %bb.3395:
	s_or_b64 exec, exec, s[8:9]
	s_and_b64 s[4:5], s[4:5], exec
	s_or_saveexec_b64 s[6:7], s[6:7]
	v_mov_b32_e32 v2, s10
	s_xor_b64 exec, exec, s[6:7]
	s_cbranch_execz .LBB15_1346
.LBB15_3396:
	v_mov_b32_e32 v2, 0
	v_cmp_ne_u16_sdwa s[8:9], v8, v2 src0_sel:BYTE_0 src1_sel:DWORD
	s_andn2_b64 s[4:5], s[4:5], exec
	s_and_b64 s[8:9], s[8:9], exec
	s_or_b64 s[4:5], s[4:5], s[8:9]
	s_or_b64 exec, exec, s[6:7]
	s_and_saveexec_b64 s[6:7], s[4:5]
	s_cbranch_execnz .LBB15_1347
	s_branch .LBB15_1348
.LBB15_3397:
	s_movk_i32 s4, 0x80
	v_cmp_eq_u16_sdwa s[12:13], v4, s4 src0_sel:BYTE_0 src1_sel:DWORD
	s_mov_b64 s[4:5], -1
                                        ; implicit-def: $sgpr10
	s_and_saveexec_b64 s[8:9], s[12:13]
; %bb.3398:
	s_mov_b32 s10, 0x7f800001
	s_xor_b64 s[4:5], exec, -1
; %bb.3399:
	s_or_b64 exec, exec, s[8:9]
	s_and_b64 s[4:5], s[4:5], exec
	s_or_saveexec_b64 s[6:7], s[6:7]
	v_mov_b32_e32 v3, s10
	s_xor_b64 exec, exec, s[6:7]
	s_cbranch_execz .LBB15_1350
.LBB15_3400:
	v_mov_b32_e32 v3, 0
	v_cmp_ne_u16_sdwa s[8:9], v4, v3 src0_sel:BYTE_0 src1_sel:DWORD
	s_andn2_b64 s[4:5], s[4:5], exec
	s_and_b64 s[8:9], s[8:9], exec
	s_or_b64 s[4:5], s[4:5], s[8:9]
	s_or_b64 exec, exec, s[6:7]
	s_and_saveexec_b64 s[6:7], s[4:5]
	s_cbranch_execnz .LBB15_1351
	s_branch .LBB15_1352
.LBB15_3401:
	s_movk_i32 s4, 0x80
	v_cmp_eq_u16_sdwa s[12:13], v3, s4 src0_sel:BYTE_0 src1_sel:DWORD
	s_mov_b64 s[4:5], -1
                                        ; implicit-def: $sgpr10
	s_and_saveexec_b64 s[8:9], s[12:13]
; %bb.3402:
	s_mov_b32 s10, 0x7f800001
	s_xor_b64 s[4:5], exec, -1
; %bb.3403:
	s_or_b64 exec, exec, s[8:9]
	s_and_b64 s[4:5], s[4:5], exec
	s_or_saveexec_b64 s[6:7], s[6:7]
	v_mov_b32_e32 v2, s10
	s_xor_b64 exec, exec, s[6:7]
	s_cbranch_execz .LBB15_1354
.LBB15_3404:
	v_mov_b32_e32 v2, 0
	v_cmp_ne_u16_sdwa s[8:9], v3, v2 src0_sel:BYTE_0 src1_sel:DWORD
	s_andn2_b64 s[4:5], s[4:5], exec
	s_and_b64 s[8:9], s[8:9], exec
	s_or_b64 s[4:5], s[4:5], s[8:9]
	s_or_b64 exec, exec, s[6:7]
	s_and_saveexec_b64 s[6:7], s[4:5]
	s_cbranch_execnz .LBB15_1355
	s_branch .LBB15_1356
.LBB15_3405:
	s_movk_i32 s4, 0x80
	v_cmp_eq_u16_sdwa s[12:13], v3, s4 src0_sel:BYTE_0 src1_sel:DWORD
	s_mov_b64 s[4:5], -1
                                        ; implicit-def: $sgpr10
	s_and_saveexec_b64 s[8:9], s[12:13]
; %bb.3406:
	s_mov_b32 s10, 0x7f800001
	s_xor_b64 s[4:5], exec, -1
; %bb.3407:
	s_or_b64 exec, exec, s[8:9]
	s_and_b64 s[4:5], s[4:5], exec
	s_or_saveexec_b64 s[6:7], s[6:7]
	v_mov_b32_e32 v6, s10
	s_xor_b64 exec, exec, s[6:7]
	s_cbranch_execz .LBB15_1358
.LBB15_3408:
	v_mov_b32_e32 v6, 0
	v_cmp_ne_u16_sdwa s[8:9], v3, v6 src0_sel:BYTE_0 src1_sel:DWORD
	s_andn2_b64 s[4:5], s[4:5], exec
	s_and_b64 s[8:9], s[8:9], exec
	s_or_b64 s[4:5], s[4:5], s[8:9]
	s_or_b64 exec, exec, s[6:7]
	s_and_saveexec_b64 s[6:7], s[4:5]
	s_cbranch_execnz .LBB15_1359
	s_branch .LBB15_1360
.LBB15_3409:
	s_movk_i32 s4, 0x80
	v_cmp_eq_u16_e32 vcc, s4, v3
	s_mov_b64 s[4:5], -1
                                        ; implicit-def: $sgpr10
	s_and_saveexec_b64 s[8:9], vcc
; %bb.3410:
	s_mov_b32 s10, 0x7f800001
	s_xor_b64 s[4:5], exec, -1
; %bb.3411:
	s_or_b64 exec, exec, s[8:9]
	s_and_b64 s[4:5], s[4:5], exec
                                        ; implicit-def: $vgpr3
	s_or_saveexec_b64 s[6:7], s[6:7]
	v_mov_b32_e32 v2, s10
	s_xor_b64 exec, exec, s[6:7]
	s_cbranch_execz .LBB15_1362
.LBB15_3412:
	v_cmp_ne_u16_e32 vcc, 0, v3
	s_andn2_b64 s[4:5], s[4:5], exec
	s_and_b64 s[8:9], vcc, exec
	v_mov_b32_e32 v2, 0
	s_or_b64 s[4:5], s[4:5], s[8:9]
	s_or_b64 exec, exec, s[6:7]
	s_and_saveexec_b64 s[6:7], s[4:5]
	s_cbranch_execnz .LBB15_1363
	s_branch .LBB15_1364
.LBB15_3413:
	s_movk_i32 s4, 0x80
	v_cmp_eq_u16_e32 vcc, s4, v3
	s_mov_b64 s[4:5], -1
                                        ; implicit-def: $sgpr10
	s_and_saveexec_b64 s[8:9], vcc
; %bb.3414:
	s_mov_b32 s10, 0x7f800001
	s_xor_b64 s[4:5], exec, -1
; %bb.3415:
	s_or_b64 exec, exec, s[8:9]
	s_and_b64 s[4:5], s[4:5], exec
                                        ; implicit-def: $vgpr3
	s_or_saveexec_b64 s[6:7], s[6:7]
	v_mov_b32_e32 v6, s10
	s_xor_b64 exec, exec, s[6:7]
	s_cbranch_execz .LBB15_1366
.LBB15_3416:
	v_cmp_ne_u16_e32 vcc, 0, v3
	s_andn2_b64 s[4:5], s[4:5], exec
	s_and_b64 s[8:9], vcc, exec
	v_mov_b32_e32 v6, 0
	s_or_b64 s[4:5], s[4:5], s[8:9]
	s_or_b64 exec, exec, s[6:7]
	s_and_saveexec_b64 s[6:7], s[4:5]
	s_cbranch_execnz .LBB15_1367
	s_branch .LBB15_1368
.LBB15_3417:
	s_movk_i32 s4, 0x80
	v_cmp_eq_u16_sdwa s[12:13], v8, s4 src0_sel:BYTE_3 src1_sel:DWORD
	s_mov_b64 s[4:5], -1
                                        ; implicit-def: $sgpr10
	s_and_saveexec_b64 s[8:9], s[12:13]
; %bb.3418:
	s_mov_b32 s10, 0x7f800001
	s_xor_b64 s[4:5], exec, -1
; %bb.3419:
	s_or_b64 exec, exec, s[8:9]
	s_and_b64 s[4:5], s[4:5], exec
	s_or_saveexec_b64 s[6:7], s[6:7]
	v_mov_b32_e32 v2, s10
	s_xor_b64 exec, exec, s[6:7]
	s_cbranch_execz .LBB15_1370
.LBB15_3420:
	v_mov_b32_e32 v2, 0
	v_cmp_ne_u16_sdwa s[8:9], v8, v2 src0_sel:BYTE_3 src1_sel:DWORD
	s_andn2_b64 s[4:5], s[4:5], exec
	s_and_b64 s[8:9], s[8:9], exec
	s_or_b64 s[4:5], s[4:5], s[8:9]
	s_or_b64 exec, exec, s[6:7]
	s_and_saveexec_b64 s[6:7], s[4:5]
	s_cbranch_execnz .LBB15_1371
	s_branch .LBB15_1372
.LBB15_3421:
	s_movk_i32 s4, 0x80
	v_cmp_eq_u16_sdwa s[12:13], v4, s4 src0_sel:BYTE_3 src1_sel:DWORD
	s_mov_b64 s[4:5], -1
                                        ; implicit-def: $sgpr10
	s_and_saveexec_b64 s[8:9], s[12:13]
; %bb.3422:
	s_mov_b32 s10, 0x7f800001
	s_xor_b64 s[4:5], exec, -1
; %bb.3423:
	s_or_b64 exec, exec, s[8:9]
	s_and_b64 s[4:5], s[4:5], exec
	s_or_saveexec_b64 s[6:7], s[6:7]
	v_mov_b32_e32 v3, s10
	s_xor_b64 exec, exec, s[6:7]
	s_cbranch_execz .LBB15_1374
.LBB15_3424:
	v_mov_b32_e32 v3, 0
	v_cmp_ne_u16_sdwa s[8:9], v4, v3 src0_sel:BYTE_3 src1_sel:DWORD
	s_andn2_b64 s[4:5], s[4:5], exec
	s_and_b64 s[8:9], s[8:9], exec
	s_or_b64 s[4:5], s[4:5], s[8:9]
	s_or_b64 exec, exec, s[6:7]
	s_and_saveexec_b64 s[6:7], s[4:5]
	s_cbranch_execnz .LBB15_1375
	s_branch .LBB15_1376
.LBB15_3425:
	s_movk_i32 s4, 0x80
	v_cmp_eq_u16_sdwa s[12:13], v9, s4 src0_sel:BYTE_0 src1_sel:DWORD
	s_mov_b64 s[4:5], -1
                                        ; implicit-def: $sgpr10
	s_and_saveexec_b64 s[8:9], s[12:13]
; %bb.3426:
	s_mov_b32 s10, 0x7f800001
	s_xor_b64 s[4:5], exec, -1
; %bb.3427:
	s_or_b64 exec, exec, s[8:9]
	s_and_b64 s[4:5], s[4:5], exec
	s_or_saveexec_b64 s[6:7], s[6:7]
	v_mov_b32_e32 v2, s10
	s_xor_b64 exec, exec, s[6:7]
	s_cbranch_execz .LBB15_1378
.LBB15_3428:
	v_mov_b32_e32 v2, 0
	v_cmp_ne_u16_sdwa s[8:9], v9, v2 src0_sel:BYTE_0 src1_sel:DWORD
	s_andn2_b64 s[4:5], s[4:5], exec
	s_and_b64 s[8:9], s[8:9], exec
	s_or_b64 s[4:5], s[4:5], s[8:9]
	s_or_b64 exec, exec, s[6:7]
	s_and_saveexec_b64 s[6:7], s[4:5]
	s_cbranch_execnz .LBB15_1379
	s_branch .LBB15_1380
.LBB15_3429:
	s_movk_i32 s4, 0x80
	v_cmp_eq_u16_sdwa s[12:13], v5, s4 src0_sel:BYTE_0 src1_sel:DWORD
	s_mov_b64 s[4:5], -1
                                        ; implicit-def: $sgpr10
	s_and_saveexec_b64 s[8:9], s[12:13]
; %bb.3430:
	s_mov_b32 s10, 0x7f800001
	s_xor_b64 s[4:5], exec, -1
; %bb.3431:
	s_or_b64 exec, exec, s[8:9]
	s_and_b64 s[4:5], s[4:5], exec
	s_or_saveexec_b64 s[6:7], s[6:7]
	v_mov_b32_e32 v3, s10
	s_xor_b64 exec, exec, s[6:7]
	s_cbranch_execz .LBB15_1382
.LBB15_3432:
	v_mov_b32_e32 v3, 0
	v_cmp_ne_u16_sdwa s[8:9], v5, v3 src0_sel:BYTE_0 src1_sel:DWORD
	s_andn2_b64 s[4:5], s[4:5], exec
	s_and_b64 s[8:9], s[8:9], exec
	s_or_b64 s[4:5], s[4:5], s[8:9]
	s_or_b64 exec, exec, s[6:7]
	s_and_saveexec_b64 s[6:7], s[4:5]
	s_cbranch_execnz .LBB15_1383
	s_branch .LBB15_1384
.LBB15_3433:
	s_movk_i32 s4, 0x80
	v_cmp_eq_u16_sdwa s[12:13], v3, s4 src0_sel:BYTE_0 src1_sel:DWORD
	s_mov_b64 s[4:5], -1
                                        ; implicit-def: $sgpr10
	s_and_saveexec_b64 s[8:9], s[12:13]
; %bb.3434:
	s_mov_b32 s10, 0x7f800001
	s_xor_b64 s[4:5], exec, -1
; %bb.3435:
	s_or_b64 exec, exec, s[8:9]
	s_and_b64 s[4:5], s[4:5], exec
	s_or_saveexec_b64 s[6:7], s[6:7]
	v_mov_b32_e32 v2, s10
	s_xor_b64 exec, exec, s[6:7]
	s_cbranch_execz .LBB15_1386
.LBB15_3436:
	v_mov_b32_e32 v2, 0
	v_cmp_ne_u16_sdwa s[8:9], v3, v2 src0_sel:BYTE_0 src1_sel:DWORD
	s_andn2_b64 s[4:5], s[4:5], exec
	s_and_b64 s[8:9], s[8:9], exec
	s_or_b64 s[4:5], s[4:5], s[8:9]
	s_or_b64 exec, exec, s[6:7]
	s_and_saveexec_b64 s[6:7], s[4:5]
	s_cbranch_execnz .LBB15_1387
	s_branch .LBB15_1388
.LBB15_3437:
	s_movk_i32 s4, 0x80
	v_cmp_eq_u16_sdwa s[12:13], v3, s4 src0_sel:BYTE_0 src1_sel:DWORD
	s_mov_b64 s[4:5], -1
                                        ; implicit-def: $sgpr10
	s_and_saveexec_b64 s[8:9], s[12:13]
; %bb.3438:
	s_mov_b32 s10, 0x7f800001
	s_xor_b64 s[4:5], exec, -1
; %bb.3439:
	s_or_b64 exec, exec, s[8:9]
	s_and_b64 s[4:5], s[4:5], exec
	s_or_saveexec_b64 s[6:7], s[6:7]
	v_mov_b32_e32 v4, s10
	s_xor_b64 exec, exec, s[6:7]
	s_cbranch_execz .LBB15_1390
.LBB15_3440:
	v_mov_b32_e32 v4, 0
	v_cmp_ne_u16_sdwa s[8:9], v3, v4 src0_sel:BYTE_0 src1_sel:DWORD
	s_andn2_b64 s[4:5], s[4:5], exec
	s_and_b64 s[8:9], s[8:9], exec
	s_or_b64 s[4:5], s[4:5], s[8:9]
	s_or_b64 exec, exec, s[6:7]
	s_and_saveexec_b64 s[6:7], s[4:5]
	s_cbranch_execnz .LBB15_1391
	s_branch .LBB15_1392
.LBB15_3441:
	s_movk_i32 s4, 0x80
	v_cmp_eq_u16_e32 vcc, s4, v3
	s_mov_b64 s[4:5], -1
                                        ; implicit-def: $sgpr10
	s_and_saveexec_b64 s[8:9], vcc
; %bb.3442:
	s_mov_b32 s10, 0x7f800001
	s_xor_b64 s[4:5], exec, -1
; %bb.3443:
	s_or_b64 exec, exec, s[8:9]
	s_and_b64 s[4:5], s[4:5], exec
                                        ; implicit-def: $vgpr3
	s_or_saveexec_b64 s[6:7], s[6:7]
	v_mov_b32_e32 v2, s10
	s_xor_b64 exec, exec, s[6:7]
	s_cbranch_execz .LBB15_1394
.LBB15_3444:
	v_cmp_ne_u16_e32 vcc, 0, v3
	s_andn2_b64 s[4:5], s[4:5], exec
	s_and_b64 s[8:9], vcc, exec
	v_mov_b32_e32 v2, 0
	s_or_b64 s[4:5], s[4:5], s[8:9]
	s_or_b64 exec, exec, s[6:7]
	s_and_saveexec_b64 s[6:7], s[4:5]
	s_cbranch_execnz .LBB15_1395
	s_branch .LBB15_1396
.LBB15_3445:
	s_movk_i32 s4, 0x80
	v_cmp_eq_u16_e32 vcc, s4, v3
	s_mov_b64 s[4:5], -1
                                        ; implicit-def: $sgpr10
	s_and_saveexec_b64 s[8:9], vcc
; %bb.3446:
	s_mov_b32 s10, 0x7f800001
	s_xor_b64 s[4:5], exec, -1
; %bb.3447:
	s_or_b64 exec, exec, s[8:9]
	s_and_b64 s[4:5], s[4:5], exec
                                        ; implicit-def: $vgpr3
	s_or_saveexec_b64 s[6:7], s[6:7]
	v_mov_b32_e32 v4, s10
	s_xor_b64 exec, exec, s[6:7]
	s_cbranch_execz .LBB15_1398
.LBB15_3448:
	v_cmp_ne_u16_e32 vcc, 0, v3
	s_andn2_b64 s[4:5], s[4:5], exec
	s_and_b64 s[8:9], vcc, exec
	v_mov_b32_e32 v4, 0
	s_or_b64 s[4:5], s[4:5], s[8:9]
	s_or_b64 exec, exec, s[6:7]
	s_and_saveexec_b64 s[6:7], s[4:5]
	s_cbranch_execnz .LBB15_1399
	s_branch .LBB15_1400
.LBB15_3449:
	s_movk_i32 s4, 0x80
	v_cmp_eq_u16_sdwa s[12:13], v9, s4 src0_sel:BYTE_3 src1_sel:DWORD
	s_mov_b64 s[4:5], -1
                                        ; implicit-def: $sgpr10
	s_and_saveexec_b64 s[8:9], s[12:13]
; %bb.3450:
	s_mov_b32 s10, 0x7f800001
	s_xor_b64 s[4:5], exec, -1
; %bb.3451:
	s_or_b64 exec, exec, s[8:9]
	s_and_b64 s[4:5], s[4:5], exec
	s_or_saveexec_b64 s[6:7], s[6:7]
	v_mov_b32_e32 v2, s10
	s_xor_b64 exec, exec, s[6:7]
	s_cbranch_execz .LBB15_1402
.LBB15_3452:
	v_mov_b32_e32 v2, 0
	v_cmp_ne_u16_sdwa s[8:9], v9, v2 src0_sel:BYTE_3 src1_sel:DWORD
	s_andn2_b64 s[4:5], s[4:5], exec
	s_and_b64 s[8:9], s[8:9], exec
	s_or_b64 s[4:5], s[4:5], s[8:9]
	s_or_b64 exec, exec, s[6:7]
	s_and_saveexec_b64 s[6:7], s[4:5]
	s_cbranch_execnz .LBB15_1403
	s_branch .LBB15_1404
.LBB15_3453:
	s_movk_i32 s4, 0x80
	v_cmp_eq_u16_sdwa s[12:13], v5, s4 src0_sel:BYTE_3 src1_sel:DWORD
	s_mov_b64 s[4:5], -1
                                        ; implicit-def: $sgpr10
	s_and_saveexec_b64 s[8:9], s[12:13]
; %bb.3454:
	s_mov_b32 s10, 0x7f800001
	s_xor_b64 s[4:5], exec, -1
; %bb.3455:
	s_or_b64 exec, exec, s[8:9]
	s_and_b64 s[4:5], s[4:5], exec
	s_or_saveexec_b64 s[6:7], s[6:7]
	v_mov_b32_e32 v3, s10
	s_xor_b64 exec, exec, s[6:7]
	s_cbranch_execz .LBB15_1406
.LBB15_3456:
	v_mov_b32_e32 v3, 0
	v_cmp_ne_u16_sdwa s[8:9], v5, v3 src0_sel:BYTE_3 src1_sel:DWORD
	s_andn2_b64 s[4:5], s[4:5], exec
	s_and_b64 s[8:9], s[8:9], exec
	s_or_b64 s[4:5], s[4:5], s[8:9]
	s_or_b64 exec, exec, s[6:7]
	s_and_saveexec_b64 s[6:7], s[4:5]
	s_cbranch_execnz .LBB15_1407
	s_branch .LBB15_1408
.LBB15_3457:
	s_movk_i32 s4, 0x80
	v_cmp_eq_u16_sdwa s[12:13], v6, s4 src0_sel:BYTE_0 src1_sel:DWORD
	s_mov_b64 s[4:5], -1
                                        ; implicit-def: $sgpr10
	s_and_saveexec_b64 s[8:9], s[12:13]
; %bb.3458:
	s_mov_b32 s10, 0x7f800001
	s_xor_b64 s[4:5], exec, -1
; %bb.3459:
	s_or_b64 exec, exec, s[8:9]
	s_and_b64 s[4:5], s[4:5], exec
	s_or_saveexec_b64 s[6:7], s[6:7]
	v_mov_b32_e32 v12, s10
	s_xor_b64 exec, exec, s[6:7]
	s_cbranch_execz .LBB15_1410
.LBB15_3460:
	v_mov_b32_e32 v12, 0
	v_cmp_ne_u16_sdwa s[8:9], v6, v12 src0_sel:BYTE_0 src1_sel:DWORD
	s_andn2_b64 s[4:5], s[4:5], exec
	s_and_b64 s[8:9], s[8:9], exec
	s_or_b64 s[4:5], s[4:5], s[8:9]
	s_or_b64 exec, exec, s[6:7]
	s_and_saveexec_b64 s[6:7], s[4:5]
	s_cbranch_execnz .LBB15_1411
	s_branch .LBB15_1412
.LBB15_3461:
	s_movk_i32 s4, 0x80
	v_cmp_eq_u16_sdwa s[12:13], v2, s4 src0_sel:BYTE_0 src1_sel:DWORD
	s_mov_b64 s[4:5], -1
                                        ; implicit-def: $sgpr10
	s_and_saveexec_b64 s[8:9], s[12:13]
; %bb.3462:
	s_mov_b32 s10, 0x7f800001
	s_xor_b64 s[4:5], exec, -1
; %bb.3463:
	s_or_b64 exec, exec, s[8:9]
	s_and_b64 s[4:5], s[4:5], exec
	s_or_saveexec_b64 s[6:7], s[6:7]
	v_mov_b32_e32 v13, s10
	s_xor_b64 exec, exec, s[6:7]
	s_cbranch_execz .LBB15_1414
.LBB15_3464:
	v_mov_b32_e32 v13, 0
	v_cmp_ne_u16_sdwa s[8:9], v2, v13 src0_sel:BYTE_0 src1_sel:DWORD
	s_andn2_b64 s[4:5], s[4:5], exec
	s_and_b64 s[8:9], s[8:9], exec
	s_or_b64 s[4:5], s[4:5], s[8:9]
	s_or_b64 exec, exec, s[6:7]
	s_and_saveexec_b64 s[6:7], s[4:5]
	s_cbranch_execnz .LBB15_1415
	s_branch .LBB15_1416
.LBB15_3465:
	s_movk_i32 s4, 0x80
	v_cmp_eq_u16_sdwa s[12:13], v13, s4 src0_sel:BYTE_0 src1_sel:DWORD
	s_mov_b64 s[4:5], -1
                                        ; implicit-def: $sgpr10
	s_and_saveexec_b64 s[8:9], s[12:13]
; %bb.3466:
	s_mov_b32 s10, 0x7f800001
	s_xor_b64 s[4:5], exec, -1
; %bb.3467:
	s_or_b64 exec, exec, s[8:9]
	s_and_b64 s[4:5], s[4:5], exec
	s_or_saveexec_b64 s[6:7], s[6:7]
	v_mov_b32_e32 v12, s10
	s_xor_b64 exec, exec, s[6:7]
	s_cbranch_execz .LBB15_1418
.LBB15_3468:
	v_mov_b32_e32 v12, 0
	v_cmp_ne_u16_sdwa s[8:9], v13, v12 src0_sel:BYTE_0 src1_sel:DWORD
	s_andn2_b64 s[4:5], s[4:5], exec
	s_and_b64 s[8:9], s[8:9], exec
	s_or_b64 s[4:5], s[4:5], s[8:9]
	s_or_b64 exec, exec, s[6:7]
	s_and_saveexec_b64 s[6:7], s[4:5]
	s_cbranch_execnz .LBB15_1419
	s_branch .LBB15_1420
.LBB15_3469:
	s_movk_i32 s4, 0x80
	v_cmp_eq_u16_sdwa s[12:13], v13, s4 src0_sel:BYTE_0 src1_sel:DWORD
	s_mov_b64 s[4:5], -1
                                        ; implicit-def: $sgpr10
	s_and_saveexec_b64 s[8:9], s[12:13]
; %bb.3470:
	s_mov_b32 s10, 0x7f800001
	s_xor_b64 s[4:5], exec, -1
; %bb.3471:
	s_or_b64 exec, exec, s[8:9]
	s_and_b64 s[4:5], s[4:5], exec
	s_or_saveexec_b64 s[6:7], s[6:7]
	v_mov_b32_e32 v14, s10
	s_xor_b64 exec, exec, s[6:7]
	s_cbranch_execz .LBB15_1422
.LBB15_3472:
	v_mov_b32_e32 v14, 0
	v_cmp_ne_u16_sdwa s[8:9], v13, v14 src0_sel:BYTE_0 src1_sel:DWORD
	s_andn2_b64 s[4:5], s[4:5], exec
	s_and_b64 s[8:9], s[8:9], exec
	s_or_b64 s[4:5], s[4:5], s[8:9]
	s_or_b64 exec, exec, s[6:7]
	s_and_saveexec_b64 s[6:7], s[4:5]
	s_cbranch_execnz .LBB15_1423
	s_branch .LBB15_1424
.LBB15_3473:
	s_movk_i32 s4, 0x80
	v_cmp_eq_u16_e32 vcc, s4, v13
	s_mov_b64 s[4:5], -1
                                        ; implicit-def: $sgpr10
	s_and_saveexec_b64 s[8:9], vcc
; %bb.3474:
	s_mov_b32 s10, 0x7f800001
	s_xor_b64 s[4:5], exec, -1
; %bb.3475:
	s_or_b64 exec, exec, s[8:9]
	s_and_b64 s[4:5], s[4:5], exec
                                        ; implicit-def: $vgpr13
	s_or_saveexec_b64 s[6:7], s[6:7]
	v_mov_b32_e32 v12, s10
	s_xor_b64 exec, exec, s[6:7]
	s_cbranch_execz .LBB15_1426
.LBB15_3476:
	v_cmp_ne_u16_e32 vcc, 0, v13
	s_andn2_b64 s[4:5], s[4:5], exec
	s_and_b64 s[8:9], vcc, exec
	v_mov_b32_e32 v12, 0
	s_or_b64 s[4:5], s[4:5], s[8:9]
	s_or_b64 exec, exec, s[6:7]
	s_and_saveexec_b64 s[6:7], s[4:5]
	s_cbranch_execnz .LBB15_1427
	s_branch .LBB15_1428
.LBB15_3477:
	s_movk_i32 s4, 0x80
	v_cmp_eq_u16_e32 vcc, s4, v13
	s_mov_b64 s[4:5], -1
                                        ; implicit-def: $sgpr10
	s_and_saveexec_b64 s[8:9], vcc
; %bb.3478:
	s_mov_b32 s10, 0x7f800001
	s_xor_b64 s[4:5], exec, -1
; %bb.3479:
	s_or_b64 exec, exec, s[8:9]
	s_and_b64 s[4:5], s[4:5], exec
                                        ; implicit-def: $vgpr13
	s_or_saveexec_b64 s[6:7], s[6:7]
	v_mov_b32_e32 v14, s10
	s_xor_b64 exec, exec, s[6:7]
	s_cbranch_execz .LBB15_1430
.LBB15_3480:
	v_cmp_ne_u16_e32 vcc, 0, v13
	s_andn2_b64 s[4:5], s[4:5], exec
	s_and_b64 s[8:9], vcc, exec
	v_mov_b32_e32 v14, 0
	s_or_b64 s[4:5], s[4:5], s[8:9]
	s_or_b64 exec, exec, s[6:7]
	s_and_saveexec_b64 s[6:7], s[4:5]
	s_cbranch_execnz .LBB15_1431
	s_branch .LBB15_1432
.LBB15_3481:
	s_movk_i32 s4, 0x80
	v_cmp_eq_u16_sdwa s[12:13], v6, s4 src0_sel:BYTE_3 src1_sel:DWORD
	s_mov_b64 s[4:5], -1
                                        ; implicit-def: $sgpr10
	s_and_saveexec_b64 s[8:9], s[12:13]
; %bb.3482:
	s_mov_b32 s10, 0x7f800001
	s_xor_b64 s[4:5], exec, -1
; %bb.3483:
	s_or_b64 exec, exec, s[8:9]
	s_and_b64 s[4:5], s[4:5], exec
	s_or_saveexec_b64 s[6:7], s[6:7]
	v_mov_b32_e32 v12, s10
	s_xor_b64 exec, exec, s[6:7]
	s_cbranch_execz .LBB15_1434
.LBB15_3484:
	v_mov_b32_e32 v12, 0
	v_cmp_ne_u16_sdwa s[8:9], v6, v12 src0_sel:BYTE_3 src1_sel:DWORD
	s_andn2_b64 s[4:5], s[4:5], exec
	s_and_b64 s[8:9], s[8:9], exec
	s_or_b64 s[4:5], s[4:5], s[8:9]
	s_or_b64 exec, exec, s[6:7]
	s_and_saveexec_b64 s[6:7], s[4:5]
	s_cbranch_execnz .LBB15_1435
	s_branch .LBB15_1436
.LBB15_3485:
	s_movk_i32 s4, 0x80
	v_cmp_eq_u16_sdwa s[12:13], v2, s4 src0_sel:BYTE_3 src1_sel:DWORD
	s_mov_b64 s[4:5], -1
                                        ; implicit-def: $sgpr10
	s_and_saveexec_b64 s[8:9], s[12:13]
; %bb.3486:
	s_mov_b32 s10, 0x7f800001
	s_xor_b64 s[4:5], exec, -1
; %bb.3487:
	s_or_b64 exec, exec, s[8:9]
	s_and_b64 s[4:5], s[4:5], exec
	s_or_saveexec_b64 s[6:7], s[6:7]
	v_mov_b32_e32 v6, s10
	s_xor_b64 exec, exec, s[6:7]
	s_cbranch_execz .LBB15_1438
.LBB15_3488:
	v_mov_b32_e32 v6, 0
	v_cmp_ne_u16_sdwa s[8:9], v2, v6 src0_sel:BYTE_3 src1_sel:DWORD
	s_andn2_b64 s[4:5], s[4:5], exec
	s_and_b64 s[8:9], s[8:9], exec
	s_or_b64 s[4:5], s[4:5], s[8:9]
	s_or_b64 exec, exec, s[6:7]
	s_and_saveexec_b64 s[6:7], s[4:5]
	s_cbranch_execnz .LBB15_1439
	s_branch .LBB15_1440
.LBB15_3489:
	s_movk_i32 s4, 0x80
	v_cmp_eq_u16_sdwa s[12:13], v7, s4 src0_sel:BYTE_0 src1_sel:DWORD
	s_mov_b64 s[4:5], -1
                                        ; implicit-def: $sgpr10
	s_and_saveexec_b64 s[8:9], s[12:13]
; %bb.3490:
	s_mov_b32 s10, 0x7f800001
	s_xor_b64 s[4:5], exec, -1
; %bb.3491:
	s_or_b64 exec, exec, s[8:9]
	s_and_b64 s[4:5], s[4:5], exec
	s_or_saveexec_b64 s[6:7], s[6:7]
	v_mov_b32_e32 v2, s10
	s_xor_b64 exec, exec, s[6:7]
	s_cbranch_execz .LBB15_1442
.LBB15_3492:
	v_mov_b32_e32 v2, 0
	v_cmp_ne_u16_sdwa s[8:9], v7, v2 src0_sel:BYTE_0 src1_sel:DWORD
	s_andn2_b64 s[4:5], s[4:5], exec
	s_and_b64 s[8:9], s[8:9], exec
	s_or_b64 s[4:5], s[4:5], s[8:9]
	s_or_b64 exec, exec, s[6:7]
	s_and_saveexec_b64 s[6:7], s[4:5]
	s_cbranch_execnz .LBB15_1443
	s_branch .LBB15_1444
.LBB15_3493:
	s_movk_i32 s4, 0x80
	v_cmp_eq_u16_sdwa s[12:13], v3, s4 src0_sel:BYTE_0 src1_sel:DWORD
	s_mov_b64 s[4:5], -1
                                        ; implicit-def: $sgpr10
	s_and_saveexec_b64 s[8:9], s[12:13]
; %bb.3494:
	s_mov_b32 s10, 0x7f800001
	s_xor_b64 s[4:5], exec, -1
; %bb.3495:
	s_or_b64 exec, exec, s[8:9]
	s_and_b64 s[4:5], s[4:5], exec
	s_or_saveexec_b64 s[6:7], s[6:7]
	v_mov_b32_e32 v6, s10
	s_xor_b64 exec, exec, s[6:7]
	s_cbranch_execz .LBB15_1446
.LBB15_3496:
	v_mov_b32_e32 v6, 0
	v_cmp_ne_u16_sdwa s[8:9], v3, v6 src0_sel:BYTE_0 src1_sel:DWORD
	s_andn2_b64 s[4:5], s[4:5], exec
	s_and_b64 s[8:9], s[8:9], exec
	s_or_b64 s[4:5], s[4:5], s[8:9]
	s_or_b64 exec, exec, s[6:7]
	s_and_saveexec_b64 s[6:7], s[4:5]
	s_cbranch_execnz .LBB15_1447
	s_branch .LBB15_1448
.LBB15_3497:
	s_movk_i32 s4, 0x80
	v_cmp_eq_u16_sdwa s[12:13], v6, s4 src0_sel:BYTE_0 src1_sel:DWORD
	s_mov_b64 s[4:5], -1
                                        ; implicit-def: $sgpr10
	s_and_saveexec_b64 s[8:9], s[12:13]
; %bb.3498:
	s_mov_b32 s10, 0x7f800001
	s_xor_b64 s[4:5], exec, -1
; %bb.3499:
	s_or_b64 exec, exec, s[8:9]
	s_and_b64 s[4:5], s[4:5], exec
	s_or_saveexec_b64 s[6:7], s[6:7]
	v_mov_b32_e32 v2, s10
	s_xor_b64 exec, exec, s[6:7]
	s_cbranch_execz .LBB15_1450
.LBB15_3500:
	v_mov_b32_e32 v2, 0
	v_cmp_ne_u16_sdwa s[8:9], v6, v2 src0_sel:BYTE_0 src1_sel:DWORD
	s_andn2_b64 s[4:5], s[4:5], exec
	s_and_b64 s[8:9], s[8:9], exec
	s_or_b64 s[4:5], s[4:5], s[8:9]
	s_or_b64 exec, exec, s[6:7]
	s_and_saveexec_b64 s[6:7], s[4:5]
	s_cbranch_execnz .LBB15_1451
	s_branch .LBB15_1452
.LBB15_3501:
	s_movk_i32 s4, 0x80
	v_cmp_eq_u16_sdwa s[12:13], v6, s4 src0_sel:BYTE_0 src1_sel:DWORD
	s_mov_b64 s[4:5], -1
                                        ; implicit-def: $sgpr10
	s_and_saveexec_b64 s[8:9], s[12:13]
; %bb.3502:
	s_mov_b32 s10, 0x7f800001
	s_xor_b64 s[4:5], exec, -1
; %bb.3503:
	s_or_b64 exec, exec, s[8:9]
	s_and_b64 s[4:5], s[4:5], exec
	s_or_saveexec_b64 s[6:7], s[6:7]
	v_mov_b32_e32 v12, s10
	s_xor_b64 exec, exec, s[6:7]
	s_cbranch_execz .LBB15_1454
.LBB15_3504:
	v_mov_b32_e32 v12, 0
	v_cmp_ne_u16_sdwa s[8:9], v6, v12 src0_sel:BYTE_0 src1_sel:DWORD
	s_andn2_b64 s[4:5], s[4:5], exec
	s_and_b64 s[8:9], s[8:9], exec
	s_or_b64 s[4:5], s[4:5], s[8:9]
	s_or_b64 exec, exec, s[6:7]
	s_and_saveexec_b64 s[6:7], s[4:5]
	s_cbranch_execnz .LBB15_1455
	s_branch .LBB15_1456
.LBB15_3505:
	s_movk_i32 s4, 0x80
	v_cmp_eq_u16_e32 vcc, s4, v6
	s_mov_b64 s[4:5], -1
                                        ; implicit-def: $sgpr10
	s_and_saveexec_b64 s[8:9], vcc
; %bb.3506:
	s_mov_b32 s10, 0x7f800001
	s_xor_b64 s[4:5], exec, -1
; %bb.3507:
	s_or_b64 exec, exec, s[8:9]
	s_and_b64 s[4:5], s[4:5], exec
                                        ; implicit-def: $vgpr6
	s_or_saveexec_b64 s[6:7], s[6:7]
	v_mov_b32_e32 v2, s10
	s_xor_b64 exec, exec, s[6:7]
	s_cbranch_execz .LBB15_1458
.LBB15_3508:
	v_cmp_ne_u16_e32 vcc, 0, v6
	s_andn2_b64 s[4:5], s[4:5], exec
	s_and_b64 s[8:9], vcc, exec
	v_mov_b32_e32 v2, 0
	s_or_b64 s[4:5], s[4:5], s[8:9]
	s_or_b64 exec, exec, s[6:7]
	s_and_saveexec_b64 s[6:7], s[4:5]
	s_cbranch_execnz .LBB15_1459
	s_branch .LBB15_1460
.LBB15_3509:
	s_movk_i32 s4, 0x80
	v_cmp_eq_u16_e32 vcc, s4, v6
	s_mov_b64 s[4:5], -1
                                        ; implicit-def: $sgpr10
	s_and_saveexec_b64 s[8:9], vcc
; %bb.3510:
	s_mov_b32 s10, 0x7f800001
	s_xor_b64 s[4:5], exec, -1
; %bb.3511:
	s_or_b64 exec, exec, s[8:9]
	s_and_b64 s[4:5], s[4:5], exec
                                        ; implicit-def: $vgpr6
	s_or_saveexec_b64 s[6:7], s[6:7]
	v_mov_b32_e32 v12, s10
	s_xor_b64 exec, exec, s[6:7]
	s_cbranch_execz .LBB15_1462
.LBB15_3512:
	v_cmp_ne_u16_e32 vcc, 0, v6
	s_andn2_b64 s[4:5], s[4:5], exec
	s_and_b64 s[8:9], vcc, exec
	v_mov_b32_e32 v12, 0
	s_or_b64 s[4:5], s[4:5], s[8:9]
	s_or_b64 exec, exec, s[6:7]
	s_and_saveexec_b64 s[6:7], s[4:5]
	s_cbranch_execnz .LBB15_1463
	s_branch .LBB15_1464
.LBB15_3513:
	s_movk_i32 s4, 0x80
	v_cmp_eq_u16_sdwa s[12:13], v7, s4 src0_sel:BYTE_3 src1_sel:DWORD
	s_mov_b64 s[4:5], -1
                                        ; implicit-def: $sgpr10
	s_and_saveexec_b64 s[8:9], s[12:13]
; %bb.3514:
	s_mov_b32 s10, 0x7f800001
	s_xor_b64 s[4:5], exec, -1
; %bb.3515:
	s_or_b64 exec, exec, s[8:9]
	s_and_b64 s[4:5], s[4:5], exec
	s_or_saveexec_b64 s[6:7], s[6:7]
	v_mov_b32_e32 v2, s10
	s_xor_b64 exec, exec, s[6:7]
	s_cbranch_execz .LBB15_1466
.LBB15_3516:
	v_mov_b32_e32 v2, 0
	v_cmp_ne_u16_sdwa s[8:9], v7, v2 src0_sel:BYTE_3 src1_sel:DWORD
	s_andn2_b64 s[4:5], s[4:5], exec
	s_and_b64 s[8:9], s[8:9], exec
	s_or_b64 s[4:5], s[4:5], s[8:9]
	s_or_b64 exec, exec, s[6:7]
	s_and_saveexec_b64 s[6:7], s[4:5]
	s_cbranch_execnz .LBB15_1467
	s_branch .LBB15_1468
.LBB15_3517:
	s_movk_i32 s4, 0x80
	v_cmp_eq_u16_sdwa s[12:13], v3, s4 src0_sel:BYTE_3 src1_sel:DWORD
	s_mov_b64 s[4:5], -1
                                        ; implicit-def: $sgpr10
	s_and_saveexec_b64 s[8:9], s[12:13]
; %bb.3518:
	s_mov_b32 s10, 0x7f800001
	s_xor_b64 s[4:5], exec, -1
; %bb.3519:
	s_or_b64 exec, exec, s[8:9]
	s_and_b64 s[4:5], s[4:5], exec
	s_or_saveexec_b64 s[6:7], s[6:7]
	v_mov_b32_e32 v6, s10
	s_xor_b64 exec, exec, s[6:7]
	s_cbranch_execz .LBB15_1470
.LBB15_3520:
	v_mov_b32_e32 v6, 0
	v_cmp_ne_u16_sdwa s[8:9], v3, v6 src0_sel:BYTE_3 src1_sel:DWORD
	s_andn2_b64 s[4:5], s[4:5], exec
	s_and_b64 s[8:9], s[8:9], exec
	s_or_b64 s[4:5], s[4:5], s[8:9]
	s_or_b64 exec, exec, s[6:7]
	s_and_saveexec_b64 s[6:7], s[4:5]
	s_cbranch_execnz .LBB15_1471
	s_branch .LBB15_1472
.LBB15_3521:
	s_movk_i32 s4, 0x80
	v_cmp_eq_u16_sdwa s[12:13], v8, s4 src0_sel:BYTE_0 src1_sel:DWORD
	s_mov_b64 s[4:5], -1
                                        ; implicit-def: $sgpr10
	s_and_saveexec_b64 s[8:9], s[12:13]
; %bb.3522:
	s_mov_b32 s10, 0x7f800001
	s_xor_b64 s[4:5], exec, -1
; %bb.3523:
	s_or_b64 exec, exec, s[8:9]
	s_and_b64 s[4:5], s[4:5], exec
	s_or_saveexec_b64 s[6:7], s[6:7]
	v_mov_b32_e32 v2, s10
	s_xor_b64 exec, exec, s[6:7]
	s_cbranch_execz .LBB15_1474
.LBB15_3524:
	v_mov_b32_e32 v2, 0
	v_cmp_ne_u16_sdwa s[8:9], v8, v2 src0_sel:BYTE_0 src1_sel:DWORD
	s_andn2_b64 s[4:5], s[4:5], exec
	s_and_b64 s[8:9], s[8:9], exec
	s_or_b64 s[4:5], s[4:5], s[8:9]
	s_or_b64 exec, exec, s[6:7]
	s_and_saveexec_b64 s[6:7], s[4:5]
	s_cbranch_execnz .LBB15_1475
	s_branch .LBB15_1476
.LBB15_3525:
	s_movk_i32 s4, 0x80
	v_cmp_eq_u16_sdwa s[12:13], v4, s4 src0_sel:BYTE_0 src1_sel:DWORD
	s_mov_b64 s[4:5], -1
                                        ; implicit-def: $sgpr10
	s_and_saveexec_b64 s[8:9], s[12:13]
; %bb.3526:
	s_mov_b32 s10, 0x7f800001
	s_xor_b64 s[4:5], exec, -1
; %bb.3527:
	s_or_b64 exec, exec, s[8:9]
	s_and_b64 s[4:5], s[4:5], exec
	s_or_saveexec_b64 s[6:7], s[6:7]
	v_mov_b32_e32 v3, s10
	s_xor_b64 exec, exec, s[6:7]
	s_cbranch_execz .LBB15_1478
.LBB15_3528:
	v_mov_b32_e32 v3, 0
	v_cmp_ne_u16_sdwa s[8:9], v4, v3 src0_sel:BYTE_0 src1_sel:DWORD
	s_andn2_b64 s[4:5], s[4:5], exec
	s_and_b64 s[8:9], s[8:9], exec
	s_or_b64 s[4:5], s[4:5], s[8:9]
	s_or_b64 exec, exec, s[6:7]
	s_and_saveexec_b64 s[6:7], s[4:5]
	s_cbranch_execnz .LBB15_1479
	s_branch .LBB15_1480
.LBB15_3529:
	s_movk_i32 s4, 0x80
	v_cmp_eq_u16_sdwa s[12:13], v3, s4 src0_sel:BYTE_0 src1_sel:DWORD
	s_mov_b64 s[4:5], -1
                                        ; implicit-def: $sgpr10
	s_and_saveexec_b64 s[8:9], s[12:13]
; %bb.3530:
	s_mov_b32 s10, 0x7f800001
	s_xor_b64 s[4:5], exec, -1
; %bb.3531:
	s_or_b64 exec, exec, s[8:9]
	s_and_b64 s[4:5], s[4:5], exec
	s_or_saveexec_b64 s[6:7], s[6:7]
	v_mov_b32_e32 v2, s10
	s_xor_b64 exec, exec, s[6:7]
	s_cbranch_execz .LBB15_1482
.LBB15_3532:
	v_mov_b32_e32 v2, 0
	v_cmp_ne_u16_sdwa s[8:9], v3, v2 src0_sel:BYTE_0 src1_sel:DWORD
	s_andn2_b64 s[4:5], s[4:5], exec
	s_and_b64 s[8:9], s[8:9], exec
	s_or_b64 s[4:5], s[4:5], s[8:9]
	s_or_b64 exec, exec, s[6:7]
	s_and_saveexec_b64 s[6:7], s[4:5]
	s_cbranch_execnz .LBB15_1483
	s_branch .LBB15_1484
.LBB15_3533:
	s_movk_i32 s4, 0x80
	v_cmp_eq_u16_sdwa s[12:13], v3, s4 src0_sel:BYTE_0 src1_sel:DWORD
	s_mov_b64 s[4:5], -1
                                        ; implicit-def: $sgpr10
	s_and_saveexec_b64 s[8:9], s[12:13]
; %bb.3534:
	s_mov_b32 s10, 0x7f800001
	s_xor_b64 s[4:5], exec, -1
; %bb.3535:
	s_or_b64 exec, exec, s[8:9]
	s_and_b64 s[4:5], s[4:5], exec
	s_or_saveexec_b64 s[6:7], s[6:7]
	v_mov_b32_e32 v6, s10
	s_xor_b64 exec, exec, s[6:7]
	s_cbranch_execz .LBB15_1486
.LBB15_3536:
	v_mov_b32_e32 v6, 0
	v_cmp_ne_u16_sdwa s[8:9], v3, v6 src0_sel:BYTE_0 src1_sel:DWORD
	s_andn2_b64 s[4:5], s[4:5], exec
	s_and_b64 s[8:9], s[8:9], exec
	s_or_b64 s[4:5], s[4:5], s[8:9]
	s_or_b64 exec, exec, s[6:7]
	s_and_saveexec_b64 s[6:7], s[4:5]
	s_cbranch_execnz .LBB15_1487
	s_branch .LBB15_1488
.LBB15_3537:
	s_movk_i32 s4, 0x80
	v_cmp_eq_u16_e32 vcc, s4, v3
	s_mov_b64 s[4:5], -1
                                        ; implicit-def: $sgpr10
	s_and_saveexec_b64 s[8:9], vcc
; %bb.3538:
	s_mov_b32 s10, 0x7f800001
	s_xor_b64 s[4:5], exec, -1
; %bb.3539:
	s_or_b64 exec, exec, s[8:9]
	s_and_b64 s[4:5], s[4:5], exec
                                        ; implicit-def: $vgpr3
	s_or_saveexec_b64 s[6:7], s[6:7]
	v_mov_b32_e32 v2, s10
	s_xor_b64 exec, exec, s[6:7]
	s_cbranch_execz .LBB15_1490
.LBB15_3540:
	v_cmp_ne_u16_e32 vcc, 0, v3
	s_andn2_b64 s[4:5], s[4:5], exec
	s_and_b64 s[8:9], vcc, exec
	v_mov_b32_e32 v2, 0
	s_or_b64 s[4:5], s[4:5], s[8:9]
	s_or_b64 exec, exec, s[6:7]
	s_and_saveexec_b64 s[6:7], s[4:5]
	s_cbranch_execnz .LBB15_1491
	s_branch .LBB15_1492
.LBB15_3541:
	s_movk_i32 s4, 0x80
	v_cmp_eq_u16_e32 vcc, s4, v3
	s_mov_b64 s[4:5], -1
                                        ; implicit-def: $sgpr10
	s_and_saveexec_b64 s[8:9], vcc
; %bb.3542:
	s_mov_b32 s10, 0x7f800001
	s_xor_b64 s[4:5], exec, -1
; %bb.3543:
	s_or_b64 exec, exec, s[8:9]
	s_and_b64 s[4:5], s[4:5], exec
                                        ; implicit-def: $vgpr3
	s_or_saveexec_b64 s[6:7], s[6:7]
	v_mov_b32_e32 v6, s10
	s_xor_b64 exec, exec, s[6:7]
	s_cbranch_execz .LBB15_1494
.LBB15_3544:
	v_cmp_ne_u16_e32 vcc, 0, v3
	s_andn2_b64 s[4:5], s[4:5], exec
	s_and_b64 s[8:9], vcc, exec
	v_mov_b32_e32 v6, 0
	s_or_b64 s[4:5], s[4:5], s[8:9]
	s_or_b64 exec, exec, s[6:7]
	s_and_saveexec_b64 s[6:7], s[4:5]
	s_cbranch_execnz .LBB15_1495
	s_branch .LBB15_1496
.LBB15_3545:
	s_movk_i32 s4, 0x80
	v_cmp_eq_u16_sdwa s[12:13], v8, s4 src0_sel:BYTE_3 src1_sel:DWORD
	s_mov_b64 s[4:5], -1
                                        ; implicit-def: $sgpr10
	s_and_saveexec_b64 s[8:9], s[12:13]
; %bb.3546:
	s_mov_b32 s10, 0x7f800001
	s_xor_b64 s[4:5], exec, -1
; %bb.3547:
	s_or_b64 exec, exec, s[8:9]
	s_and_b64 s[4:5], s[4:5], exec
	s_or_saveexec_b64 s[6:7], s[6:7]
	v_mov_b32_e32 v2, s10
	s_xor_b64 exec, exec, s[6:7]
	s_cbranch_execz .LBB15_1498
.LBB15_3548:
	v_mov_b32_e32 v2, 0
	v_cmp_ne_u16_sdwa s[8:9], v8, v2 src0_sel:BYTE_3 src1_sel:DWORD
	s_andn2_b64 s[4:5], s[4:5], exec
	s_and_b64 s[8:9], s[8:9], exec
	s_or_b64 s[4:5], s[4:5], s[8:9]
	s_or_b64 exec, exec, s[6:7]
	s_and_saveexec_b64 s[6:7], s[4:5]
	s_cbranch_execnz .LBB15_1499
	s_branch .LBB15_1500
.LBB15_3549:
	s_movk_i32 s4, 0x80
	v_cmp_eq_u16_sdwa s[12:13], v4, s4 src0_sel:BYTE_3 src1_sel:DWORD
	s_mov_b64 s[4:5], -1
                                        ; implicit-def: $sgpr10
	s_and_saveexec_b64 s[8:9], s[12:13]
; %bb.3550:
	s_mov_b32 s10, 0x7f800001
	s_xor_b64 s[4:5], exec, -1
; %bb.3551:
	s_or_b64 exec, exec, s[8:9]
	s_and_b64 s[4:5], s[4:5], exec
	s_or_saveexec_b64 s[6:7], s[6:7]
	v_mov_b32_e32 v3, s10
	s_xor_b64 exec, exec, s[6:7]
	s_cbranch_execz .LBB15_1502
.LBB15_3552:
	v_mov_b32_e32 v3, 0
	v_cmp_ne_u16_sdwa s[8:9], v4, v3 src0_sel:BYTE_3 src1_sel:DWORD
	s_andn2_b64 s[4:5], s[4:5], exec
	s_and_b64 s[8:9], s[8:9], exec
	s_or_b64 s[4:5], s[4:5], s[8:9]
	s_or_b64 exec, exec, s[6:7]
	s_and_saveexec_b64 s[6:7], s[4:5]
	s_cbranch_execnz .LBB15_1503
	s_branch .LBB15_1504
.LBB15_3553:
	s_movk_i32 s4, 0x80
	v_cmp_eq_u16_sdwa s[12:13], v9, s4 src0_sel:BYTE_0 src1_sel:DWORD
	s_mov_b64 s[4:5], -1
                                        ; implicit-def: $sgpr10
	s_and_saveexec_b64 s[8:9], s[12:13]
; %bb.3554:
	s_mov_b32 s10, 0x7f800001
	s_xor_b64 s[4:5], exec, -1
; %bb.3555:
	s_or_b64 exec, exec, s[8:9]
	s_and_b64 s[4:5], s[4:5], exec
	s_or_saveexec_b64 s[6:7], s[6:7]
	v_mov_b32_e32 v2, s10
	s_xor_b64 exec, exec, s[6:7]
	s_cbranch_execz .LBB15_1506
.LBB15_3556:
	v_mov_b32_e32 v2, 0
	v_cmp_ne_u16_sdwa s[8:9], v9, v2 src0_sel:BYTE_0 src1_sel:DWORD
	s_andn2_b64 s[4:5], s[4:5], exec
	s_and_b64 s[8:9], s[8:9], exec
	s_or_b64 s[4:5], s[4:5], s[8:9]
	s_or_b64 exec, exec, s[6:7]
	s_and_saveexec_b64 s[6:7], s[4:5]
	s_cbranch_execnz .LBB15_1507
	s_branch .LBB15_1508
.LBB15_3557:
	s_movk_i32 s4, 0x80
	v_cmp_eq_u16_sdwa s[12:13], v5, s4 src0_sel:BYTE_0 src1_sel:DWORD
	s_mov_b64 s[4:5], -1
                                        ; implicit-def: $sgpr10
	s_and_saveexec_b64 s[8:9], s[12:13]
; %bb.3558:
	s_mov_b32 s10, 0x7f800001
	s_xor_b64 s[4:5], exec, -1
; %bb.3559:
	s_or_b64 exec, exec, s[8:9]
	s_and_b64 s[4:5], s[4:5], exec
	s_or_saveexec_b64 s[6:7], s[6:7]
	v_mov_b32_e32 v3, s10
	s_xor_b64 exec, exec, s[6:7]
	s_cbranch_execz .LBB15_1510
.LBB15_3560:
	v_mov_b32_e32 v3, 0
	v_cmp_ne_u16_sdwa s[8:9], v5, v3 src0_sel:BYTE_0 src1_sel:DWORD
	s_andn2_b64 s[4:5], s[4:5], exec
	s_and_b64 s[8:9], s[8:9], exec
	s_or_b64 s[4:5], s[4:5], s[8:9]
	s_or_b64 exec, exec, s[6:7]
	s_and_saveexec_b64 s[6:7], s[4:5]
	s_cbranch_execnz .LBB15_1511
	s_branch .LBB15_1512
.LBB15_3561:
	s_movk_i32 s4, 0x80
	v_cmp_eq_u16_sdwa s[12:13], v3, s4 src0_sel:BYTE_0 src1_sel:DWORD
	s_mov_b64 s[4:5], -1
                                        ; implicit-def: $sgpr10
	s_and_saveexec_b64 s[8:9], s[12:13]
; %bb.3562:
	s_mov_b32 s10, 0x7f800001
	s_xor_b64 s[4:5], exec, -1
; %bb.3563:
	s_or_b64 exec, exec, s[8:9]
	s_and_b64 s[4:5], s[4:5], exec
	s_or_saveexec_b64 s[6:7], s[6:7]
	v_mov_b32_e32 v2, s10
	s_xor_b64 exec, exec, s[6:7]
	s_cbranch_execz .LBB15_1514
.LBB15_3564:
	v_mov_b32_e32 v2, 0
	v_cmp_ne_u16_sdwa s[8:9], v3, v2 src0_sel:BYTE_0 src1_sel:DWORD
	s_andn2_b64 s[4:5], s[4:5], exec
	s_and_b64 s[8:9], s[8:9], exec
	s_or_b64 s[4:5], s[4:5], s[8:9]
	s_or_b64 exec, exec, s[6:7]
	s_and_saveexec_b64 s[6:7], s[4:5]
	s_cbranch_execnz .LBB15_1515
	s_branch .LBB15_1516
.LBB15_3565:
	s_movk_i32 s4, 0x80
	v_cmp_eq_u16_sdwa s[12:13], v3, s4 src0_sel:BYTE_0 src1_sel:DWORD
	s_mov_b64 s[4:5], -1
                                        ; implicit-def: $sgpr10
	s_and_saveexec_b64 s[8:9], s[12:13]
; %bb.3566:
	s_mov_b32 s10, 0x7f800001
	s_xor_b64 s[4:5], exec, -1
; %bb.3567:
	s_or_b64 exec, exec, s[8:9]
	s_and_b64 s[4:5], s[4:5], exec
	s_or_saveexec_b64 s[6:7], s[6:7]
	v_mov_b32_e32 v4, s10
	s_xor_b64 exec, exec, s[6:7]
	s_cbranch_execz .LBB15_1518
.LBB15_3568:
	v_mov_b32_e32 v4, 0
	v_cmp_ne_u16_sdwa s[8:9], v3, v4 src0_sel:BYTE_0 src1_sel:DWORD
	s_andn2_b64 s[4:5], s[4:5], exec
	s_and_b64 s[8:9], s[8:9], exec
	s_or_b64 s[4:5], s[4:5], s[8:9]
	s_or_b64 exec, exec, s[6:7]
	s_and_saveexec_b64 s[6:7], s[4:5]
	s_cbranch_execnz .LBB15_1519
	s_branch .LBB15_1520
.LBB15_3569:
	s_movk_i32 s4, 0x80
	v_cmp_eq_u16_e32 vcc, s4, v3
	s_mov_b64 s[4:5], -1
                                        ; implicit-def: $sgpr10
	s_and_saveexec_b64 s[8:9], vcc
; %bb.3570:
	s_mov_b32 s10, 0x7f800001
	s_xor_b64 s[4:5], exec, -1
; %bb.3571:
	s_or_b64 exec, exec, s[8:9]
	s_and_b64 s[4:5], s[4:5], exec
                                        ; implicit-def: $vgpr3
	s_or_saveexec_b64 s[6:7], s[6:7]
	v_mov_b32_e32 v2, s10
	s_xor_b64 exec, exec, s[6:7]
	s_cbranch_execz .LBB15_1522
.LBB15_3572:
	v_cmp_ne_u16_e32 vcc, 0, v3
	s_andn2_b64 s[4:5], s[4:5], exec
	s_and_b64 s[8:9], vcc, exec
	v_mov_b32_e32 v2, 0
	s_or_b64 s[4:5], s[4:5], s[8:9]
	s_or_b64 exec, exec, s[6:7]
	s_and_saveexec_b64 s[6:7], s[4:5]
	s_cbranch_execnz .LBB15_1523
	s_branch .LBB15_1524
.LBB15_3573:
	s_movk_i32 s4, 0x80
	v_cmp_eq_u16_e32 vcc, s4, v3
	s_mov_b64 s[4:5], -1
                                        ; implicit-def: $sgpr10
	s_and_saveexec_b64 s[8:9], vcc
; %bb.3574:
	s_mov_b32 s10, 0x7f800001
	s_xor_b64 s[4:5], exec, -1
; %bb.3575:
	s_or_b64 exec, exec, s[8:9]
	s_and_b64 s[4:5], s[4:5], exec
                                        ; implicit-def: $vgpr3
	s_or_saveexec_b64 s[6:7], s[6:7]
	v_mov_b32_e32 v4, s10
	s_xor_b64 exec, exec, s[6:7]
	s_cbranch_execz .LBB15_1526
.LBB15_3576:
	v_cmp_ne_u16_e32 vcc, 0, v3
	s_andn2_b64 s[4:5], s[4:5], exec
	s_and_b64 s[8:9], vcc, exec
	v_mov_b32_e32 v4, 0
	s_or_b64 s[4:5], s[4:5], s[8:9]
	s_or_b64 exec, exec, s[6:7]
	s_and_saveexec_b64 s[6:7], s[4:5]
	s_cbranch_execnz .LBB15_1527
	s_branch .LBB15_1528
.LBB15_3577:
	s_movk_i32 s4, 0x80
	v_cmp_eq_u16_sdwa s[12:13], v9, s4 src0_sel:BYTE_3 src1_sel:DWORD
	s_mov_b64 s[4:5], -1
                                        ; implicit-def: $sgpr10
	s_and_saveexec_b64 s[8:9], s[12:13]
; %bb.3578:
	s_mov_b32 s10, 0x7f800001
	s_xor_b64 s[4:5], exec, -1
; %bb.3579:
	s_or_b64 exec, exec, s[8:9]
	s_and_b64 s[4:5], s[4:5], exec
	s_or_saveexec_b64 s[6:7], s[6:7]
	v_mov_b32_e32 v2, s10
	s_xor_b64 exec, exec, s[6:7]
	s_cbranch_execz .LBB15_1530
.LBB15_3580:
	v_mov_b32_e32 v2, 0
	v_cmp_ne_u16_sdwa s[8:9], v9, v2 src0_sel:BYTE_3 src1_sel:DWORD
	s_andn2_b64 s[4:5], s[4:5], exec
	s_and_b64 s[8:9], s[8:9], exec
	s_or_b64 s[4:5], s[4:5], s[8:9]
	s_or_b64 exec, exec, s[6:7]
	s_and_saveexec_b64 s[6:7], s[4:5]
	s_cbranch_execnz .LBB15_1531
	s_branch .LBB15_1532
.LBB15_3581:
	s_movk_i32 s4, 0x80
	v_cmp_eq_u16_sdwa s[12:13], v5, s4 src0_sel:BYTE_3 src1_sel:DWORD
	s_mov_b64 s[4:5], -1
                                        ; implicit-def: $sgpr10
	s_and_saveexec_b64 s[8:9], s[12:13]
; %bb.3582:
	s_mov_b32 s10, 0x7f800001
	s_xor_b64 s[4:5], exec, -1
; %bb.3583:
	s_or_b64 exec, exec, s[8:9]
	s_and_b64 s[4:5], s[4:5], exec
	s_or_saveexec_b64 s[6:7], s[6:7]
	v_mov_b32_e32 v3, s10
	s_xor_b64 exec, exec, s[6:7]
	s_cbranch_execz .LBB15_1534
.LBB15_3584:
	v_mov_b32_e32 v3, 0
	v_cmp_ne_u16_sdwa s[8:9], v5, v3 src0_sel:BYTE_3 src1_sel:DWORD
	s_andn2_b64 s[4:5], s[4:5], exec
	s_and_b64 s[8:9], s[8:9], exec
	s_or_b64 s[4:5], s[4:5], s[8:9]
	s_or_b64 exec, exec, s[6:7]
	s_and_saveexec_b64 s[6:7], s[4:5]
	s_cbranch_execnz .LBB15_1535
	s_branch .LBB15_1536
.LBB15_3585:
	s_movk_i32 s4, 0x80
	v_cmp_eq_u16_sdwa s[12:13], v6, s4 src0_sel:BYTE_0 src1_sel:DWORD
	s_mov_b64 s[4:5], -1
                                        ; implicit-def: $sgpr10
	s_and_saveexec_b64 s[8:9], s[12:13]
; %bb.3586:
	s_mov_b32 s10, 0x7f800001
	s_xor_b64 s[4:5], exec, -1
; %bb.3587:
	s_or_b64 exec, exec, s[8:9]
	s_and_b64 s[4:5], s[4:5], exec
	s_or_saveexec_b64 s[6:7], s[6:7]
	v_mov_b32_e32 v12, s10
	s_xor_b64 exec, exec, s[6:7]
	s_cbranch_execz .LBB15_1538
.LBB15_3588:
	v_mov_b32_e32 v12, 0
	v_cmp_ne_u16_sdwa s[8:9], v6, v12 src0_sel:BYTE_0 src1_sel:DWORD
	s_andn2_b64 s[4:5], s[4:5], exec
	s_and_b64 s[8:9], s[8:9], exec
	s_or_b64 s[4:5], s[4:5], s[8:9]
	s_or_b64 exec, exec, s[6:7]
	s_and_saveexec_b64 s[6:7], s[4:5]
	s_cbranch_execnz .LBB15_1539
	s_branch .LBB15_1540
.LBB15_3589:
	s_movk_i32 s4, 0x80
	v_cmp_eq_u16_sdwa s[12:13], v2, s4 src0_sel:BYTE_0 src1_sel:DWORD
	s_mov_b64 s[4:5], -1
                                        ; implicit-def: $sgpr10
	s_and_saveexec_b64 s[8:9], s[12:13]
; %bb.3590:
	s_mov_b32 s10, 0x7f800001
	s_xor_b64 s[4:5], exec, -1
; %bb.3591:
	s_or_b64 exec, exec, s[8:9]
	s_and_b64 s[4:5], s[4:5], exec
	s_or_saveexec_b64 s[6:7], s[6:7]
	v_mov_b32_e32 v13, s10
	s_xor_b64 exec, exec, s[6:7]
	s_cbranch_execz .LBB15_1542
.LBB15_3592:
	v_mov_b32_e32 v13, 0
	v_cmp_ne_u16_sdwa s[8:9], v2, v13 src0_sel:BYTE_0 src1_sel:DWORD
	s_andn2_b64 s[4:5], s[4:5], exec
	s_and_b64 s[8:9], s[8:9], exec
	s_or_b64 s[4:5], s[4:5], s[8:9]
	s_or_b64 exec, exec, s[6:7]
	s_and_saveexec_b64 s[6:7], s[4:5]
	s_cbranch_execnz .LBB15_1543
	s_branch .LBB15_1544
.LBB15_3593:
	s_movk_i32 s4, 0x80
	v_cmp_eq_u16_sdwa s[12:13], v13, s4 src0_sel:BYTE_0 src1_sel:DWORD
	s_mov_b64 s[4:5], -1
                                        ; implicit-def: $sgpr10
	s_and_saveexec_b64 s[8:9], s[12:13]
; %bb.3594:
	s_mov_b32 s10, 0x7f800001
	s_xor_b64 s[4:5], exec, -1
; %bb.3595:
	s_or_b64 exec, exec, s[8:9]
	s_and_b64 s[4:5], s[4:5], exec
	s_or_saveexec_b64 s[6:7], s[6:7]
	v_mov_b32_e32 v12, s10
	s_xor_b64 exec, exec, s[6:7]
	s_cbranch_execz .LBB15_1546
.LBB15_3596:
	v_mov_b32_e32 v12, 0
	v_cmp_ne_u16_sdwa s[8:9], v13, v12 src0_sel:BYTE_0 src1_sel:DWORD
	s_andn2_b64 s[4:5], s[4:5], exec
	s_and_b64 s[8:9], s[8:9], exec
	s_or_b64 s[4:5], s[4:5], s[8:9]
	s_or_b64 exec, exec, s[6:7]
	s_and_saveexec_b64 s[6:7], s[4:5]
	s_cbranch_execnz .LBB15_1547
	s_branch .LBB15_1548
.LBB15_3597:
	s_movk_i32 s4, 0x80
	v_cmp_eq_u16_sdwa s[12:13], v13, s4 src0_sel:BYTE_0 src1_sel:DWORD
	s_mov_b64 s[4:5], -1
                                        ; implicit-def: $sgpr10
	s_and_saveexec_b64 s[8:9], s[12:13]
; %bb.3598:
	s_mov_b32 s10, 0x7f800001
	s_xor_b64 s[4:5], exec, -1
; %bb.3599:
	s_or_b64 exec, exec, s[8:9]
	s_and_b64 s[4:5], s[4:5], exec
	s_or_saveexec_b64 s[6:7], s[6:7]
	v_mov_b32_e32 v14, s10
	s_xor_b64 exec, exec, s[6:7]
	s_cbranch_execz .LBB15_1550
.LBB15_3600:
	v_mov_b32_e32 v14, 0
	v_cmp_ne_u16_sdwa s[8:9], v13, v14 src0_sel:BYTE_0 src1_sel:DWORD
	s_andn2_b64 s[4:5], s[4:5], exec
	s_and_b64 s[8:9], s[8:9], exec
	s_or_b64 s[4:5], s[4:5], s[8:9]
	s_or_b64 exec, exec, s[6:7]
	s_and_saveexec_b64 s[6:7], s[4:5]
	s_cbranch_execnz .LBB15_1551
	s_branch .LBB15_1552
.LBB15_3601:
	s_movk_i32 s4, 0x80
	v_cmp_eq_u16_e32 vcc, s4, v13
	s_mov_b64 s[4:5], -1
                                        ; implicit-def: $sgpr10
	s_and_saveexec_b64 s[8:9], vcc
; %bb.3602:
	s_mov_b32 s10, 0x7f800001
	s_xor_b64 s[4:5], exec, -1
; %bb.3603:
	s_or_b64 exec, exec, s[8:9]
	s_and_b64 s[4:5], s[4:5], exec
                                        ; implicit-def: $vgpr13
	s_or_saveexec_b64 s[6:7], s[6:7]
	v_mov_b32_e32 v12, s10
	s_xor_b64 exec, exec, s[6:7]
	s_cbranch_execz .LBB15_1554
.LBB15_3604:
	v_cmp_ne_u16_e32 vcc, 0, v13
	s_andn2_b64 s[4:5], s[4:5], exec
	s_and_b64 s[8:9], vcc, exec
	v_mov_b32_e32 v12, 0
	s_or_b64 s[4:5], s[4:5], s[8:9]
	s_or_b64 exec, exec, s[6:7]
	s_and_saveexec_b64 s[6:7], s[4:5]
	s_cbranch_execnz .LBB15_1555
	s_branch .LBB15_1556
.LBB15_3605:
	s_movk_i32 s4, 0x80
	v_cmp_eq_u16_e32 vcc, s4, v13
	s_mov_b64 s[4:5], -1
                                        ; implicit-def: $sgpr10
	s_and_saveexec_b64 s[8:9], vcc
; %bb.3606:
	s_mov_b32 s10, 0x7f800001
	s_xor_b64 s[4:5], exec, -1
; %bb.3607:
	s_or_b64 exec, exec, s[8:9]
	s_and_b64 s[4:5], s[4:5], exec
                                        ; implicit-def: $vgpr13
	s_or_saveexec_b64 s[6:7], s[6:7]
	v_mov_b32_e32 v14, s10
	s_xor_b64 exec, exec, s[6:7]
	s_cbranch_execz .LBB15_1558
.LBB15_3608:
	v_cmp_ne_u16_e32 vcc, 0, v13
	s_andn2_b64 s[4:5], s[4:5], exec
	s_and_b64 s[8:9], vcc, exec
	v_mov_b32_e32 v14, 0
	s_or_b64 s[4:5], s[4:5], s[8:9]
	s_or_b64 exec, exec, s[6:7]
	s_and_saveexec_b64 s[6:7], s[4:5]
	s_cbranch_execnz .LBB15_1559
	s_branch .LBB15_1560
.LBB15_3609:
	s_movk_i32 s4, 0x80
	v_cmp_eq_u16_sdwa s[12:13], v6, s4 src0_sel:BYTE_3 src1_sel:DWORD
	s_mov_b64 s[4:5], -1
                                        ; implicit-def: $sgpr10
	s_and_saveexec_b64 s[8:9], s[12:13]
; %bb.3610:
	s_mov_b32 s10, 0x7f800001
	s_xor_b64 s[4:5], exec, -1
; %bb.3611:
	s_or_b64 exec, exec, s[8:9]
	s_and_b64 s[4:5], s[4:5], exec
	s_or_saveexec_b64 s[6:7], s[6:7]
	v_mov_b32_e32 v12, s10
	s_xor_b64 exec, exec, s[6:7]
	s_cbranch_execz .LBB15_1562
.LBB15_3612:
	v_mov_b32_e32 v12, 0
	v_cmp_ne_u16_sdwa s[8:9], v6, v12 src0_sel:BYTE_3 src1_sel:DWORD
	s_andn2_b64 s[4:5], s[4:5], exec
	s_and_b64 s[8:9], s[8:9], exec
	s_or_b64 s[4:5], s[4:5], s[8:9]
	s_or_b64 exec, exec, s[6:7]
	s_and_saveexec_b64 s[6:7], s[4:5]
	s_cbranch_execnz .LBB15_1563
	s_branch .LBB15_1564
.LBB15_3613:
	s_movk_i32 s4, 0x80
	v_cmp_eq_u16_sdwa s[12:13], v2, s4 src0_sel:BYTE_3 src1_sel:DWORD
	s_mov_b64 s[4:5], -1
                                        ; implicit-def: $sgpr10
	s_and_saveexec_b64 s[8:9], s[12:13]
; %bb.3614:
	s_mov_b32 s10, 0x7f800001
	s_xor_b64 s[4:5], exec, -1
; %bb.3615:
	s_or_b64 exec, exec, s[8:9]
	s_and_b64 s[4:5], s[4:5], exec
	s_or_saveexec_b64 s[6:7], s[6:7]
	v_mov_b32_e32 v6, s10
	s_xor_b64 exec, exec, s[6:7]
	s_cbranch_execz .LBB15_1566
.LBB15_3616:
	v_mov_b32_e32 v6, 0
	v_cmp_ne_u16_sdwa s[8:9], v2, v6 src0_sel:BYTE_3 src1_sel:DWORD
	s_andn2_b64 s[4:5], s[4:5], exec
	s_and_b64 s[8:9], s[8:9], exec
	s_or_b64 s[4:5], s[4:5], s[8:9]
	s_or_b64 exec, exec, s[6:7]
	s_and_saveexec_b64 s[6:7], s[4:5]
	s_cbranch_execnz .LBB15_1567
	s_branch .LBB15_1568
.LBB15_3617:
	s_movk_i32 s4, 0x80
	v_cmp_eq_u16_sdwa s[12:13], v7, s4 src0_sel:BYTE_0 src1_sel:DWORD
	s_mov_b64 s[4:5], -1
                                        ; implicit-def: $sgpr10
	s_and_saveexec_b64 s[8:9], s[12:13]
; %bb.3618:
	s_mov_b32 s10, 0x7f800001
	s_xor_b64 s[4:5], exec, -1
; %bb.3619:
	s_or_b64 exec, exec, s[8:9]
	s_and_b64 s[4:5], s[4:5], exec
	s_or_saveexec_b64 s[6:7], s[6:7]
	v_mov_b32_e32 v2, s10
	s_xor_b64 exec, exec, s[6:7]
	s_cbranch_execz .LBB15_1570
.LBB15_3620:
	v_mov_b32_e32 v2, 0
	v_cmp_ne_u16_sdwa s[8:9], v7, v2 src0_sel:BYTE_0 src1_sel:DWORD
	s_andn2_b64 s[4:5], s[4:5], exec
	s_and_b64 s[8:9], s[8:9], exec
	s_or_b64 s[4:5], s[4:5], s[8:9]
	s_or_b64 exec, exec, s[6:7]
	s_and_saveexec_b64 s[6:7], s[4:5]
	s_cbranch_execnz .LBB15_1571
	s_branch .LBB15_1572
.LBB15_3621:
	s_movk_i32 s4, 0x80
	v_cmp_eq_u16_sdwa s[12:13], v3, s4 src0_sel:BYTE_0 src1_sel:DWORD
	s_mov_b64 s[4:5], -1
                                        ; implicit-def: $sgpr10
	s_and_saveexec_b64 s[8:9], s[12:13]
; %bb.3622:
	s_mov_b32 s10, 0x7f800001
	s_xor_b64 s[4:5], exec, -1
; %bb.3623:
	s_or_b64 exec, exec, s[8:9]
	s_and_b64 s[4:5], s[4:5], exec
	s_or_saveexec_b64 s[6:7], s[6:7]
	v_mov_b32_e32 v6, s10
	s_xor_b64 exec, exec, s[6:7]
	s_cbranch_execz .LBB15_1574
.LBB15_3624:
	v_mov_b32_e32 v6, 0
	v_cmp_ne_u16_sdwa s[8:9], v3, v6 src0_sel:BYTE_0 src1_sel:DWORD
	s_andn2_b64 s[4:5], s[4:5], exec
	s_and_b64 s[8:9], s[8:9], exec
	s_or_b64 s[4:5], s[4:5], s[8:9]
	s_or_b64 exec, exec, s[6:7]
	s_and_saveexec_b64 s[6:7], s[4:5]
	s_cbranch_execnz .LBB15_1575
	s_branch .LBB15_1576
.LBB15_3625:
	s_movk_i32 s4, 0x80
	v_cmp_eq_u16_sdwa s[12:13], v6, s4 src0_sel:BYTE_0 src1_sel:DWORD
	s_mov_b64 s[4:5], -1
                                        ; implicit-def: $sgpr10
	s_and_saveexec_b64 s[8:9], s[12:13]
; %bb.3626:
	s_mov_b32 s10, 0x7f800001
	s_xor_b64 s[4:5], exec, -1
; %bb.3627:
	s_or_b64 exec, exec, s[8:9]
	s_and_b64 s[4:5], s[4:5], exec
	s_or_saveexec_b64 s[6:7], s[6:7]
	v_mov_b32_e32 v2, s10
	s_xor_b64 exec, exec, s[6:7]
	s_cbranch_execz .LBB15_1578
.LBB15_3628:
	v_mov_b32_e32 v2, 0
	v_cmp_ne_u16_sdwa s[8:9], v6, v2 src0_sel:BYTE_0 src1_sel:DWORD
	s_andn2_b64 s[4:5], s[4:5], exec
	s_and_b64 s[8:9], s[8:9], exec
	s_or_b64 s[4:5], s[4:5], s[8:9]
	s_or_b64 exec, exec, s[6:7]
	s_and_saveexec_b64 s[6:7], s[4:5]
	s_cbranch_execnz .LBB15_1579
	s_branch .LBB15_1580
.LBB15_3629:
	s_movk_i32 s4, 0x80
	v_cmp_eq_u16_sdwa s[12:13], v6, s4 src0_sel:BYTE_0 src1_sel:DWORD
	s_mov_b64 s[4:5], -1
                                        ; implicit-def: $sgpr10
	s_and_saveexec_b64 s[8:9], s[12:13]
; %bb.3630:
	s_mov_b32 s10, 0x7f800001
	s_xor_b64 s[4:5], exec, -1
; %bb.3631:
	s_or_b64 exec, exec, s[8:9]
	s_and_b64 s[4:5], s[4:5], exec
	s_or_saveexec_b64 s[6:7], s[6:7]
	v_mov_b32_e32 v12, s10
	s_xor_b64 exec, exec, s[6:7]
	s_cbranch_execz .LBB15_1582
.LBB15_3632:
	v_mov_b32_e32 v12, 0
	v_cmp_ne_u16_sdwa s[8:9], v6, v12 src0_sel:BYTE_0 src1_sel:DWORD
	s_andn2_b64 s[4:5], s[4:5], exec
	s_and_b64 s[8:9], s[8:9], exec
	s_or_b64 s[4:5], s[4:5], s[8:9]
	s_or_b64 exec, exec, s[6:7]
	s_and_saveexec_b64 s[6:7], s[4:5]
	s_cbranch_execnz .LBB15_1583
	s_branch .LBB15_1584
.LBB15_3633:
	s_movk_i32 s4, 0x80
	v_cmp_eq_u16_e32 vcc, s4, v6
	s_mov_b64 s[4:5], -1
                                        ; implicit-def: $sgpr10
	s_and_saveexec_b64 s[8:9], vcc
; %bb.3634:
	s_mov_b32 s10, 0x7f800001
	s_xor_b64 s[4:5], exec, -1
; %bb.3635:
	s_or_b64 exec, exec, s[8:9]
	s_and_b64 s[4:5], s[4:5], exec
                                        ; implicit-def: $vgpr6
	s_or_saveexec_b64 s[6:7], s[6:7]
	v_mov_b32_e32 v2, s10
	s_xor_b64 exec, exec, s[6:7]
	s_cbranch_execz .LBB15_1586
.LBB15_3636:
	v_cmp_ne_u16_e32 vcc, 0, v6
	s_andn2_b64 s[4:5], s[4:5], exec
	s_and_b64 s[8:9], vcc, exec
	v_mov_b32_e32 v2, 0
	s_or_b64 s[4:5], s[4:5], s[8:9]
	s_or_b64 exec, exec, s[6:7]
	s_and_saveexec_b64 s[6:7], s[4:5]
	s_cbranch_execnz .LBB15_1587
	s_branch .LBB15_1588
.LBB15_3637:
	s_movk_i32 s4, 0x80
	v_cmp_eq_u16_e32 vcc, s4, v6
	s_mov_b64 s[4:5], -1
                                        ; implicit-def: $sgpr10
	s_and_saveexec_b64 s[8:9], vcc
; %bb.3638:
	s_mov_b32 s10, 0x7f800001
	s_xor_b64 s[4:5], exec, -1
; %bb.3639:
	s_or_b64 exec, exec, s[8:9]
	s_and_b64 s[4:5], s[4:5], exec
                                        ; implicit-def: $vgpr6
	s_or_saveexec_b64 s[6:7], s[6:7]
	v_mov_b32_e32 v12, s10
	s_xor_b64 exec, exec, s[6:7]
	s_cbranch_execz .LBB15_1590
.LBB15_3640:
	v_cmp_ne_u16_e32 vcc, 0, v6
	s_andn2_b64 s[4:5], s[4:5], exec
	s_and_b64 s[8:9], vcc, exec
	v_mov_b32_e32 v12, 0
	s_or_b64 s[4:5], s[4:5], s[8:9]
	s_or_b64 exec, exec, s[6:7]
	s_and_saveexec_b64 s[6:7], s[4:5]
	s_cbranch_execnz .LBB15_1591
	s_branch .LBB15_1592
.LBB15_3641:
	s_movk_i32 s4, 0x80
	v_cmp_eq_u16_sdwa s[12:13], v7, s4 src0_sel:BYTE_3 src1_sel:DWORD
	s_mov_b64 s[4:5], -1
                                        ; implicit-def: $sgpr10
	s_and_saveexec_b64 s[8:9], s[12:13]
; %bb.3642:
	s_mov_b32 s10, 0x7f800001
	s_xor_b64 s[4:5], exec, -1
; %bb.3643:
	s_or_b64 exec, exec, s[8:9]
	s_and_b64 s[4:5], s[4:5], exec
	s_or_saveexec_b64 s[6:7], s[6:7]
	v_mov_b32_e32 v2, s10
	s_xor_b64 exec, exec, s[6:7]
	s_cbranch_execz .LBB15_1594
.LBB15_3644:
	v_mov_b32_e32 v2, 0
	v_cmp_ne_u16_sdwa s[8:9], v7, v2 src0_sel:BYTE_3 src1_sel:DWORD
	s_andn2_b64 s[4:5], s[4:5], exec
	s_and_b64 s[8:9], s[8:9], exec
	s_or_b64 s[4:5], s[4:5], s[8:9]
	s_or_b64 exec, exec, s[6:7]
	s_and_saveexec_b64 s[6:7], s[4:5]
	s_cbranch_execnz .LBB15_1595
	s_branch .LBB15_1596
.LBB15_3645:
	s_movk_i32 s4, 0x80
	v_cmp_eq_u16_sdwa s[12:13], v3, s4 src0_sel:BYTE_3 src1_sel:DWORD
	s_mov_b64 s[4:5], -1
                                        ; implicit-def: $sgpr10
	s_and_saveexec_b64 s[8:9], s[12:13]
; %bb.3646:
	s_mov_b32 s10, 0x7f800001
	s_xor_b64 s[4:5], exec, -1
; %bb.3647:
	s_or_b64 exec, exec, s[8:9]
	s_and_b64 s[4:5], s[4:5], exec
	s_or_saveexec_b64 s[6:7], s[6:7]
	v_mov_b32_e32 v6, s10
	s_xor_b64 exec, exec, s[6:7]
	s_cbranch_execz .LBB15_1598
.LBB15_3648:
	v_mov_b32_e32 v6, 0
	v_cmp_ne_u16_sdwa s[8:9], v3, v6 src0_sel:BYTE_3 src1_sel:DWORD
	s_andn2_b64 s[4:5], s[4:5], exec
	s_and_b64 s[8:9], s[8:9], exec
	s_or_b64 s[4:5], s[4:5], s[8:9]
	s_or_b64 exec, exec, s[6:7]
	s_and_saveexec_b64 s[6:7], s[4:5]
	s_cbranch_execnz .LBB15_1599
	s_branch .LBB15_1600
.LBB15_3649:
	s_movk_i32 s4, 0x80
	v_cmp_eq_u16_sdwa s[12:13], v8, s4 src0_sel:BYTE_0 src1_sel:DWORD
	s_mov_b64 s[4:5], -1
                                        ; implicit-def: $sgpr10
	s_and_saveexec_b64 s[8:9], s[12:13]
; %bb.3650:
	s_mov_b32 s10, 0x7f800001
	s_xor_b64 s[4:5], exec, -1
; %bb.3651:
	s_or_b64 exec, exec, s[8:9]
	s_and_b64 s[4:5], s[4:5], exec
	s_or_saveexec_b64 s[6:7], s[6:7]
	v_mov_b32_e32 v2, s10
	s_xor_b64 exec, exec, s[6:7]
	s_cbranch_execz .LBB15_1602
.LBB15_3652:
	v_mov_b32_e32 v2, 0
	v_cmp_ne_u16_sdwa s[8:9], v8, v2 src0_sel:BYTE_0 src1_sel:DWORD
	s_andn2_b64 s[4:5], s[4:5], exec
	s_and_b64 s[8:9], s[8:9], exec
	s_or_b64 s[4:5], s[4:5], s[8:9]
	s_or_b64 exec, exec, s[6:7]
	s_and_saveexec_b64 s[6:7], s[4:5]
	s_cbranch_execnz .LBB15_1603
	s_branch .LBB15_1604
.LBB15_3653:
	s_movk_i32 s4, 0x80
	v_cmp_eq_u16_sdwa s[12:13], v4, s4 src0_sel:BYTE_0 src1_sel:DWORD
	s_mov_b64 s[4:5], -1
                                        ; implicit-def: $sgpr10
	s_and_saveexec_b64 s[8:9], s[12:13]
; %bb.3654:
	s_mov_b32 s10, 0x7f800001
	s_xor_b64 s[4:5], exec, -1
; %bb.3655:
	s_or_b64 exec, exec, s[8:9]
	s_and_b64 s[4:5], s[4:5], exec
	s_or_saveexec_b64 s[6:7], s[6:7]
	v_mov_b32_e32 v3, s10
	s_xor_b64 exec, exec, s[6:7]
	s_cbranch_execz .LBB15_1606
.LBB15_3656:
	v_mov_b32_e32 v3, 0
	v_cmp_ne_u16_sdwa s[8:9], v4, v3 src0_sel:BYTE_0 src1_sel:DWORD
	s_andn2_b64 s[4:5], s[4:5], exec
	s_and_b64 s[8:9], s[8:9], exec
	s_or_b64 s[4:5], s[4:5], s[8:9]
	s_or_b64 exec, exec, s[6:7]
	s_and_saveexec_b64 s[6:7], s[4:5]
	s_cbranch_execnz .LBB15_1607
	s_branch .LBB15_1608
.LBB15_3657:
	s_movk_i32 s4, 0x80
	v_cmp_eq_u16_sdwa s[12:13], v3, s4 src0_sel:BYTE_0 src1_sel:DWORD
	s_mov_b64 s[4:5], -1
                                        ; implicit-def: $sgpr10
	s_and_saveexec_b64 s[8:9], s[12:13]
; %bb.3658:
	s_mov_b32 s10, 0x7f800001
	s_xor_b64 s[4:5], exec, -1
; %bb.3659:
	s_or_b64 exec, exec, s[8:9]
	s_and_b64 s[4:5], s[4:5], exec
	s_or_saveexec_b64 s[6:7], s[6:7]
	v_mov_b32_e32 v2, s10
	s_xor_b64 exec, exec, s[6:7]
	s_cbranch_execz .LBB15_1610
.LBB15_3660:
	v_mov_b32_e32 v2, 0
	v_cmp_ne_u16_sdwa s[8:9], v3, v2 src0_sel:BYTE_0 src1_sel:DWORD
	s_andn2_b64 s[4:5], s[4:5], exec
	s_and_b64 s[8:9], s[8:9], exec
	s_or_b64 s[4:5], s[4:5], s[8:9]
	s_or_b64 exec, exec, s[6:7]
	s_and_saveexec_b64 s[6:7], s[4:5]
	s_cbranch_execnz .LBB15_1611
	s_branch .LBB15_1612
.LBB15_3661:
	s_movk_i32 s4, 0x80
	v_cmp_eq_u16_sdwa s[12:13], v3, s4 src0_sel:BYTE_0 src1_sel:DWORD
	s_mov_b64 s[4:5], -1
                                        ; implicit-def: $sgpr10
	s_and_saveexec_b64 s[8:9], s[12:13]
; %bb.3662:
	s_mov_b32 s10, 0x7f800001
	s_xor_b64 s[4:5], exec, -1
; %bb.3663:
	s_or_b64 exec, exec, s[8:9]
	s_and_b64 s[4:5], s[4:5], exec
	s_or_saveexec_b64 s[6:7], s[6:7]
	v_mov_b32_e32 v6, s10
	s_xor_b64 exec, exec, s[6:7]
	s_cbranch_execz .LBB15_1614
.LBB15_3664:
	v_mov_b32_e32 v6, 0
	v_cmp_ne_u16_sdwa s[8:9], v3, v6 src0_sel:BYTE_0 src1_sel:DWORD
	s_andn2_b64 s[4:5], s[4:5], exec
	s_and_b64 s[8:9], s[8:9], exec
	s_or_b64 s[4:5], s[4:5], s[8:9]
	s_or_b64 exec, exec, s[6:7]
	s_and_saveexec_b64 s[6:7], s[4:5]
	s_cbranch_execnz .LBB15_1615
	s_branch .LBB15_1616
.LBB15_3665:
	s_movk_i32 s4, 0x80
	v_cmp_eq_u16_e32 vcc, s4, v3
	s_mov_b64 s[4:5], -1
                                        ; implicit-def: $sgpr10
	s_and_saveexec_b64 s[8:9], vcc
; %bb.3666:
	s_mov_b32 s10, 0x7f800001
	s_xor_b64 s[4:5], exec, -1
; %bb.3667:
	s_or_b64 exec, exec, s[8:9]
	s_and_b64 s[4:5], s[4:5], exec
                                        ; implicit-def: $vgpr3
	s_or_saveexec_b64 s[6:7], s[6:7]
	v_mov_b32_e32 v2, s10
	s_xor_b64 exec, exec, s[6:7]
	s_cbranch_execz .LBB15_1618
.LBB15_3668:
	v_cmp_ne_u16_e32 vcc, 0, v3
	s_andn2_b64 s[4:5], s[4:5], exec
	s_and_b64 s[8:9], vcc, exec
	v_mov_b32_e32 v2, 0
	s_or_b64 s[4:5], s[4:5], s[8:9]
	s_or_b64 exec, exec, s[6:7]
	s_and_saveexec_b64 s[6:7], s[4:5]
	s_cbranch_execnz .LBB15_1619
	s_branch .LBB15_1620
.LBB15_3669:
	s_movk_i32 s4, 0x80
	v_cmp_eq_u16_e32 vcc, s4, v3
	s_mov_b64 s[4:5], -1
                                        ; implicit-def: $sgpr10
	s_and_saveexec_b64 s[8:9], vcc
; %bb.3670:
	s_mov_b32 s10, 0x7f800001
	s_xor_b64 s[4:5], exec, -1
; %bb.3671:
	s_or_b64 exec, exec, s[8:9]
	s_and_b64 s[4:5], s[4:5], exec
                                        ; implicit-def: $vgpr3
	s_or_saveexec_b64 s[6:7], s[6:7]
	v_mov_b32_e32 v6, s10
	s_xor_b64 exec, exec, s[6:7]
	s_cbranch_execz .LBB15_1622
.LBB15_3672:
	v_cmp_ne_u16_e32 vcc, 0, v3
	s_andn2_b64 s[4:5], s[4:5], exec
	s_and_b64 s[8:9], vcc, exec
	v_mov_b32_e32 v6, 0
	s_or_b64 s[4:5], s[4:5], s[8:9]
	s_or_b64 exec, exec, s[6:7]
	s_and_saveexec_b64 s[6:7], s[4:5]
	s_cbranch_execnz .LBB15_1623
	s_branch .LBB15_1624
.LBB15_3673:
	s_movk_i32 s4, 0x80
	v_cmp_eq_u16_sdwa s[12:13], v8, s4 src0_sel:BYTE_3 src1_sel:DWORD
	s_mov_b64 s[4:5], -1
                                        ; implicit-def: $sgpr10
	s_and_saveexec_b64 s[8:9], s[12:13]
; %bb.3674:
	s_mov_b32 s10, 0x7f800001
	s_xor_b64 s[4:5], exec, -1
; %bb.3675:
	s_or_b64 exec, exec, s[8:9]
	s_and_b64 s[4:5], s[4:5], exec
	s_or_saveexec_b64 s[6:7], s[6:7]
	v_mov_b32_e32 v2, s10
	s_xor_b64 exec, exec, s[6:7]
	s_cbranch_execz .LBB15_1626
.LBB15_3676:
	v_mov_b32_e32 v2, 0
	v_cmp_ne_u16_sdwa s[8:9], v8, v2 src0_sel:BYTE_3 src1_sel:DWORD
	s_andn2_b64 s[4:5], s[4:5], exec
	s_and_b64 s[8:9], s[8:9], exec
	s_or_b64 s[4:5], s[4:5], s[8:9]
	s_or_b64 exec, exec, s[6:7]
	s_and_saveexec_b64 s[6:7], s[4:5]
	s_cbranch_execnz .LBB15_1627
	s_branch .LBB15_1628
.LBB15_3677:
	s_movk_i32 s4, 0x80
	v_cmp_eq_u16_sdwa s[12:13], v4, s4 src0_sel:BYTE_3 src1_sel:DWORD
	s_mov_b64 s[4:5], -1
                                        ; implicit-def: $sgpr10
	s_and_saveexec_b64 s[8:9], s[12:13]
; %bb.3678:
	s_mov_b32 s10, 0x7f800001
	s_xor_b64 s[4:5], exec, -1
; %bb.3679:
	s_or_b64 exec, exec, s[8:9]
	s_and_b64 s[4:5], s[4:5], exec
	s_or_saveexec_b64 s[6:7], s[6:7]
	v_mov_b32_e32 v3, s10
	s_xor_b64 exec, exec, s[6:7]
	s_cbranch_execz .LBB15_1630
.LBB15_3680:
	v_mov_b32_e32 v3, 0
	v_cmp_ne_u16_sdwa s[8:9], v4, v3 src0_sel:BYTE_3 src1_sel:DWORD
	s_andn2_b64 s[4:5], s[4:5], exec
	s_and_b64 s[8:9], s[8:9], exec
	s_or_b64 s[4:5], s[4:5], s[8:9]
	s_or_b64 exec, exec, s[6:7]
	s_and_saveexec_b64 s[6:7], s[4:5]
	s_cbranch_execnz .LBB15_1631
	s_branch .LBB15_1632
.LBB15_3681:
	s_movk_i32 s4, 0x80
	v_cmp_eq_u16_sdwa s[12:13], v9, s4 src0_sel:BYTE_0 src1_sel:DWORD
	s_mov_b64 s[4:5], -1
                                        ; implicit-def: $sgpr10
	s_and_saveexec_b64 s[8:9], s[12:13]
; %bb.3682:
	s_mov_b32 s10, 0x7f800001
	s_xor_b64 s[4:5], exec, -1
; %bb.3683:
	s_or_b64 exec, exec, s[8:9]
	s_and_b64 s[4:5], s[4:5], exec
	s_or_saveexec_b64 s[6:7], s[6:7]
	v_mov_b32_e32 v2, s10
	s_xor_b64 exec, exec, s[6:7]
	s_cbranch_execz .LBB15_1634
.LBB15_3684:
	v_mov_b32_e32 v2, 0
	v_cmp_ne_u16_sdwa s[8:9], v9, v2 src0_sel:BYTE_0 src1_sel:DWORD
	s_andn2_b64 s[4:5], s[4:5], exec
	s_and_b64 s[8:9], s[8:9], exec
	s_or_b64 s[4:5], s[4:5], s[8:9]
	s_or_b64 exec, exec, s[6:7]
	s_and_saveexec_b64 s[6:7], s[4:5]
	s_cbranch_execnz .LBB15_1635
	s_branch .LBB15_1636
.LBB15_3685:
	s_movk_i32 s4, 0x80
	v_cmp_eq_u16_sdwa s[12:13], v5, s4 src0_sel:BYTE_0 src1_sel:DWORD
	s_mov_b64 s[4:5], -1
                                        ; implicit-def: $sgpr10
	s_and_saveexec_b64 s[8:9], s[12:13]
; %bb.3686:
	s_mov_b32 s10, 0x7f800001
	s_xor_b64 s[4:5], exec, -1
; %bb.3687:
	s_or_b64 exec, exec, s[8:9]
	s_and_b64 s[4:5], s[4:5], exec
	s_or_saveexec_b64 s[6:7], s[6:7]
	v_mov_b32_e32 v3, s10
	s_xor_b64 exec, exec, s[6:7]
	s_cbranch_execz .LBB15_1638
.LBB15_3688:
	v_mov_b32_e32 v3, 0
	v_cmp_ne_u16_sdwa s[8:9], v5, v3 src0_sel:BYTE_0 src1_sel:DWORD
	s_andn2_b64 s[4:5], s[4:5], exec
	s_and_b64 s[8:9], s[8:9], exec
	s_or_b64 s[4:5], s[4:5], s[8:9]
	s_or_b64 exec, exec, s[6:7]
	s_and_saveexec_b64 s[6:7], s[4:5]
	s_cbranch_execnz .LBB15_1639
	s_branch .LBB15_1640
.LBB15_3689:
	s_movk_i32 s4, 0x80
	v_cmp_eq_u16_sdwa s[12:13], v3, s4 src0_sel:BYTE_0 src1_sel:DWORD
	s_mov_b64 s[4:5], -1
                                        ; implicit-def: $sgpr10
	s_and_saveexec_b64 s[8:9], s[12:13]
; %bb.3690:
	s_mov_b32 s10, 0x7f800001
	s_xor_b64 s[4:5], exec, -1
; %bb.3691:
	s_or_b64 exec, exec, s[8:9]
	s_and_b64 s[4:5], s[4:5], exec
	s_or_saveexec_b64 s[6:7], s[6:7]
	v_mov_b32_e32 v2, s10
	s_xor_b64 exec, exec, s[6:7]
	s_cbranch_execz .LBB15_1642
.LBB15_3692:
	v_mov_b32_e32 v2, 0
	v_cmp_ne_u16_sdwa s[8:9], v3, v2 src0_sel:BYTE_0 src1_sel:DWORD
	s_andn2_b64 s[4:5], s[4:5], exec
	s_and_b64 s[8:9], s[8:9], exec
	s_or_b64 s[4:5], s[4:5], s[8:9]
	s_or_b64 exec, exec, s[6:7]
	s_and_saveexec_b64 s[6:7], s[4:5]
	s_cbranch_execnz .LBB15_1643
	s_branch .LBB15_1644
.LBB15_3693:
	s_movk_i32 s4, 0x80
	v_cmp_eq_u16_sdwa s[12:13], v3, s4 src0_sel:BYTE_0 src1_sel:DWORD
	s_mov_b64 s[4:5], -1
                                        ; implicit-def: $sgpr10
	s_and_saveexec_b64 s[8:9], s[12:13]
; %bb.3694:
	s_mov_b32 s10, 0x7f800001
	s_xor_b64 s[4:5], exec, -1
; %bb.3695:
	s_or_b64 exec, exec, s[8:9]
	s_and_b64 s[4:5], s[4:5], exec
	s_or_saveexec_b64 s[6:7], s[6:7]
	v_mov_b32_e32 v4, s10
	s_xor_b64 exec, exec, s[6:7]
	s_cbranch_execz .LBB15_1646
.LBB15_3696:
	v_mov_b32_e32 v4, 0
	v_cmp_ne_u16_sdwa s[8:9], v3, v4 src0_sel:BYTE_0 src1_sel:DWORD
	s_andn2_b64 s[4:5], s[4:5], exec
	s_and_b64 s[8:9], s[8:9], exec
	s_or_b64 s[4:5], s[4:5], s[8:9]
	s_or_b64 exec, exec, s[6:7]
	s_and_saveexec_b64 s[6:7], s[4:5]
	s_cbranch_execnz .LBB15_1647
	s_branch .LBB15_1648
.LBB15_3697:
	s_movk_i32 s4, 0x80
	v_cmp_eq_u16_e32 vcc, s4, v3
	s_mov_b64 s[4:5], -1
                                        ; implicit-def: $sgpr10
	s_and_saveexec_b64 s[8:9], vcc
; %bb.3698:
	s_mov_b32 s10, 0x7f800001
	s_xor_b64 s[4:5], exec, -1
; %bb.3699:
	s_or_b64 exec, exec, s[8:9]
	s_and_b64 s[4:5], s[4:5], exec
                                        ; implicit-def: $vgpr3
	s_or_saveexec_b64 s[6:7], s[6:7]
	v_mov_b32_e32 v2, s10
	s_xor_b64 exec, exec, s[6:7]
	s_cbranch_execz .LBB15_1650
.LBB15_3700:
	v_cmp_ne_u16_e32 vcc, 0, v3
	s_andn2_b64 s[4:5], s[4:5], exec
	s_and_b64 s[8:9], vcc, exec
	v_mov_b32_e32 v2, 0
	s_or_b64 s[4:5], s[4:5], s[8:9]
	s_or_b64 exec, exec, s[6:7]
	s_and_saveexec_b64 s[6:7], s[4:5]
	s_cbranch_execnz .LBB15_1651
	s_branch .LBB15_1652
.LBB15_3701:
	s_movk_i32 s4, 0x80
	v_cmp_eq_u16_e32 vcc, s4, v3
	s_mov_b64 s[4:5], -1
                                        ; implicit-def: $sgpr10
	s_and_saveexec_b64 s[8:9], vcc
; %bb.3702:
	s_mov_b32 s10, 0x7f800001
	s_xor_b64 s[4:5], exec, -1
; %bb.3703:
	s_or_b64 exec, exec, s[8:9]
	s_and_b64 s[4:5], s[4:5], exec
                                        ; implicit-def: $vgpr3
	s_or_saveexec_b64 s[6:7], s[6:7]
	v_mov_b32_e32 v4, s10
	s_xor_b64 exec, exec, s[6:7]
	s_cbranch_execz .LBB15_1654
.LBB15_3704:
	v_cmp_ne_u16_e32 vcc, 0, v3
	s_andn2_b64 s[4:5], s[4:5], exec
	s_and_b64 s[8:9], vcc, exec
	v_mov_b32_e32 v4, 0
	s_or_b64 s[4:5], s[4:5], s[8:9]
	s_or_b64 exec, exec, s[6:7]
	s_and_saveexec_b64 s[6:7], s[4:5]
	s_cbranch_execnz .LBB15_1655
	s_branch .LBB15_1656
.LBB15_3705:
	s_movk_i32 s4, 0x80
	v_cmp_eq_u16_sdwa s[12:13], v9, s4 src0_sel:BYTE_3 src1_sel:DWORD
	s_mov_b64 s[4:5], -1
                                        ; implicit-def: $sgpr10
	s_and_saveexec_b64 s[8:9], s[12:13]
; %bb.3706:
	s_mov_b32 s10, 0x7f800001
	s_xor_b64 s[4:5], exec, -1
; %bb.3707:
	s_or_b64 exec, exec, s[8:9]
	s_and_b64 s[4:5], s[4:5], exec
	s_or_saveexec_b64 s[6:7], s[6:7]
	v_mov_b32_e32 v2, s10
	s_xor_b64 exec, exec, s[6:7]
	s_cbranch_execz .LBB15_1658
.LBB15_3708:
	v_mov_b32_e32 v2, 0
	v_cmp_ne_u16_sdwa s[8:9], v9, v2 src0_sel:BYTE_3 src1_sel:DWORD
	s_andn2_b64 s[4:5], s[4:5], exec
	s_and_b64 s[8:9], s[8:9], exec
	s_or_b64 s[4:5], s[4:5], s[8:9]
	s_or_b64 exec, exec, s[6:7]
	s_and_saveexec_b64 s[6:7], s[4:5]
	s_cbranch_execnz .LBB15_1659
	s_branch .LBB15_1660
.LBB15_3709:
	s_movk_i32 s4, 0x80
	v_cmp_eq_u16_sdwa s[12:13], v5, s4 src0_sel:BYTE_3 src1_sel:DWORD
	s_mov_b64 s[4:5], -1
                                        ; implicit-def: $sgpr10
	s_and_saveexec_b64 s[8:9], s[12:13]
; %bb.3710:
	s_mov_b32 s10, 0x7f800001
	s_xor_b64 s[4:5], exec, -1
; %bb.3711:
	s_or_b64 exec, exec, s[8:9]
	s_and_b64 s[4:5], s[4:5], exec
	s_or_saveexec_b64 s[6:7], s[6:7]
	v_mov_b32_e32 v3, s10
	s_xor_b64 exec, exec, s[6:7]
	s_cbranch_execz .LBB15_1662
.LBB15_3712:
	v_mov_b32_e32 v3, 0
	v_cmp_ne_u16_sdwa s[8:9], v5, v3 src0_sel:BYTE_3 src1_sel:DWORD
	s_andn2_b64 s[4:5], s[4:5], exec
	s_and_b64 s[8:9], s[8:9], exec
	s_or_b64 s[4:5], s[4:5], s[8:9]
	s_or_b64 exec, exec, s[6:7]
	s_and_saveexec_b64 s[6:7], s[4:5]
	s_cbranch_execnz .LBB15_1663
	s_branch .LBB15_1664
.LBB15_3713:
	s_movk_i32 s4, 0x80
	v_cmp_eq_u16_sdwa s[12:13], v6, s4 src0_sel:BYTE_0 src1_sel:DWORD
	s_mov_b64 s[4:5], -1
                                        ; implicit-def: $sgpr10
	s_and_saveexec_b64 s[8:9], s[12:13]
; %bb.3714:
	s_mov_b32 s10, 0x7f800001
	s_xor_b64 s[4:5], exec, -1
; %bb.3715:
	s_or_b64 exec, exec, s[8:9]
	s_and_b64 s[4:5], s[4:5], exec
	s_or_saveexec_b64 s[6:7], s[6:7]
	v_mov_b32_e32 v12, s10
	s_xor_b64 exec, exec, s[6:7]
	s_cbranch_execz .LBB15_1666
.LBB15_3716:
	v_mov_b32_e32 v12, 0
	v_cmp_ne_u16_sdwa s[8:9], v6, v12 src0_sel:BYTE_0 src1_sel:DWORD
	s_andn2_b64 s[4:5], s[4:5], exec
	s_and_b64 s[8:9], s[8:9], exec
	s_or_b64 s[4:5], s[4:5], s[8:9]
	s_or_b64 exec, exec, s[6:7]
	s_and_saveexec_b64 s[6:7], s[4:5]
	s_cbranch_execnz .LBB15_1667
	s_branch .LBB15_1668
.LBB15_3717:
	s_movk_i32 s4, 0x80
	v_cmp_eq_u16_sdwa s[12:13], v2, s4 src0_sel:BYTE_0 src1_sel:DWORD
	s_mov_b64 s[4:5], -1
                                        ; implicit-def: $sgpr10
	s_and_saveexec_b64 s[8:9], s[12:13]
; %bb.3718:
	s_mov_b32 s10, 0x7f800001
	s_xor_b64 s[4:5], exec, -1
; %bb.3719:
	s_or_b64 exec, exec, s[8:9]
	s_and_b64 s[4:5], s[4:5], exec
	s_or_saveexec_b64 s[6:7], s[6:7]
	v_mov_b32_e32 v13, s10
	s_xor_b64 exec, exec, s[6:7]
	s_cbranch_execz .LBB15_1670
.LBB15_3720:
	v_mov_b32_e32 v13, 0
	v_cmp_ne_u16_sdwa s[8:9], v2, v13 src0_sel:BYTE_0 src1_sel:DWORD
	s_andn2_b64 s[4:5], s[4:5], exec
	s_and_b64 s[8:9], s[8:9], exec
	s_or_b64 s[4:5], s[4:5], s[8:9]
	s_or_b64 exec, exec, s[6:7]
	s_and_saveexec_b64 s[6:7], s[4:5]
	s_cbranch_execnz .LBB15_1671
	s_branch .LBB15_1672
.LBB15_3721:
	s_movk_i32 s4, 0x80
	v_cmp_eq_u16_sdwa s[12:13], v13, s4 src0_sel:BYTE_0 src1_sel:DWORD
	s_mov_b64 s[4:5], -1
                                        ; implicit-def: $sgpr10
	s_and_saveexec_b64 s[8:9], s[12:13]
; %bb.3722:
	s_mov_b32 s10, 0x7f800001
	s_xor_b64 s[4:5], exec, -1
; %bb.3723:
	s_or_b64 exec, exec, s[8:9]
	s_and_b64 s[4:5], s[4:5], exec
	s_or_saveexec_b64 s[6:7], s[6:7]
	v_mov_b32_e32 v12, s10
	s_xor_b64 exec, exec, s[6:7]
	s_cbranch_execz .LBB15_1674
.LBB15_3724:
	v_mov_b32_e32 v12, 0
	v_cmp_ne_u16_sdwa s[8:9], v13, v12 src0_sel:BYTE_0 src1_sel:DWORD
	s_andn2_b64 s[4:5], s[4:5], exec
	s_and_b64 s[8:9], s[8:9], exec
	s_or_b64 s[4:5], s[4:5], s[8:9]
	s_or_b64 exec, exec, s[6:7]
	s_and_saveexec_b64 s[6:7], s[4:5]
	s_cbranch_execnz .LBB15_1675
	s_branch .LBB15_1676
.LBB15_3725:
	s_movk_i32 s4, 0x80
	v_cmp_eq_u16_sdwa s[12:13], v13, s4 src0_sel:BYTE_0 src1_sel:DWORD
	s_mov_b64 s[4:5], -1
                                        ; implicit-def: $sgpr10
	s_and_saveexec_b64 s[8:9], s[12:13]
; %bb.3726:
	s_mov_b32 s10, 0x7f800001
	s_xor_b64 s[4:5], exec, -1
; %bb.3727:
	s_or_b64 exec, exec, s[8:9]
	s_and_b64 s[4:5], s[4:5], exec
	s_or_saveexec_b64 s[6:7], s[6:7]
	v_mov_b32_e32 v14, s10
	s_xor_b64 exec, exec, s[6:7]
	s_cbranch_execz .LBB15_1678
.LBB15_3728:
	v_mov_b32_e32 v14, 0
	v_cmp_ne_u16_sdwa s[8:9], v13, v14 src0_sel:BYTE_0 src1_sel:DWORD
	s_andn2_b64 s[4:5], s[4:5], exec
	s_and_b64 s[8:9], s[8:9], exec
	s_or_b64 s[4:5], s[4:5], s[8:9]
	s_or_b64 exec, exec, s[6:7]
	s_and_saveexec_b64 s[6:7], s[4:5]
	s_cbranch_execnz .LBB15_1679
	s_branch .LBB15_1680
.LBB15_3729:
	s_movk_i32 s4, 0x80
	v_cmp_eq_u16_e32 vcc, s4, v13
	s_mov_b64 s[4:5], -1
                                        ; implicit-def: $sgpr10
	s_and_saveexec_b64 s[8:9], vcc
; %bb.3730:
	s_mov_b32 s10, 0x7f800001
	s_xor_b64 s[4:5], exec, -1
; %bb.3731:
	s_or_b64 exec, exec, s[8:9]
	s_and_b64 s[4:5], s[4:5], exec
                                        ; implicit-def: $vgpr13
	s_or_saveexec_b64 s[6:7], s[6:7]
	v_mov_b32_e32 v12, s10
	s_xor_b64 exec, exec, s[6:7]
	s_cbranch_execz .LBB15_1682
.LBB15_3732:
	v_cmp_ne_u16_e32 vcc, 0, v13
	s_andn2_b64 s[4:5], s[4:5], exec
	s_and_b64 s[8:9], vcc, exec
	v_mov_b32_e32 v12, 0
	s_or_b64 s[4:5], s[4:5], s[8:9]
	s_or_b64 exec, exec, s[6:7]
	s_and_saveexec_b64 s[6:7], s[4:5]
	s_cbranch_execnz .LBB15_1683
	s_branch .LBB15_1684
.LBB15_3733:
	s_movk_i32 s4, 0x80
	v_cmp_eq_u16_e32 vcc, s4, v13
	s_mov_b64 s[4:5], -1
                                        ; implicit-def: $sgpr10
	s_and_saveexec_b64 s[8:9], vcc
; %bb.3734:
	s_mov_b32 s10, 0x7f800001
	s_xor_b64 s[4:5], exec, -1
; %bb.3735:
	s_or_b64 exec, exec, s[8:9]
	s_and_b64 s[4:5], s[4:5], exec
                                        ; implicit-def: $vgpr13
	s_or_saveexec_b64 s[6:7], s[6:7]
	v_mov_b32_e32 v14, s10
	s_xor_b64 exec, exec, s[6:7]
	s_cbranch_execz .LBB15_1686
.LBB15_3736:
	v_cmp_ne_u16_e32 vcc, 0, v13
	s_andn2_b64 s[4:5], s[4:5], exec
	s_and_b64 s[8:9], vcc, exec
	v_mov_b32_e32 v14, 0
	s_or_b64 s[4:5], s[4:5], s[8:9]
	s_or_b64 exec, exec, s[6:7]
	s_and_saveexec_b64 s[6:7], s[4:5]
	s_cbranch_execnz .LBB15_1687
	s_branch .LBB15_1688
.LBB15_3737:
	s_movk_i32 s4, 0x80
	v_cmp_eq_u16_sdwa s[12:13], v6, s4 src0_sel:BYTE_3 src1_sel:DWORD
	s_mov_b64 s[4:5], -1
                                        ; implicit-def: $sgpr10
	s_and_saveexec_b64 s[8:9], s[12:13]
; %bb.3738:
	s_mov_b32 s10, 0x7f800001
	s_xor_b64 s[4:5], exec, -1
; %bb.3739:
	s_or_b64 exec, exec, s[8:9]
	s_and_b64 s[4:5], s[4:5], exec
	s_or_saveexec_b64 s[6:7], s[6:7]
	v_mov_b32_e32 v12, s10
	s_xor_b64 exec, exec, s[6:7]
	s_cbranch_execz .LBB15_1690
.LBB15_3740:
	v_mov_b32_e32 v12, 0
	v_cmp_ne_u16_sdwa s[8:9], v6, v12 src0_sel:BYTE_3 src1_sel:DWORD
	s_andn2_b64 s[4:5], s[4:5], exec
	s_and_b64 s[8:9], s[8:9], exec
	s_or_b64 s[4:5], s[4:5], s[8:9]
	s_or_b64 exec, exec, s[6:7]
	s_and_saveexec_b64 s[6:7], s[4:5]
	s_cbranch_execnz .LBB15_1691
	s_branch .LBB15_1692
.LBB15_3741:
	s_movk_i32 s4, 0x80
	v_cmp_eq_u16_sdwa s[12:13], v2, s4 src0_sel:BYTE_3 src1_sel:DWORD
	s_mov_b64 s[4:5], -1
                                        ; implicit-def: $sgpr10
	s_and_saveexec_b64 s[8:9], s[12:13]
; %bb.3742:
	s_mov_b32 s10, 0x7f800001
	s_xor_b64 s[4:5], exec, -1
; %bb.3743:
	s_or_b64 exec, exec, s[8:9]
	s_and_b64 s[4:5], s[4:5], exec
	s_or_saveexec_b64 s[6:7], s[6:7]
	v_mov_b32_e32 v6, s10
	s_xor_b64 exec, exec, s[6:7]
	s_cbranch_execz .LBB15_1694
.LBB15_3744:
	v_mov_b32_e32 v6, 0
	v_cmp_ne_u16_sdwa s[8:9], v2, v6 src0_sel:BYTE_3 src1_sel:DWORD
	s_andn2_b64 s[4:5], s[4:5], exec
	s_and_b64 s[8:9], s[8:9], exec
	s_or_b64 s[4:5], s[4:5], s[8:9]
	s_or_b64 exec, exec, s[6:7]
	s_and_saveexec_b64 s[6:7], s[4:5]
	s_cbranch_execnz .LBB15_1695
	s_branch .LBB15_1696
.LBB15_3745:
	s_movk_i32 s4, 0x80
	v_cmp_eq_u16_sdwa s[12:13], v7, s4 src0_sel:BYTE_0 src1_sel:DWORD
	s_mov_b64 s[4:5], -1
                                        ; implicit-def: $sgpr10
	s_and_saveexec_b64 s[8:9], s[12:13]
; %bb.3746:
	s_mov_b32 s10, 0x7f800001
	s_xor_b64 s[4:5], exec, -1
; %bb.3747:
	s_or_b64 exec, exec, s[8:9]
	s_and_b64 s[4:5], s[4:5], exec
	s_or_saveexec_b64 s[6:7], s[6:7]
	v_mov_b32_e32 v2, s10
	s_xor_b64 exec, exec, s[6:7]
	s_cbranch_execz .LBB15_1698
.LBB15_3748:
	v_mov_b32_e32 v2, 0
	v_cmp_ne_u16_sdwa s[8:9], v7, v2 src0_sel:BYTE_0 src1_sel:DWORD
	s_andn2_b64 s[4:5], s[4:5], exec
	s_and_b64 s[8:9], s[8:9], exec
	s_or_b64 s[4:5], s[4:5], s[8:9]
	s_or_b64 exec, exec, s[6:7]
	s_and_saveexec_b64 s[6:7], s[4:5]
	s_cbranch_execnz .LBB15_1699
	s_branch .LBB15_1700
.LBB15_3749:
	s_movk_i32 s4, 0x80
	v_cmp_eq_u16_sdwa s[12:13], v3, s4 src0_sel:BYTE_0 src1_sel:DWORD
	s_mov_b64 s[4:5], -1
                                        ; implicit-def: $sgpr10
	s_and_saveexec_b64 s[8:9], s[12:13]
; %bb.3750:
	s_mov_b32 s10, 0x7f800001
	s_xor_b64 s[4:5], exec, -1
; %bb.3751:
	s_or_b64 exec, exec, s[8:9]
	s_and_b64 s[4:5], s[4:5], exec
	s_or_saveexec_b64 s[6:7], s[6:7]
	v_mov_b32_e32 v6, s10
	s_xor_b64 exec, exec, s[6:7]
	s_cbranch_execz .LBB15_1702
.LBB15_3752:
	v_mov_b32_e32 v6, 0
	v_cmp_ne_u16_sdwa s[8:9], v3, v6 src0_sel:BYTE_0 src1_sel:DWORD
	s_andn2_b64 s[4:5], s[4:5], exec
	s_and_b64 s[8:9], s[8:9], exec
	s_or_b64 s[4:5], s[4:5], s[8:9]
	s_or_b64 exec, exec, s[6:7]
	s_and_saveexec_b64 s[6:7], s[4:5]
	s_cbranch_execnz .LBB15_1703
	s_branch .LBB15_1704
.LBB15_3753:
	s_movk_i32 s4, 0x80
	v_cmp_eq_u16_sdwa s[12:13], v6, s4 src0_sel:BYTE_0 src1_sel:DWORD
	s_mov_b64 s[4:5], -1
                                        ; implicit-def: $sgpr10
	s_and_saveexec_b64 s[8:9], s[12:13]
; %bb.3754:
	s_mov_b32 s10, 0x7f800001
	s_xor_b64 s[4:5], exec, -1
; %bb.3755:
	s_or_b64 exec, exec, s[8:9]
	s_and_b64 s[4:5], s[4:5], exec
	s_or_saveexec_b64 s[6:7], s[6:7]
	v_mov_b32_e32 v2, s10
	s_xor_b64 exec, exec, s[6:7]
	s_cbranch_execz .LBB15_1706
.LBB15_3756:
	v_mov_b32_e32 v2, 0
	v_cmp_ne_u16_sdwa s[8:9], v6, v2 src0_sel:BYTE_0 src1_sel:DWORD
	s_andn2_b64 s[4:5], s[4:5], exec
	s_and_b64 s[8:9], s[8:9], exec
	s_or_b64 s[4:5], s[4:5], s[8:9]
	s_or_b64 exec, exec, s[6:7]
	s_and_saveexec_b64 s[6:7], s[4:5]
	s_cbranch_execnz .LBB15_1707
	s_branch .LBB15_1708
.LBB15_3757:
	s_movk_i32 s4, 0x80
	v_cmp_eq_u16_sdwa s[12:13], v6, s4 src0_sel:BYTE_0 src1_sel:DWORD
	s_mov_b64 s[4:5], -1
                                        ; implicit-def: $sgpr10
	s_and_saveexec_b64 s[8:9], s[12:13]
; %bb.3758:
	s_mov_b32 s10, 0x7f800001
	s_xor_b64 s[4:5], exec, -1
; %bb.3759:
	s_or_b64 exec, exec, s[8:9]
	s_and_b64 s[4:5], s[4:5], exec
	s_or_saveexec_b64 s[6:7], s[6:7]
	v_mov_b32_e32 v12, s10
	s_xor_b64 exec, exec, s[6:7]
	s_cbranch_execz .LBB15_1710
.LBB15_3760:
	v_mov_b32_e32 v12, 0
	v_cmp_ne_u16_sdwa s[8:9], v6, v12 src0_sel:BYTE_0 src1_sel:DWORD
	s_andn2_b64 s[4:5], s[4:5], exec
	s_and_b64 s[8:9], s[8:9], exec
	s_or_b64 s[4:5], s[4:5], s[8:9]
	s_or_b64 exec, exec, s[6:7]
	s_and_saveexec_b64 s[6:7], s[4:5]
	s_cbranch_execnz .LBB15_1711
	s_branch .LBB15_1712
.LBB15_3761:
	s_movk_i32 s4, 0x80
	v_cmp_eq_u16_e32 vcc, s4, v6
	s_mov_b64 s[4:5], -1
                                        ; implicit-def: $sgpr10
	s_and_saveexec_b64 s[8:9], vcc
; %bb.3762:
	s_mov_b32 s10, 0x7f800001
	s_xor_b64 s[4:5], exec, -1
; %bb.3763:
	s_or_b64 exec, exec, s[8:9]
	s_and_b64 s[4:5], s[4:5], exec
                                        ; implicit-def: $vgpr6
	s_or_saveexec_b64 s[6:7], s[6:7]
	v_mov_b32_e32 v2, s10
	s_xor_b64 exec, exec, s[6:7]
	s_cbranch_execz .LBB15_1714
.LBB15_3764:
	v_cmp_ne_u16_e32 vcc, 0, v6
	s_andn2_b64 s[4:5], s[4:5], exec
	s_and_b64 s[8:9], vcc, exec
	v_mov_b32_e32 v2, 0
	s_or_b64 s[4:5], s[4:5], s[8:9]
	s_or_b64 exec, exec, s[6:7]
	s_and_saveexec_b64 s[6:7], s[4:5]
	s_cbranch_execnz .LBB15_1715
	s_branch .LBB15_1716
.LBB15_3765:
	s_movk_i32 s4, 0x80
	v_cmp_eq_u16_e32 vcc, s4, v6
	s_mov_b64 s[4:5], -1
                                        ; implicit-def: $sgpr10
	s_and_saveexec_b64 s[8:9], vcc
; %bb.3766:
	s_mov_b32 s10, 0x7f800001
	s_xor_b64 s[4:5], exec, -1
; %bb.3767:
	s_or_b64 exec, exec, s[8:9]
	s_and_b64 s[4:5], s[4:5], exec
                                        ; implicit-def: $vgpr6
	s_or_saveexec_b64 s[6:7], s[6:7]
	v_mov_b32_e32 v12, s10
	s_xor_b64 exec, exec, s[6:7]
	s_cbranch_execz .LBB15_1718
.LBB15_3768:
	v_cmp_ne_u16_e32 vcc, 0, v6
	s_andn2_b64 s[4:5], s[4:5], exec
	s_and_b64 s[8:9], vcc, exec
	v_mov_b32_e32 v12, 0
	s_or_b64 s[4:5], s[4:5], s[8:9]
	s_or_b64 exec, exec, s[6:7]
	s_and_saveexec_b64 s[6:7], s[4:5]
	s_cbranch_execnz .LBB15_1719
	s_branch .LBB15_1720
.LBB15_3769:
	s_movk_i32 s4, 0x80
	v_cmp_eq_u16_sdwa s[12:13], v7, s4 src0_sel:BYTE_3 src1_sel:DWORD
	s_mov_b64 s[4:5], -1
                                        ; implicit-def: $sgpr10
	s_and_saveexec_b64 s[8:9], s[12:13]
; %bb.3770:
	s_mov_b32 s10, 0x7f800001
	s_xor_b64 s[4:5], exec, -1
; %bb.3771:
	s_or_b64 exec, exec, s[8:9]
	s_and_b64 s[4:5], s[4:5], exec
	s_or_saveexec_b64 s[6:7], s[6:7]
	v_mov_b32_e32 v2, s10
	s_xor_b64 exec, exec, s[6:7]
	s_cbranch_execz .LBB15_1722
.LBB15_3772:
	v_mov_b32_e32 v2, 0
	v_cmp_ne_u16_sdwa s[8:9], v7, v2 src0_sel:BYTE_3 src1_sel:DWORD
	s_andn2_b64 s[4:5], s[4:5], exec
	s_and_b64 s[8:9], s[8:9], exec
	s_or_b64 s[4:5], s[4:5], s[8:9]
	s_or_b64 exec, exec, s[6:7]
	s_and_saveexec_b64 s[6:7], s[4:5]
	s_cbranch_execnz .LBB15_1723
	s_branch .LBB15_1724
.LBB15_3773:
	s_movk_i32 s4, 0x80
	v_cmp_eq_u16_sdwa s[12:13], v3, s4 src0_sel:BYTE_3 src1_sel:DWORD
	s_mov_b64 s[4:5], -1
                                        ; implicit-def: $sgpr10
	s_and_saveexec_b64 s[8:9], s[12:13]
; %bb.3774:
	s_mov_b32 s10, 0x7f800001
	s_xor_b64 s[4:5], exec, -1
; %bb.3775:
	s_or_b64 exec, exec, s[8:9]
	s_and_b64 s[4:5], s[4:5], exec
	s_or_saveexec_b64 s[6:7], s[6:7]
	v_mov_b32_e32 v6, s10
	s_xor_b64 exec, exec, s[6:7]
	s_cbranch_execz .LBB15_1726
.LBB15_3776:
	v_mov_b32_e32 v6, 0
	v_cmp_ne_u16_sdwa s[8:9], v3, v6 src0_sel:BYTE_3 src1_sel:DWORD
	s_andn2_b64 s[4:5], s[4:5], exec
	s_and_b64 s[8:9], s[8:9], exec
	s_or_b64 s[4:5], s[4:5], s[8:9]
	s_or_b64 exec, exec, s[6:7]
	s_and_saveexec_b64 s[6:7], s[4:5]
	s_cbranch_execnz .LBB15_1727
	s_branch .LBB15_1728
.LBB15_3777:
	s_movk_i32 s4, 0x80
	v_cmp_eq_u16_sdwa s[12:13], v8, s4 src0_sel:BYTE_0 src1_sel:DWORD
	s_mov_b64 s[4:5], -1
                                        ; implicit-def: $sgpr10
	s_and_saveexec_b64 s[8:9], s[12:13]
; %bb.3778:
	s_mov_b32 s10, 0x7f800001
	s_xor_b64 s[4:5], exec, -1
; %bb.3779:
	s_or_b64 exec, exec, s[8:9]
	s_and_b64 s[4:5], s[4:5], exec
	s_or_saveexec_b64 s[6:7], s[6:7]
	v_mov_b32_e32 v2, s10
	s_xor_b64 exec, exec, s[6:7]
	s_cbranch_execz .LBB15_1730
.LBB15_3780:
	v_mov_b32_e32 v2, 0
	v_cmp_ne_u16_sdwa s[8:9], v8, v2 src0_sel:BYTE_0 src1_sel:DWORD
	s_andn2_b64 s[4:5], s[4:5], exec
	s_and_b64 s[8:9], s[8:9], exec
	s_or_b64 s[4:5], s[4:5], s[8:9]
	s_or_b64 exec, exec, s[6:7]
	s_and_saveexec_b64 s[6:7], s[4:5]
	s_cbranch_execnz .LBB15_1731
	s_branch .LBB15_1732
.LBB15_3781:
	s_movk_i32 s4, 0x80
	v_cmp_eq_u16_sdwa s[12:13], v4, s4 src0_sel:BYTE_0 src1_sel:DWORD
	s_mov_b64 s[4:5], -1
                                        ; implicit-def: $sgpr10
	s_and_saveexec_b64 s[8:9], s[12:13]
; %bb.3782:
	s_mov_b32 s10, 0x7f800001
	s_xor_b64 s[4:5], exec, -1
; %bb.3783:
	s_or_b64 exec, exec, s[8:9]
	s_and_b64 s[4:5], s[4:5], exec
	s_or_saveexec_b64 s[6:7], s[6:7]
	v_mov_b32_e32 v3, s10
	s_xor_b64 exec, exec, s[6:7]
	s_cbranch_execz .LBB15_1734
.LBB15_3784:
	v_mov_b32_e32 v3, 0
	v_cmp_ne_u16_sdwa s[8:9], v4, v3 src0_sel:BYTE_0 src1_sel:DWORD
	s_andn2_b64 s[4:5], s[4:5], exec
	s_and_b64 s[8:9], s[8:9], exec
	s_or_b64 s[4:5], s[4:5], s[8:9]
	s_or_b64 exec, exec, s[6:7]
	s_and_saveexec_b64 s[6:7], s[4:5]
	s_cbranch_execnz .LBB15_1735
	s_branch .LBB15_1736
.LBB15_3785:
	s_movk_i32 s4, 0x80
	v_cmp_eq_u16_sdwa s[12:13], v3, s4 src0_sel:BYTE_0 src1_sel:DWORD
	s_mov_b64 s[4:5], -1
                                        ; implicit-def: $sgpr10
	s_and_saveexec_b64 s[8:9], s[12:13]
; %bb.3786:
	s_mov_b32 s10, 0x7f800001
	s_xor_b64 s[4:5], exec, -1
; %bb.3787:
	s_or_b64 exec, exec, s[8:9]
	s_and_b64 s[4:5], s[4:5], exec
	s_or_saveexec_b64 s[6:7], s[6:7]
	v_mov_b32_e32 v2, s10
	s_xor_b64 exec, exec, s[6:7]
	s_cbranch_execz .LBB15_1738
.LBB15_3788:
	v_mov_b32_e32 v2, 0
	v_cmp_ne_u16_sdwa s[8:9], v3, v2 src0_sel:BYTE_0 src1_sel:DWORD
	s_andn2_b64 s[4:5], s[4:5], exec
	s_and_b64 s[8:9], s[8:9], exec
	s_or_b64 s[4:5], s[4:5], s[8:9]
	s_or_b64 exec, exec, s[6:7]
	s_and_saveexec_b64 s[6:7], s[4:5]
	s_cbranch_execnz .LBB15_1739
	s_branch .LBB15_1740
.LBB15_3789:
	s_movk_i32 s4, 0x80
	v_cmp_eq_u16_sdwa s[12:13], v3, s4 src0_sel:BYTE_0 src1_sel:DWORD
	s_mov_b64 s[4:5], -1
                                        ; implicit-def: $sgpr10
	s_and_saveexec_b64 s[8:9], s[12:13]
; %bb.3790:
	s_mov_b32 s10, 0x7f800001
	s_xor_b64 s[4:5], exec, -1
; %bb.3791:
	s_or_b64 exec, exec, s[8:9]
	s_and_b64 s[4:5], s[4:5], exec
	s_or_saveexec_b64 s[6:7], s[6:7]
	v_mov_b32_e32 v6, s10
	s_xor_b64 exec, exec, s[6:7]
	s_cbranch_execz .LBB15_1742
.LBB15_3792:
	v_mov_b32_e32 v6, 0
	v_cmp_ne_u16_sdwa s[8:9], v3, v6 src0_sel:BYTE_0 src1_sel:DWORD
	s_andn2_b64 s[4:5], s[4:5], exec
	s_and_b64 s[8:9], s[8:9], exec
	s_or_b64 s[4:5], s[4:5], s[8:9]
	s_or_b64 exec, exec, s[6:7]
	s_and_saveexec_b64 s[6:7], s[4:5]
	s_cbranch_execnz .LBB15_1743
	s_branch .LBB15_1744
.LBB15_3793:
	s_movk_i32 s4, 0x80
	v_cmp_eq_u16_e32 vcc, s4, v3
	s_mov_b64 s[4:5], -1
                                        ; implicit-def: $sgpr10
	s_and_saveexec_b64 s[8:9], vcc
; %bb.3794:
	s_mov_b32 s10, 0x7f800001
	s_xor_b64 s[4:5], exec, -1
; %bb.3795:
	s_or_b64 exec, exec, s[8:9]
	s_and_b64 s[4:5], s[4:5], exec
                                        ; implicit-def: $vgpr3
	s_or_saveexec_b64 s[6:7], s[6:7]
	v_mov_b32_e32 v2, s10
	s_xor_b64 exec, exec, s[6:7]
	s_cbranch_execz .LBB15_1746
.LBB15_3796:
	v_cmp_ne_u16_e32 vcc, 0, v3
	s_andn2_b64 s[4:5], s[4:5], exec
	s_and_b64 s[8:9], vcc, exec
	v_mov_b32_e32 v2, 0
	s_or_b64 s[4:5], s[4:5], s[8:9]
	s_or_b64 exec, exec, s[6:7]
	s_and_saveexec_b64 s[6:7], s[4:5]
	s_cbranch_execnz .LBB15_1747
	s_branch .LBB15_1748
.LBB15_3797:
	s_movk_i32 s4, 0x80
	v_cmp_eq_u16_e32 vcc, s4, v3
	s_mov_b64 s[4:5], -1
                                        ; implicit-def: $sgpr10
	s_and_saveexec_b64 s[8:9], vcc
; %bb.3798:
	s_mov_b32 s10, 0x7f800001
	s_xor_b64 s[4:5], exec, -1
; %bb.3799:
	s_or_b64 exec, exec, s[8:9]
	s_and_b64 s[4:5], s[4:5], exec
                                        ; implicit-def: $vgpr3
	s_or_saveexec_b64 s[6:7], s[6:7]
	v_mov_b32_e32 v6, s10
	s_xor_b64 exec, exec, s[6:7]
	s_cbranch_execz .LBB15_1750
.LBB15_3800:
	v_cmp_ne_u16_e32 vcc, 0, v3
	s_andn2_b64 s[4:5], s[4:5], exec
	s_and_b64 s[8:9], vcc, exec
	v_mov_b32_e32 v6, 0
	s_or_b64 s[4:5], s[4:5], s[8:9]
	s_or_b64 exec, exec, s[6:7]
	s_and_saveexec_b64 s[6:7], s[4:5]
	s_cbranch_execnz .LBB15_1751
	s_branch .LBB15_1752
.LBB15_3801:
	s_movk_i32 s4, 0x80
	v_cmp_eq_u16_sdwa s[12:13], v8, s4 src0_sel:BYTE_3 src1_sel:DWORD
	s_mov_b64 s[4:5], -1
                                        ; implicit-def: $sgpr10
	s_and_saveexec_b64 s[8:9], s[12:13]
; %bb.3802:
	s_mov_b32 s10, 0x7f800001
	s_xor_b64 s[4:5], exec, -1
; %bb.3803:
	s_or_b64 exec, exec, s[8:9]
	s_and_b64 s[4:5], s[4:5], exec
	s_or_saveexec_b64 s[6:7], s[6:7]
	v_mov_b32_e32 v2, s10
	s_xor_b64 exec, exec, s[6:7]
	s_cbranch_execz .LBB15_1754
.LBB15_3804:
	v_mov_b32_e32 v2, 0
	v_cmp_ne_u16_sdwa s[8:9], v8, v2 src0_sel:BYTE_3 src1_sel:DWORD
	s_andn2_b64 s[4:5], s[4:5], exec
	s_and_b64 s[8:9], s[8:9], exec
	s_or_b64 s[4:5], s[4:5], s[8:9]
	s_or_b64 exec, exec, s[6:7]
	s_and_saveexec_b64 s[6:7], s[4:5]
	s_cbranch_execnz .LBB15_1755
	s_branch .LBB15_1756
.LBB15_3805:
	s_movk_i32 s4, 0x80
	v_cmp_eq_u16_sdwa s[12:13], v4, s4 src0_sel:BYTE_3 src1_sel:DWORD
	s_mov_b64 s[4:5], -1
                                        ; implicit-def: $sgpr10
	s_and_saveexec_b64 s[8:9], s[12:13]
; %bb.3806:
	s_mov_b32 s10, 0x7f800001
	s_xor_b64 s[4:5], exec, -1
; %bb.3807:
	s_or_b64 exec, exec, s[8:9]
	s_and_b64 s[4:5], s[4:5], exec
	s_or_saveexec_b64 s[6:7], s[6:7]
	v_mov_b32_e32 v3, s10
	s_xor_b64 exec, exec, s[6:7]
	s_cbranch_execz .LBB15_1758
.LBB15_3808:
	v_mov_b32_e32 v3, 0
	v_cmp_ne_u16_sdwa s[8:9], v4, v3 src0_sel:BYTE_3 src1_sel:DWORD
	s_andn2_b64 s[4:5], s[4:5], exec
	s_and_b64 s[8:9], s[8:9], exec
	s_or_b64 s[4:5], s[4:5], s[8:9]
	s_or_b64 exec, exec, s[6:7]
	s_and_saveexec_b64 s[6:7], s[4:5]
	s_cbranch_execnz .LBB15_1759
	s_branch .LBB15_1760
.LBB15_3809:
	s_movk_i32 s4, 0x80
	v_cmp_eq_u16_sdwa s[12:13], v9, s4 src0_sel:BYTE_0 src1_sel:DWORD
	s_mov_b64 s[4:5], -1
                                        ; implicit-def: $sgpr10
	s_and_saveexec_b64 s[8:9], s[12:13]
; %bb.3810:
	s_mov_b32 s10, 0x7f800001
	s_xor_b64 s[4:5], exec, -1
; %bb.3811:
	s_or_b64 exec, exec, s[8:9]
	s_and_b64 s[4:5], s[4:5], exec
	s_or_saveexec_b64 s[6:7], s[6:7]
	v_mov_b32_e32 v2, s10
	s_xor_b64 exec, exec, s[6:7]
	s_cbranch_execz .LBB15_1762
.LBB15_3812:
	v_mov_b32_e32 v2, 0
	v_cmp_ne_u16_sdwa s[8:9], v9, v2 src0_sel:BYTE_0 src1_sel:DWORD
	s_andn2_b64 s[4:5], s[4:5], exec
	s_and_b64 s[8:9], s[8:9], exec
	s_or_b64 s[4:5], s[4:5], s[8:9]
	s_or_b64 exec, exec, s[6:7]
	s_and_saveexec_b64 s[6:7], s[4:5]
	s_cbranch_execnz .LBB15_1763
	s_branch .LBB15_1764
.LBB15_3813:
	s_movk_i32 s4, 0x80
	v_cmp_eq_u16_sdwa s[12:13], v5, s4 src0_sel:BYTE_0 src1_sel:DWORD
	s_mov_b64 s[4:5], -1
                                        ; implicit-def: $sgpr10
	s_and_saveexec_b64 s[8:9], s[12:13]
; %bb.3814:
	s_mov_b32 s10, 0x7f800001
	s_xor_b64 s[4:5], exec, -1
; %bb.3815:
	s_or_b64 exec, exec, s[8:9]
	s_and_b64 s[4:5], s[4:5], exec
	s_or_saveexec_b64 s[6:7], s[6:7]
	v_mov_b32_e32 v3, s10
	s_xor_b64 exec, exec, s[6:7]
	s_cbranch_execz .LBB15_1766
.LBB15_3816:
	v_mov_b32_e32 v3, 0
	v_cmp_ne_u16_sdwa s[8:9], v5, v3 src0_sel:BYTE_0 src1_sel:DWORD
	s_andn2_b64 s[4:5], s[4:5], exec
	s_and_b64 s[8:9], s[8:9], exec
	s_or_b64 s[4:5], s[4:5], s[8:9]
	s_or_b64 exec, exec, s[6:7]
	s_and_saveexec_b64 s[6:7], s[4:5]
	s_cbranch_execnz .LBB15_1767
	s_branch .LBB15_1768
.LBB15_3817:
	s_movk_i32 s4, 0x80
	v_cmp_eq_u16_sdwa s[12:13], v3, s4 src0_sel:BYTE_0 src1_sel:DWORD
	s_mov_b64 s[4:5], -1
                                        ; implicit-def: $sgpr10
	s_and_saveexec_b64 s[8:9], s[12:13]
; %bb.3818:
	s_mov_b32 s10, 0x7f800001
	s_xor_b64 s[4:5], exec, -1
; %bb.3819:
	s_or_b64 exec, exec, s[8:9]
	s_and_b64 s[4:5], s[4:5], exec
	s_or_saveexec_b64 s[6:7], s[6:7]
	v_mov_b32_e32 v2, s10
	s_xor_b64 exec, exec, s[6:7]
	s_cbranch_execz .LBB15_1770
.LBB15_3820:
	v_mov_b32_e32 v2, 0
	v_cmp_ne_u16_sdwa s[8:9], v3, v2 src0_sel:BYTE_0 src1_sel:DWORD
	s_andn2_b64 s[4:5], s[4:5], exec
	s_and_b64 s[8:9], s[8:9], exec
	s_or_b64 s[4:5], s[4:5], s[8:9]
	s_or_b64 exec, exec, s[6:7]
	s_and_saveexec_b64 s[6:7], s[4:5]
	s_cbranch_execnz .LBB15_1771
	s_branch .LBB15_1772
.LBB15_3821:
	s_movk_i32 s4, 0x80
	v_cmp_eq_u16_sdwa s[12:13], v3, s4 src0_sel:BYTE_0 src1_sel:DWORD
	s_mov_b64 s[4:5], -1
                                        ; implicit-def: $sgpr10
	s_and_saveexec_b64 s[8:9], s[12:13]
; %bb.3822:
	s_mov_b32 s10, 0x7f800001
	s_xor_b64 s[4:5], exec, -1
; %bb.3823:
	s_or_b64 exec, exec, s[8:9]
	s_and_b64 s[4:5], s[4:5], exec
	s_or_saveexec_b64 s[6:7], s[6:7]
	v_mov_b32_e32 v4, s10
	s_xor_b64 exec, exec, s[6:7]
	s_cbranch_execz .LBB15_1774
.LBB15_3824:
	v_mov_b32_e32 v4, 0
	v_cmp_ne_u16_sdwa s[8:9], v3, v4 src0_sel:BYTE_0 src1_sel:DWORD
	s_andn2_b64 s[4:5], s[4:5], exec
	s_and_b64 s[8:9], s[8:9], exec
	s_or_b64 s[4:5], s[4:5], s[8:9]
	s_or_b64 exec, exec, s[6:7]
	s_and_saveexec_b64 s[6:7], s[4:5]
	s_cbranch_execnz .LBB15_1775
	s_branch .LBB15_1776
.LBB15_3825:
	s_movk_i32 s4, 0x80
	v_cmp_eq_u16_e32 vcc, s4, v3
	s_mov_b64 s[4:5], -1
                                        ; implicit-def: $sgpr10
	s_and_saveexec_b64 s[8:9], vcc
; %bb.3826:
	s_mov_b32 s10, 0x7f800001
	s_xor_b64 s[4:5], exec, -1
; %bb.3827:
	s_or_b64 exec, exec, s[8:9]
	s_and_b64 s[4:5], s[4:5], exec
                                        ; implicit-def: $vgpr3
	s_or_saveexec_b64 s[6:7], s[6:7]
	v_mov_b32_e32 v2, s10
	s_xor_b64 exec, exec, s[6:7]
	s_cbranch_execz .LBB15_1778
.LBB15_3828:
	v_cmp_ne_u16_e32 vcc, 0, v3
	s_andn2_b64 s[4:5], s[4:5], exec
	s_and_b64 s[8:9], vcc, exec
	v_mov_b32_e32 v2, 0
	s_or_b64 s[4:5], s[4:5], s[8:9]
	s_or_b64 exec, exec, s[6:7]
	s_and_saveexec_b64 s[6:7], s[4:5]
	s_cbranch_execnz .LBB15_1779
	s_branch .LBB15_1780
.LBB15_3829:
	s_movk_i32 s4, 0x80
	v_cmp_eq_u16_e32 vcc, s4, v3
	s_mov_b64 s[4:5], -1
                                        ; implicit-def: $sgpr10
	s_and_saveexec_b64 s[8:9], vcc
; %bb.3830:
	s_mov_b32 s10, 0x7f800001
	s_xor_b64 s[4:5], exec, -1
; %bb.3831:
	s_or_b64 exec, exec, s[8:9]
	s_and_b64 s[4:5], s[4:5], exec
                                        ; implicit-def: $vgpr3
	s_or_saveexec_b64 s[6:7], s[6:7]
	v_mov_b32_e32 v4, s10
	s_xor_b64 exec, exec, s[6:7]
	s_cbranch_execz .LBB15_1782
.LBB15_3832:
	v_cmp_ne_u16_e32 vcc, 0, v3
	s_andn2_b64 s[4:5], s[4:5], exec
	s_and_b64 s[8:9], vcc, exec
	v_mov_b32_e32 v4, 0
	s_or_b64 s[4:5], s[4:5], s[8:9]
	s_or_b64 exec, exec, s[6:7]
	s_and_saveexec_b64 s[6:7], s[4:5]
	s_cbranch_execnz .LBB15_1783
	s_branch .LBB15_1784
.LBB15_3833:
	s_movk_i32 s4, 0x80
	v_cmp_eq_u16_sdwa s[12:13], v9, s4 src0_sel:BYTE_3 src1_sel:DWORD
	s_mov_b64 s[4:5], -1
                                        ; implicit-def: $sgpr10
	s_and_saveexec_b64 s[8:9], s[12:13]
; %bb.3834:
	s_mov_b32 s10, 0x7f800001
	s_xor_b64 s[4:5], exec, -1
; %bb.3835:
	s_or_b64 exec, exec, s[8:9]
	s_and_b64 s[4:5], s[4:5], exec
	s_or_saveexec_b64 s[6:7], s[6:7]
	v_mov_b32_e32 v2, s10
	s_xor_b64 exec, exec, s[6:7]
	s_cbranch_execz .LBB15_1786
.LBB15_3836:
	v_mov_b32_e32 v2, 0
	v_cmp_ne_u16_sdwa s[8:9], v9, v2 src0_sel:BYTE_3 src1_sel:DWORD
	s_andn2_b64 s[4:5], s[4:5], exec
	s_and_b64 s[8:9], s[8:9], exec
	s_or_b64 s[4:5], s[4:5], s[8:9]
	s_or_b64 exec, exec, s[6:7]
	s_and_saveexec_b64 s[6:7], s[4:5]
	s_cbranch_execnz .LBB15_1787
	s_branch .LBB15_1788
.LBB15_3837:
	s_movk_i32 s4, 0x80
	v_cmp_eq_u16_sdwa s[12:13], v5, s4 src0_sel:BYTE_3 src1_sel:DWORD
	s_mov_b64 s[4:5], -1
                                        ; implicit-def: $sgpr10
	s_and_saveexec_b64 s[8:9], s[12:13]
; %bb.3838:
	s_mov_b32 s10, 0x7f800001
	s_xor_b64 s[4:5], exec, -1
; %bb.3839:
	s_or_b64 exec, exec, s[8:9]
	s_and_b64 s[4:5], s[4:5], exec
	s_or_saveexec_b64 s[6:7], s[6:7]
	v_mov_b32_e32 v3, s10
	s_xor_b64 exec, exec, s[6:7]
	s_cbranch_execz .LBB15_1790
.LBB15_3840:
	v_mov_b32_e32 v3, 0
	v_cmp_ne_u16_sdwa s[8:9], v5, v3 src0_sel:BYTE_3 src1_sel:DWORD
	s_andn2_b64 s[4:5], s[4:5], exec
	s_and_b64 s[8:9], s[8:9], exec
	s_or_b64 s[4:5], s[4:5], s[8:9]
	s_or_b64 exec, exec, s[6:7]
	s_and_saveexec_b64 s[6:7], s[4:5]
	s_cbranch_execnz .LBB15_1791
	s_branch .LBB15_1792
.LBB15_3841:
	s_movk_i32 s4, 0x80
	v_cmp_eq_u16_sdwa s[12:13], v6, s4 src0_sel:BYTE_0 src1_sel:DWORD
	s_mov_b64 s[4:5], -1
                                        ; implicit-def: $sgpr10
	s_and_saveexec_b64 s[8:9], s[12:13]
; %bb.3842:
	s_mov_b32 s10, 0x7f800001
	s_xor_b64 s[4:5], exec, -1
; %bb.3843:
	s_or_b64 exec, exec, s[8:9]
	s_and_b64 s[4:5], s[4:5], exec
	s_or_saveexec_b64 s[6:7], s[6:7]
	v_mov_b32_e32 v12, s10
	s_xor_b64 exec, exec, s[6:7]
	s_cbranch_execz .LBB15_1794
.LBB15_3844:
	v_mov_b32_e32 v12, 0
	v_cmp_ne_u16_sdwa s[8:9], v6, v12 src0_sel:BYTE_0 src1_sel:DWORD
	s_andn2_b64 s[4:5], s[4:5], exec
	s_and_b64 s[8:9], s[8:9], exec
	s_or_b64 s[4:5], s[4:5], s[8:9]
	s_or_b64 exec, exec, s[6:7]
	s_and_saveexec_b64 s[6:7], s[4:5]
	s_cbranch_execnz .LBB15_1795
	s_branch .LBB15_1796
.LBB15_3845:
	s_movk_i32 s4, 0x80
	v_cmp_eq_u16_sdwa s[12:13], v2, s4 src0_sel:BYTE_0 src1_sel:DWORD
	s_mov_b64 s[4:5], -1
                                        ; implicit-def: $sgpr10
	s_and_saveexec_b64 s[8:9], s[12:13]
; %bb.3846:
	s_mov_b32 s10, 0x7f800001
	s_xor_b64 s[4:5], exec, -1
; %bb.3847:
	s_or_b64 exec, exec, s[8:9]
	s_and_b64 s[4:5], s[4:5], exec
	s_or_saveexec_b64 s[6:7], s[6:7]
	v_mov_b32_e32 v13, s10
	s_xor_b64 exec, exec, s[6:7]
	s_cbranch_execz .LBB15_1798
.LBB15_3848:
	v_mov_b32_e32 v13, 0
	v_cmp_ne_u16_sdwa s[8:9], v2, v13 src0_sel:BYTE_0 src1_sel:DWORD
	s_andn2_b64 s[4:5], s[4:5], exec
	s_and_b64 s[8:9], s[8:9], exec
	s_or_b64 s[4:5], s[4:5], s[8:9]
	s_or_b64 exec, exec, s[6:7]
	s_and_saveexec_b64 s[6:7], s[4:5]
	s_cbranch_execnz .LBB15_1799
	s_branch .LBB15_1800
.LBB15_3849:
	s_movk_i32 s4, 0x80
	v_cmp_eq_u16_sdwa s[12:13], v13, s4 src0_sel:BYTE_0 src1_sel:DWORD
	s_mov_b64 s[4:5], -1
                                        ; implicit-def: $sgpr10
	s_and_saveexec_b64 s[8:9], s[12:13]
; %bb.3850:
	s_mov_b32 s10, 0x7f800001
	s_xor_b64 s[4:5], exec, -1
; %bb.3851:
	s_or_b64 exec, exec, s[8:9]
	s_and_b64 s[4:5], s[4:5], exec
	s_or_saveexec_b64 s[6:7], s[6:7]
	v_mov_b32_e32 v12, s10
	s_xor_b64 exec, exec, s[6:7]
	s_cbranch_execz .LBB15_1802
.LBB15_3852:
	v_mov_b32_e32 v12, 0
	v_cmp_ne_u16_sdwa s[8:9], v13, v12 src0_sel:BYTE_0 src1_sel:DWORD
	s_andn2_b64 s[4:5], s[4:5], exec
	s_and_b64 s[8:9], s[8:9], exec
	s_or_b64 s[4:5], s[4:5], s[8:9]
	s_or_b64 exec, exec, s[6:7]
	s_and_saveexec_b64 s[6:7], s[4:5]
	s_cbranch_execnz .LBB15_1803
	s_branch .LBB15_1804
.LBB15_3853:
	s_movk_i32 s4, 0x80
	v_cmp_eq_u16_sdwa s[12:13], v13, s4 src0_sel:BYTE_0 src1_sel:DWORD
	s_mov_b64 s[4:5], -1
                                        ; implicit-def: $sgpr10
	s_and_saveexec_b64 s[8:9], s[12:13]
; %bb.3854:
	s_mov_b32 s10, 0x7f800001
	s_xor_b64 s[4:5], exec, -1
; %bb.3855:
	s_or_b64 exec, exec, s[8:9]
	s_and_b64 s[4:5], s[4:5], exec
	s_or_saveexec_b64 s[6:7], s[6:7]
	v_mov_b32_e32 v14, s10
	s_xor_b64 exec, exec, s[6:7]
	s_cbranch_execz .LBB15_1806
.LBB15_3856:
	v_mov_b32_e32 v14, 0
	v_cmp_ne_u16_sdwa s[8:9], v13, v14 src0_sel:BYTE_0 src1_sel:DWORD
	s_andn2_b64 s[4:5], s[4:5], exec
	s_and_b64 s[8:9], s[8:9], exec
	s_or_b64 s[4:5], s[4:5], s[8:9]
	s_or_b64 exec, exec, s[6:7]
	s_and_saveexec_b64 s[6:7], s[4:5]
	s_cbranch_execnz .LBB15_1807
	s_branch .LBB15_1808
.LBB15_3857:
	s_movk_i32 s4, 0x80
	v_cmp_eq_u16_e32 vcc, s4, v13
	s_mov_b64 s[4:5], -1
                                        ; implicit-def: $sgpr10
	s_and_saveexec_b64 s[8:9], vcc
; %bb.3858:
	s_mov_b32 s10, 0x7f800001
	s_xor_b64 s[4:5], exec, -1
; %bb.3859:
	s_or_b64 exec, exec, s[8:9]
	s_and_b64 s[4:5], s[4:5], exec
                                        ; implicit-def: $vgpr13
	s_or_saveexec_b64 s[6:7], s[6:7]
	v_mov_b32_e32 v12, s10
	s_xor_b64 exec, exec, s[6:7]
	s_cbranch_execz .LBB15_1810
.LBB15_3860:
	v_cmp_ne_u16_e32 vcc, 0, v13
	s_andn2_b64 s[4:5], s[4:5], exec
	s_and_b64 s[8:9], vcc, exec
	v_mov_b32_e32 v12, 0
	s_or_b64 s[4:5], s[4:5], s[8:9]
	s_or_b64 exec, exec, s[6:7]
	s_and_saveexec_b64 s[6:7], s[4:5]
	s_cbranch_execnz .LBB15_1811
	s_branch .LBB15_1812
.LBB15_3861:
	s_movk_i32 s4, 0x80
	v_cmp_eq_u16_e32 vcc, s4, v13
	s_mov_b64 s[4:5], -1
                                        ; implicit-def: $sgpr10
	s_and_saveexec_b64 s[8:9], vcc
; %bb.3862:
	s_mov_b32 s10, 0x7f800001
	s_xor_b64 s[4:5], exec, -1
; %bb.3863:
	s_or_b64 exec, exec, s[8:9]
	s_and_b64 s[4:5], s[4:5], exec
                                        ; implicit-def: $vgpr13
	s_or_saveexec_b64 s[6:7], s[6:7]
	v_mov_b32_e32 v14, s10
	s_xor_b64 exec, exec, s[6:7]
	s_cbranch_execz .LBB15_1814
.LBB15_3864:
	v_cmp_ne_u16_e32 vcc, 0, v13
	s_andn2_b64 s[4:5], s[4:5], exec
	s_and_b64 s[8:9], vcc, exec
	v_mov_b32_e32 v14, 0
	s_or_b64 s[4:5], s[4:5], s[8:9]
	s_or_b64 exec, exec, s[6:7]
	s_and_saveexec_b64 s[6:7], s[4:5]
	s_cbranch_execnz .LBB15_1815
	s_branch .LBB15_1816
.LBB15_3865:
	s_movk_i32 s4, 0x80
	v_cmp_eq_u16_sdwa s[12:13], v6, s4 src0_sel:BYTE_3 src1_sel:DWORD
	s_mov_b64 s[4:5], -1
                                        ; implicit-def: $sgpr10
	s_and_saveexec_b64 s[8:9], s[12:13]
; %bb.3866:
	s_mov_b32 s10, 0x7f800001
	s_xor_b64 s[4:5], exec, -1
; %bb.3867:
	s_or_b64 exec, exec, s[8:9]
	s_and_b64 s[4:5], s[4:5], exec
	s_or_saveexec_b64 s[6:7], s[6:7]
	v_mov_b32_e32 v12, s10
	s_xor_b64 exec, exec, s[6:7]
	s_cbranch_execz .LBB15_1818
.LBB15_3868:
	v_mov_b32_e32 v12, 0
	v_cmp_ne_u16_sdwa s[8:9], v6, v12 src0_sel:BYTE_3 src1_sel:DWORD
	s_andn2_b64 s[4:5], s[4:5], exec
	s_and_b64 s[8:9], s[8:9], exec
	s_or_b64 s[4:5], s[4:5], s[8:9]
	s_or_b64 exec, exec, s[6:7]
	s_and_saveexec_b64 s[6:7], s[4:5]
	s_cbranch_execnz .LBB15_1819
	s_branch .LBB15_1820
.LBB15_3869:
	s_movk_i32 s4, 0x80
	v_cmp_eq_u16_sdwa s[12:13], v2, s4 src0_sel:BYTE_3 src1_sel:DWORD
	s_mov_b64 s[4:5], -1
                                        ; implicit-def: $sgpr10
	s_and_saveexec_b64 s[8:9], s[12:13]
; %bb.3870:
	s_mov_b32 s10, 0x7f800001
	s_xor_b64 s[4:5], exec, -1
; %bb.3871:
	s_or_b64 exec, exec, s[8:9]
	s_and_b64 s[4:5], s[4:5], exec
	s_or_saveexec_b64 s[6:7], s[6:7]
	v_mov_b32_e32 v6, s10
	s_xor_b64 exec, exec, s[6:7]
	s_cbranch_execz .LBB15_1822
.LBB15_3872:
	v_mov_b32_e32 v6, 0
	v_cmp_ne_u16_sdwa s[8:9], v2, v6 src0_sel:BYTE_3 src1_sel:DWORD
	s_andn2_b64 s[4:5], s[4:5], exec
	s_and_b64 s[8:9], s[8:9], exec
	s_or_b64 s[4:5], s[4:5], s[8:9]
	s_or_b64 exec, exec, s[6:7]
	s_and_saveexec_b64 s[6:7], s[4:5]
	s_cbranch_execnz .LBB15_1823
	s_branch .LBB15_1824
.LBB15_3873:
	s_movk_i32 s4, 0x80
	v_cmp_eq_u16_sdwa s[12:13], v7, s4 src0_sel:BYTE_0 src1_sel:DWORD
	s_mov_b64 s[4:5], -1
                                        ; implicit-def: $sgpr10
	s_and_saveexec_b64 s[8:9], s[12:13]
; %bb.3874:
	s_mov_b32 s10, 0x7f800001
	s_xor_b64 s[4:5], exec, -1
; %bb.3875:
	s_or_b64 exec, exec, s[8:9]
	s_and_b64 s[4:5], s[4:5], exec
	s_or_saveexec_b64 s[6:7], s[6:7]
	v_mov_b32_e32 v2, s10
	s_xor_b64 exec, exec, s[6:7]
	s_cbranch_execz .LBB15_1826
.LBB15_3876:
	v_mov_b32_e32 v2, 0
	v_cmp_ne_u16_sdwa s[8:9], v7, v2 src0_sel:BYTE_0 src1_sel:DWORD
	s_andn2_b64 s[4:5], s[4:5], exec
	s_and_b64 s[8:9], s[8:9], exec
	s_or_b64 s[4:5], s[4:5], s[8:9]
	s_or_b64 exec, exec, s[6:7]
	s_and_saveexec_b64 s[6:7], s[4:5]
	s_cbranch_execnz .LBB15_1827
	s_branch .LBB15_1828
.LBB15_3877:
	s_movk_i32 s4, 0x80
	v_cmp_eq_u16_sdwa s[12:13], v3, s4 src0_sel:BYTE_0 src1_sel:DWORD
	s_mov_b64 s[4:5], -1
                                        ; implicit-def: $sgpr10
	s_and_saveexec_b64 s[8:9], s[12:13]
; %bb.3878:
	s_mov_b32 s10, 0x7f800001
	s_xor_b64 s[4:5], exec, -1
; %bb.3879:
	s_or_b64 exec, exec, s[8:9]
	s_and_b64 s[4:5], s[4:5], exec
	s_or_saveexec_b64 s[6:7], s[6:7]
	v_mov_b32_e32 v6, s10
	s_xor_b64 exec, exec, s[6:7]
	s_cbranch_execz .LBB15_1830
.LBB15_3880:
	v_mov_b32_e32 v6, 0
	v_cmp_ne_u16_sdwa s[8:9], v3, v6 src0_sel:BYTE_0 src1_sel:DWORD
	s_andn2_b64 s[4:5], s[4:5], exec
	s_and_b64 s[8:9], s[8:9], exec
	s_or_b64 s[4:5], s[4:5], s[8:9]
	s_or_b64 exec, exec, s[6:7]
	s_and_saveexec_b64 s[6:7], s[4:5]
	s_cbranch_execnz .LBB15_1831
	s_branch .LBB15_1832
.LBB15_3881:
	s_movk_i32 s4, 0x80
	v_cmp_eq_u16_sdwa s[12:13], v6, s4 src0_sel:BYTE_0 src1_sel:DWORD
	s_mov_b64 s[4:5], -1
                                        ; implicit-def: $sgpr10
	s_and_saveexec_b64 s[8:9], s[12:13]
; %bb.3882:
	s_mov_b32 s10, 0x7f800001
	s_xor_b64 s[4:5], exec, -1
; %bb.3883:
	s_or_b64 exec, exec, s[8:9]
	s_and_b64 s[4:5], s[4:5], exec
	s_or_saveexec_b64 s[6:7], s[6:7]
	v_mov_b32_e32 v2, s10
	s_xor_b64 exec, exec, s[6:7]
	s_cbranch_execz .LBB15_1834
.LBB15_3884:
	v_mov_b32_e32 v2, 0
	v_cmp_ne_u16_sdwa s[8:9], v6, v2 src0_sel:BYTE_0 src1_sel:DWORD
	s_andn2_b64 s[4:5], s[4:5], exec
	s_and_b64 s[8:9], s[8:9], exec
	s_or_b64 s[4:5], s[4:5], s[8:9]
	s_or_b64 exec, exec, s[6:7]
	s_and_saveexec_b64 s[6:7], s[4:5]
	s_cbranch_execnz .LBB15_1835
	s_branch .LBB15_1836
.LBB15_3885:
	s_movk_i32 s4, 0x80
	v_cmp_eq_u16_sdwa s[12:13], v6, s4 src0_sel:BYTE_0 src1_sel:DWORD
	s_mov_b64 s[4:5], -1
                                        ; implicit-def: $sgpr10
	s_and_saveexec_b64 s[8:9], s[12:13]
; %bb.3886:
	s_mov_b32 s10, 0x7f800001
	s_xor_b64 s[4:5], exec, -1
; %bb.3887:
	s_or_b64 exec, exec, s[8:9]
	s_and_b64 s[4:5], s[4:5], exec
	s_or_saveexec_b64 s[6:7], s[6:7]
	v_mov_b32_e32 v12, s10
	s_xor_b64 exec, exec, s[6:7]
	s_cbranch_execz .LBB15_1838
.LBB15_3888:
	v_mov_b32_e32 v12, 0
	v_cmp_ne_u16_sdwa s[8:9], v6, v12 src0_sel:BYTE_0 src1_sel:DWORD
	s_andn2_b64 s[4:5], s[4:5], exec
	s_and_b64 s[8:9], s[8:9], exec
	s_or_b64 s[4:5], s[4:5], s[8:9]
	s_or_b64 exec, exec, s[6:7]
	s_and_saveexec_b64 s[6:7], s[4:5]
	s_cbranch_execnz .LBB15_1839
	s_branch .LBB15_1840
.LBB15_3889:
	s_movk_i32 s4, 0x80
	v_cmp_eq_u16_e32 vcc, s4, v6
	s_mov_b64 s[4:5], -1
                                        ; implicit-def: $sgpr10
	s_and_saveexec_b64 s[8:9], vcc
; %bb.3890:
	s_mov_b32 s10, 0x7f800001
	s_xor_b64 s[4:5], exec, -1
; %bb.3891:
	s_or_b64 exec, exec, s[8:9]
	s_and_b64 s[4:5], s[4:5], exec
                                        ; implicit-def: $vgpr6
	s_or_saveexec_b64 s[6:7], s[6:7]
	v_mov_b32_e32 v2, s10
	s_xor_b64 exec, exec, s[6:7]
	s_cbranch_execz .LBB15_1842
.LBB15_3892:
	v_cmp_ne_u16_e32 vcc, 0, v6
	s_andn2_b64 s[4:5], s[4:5], exec
	s_and_b64 s[8:9], vcc, exec
	v_mov_b32_e32 v2, 0
	s_or_b64 s[4:5], s[4:5], s[8:9]
	s_or_b64 exec, exec, s[6:7]
	s_and_saveexec_b64 s[6:7], s[4:5]
	s_cbranch_execnz .LBB15_1843
	s_branch .LBB15_1844
.LBB15_3893:
	s_movk_i32 s4, 0x80
	v_cmp_eq_u16_e32 vcc, s4, v6
	s_mov_b64 s[4:5], -1
                                        ; implicit-def: $sgpr10
	s_and_saveexec_b64 s[8:9], vcc
; %bb.3894:
	s_mov_b32 s10, 0x7f800001
	s_xor_b64 s[4:5], exec, -1
; %bb.3895:
	s_or_b64 exec, exec, s[8:9]
	s_and_b64 s[4:5], s[4:5], exec
                                        ; implicit-def: $vgpr6
	s_or_saveexec_b64 s[6:7], s[6:7]
	v_mov_b32_e32 v12, s10
	s_xor_b64 exec, exec, s[6:7]
	s_cbranch_execz .LBB15_1846
.LBB15_3896:
	v_cmp_ne_u16_e32 vcc, 0, v6
	s_andn2_b64 s[4:5], s[4:5], exec
	s_and_b64 s[8:9], vcc, exec
	v_mov_b32_e32 v12, 0
	s_or_b64 s[4:5], s[4:5], s[8:9]
	s_or_b64 exec, exec, s[6:7]
	s_and_saveexec_b64 s[6:7], s[4:5]
	s_cbranch_execnz .LBB15_1847
	s_branch .LBB15_1848
.LBB15_3897:
	s_movk_i32 s4, 0x80
	v_cmp_eq_u16_sdwa s[12:13], v7, s4 src0_sel:BYTE_3 src1_sel:DWORD
	s_mov_b64 s[4:5], -1
                                        ; implicit-def: $sgpr10
	s_and_saveexec_b64 s[8:9], s[12:13]
; %bb.3898:
	s_mov_b32 s10, 0x7f800001
	s_xor_b64 s[4:5], exec, -1
; %bb.3899:
	s_or_b64 exec, exec, s[8:9]
	s_and_b64 s[4:5], s[4:5], exec
	s_or_saveexec_b64 s[6:7], s[6:7]
	v_mov_b32_e32 v2, s10
	s_xor_b64 exec, exec, s[6:7]
	s_cbranch_execz .LBB15_1850
.LBB15_3900:
	v_mov_b32_e32 v2, 0
	v_cmp_ne_u16_sdwa s[8:9], v7, v2 src0_sel:BYTE_3 src1_sel:DWORD
	s_andn2_b64 s[4:5], s[4:5], exec
	s_and_b64 s[8:9], s[8:9], exec
	s_or_b64 s[4:5], s[4:5], s[8:9]
	s_or_b64 exec, exec, s[6:7]
	s_and_saveexec_b64 s[6:7], s[4:5]
	s_cbranch_execnz .LBB15_1851
	s_branch .LBB15_1852
.LBB15_3901:
	s_movk_i32 s4, 0x80
	v_cmp_eq_u16_sdwa s[12:13], v3, s4 src0_sel:BYTE_3 src1_sel:DWORD
	s_mov_b64 s[4:5], -1
                                        ; implicit-def: $sgpr10
	s_and_saveexec_b64 s[8:9], s[12:13]
; %bb.3902:
	s_mov_b32 s10, 0x7f800001
	s_xor_b64 s[4:5], exec, -1
; %bb.3903:
	s_or_b64 exec, exec, s[8:9]
	s_and_b64 s[4:5], s[4:5], exec
	s_or_saveexec_b64 s[6:7], s[6:7]
	v_mov_b32_e32 v6, s10
	s_xor_b64 exec, exec, s[6:7]
	s_cbranch_execz .LBB15_1854
.LBB15_3904:
	v_mov_b32_e32 v6, 0
	v_cmp_ne_u16_sdwa s[8:9], v3, v6 src0_sel:BYTE_3 src1_sel:DWORD
	s_andn2_b64 s[4:5], s[4:5], exec
	s_and_b64 s[8:9], s[8:9], exec
	s_or_b64 s[4:5], s[4:5], s[8:9]
	s_or_b64 exec, exec, s[6:7]
	s_and_saveexec_b64 s[6:7], s[4:5]
	s_cbranch_execnz .LBB15_1855
	s_branch .LBB15_1856
.LBB15_3905:
	s_movk_i32 s4, 0x80
	v_cmp_eq_u16_sdwa s[12:13], v8, s4 src0_sel:BYTE_0 src1_sel:DWORD
	s_mov_b64 s[4:5], -1
                                        ; implicit-def: $sgpr10
	s_and_saveexec_b64 s[8:9], s[12:13]
; %bb.3906:
	s_mov_b32 s10, 0x7f800001
	s_xor_b64 s[4:5], exec, -1
; %bb.3907:
	s_or_b64 exec, exec, s[8:9]
	s_and_b64 s[4:5], s[4:5], exec
	s_or_saveexec_b64 s[6:7], s[6:7]
	v_mov_b32_e32 v2, s10
	s_xor_b64 exec, exec, s[6:7]
	s_cbranch_execz .LBB15_1858
.LBB15_3908:
	v_mov_b32_e32 v2, 0
	v_cmp_ne_u16_sdwa s[8:9], v8, v2 src0_sel:BYTE_0 src1_sel:DWORD
	s_andn2_b64 s[4:5], s[4:5], exec
	s_and_b64 s[8:9], s[8:9], exec
	s_or_b64 s[4:5], s[4:5], s[8:9]
	s_or_b64 exec, exec, s[6:7]
	s_and_saveexec_b64 s[6:7], s[4:5]
	s_cbranch_execnz .LBB15_1859
	s_branch .LBB15_1860
.LBB15_3909:
	s_movk_i32 s4, 0x80
	v_cmp_eq_u16_sdwa s[12:13], v4, s4 src0_sel:BYTE_0 src1_sel:DWORD
	s_mov_b64 s[4:5], -1
                                        ; implicit-def: $sgpr10
	s_and_saveexec_b64 s[8:9], s[12:13]
; %bb.3910:
	s_mov_b32 s10, 0x7f800001
	s_xor_b64 s[4:5], exec, -1
; %bb.3911:
	s_or_b64 exec, exec, s[8:9]
	s_and_b64 s[4:5], s[4:5], exec
	s_or_saveexec_b64 s[6:7], s[6:7]
	v_mov_b32_e32 v3, s10
	s_xor_b64 exec, exec, s[6:7]
	s_cbranch_execz .LBB15_1862
.LBB15_3912:
	v_mov_b32_e32 v3, 0
	v_cmp_ne_u16_sdwa s[8:9], v4, v3 src0_sel:BYTE_0 src1_sel:DWORD
	s_andn2_b64 s[4:5], s[4:5], exec
	s_and_b64 s[8:9], s[8:9], exec
	s_or_b64 s[4:5], s[4:5], s[8:9]
	s_or_b64 exec, exec, s[6:7]
	s_and_saveexec_b64 s[6:7], s[4:5]
	s_cbranch_execnz .LBB15_1863
	s_branch .LBB15_1864
.LBB15_3913:
	s_movk_i32 s4, 0x80
	v_cmp_eq_u16_sdwa s[12:13], v3, s4 src0_sel:BYTE_0 src1_sel:DWORD
	s_mov_b64 s[4:5], -1
                                        ; implicit-def: $sgpr10
	s_and_saveexec_b64 s[8:9], s[12:13]
; %bb.3914:
	s_mov_b32 s10, 0x7f800001
	s_xor_b64 s[4:5], exec, -1
; %bb.3915:
	s_or_b64 exec, exec, s[8:9]
	s_and_b64 s[4:5], s[4:5], exec
	s_or_saveexec_b64 s[6:7], s[6:7]
	v_mov_b32_e32 v2, s10
	s_xor_b64 exec, exec, s[6:7]
	s_cbranch_execz .LBB15_1866
.LBB15_3916:
	v_mov_b32_e32 v2, 0
	v_cmp_ne_u16_sdwa s[8:9], v3, v2 src0_sel:BYTE_0 src1_sel:DWORD
	s_andn2_b64 s[4:5], s[4:5], exec
	s_and_b64 s[8:9], s[8:9], exec
	s_or_b64 s[4:5], s[4:5], s[8:9]
	s_or_b64 exec, exec, s[6:7]
	s_and_saveexec_b64 s[6:7], s[4:5]
	s_cbranch_execnz .LBB15_1867
	s_branch .LBB15_1868
.LBB15_3917:
	s_movk_i32 s4, 0x80
	v_cmp_eq_u16_sdwa s[12:13], v3, s4 src0_sel:BYTE_0 src1_sel:DWORD
	s_mov_b64 s[4:5], -1
                                        ; implicit-def: $sgpr10
	s_and_saveexec_b64 s[8:9], s[12:13]
; %bb.3918:
	s_mov_b32 s10, 0x7f800001
	s_xor_b64 s[4:5], exec, -1
; %bb.3919:
	s_or_b64 exec, exec, s[8:9]
	s_and_b64 s[4:5], s[4:5], exec
	s_or_saveexec_b64 s[6:7], s[6:7]
	v_mov_b32_e32 v6, s10
	s_xor_b64 exec, exec, s[6:7]
	s_cbranch_execz .LBB15_1870
.LBB15_3920:
	v_mov_b32_e32 v6, 0
	v_cmp_ne_u16_sdwa s[8:9], v3, v6 src0_sel:BYTE_0 src1_sel:DWORD
	s_andn2_b64 s[4:5], s[4:5], exec
	s_and_b64 s[8:9], s[8:9], exec
	s_or_b64 s[4:5], s[4:5], s[8:9]
	s_or_b64 exec, exec, s[6:7]
	s_and_saveexec_b64 s[6:7], s[4:5]
	s_cbranch_execnz .LBB15_1871
	s_branch .LBB15_1872
.LBB15_3921:
	s_movk_i32 s4, 0x80
	v_cmp_eq_u16_e32 vcc, s4, v3
	s_mov_b64 s[4:5], -1
                                        ; implicit-def: $sgpr10
	s_and_saveexec_b64 s[8:9], vcc
; %bb.3922:
	s_mov_b32 s10, 0x7f800001
	s_xor_b64 s[4:5], exec, -1
; %bb.3923:
	s_or_b64 exec, exec, s[8:9]
	s_and_b64 s[4:5], s[4:5], exec
                                        ; implicit-def: $vgpr3
	s_or_saveexec_b64 s[6:7], s[6:7]
	v_mov_b32_e32 v2, s10
	s_xor_b64 exec, exec, s[6:7]
	s_cbranch_execz .LBB15_1874
.LBB15_3924:
	v_cmp_ne_u16_e32 vcc, 0, v3
	s_andn2_b64 s[4:5], s[4:5], exec
	s_and_b64 s[8:9], vcc, exec
	v_mov_b32_e32 v2, 0
	s_or_b64 s[4:5], s[4:5], s[8:9]
	s_or_b64 exec, exec, s[6:7]
	s_and_saveexec_b64 s[6:7], s[4:5]
	s_cbranch_execnz .LBB15_1875
	s_branch .LBB15_1876
.LBB15_3925:
	s_movk_i32 s4, 0x80
	v_cmp_eq_u16_e32 vcc, s4, v3
	s_mov_b64 s[4:5], -1
                                        ; implicit-def: $sgpr10
	s_and_saveexec_b64 s[8:9], vcc
; %bb.3926:
	s_mov_b32 s10, 0x7f800001
	s_xor_b64 s[4:5], exec, -1
; %bb.3927:
	s_or_b64 exec, exec, s[8:9]
	s_and_b64 s[4:5], s[4:5], exec
                                        ; implicit-def: $vgpr3
	s_or_saveexec_b64 s[6:7], s[6:7]
	v_mov_b32_e32 v6, s10
	s_xor_b64 exec, exec, s[6:7]
	s_cbranch_execz .LBB15_1878
.LBB15_3928:
	v_cmp_ne_u16_e32 vcc, 0, v3
	s_andn2_b64 s[4:5], s[4:5], exec
	s_and_b64 s[8:9], vcc, exec
	v_mov_b32_e32 v6, 0
	s_or_b64 s[4:5], s[4:5], s[8:9]
	s_or_b64 exec, exec, s[6:7]
	s_and_saveexec_b64 s[6:7], s[4:5]
	s_cbranch_execnz .LBB15_1879
	s_branch .LBB15_1880
.LBB15_3929:
	s_movk_i32 s4, 0x80
	v_cmp_eq_u16_sdwa s[12:13], v8, s4 src0_sel:BYTE_3 src1_sel:DWORD
	s_mov_b64 s[4:5], -1
                                        ; implicit-def: $sgpr10
	s_and_saveexec_b64 s[8:9], s[12:13]
; %bb.3930:
	s_mov_b32 s10, 0x7f800001
	s_xor_b64 s[4:5], exec, -1
; %bb.3931:
	s_or_b64 exec, exec, s[8:9]
	s_and_b64 s[4:5], s[4:5], exec
	s_or_saveexec_b64 s[6:7], s[6:7]
	v_mov_b32_e32 v2, s10
	s_xor_b64 exec, exec, s[6:7]
	s_cbranch_execz .LBB15_1882
.LBB15_3932:
	v_mov_b32_e32 v2, 0
	v_cmp_ne_u16_sdwa s[8:9], v8, v2 src0_sel:BYTE_3 src1_sel:DWORD
	s_andn2_b64 s[4:5], s[4:5], exec
	s_and_b64 s[8:9], s[8:9], exec
	s_or_b64 s[4:5], s[4:5], s[8:9]
	s_or_b64 exec, exec, s[6:7]
	s_and_saveexec_b64 s[6:7], s[4:5]
	s_cbranch_execnz .LBB15_1883
	s_branch .LBB15_1884
.LBB15_3933:
	s_movk_i32 s4, 0x80
	v_cmp_eq_u16_sdwa s[12:13], v4, s4 src0_sel:BYTE_3 src1_sel:DWORD
	s_mov_b64 s[4:5], -1
                                        ; implicit-def: $sgpr10
	s_and_saveexec_b64 s[8:9], s[12:13]
; %bb.3934:
	s_mov_b32 s10, 0x7f800001
	s_xor_b64 s[4:5], exec, -1
; %bb.3935:
	s_or_b64 exec, exec, s[8:9]
	s_and_b64 s[4:5], s[4:5], exec
	s_or_saveexec_b64 s[6:7], s[6:7]
	v_mov_b32_e32 v3, s10
	s_xor_b64 exec, exec, s[6:7]
	s_cbranch_execz .LBB15_1886
.LBB15_3936:
	v_mov_b32_e32 v3, 0
	v_cmp_ne_u16_sdwa s[8:9], v4, v3 src0_sel:BYTE_3 src1_sel:DWORD
	s_andn2_b64 s[4:5], s[4:5], exec
	s_and_b64 s[8:9], s[8:9], exec
	s_or_b64 s[4:5], s[4:5], s[8:9]
	s_or_b64 exec, exec, s[6:7]
	s_and_saveexec_b64 s[6:7], s[4:5]
	s_cbranch_execnz .LBB15_1887
	s_branch .LBB15_1888
.LBB15_3937:
	s_movk_i32 s4, 0x80
	v_cmp_eq_u16_sdwa s[12:13], v9, s4 src0_sel:BYTE_0 src1_sel:DWORD
	s_mov_b64 s[4:5], -1
                                        ; implicit-def: $sgpr10
	s_and_saveexec_b64 s[8:9], s[12:13]
; %bb.3938:
	s_mov_b32 s10, 0x7f800001
	s_xor_b64 s[4:5], exec, -1
; %bb.3939:
	s_or_b64 exec, exec, s[8:9]
	s_and_b64 s[4:5], s[4:5], exec
	s_or_saveexec_b64 s[6:7], s[6:7]
	v_mov_b32_e32 v2, s10
	s_xor_b64 exec, exec, s[6:7]
	s_cbranch_execz .LBB15_1890
.LBB15_3940:
	v_mov_b32_e32 v2, 0
	v_cmp_ne_u16_sdwa s[8:9], v9, v2 src0_sel:BYTE_0 src1_sel:DWORD
	s_andn2_b64 s[4:5], s[4:5], exec
	s_and_b64 s[8:9], s[8:9], exec
	s_or_b64 s[4:5], s[4:5], s[8:9]
	s_or_b64 exec, exec, s[6:7]
	s_and_saveexec_b64 s[6:7], s[4:5]
	s_cbranch_execnz .LBB15_1891
	s_branch .LBB15_1892
.LBB15_3941:
	s_movk_i32 s4, 0x80
	v_cmp_eq_u16_sdwa s[12:13], v5, s4 src0_sel:BYTE_0 src1_sel:DWORD
	s_mov_b64 s[4:5], -1
                                        ; implicit-def: $sgpr10
	s_and_saveexec_b64 s[8:9], s[12:13]
; %bb.3942:
	s_mov_b32 s10, 0x7f800001
	s_xor_b64 s[4:5], exec, -1
; %bb.3943:
	s_or_b64 exec, exec, s[8:9]
	s_and_b64 s[4:5], s[4:5], exec
	s_or_saveexec_b64 s[6:7], s[6:7]
	v_mov_b32_e32 v3, s10
	s_xor_b64 exec, exec, s[6:7]
	s_cbranch_execz .LBB15_1894
.LBB15_3944:
	v_mov_b32_e32 v3, 0
	v_cmp_ne_u16_sdwa s[8:9], v5, v3 src0_sel:BYTE_0 src1_sel:DWORD
	s_andn2_b64 s[4:5], s[4:5], exec
	s_and_b64 s[8:9], s[8:9], exec
	s_or_b64 s[4:5], s[4:5], s[8:9]
	s_or_b64 exec, exec, s[6:7]
	s_and_saveexec_b64 s[6:7], s[4:5]
	s_cbranch_execnz .LBB15_1895
	s_branch .LBB15_1896
.LBB15_3945:
	s_movk_i32 s4, 0x80
	v_cmp_eq_u16_sdwa s[12:13], v3, s4 src0_sel:BYTE_0 src1_sel:DWORD
	s_mov_b64 s[4:5], -1
                                        ; implicit-def: $sgpr10
	s_and_saveexec_b64 s[8:9], s[12:13]
; %bb.3946:
	s_mov_b32 s10, 0x7f800001
	s_xor_b64 s[4:5], exec, -1
; %bb.3947:
	s_or_b64 exec, exec, s[8:9]
	s_and_b64 s[4:5], s[4:5], exec
	s_or_saveexec_b64 s[6:7], s[6:7]
	v_mov_b32_e32 v2, s10
	s_xor_b64 exec, exec, s[6:7]
	s_cbranch_execz .LBB15_1898
.LBB15_3948:
	v_mov_b32_e32 v2, 0
	v_cmp_ne_u16_sdwa s[8:9], v3, v2 src0_sel:BYTE_0 src1_sel:DWORD
	s_andn2_b64 s[4:5], s[4:5], exec
	s_and_b64 s[8:9], s[8:9], exec
	s_or_b64 s[4:5], s[4:5], s[8:9]
	s_or_b64 exec, exec, s[6:7]
	s_and_saveexec_b64 s[6:7], s[4:5]
	s_cbranch_execnz .LBB15_1899
	s_branch .LBB15_1900
.LBB15_3949:
	s_movk_i32 s4, 0x80
	v_cmp_eq_u16_sdwa s[12:13], v3, s4 src0_sel:BYTE_0 src1_sel:DWORD
	s_mov_b64 s[4:5], -1
                                        ; implicit-def: $sgpr10
	s_and_saveexec_b64 s[8:9], s[12:13]
; %bb.3950:
	s_mov_b32 s10, 0x7f800001
	s_xor_b64 s[4:5], exec, -1
; %bb.3951:
	s_or_b64 exec, exec, s[8:9]
	s_and_b64 s[4:5], s[4:5], exec
	s_or_saveexec_b64 s[6:7], s[6:7]
	v_mov_b32_e32 v4, s10
	s_xor_b64 exec, exec, s[6:7]
	s_cbranch_execz .LBB15_1902
.LBB15_3952:
	v_mov_b32_e32 v4, 0
	v_cmp_ne_u16_sdwa s[8:9], v3, v4 src0_sel:BYTE_0 src1_sel:DWORD
	s_andn2_b64 s[4:5], s[4:5], exec
	s_and_b64 s[8:9], s[8:9], exec
	s_or_b64 s[4:5], s[4:5], s[8:9]
	s_or_b64 exec, exec, s[6:7]
	s_and_saveexec_b64 s[6:7], s[4:5]
	s_cbranch_execnz .LBB15_1903
	s_branch .LBB15_1904
.LBB15_3953:
	s_movk_i32 s4, 0x80
	v_cmp_eq_u16_e32 vcc, s4, v3
	s_mov_b64 s[4:5], -1
                                        ; implicit-def: $sgpr10
	s_and_saveexec_b64 s[8:9], vcc
; %bb.3954:
	s_mov_b32 s10, 0x7f800001
	s_xor_b64 s[4:5], exec, -1
; %bb.3955:
	s_or_b64 exec, exec, s[8:9]
	s_and_b64 s[4:5], s[4:5], exec
                                        ; implicit-def: $vgpr3
	s_or_saveexec_b64 s[6:7], s[6:7]
	v_mov_b32_e32 v2, s10
	s_xor_b64 exec, exec, s[6:7]
	s_cbranch_execz .LBB15_1906
.LBB15_3956:
	v_cmp_ne_u16_e32 vcc, 0, v3
	s_andn2_b64 s[4:5], s[4:5], exec
	s_and_b64 s[8:9], vcc, exec
	v_mov_b32_e32 v2, 0
	s_or_b64 s[4:5], s[4:5], s[8:9]
	s_or_b64 exec, exec, s[6:7]
	s_and_saveexec_b64 s[6:7], s[4:5]
	s_cbranch_execnz .LBB15_1907
	s_branch .LBB15_1908
.LBB15_3957:
	s_movk_i32 s4, 0x80
	v_cmp_eq_u16_e32 vcc, s4, v3
	s_mov_b64 s[4:5], -1
                                        ; implicit-def: $sgpr10
	s_and_saveexec_b64 s[8:9], vcc
; %bb.3958:
	s_mov_b32 s10, 0x7f800001
	s_xor_b64 s[4:5], exec, -1
; %bb.3959:
	s_or_b64 exec, exec, s[8:9]
	s_and_b64 s[4:5], s[4:5], exec
                                        ; implicit-def: $vgpr3
	s_or_saveexec_b64 s[6:7], s[6:7]
	v_mov_b32_e32 v4, s10
	s_xor_b64 exec, exec, s[6:7]
	s_cbranch_execz .LBB15_1910
.LBB15_3960:
	v_cmp_ne_u16_e32 vcc, 0, v3
	s_andn2_b64 s[4:5], s[4:5], exec
	s_and_b64 s[8:9], vcc, exec
	v_mov_b32_e32 v4, 0
	s_or_b64 s[4:5], s[4:5], s[8:9]
	s_or_b64 exec, exec, s[6:7]
	s_and_saveexec_b64 s[6:7], s[4:5]
	s_cbranch_execnz .LBB15_1911
	s_branch .LBB15_1912
.LBB15_3961:
	s_movk_i32 s4, 0x80
	v_cmp_eq_u16_sdwa s[12:13], v9, s4 src0_sel:BYTE_3 src1_sel:DWORD
	s_mov_b64 s[4:5], -1
                                        ; implicit-def: $sgpr10
	s_and_saveexec_b64 s[8:9], s[12:13]
; %bb.3962:
	s_mov_b32 s10, 0x7f800001
	s_xor_b64 s[4:5], exec, -1
; %bb.3963:
	s_or_b64 exec, exec, s[8:9]
	s_and_b64 s[4:5], s[4:5], exec
	s_or_saveexec_b64 s[6:7], s[6:7]
	v_mov_b32_e32 v2, s10
	s_xor_b64 exec, exec, s[6:7]
	s_cbranch_execz .LBB15_1914
.LBB15_3964:
	v_mov_b32_e32 v2, 0
	v_cmp_ne_u16_sdwa s[8:9], v9, v2 src0_sel:BYTE_3 src1_sel:DWORD
	s_andn2_b64 s[4:5], s[4:5], exec
	s_and_b64 s[8:9], s[8:9], exec
	s_or_b64 s[4:5], s[4:5], s[8:9]
	s_or_b64 exec, exec, s[6:7]
	s_and_saveexec_b64 s[6:7], s[4:5]
	s_cbranch_execnz .LBB15_1915
	s_branch .LBB15_1916
.LBB15_3965:
	s_movk_i32 s4, 0x80
	v_cmp_eq_u16_sdwa s[12:13], v5, s4 src0_sel:BYTE_3 src1_sel:DWORD
	s_mov_b64 s[4:5], -1
                                        ; implicit-def: $sgpr10
	s_and_saveexec_b64 s[8:9], s[12:13]
; %bb.3966:
	s_mov_b32 s10, 0x7f800001
	s_xor_b64 s[4:5], exec, -1
; %bb.3967:
	s_or_b64 exec, exec, s[8:9]
	s_and_b64 s[4:5], s[4:5], exec
	s_or_saveexec_b64 s[6:7], s[6:7]
	v_mov_b32_e32 v3, s10
	s_xor_b64 exec, exec, s[6:7]
	s_cbranch_execz .LBB15_1918
.LBB15_3968:
	v_mov_b32_e32 v3, 0
	v_cmp_ne_u16_sdwa s[8:9], v5, v3 src0_sel:BYTE_3 src1_sel:DWORD
	s_andn2_b64 s[4:5], s[4:5], exec
	s_and_b64 s[8:9], s[8:9], exec
	s_or_b64 s[4:5], s[4:5], s[8:9]
	s_or_b64 exec, exec, s[6:7]
	s_and_saveexec_b64 s[6:7], s[4:5]
	s_cbranch_execnz .LBB15_1919
	s_branch .LBB15_1920
.LBB15_3969:
	s_movk_i32 s4, 0x80
	v_cmp_eq_u16_sdwa s[12:13], v6, s4 src0_sel:BYTE_0 src1_sel:DWORD
	s_mov_b64 s[4:5], -1
                                        ; implicit-def: $sgpr10
	s_and_saveexec_b64 s[8:9], s[12:13]
; %bb.3970:
	s_mov_b32 s10, 0x7f800001
	s_xor_b64 s[4:5], exec, -1
; %bb.3971:
	s_or_b64 exec, exec, s[8:9]
	s_and_b64 s[4:5], s[4:5], exec
	s_or_saveexec_b64 s[6:7], s[6:7]
	v_mov_b32_e32 v10, s10
	s_xor_b64 exec, exec, s[6:7]
	s_cbranch_execz .LBB15_1922
.LBB15_3972:
	v_mov_b32_e32 v10, 0
	v_cmp_ne_u16_sdwa s[8:9], v6, v10 src0_sel:BYTE_0 src1_sel:DWORD
	s_andn2_b64 s[4:5], s[4:5], exec
	s_and_b64 s[8:9], s[8:9], exec
	s_or_b64 s[4:5], s[4:5], s[8:9]
	s_or_b64 exec, exec, s[6:7]
	s_and_saveexec_b64 s[6:7], s[4:5]
	s_cbranch_execnz .LBB15_1923
	s_branch .LBB15_1924
.LBB15_3973:
	s_movk_i32 s4, 0x80
	v_cmp_eq_u16_sdwa s[12:13], v2, s4 src0_sel:BYTE_0 src1_sel:DWORD
	s_mov_b64 s[4:5], -1
                                        ; implicit-def: $sgpr10
	s_and_saveexec_b64 s[8:9], s[12:13]
; %bb.3974:
	s_mov_b32 s10, 0x7f800001
	s_xor_b64 s[4:5], exec, -1
; %bb.3975:
	s_or_b64 exec, exec, s[8:9]
	s_and_b64 s[4:5], s[4:5], exec
	s_or_saveexec_b64 s[6:7], s[6:7]
	v_mov_b32_e32 v11, s10
	s_xor_b64 exec, exec, s[6:7]
	s_cbranch_execz .LBB15_1926
.LBB15_3976:
	v_mov_b32_e32 v11, 0
	v_cmp_ne_u16_sdwa s[8:9], v2, v11 src0_sel:BYTE_0 src1_sel:DWORD
	s_andn2_b64 s[4:5], s[4:5], exec
	s_and_b64 s[8:9], s[8:9], exec
	s_or_b64 s[4:5], s[4:5], s[8:9]
	s_or_b64 exec, exec, s[6:7]
	s_and_saveexec_b64 s[6:7], s[4:5]
	s_cbranch_execnz .LBB15_1927
	s_branch .LBB15_1928
.LBB15_3977:
	s_movk_i32 s4, 0x80
	v_cmp_eq_u16_sdwa s[12:13], v11, s4 src0_sel:BYTE_0 src1_sel:DWORD
	s_mov_b64 s[4:5], -1
                                        ; implicit-def: $sgpr10
	s_and_saveexec_b64 s[8:9], s[12:13]
; %bb.3978:
	s_mov_b32 s10, 0x7f800001
	s_xor_b64 s[4:5], exec, -1
; %bb.3979:
	s_or_b64 exec, exec, s[8:9]
	s_and_b64 s[4:5], s[4:5], exec
	s_or_saveexec_b64 s[6:7], s[6:7]
	v_mov_b32_e32 v10, s10
	s_xor_b64 exec, exec, s[6:7]
	s_cbranch_execz .LBB15_1930
.LBB15_3980:
	v_mov_b32_e32 v10, 0
	v_cmp_ne_u16_sdwa s[8:9], v11, v10 src0_sel:BYTE_0 src1_sel:DWORD
	s_andn2_b64 s[4:5], s[4:5], exec
	s_and_b64 s[8:9], s[8:9], exec
	s_or_b64 s[4:5], s[4:5], s[8:9]
	s_or_b64 exec, exec, s[6:7]
	s_and_saveexec_b64 s[6:7], s[4:5]
	s_cbranch_execnz .LBB15_1931
	s_branch .LBB15_1932
.LBB15_3981:
	s_movk_i32 s4, 0x80
	v_cmp_eq_u16_sdwa s[12:13], v11, s4 src0_sel:BYTE_0 src1_sel:DWORD
	s_mov_b64 s[4:5], -1
                                        ; implicit-def: $sgpr10
	s_and_saveexec_b64 s[8:9], s[12:13]
; %bb.3982:
	s_mov_b32 s10, 0x7f800001
	s_xor_b64 s[4:5], exec, -1
; %bb.3983:
	s_or_b64 exec, exec, s[8:9]
	s_and_b64 s[4:5], s[4:5], exec
	s_or_saveexec_b64 s[6:7], s[6:7]
	v_mov_b32_e32 v12, s10
	s_xor_b64 exec, exec, s[6:7]
	s_cbranch_execz .LBB15_1934
.LBB15_3984:
	v_mov_b32_e32 v12, 0
	v_cmp_ne_u16_sdwa s[8:9], v11, v12 src0_sel:BYTE_0 src1_sel:DWORD
	s_andn2_b64 s[4:5], s[4:5], exec
	s_and_b64 s[8:9], s[8:9], exec
	s_or_b64 s[4:5], s[4:5], s[8:9]
	s_or_b64 exec, exec, s[6:7]
	s_and_saveexec_b64 s[6:7], s[4:5]
	s_cbranch_execnz .LBB15_1935
	s_branch .LBB15_1936
.LBB15_3985:
	s_movk_i32 s4, 0x80
	v_cmp_eq_u16_e32 vcc, s4, v11
	s_mov_b64 s[4:5], -1
                                        ; implicit-def: $sgpr10
	s_and_saveexec_b64 s[8:9], vcc
; %bb.3986:
	s_mov_b32 s10, 0x7f800001
	s_xor_b64 s[4:5], exec, -1
; %bb.3987:
	s_or_b64 exec, exec, s[8:9]
	s_and_b64 s[4:5], s[4:5], exec
                                        ; implicit-def: $vgpr11
	s_or_saveexec_b64 s[6:7], s[6:7]
	v_mov_b32_e32 v10, s10
	s_xor_b64 exec, exec, s[6:7]
	s_cbranch_execz .LBB15_1938
.LBB15_3988:
	v_cmp_ne_u16_e32 vcc, 0, v11
	s_andn2_b64 s[4:5], s[4:5], exec
	s_and_b64 s[8:9], vcc, exec
	v_mov_b32_e32 v10, 0
	s_or_b64 s[4:5], s[4:5], s[8:9]
	s_or_b64 exec, exec, s[6:7]
	s_and_saveexec_b64 s[6:7], s[4:5]
	s_cbranch_execnz .LBB15_1939
	s_branch .LBB15_1940
.LBB15_3989:
	s_movk_i32 s4, 0x80
	v_cmp_eq_u16_e32 vcc, s4, v11
	s_mov_b64 s[4:5], -1
                                        ; implicit-def: $sgpr10
	s_and_saveexec_b64 s[8:9], vcc
; %bb.3990:
	s_mov_b32 s10, 0x7f800001
	s_xor_b64 s[4:5], exec, -1
; %bb.3991:
	s_or_b64 exec, exec, s[8:9]
	s_and_b64 s[4:5], s[4:5], exec
                                        ; implicit-def: $vgpr11
	s_or_saveexec_b64 s[6:7], s[6:7]
	v_mov_b32_e32 v12, s10
	s_xor_b64 exec, exec, s[6:7]
	s_cbranch_execz .LBB15_1942
.LBB15_3992:
	v_cmp_ne_u16_e32 vcc, 0, v11
	s_andn2_b64 s[4:5], s[4:5], exec
	s_and_b64 s[8:9], vcc, exec
	v_mov_b32_e32 v12, 0
	s_or_b64 s[4:5], s[4:5], s[8:9]
	s_or_b64 exec, exec, s[6:7]
	s_and_saveexec_b64 s[6:7], s[4:5]
	s_cbranch_execnz .LBB15_1943
	s_branch .LBB15_1944
.LBB15_3993:
	s_movk_i32 s4, 0x80
	v_cmp_eq_u16_sdwa s[12:13], v6, s4 src0_sel:BYTE_3 src1_sel:DWORD
	s_mov_b64 s[4:5], -1
                                        ; implicit-def: $sgpr10
	s_and_saveexec_b64 s[8:9], s[12:13]
; %bb.3994:
	s_mov_b32 s10, 0x7f800001
	s_xor_b64 s[4:5], exec, -1
; %bb.3995:
	s_or_b64 exec, exec, s[8:9]
	s_and_b64 s[4:5], s[4:5], exec
	s_or_saveexec_b64 s[6:7], s[6:7]
	v_mov_b32_e32 v10, s10
	s_xor_b64 exec, exec, s[6:7]
	s_cbranch_execz .LBB15_1946
.LBB15_3996:
	v_mov_b32_e32 v10, 0
	v_cmp_ne_u16_sdwa s[8:9], v6, v10 src0_sel:BYTE_3 src1_sel:DWORD
	s_andn2_b64 s[4:5], s[4:5], exec
	s_and_b64 s[8:9], s[8:9], exec
	s_or_b64 s[4:5], s[4:5], s[8:9]
	s_or_b64 exec, exec, s[6:7]
	s_and_saveexec_b64 s[6:7], s[4:5]
	s_cbranch_execnz .LBB15_1947
	s_branch .LBB15_1948
.LBB15_3997:
	s_movk_i32 s4, 0x80
	v_cmp_eq_u16_sdwa s[12:13], v2, s4 src0_sel:BYTE_3 src1_sel:DWORD
	s_mov_b64 s[4:5], -1
                                        ; implicit-def: $sgpr10
	s_and_saveexec_b64 s[8:9], s[12:13]
; %bb.3998:
	s_mov_b32 s10, 0x7f800001
	s_xor_b64 s[4:5], exec, -1
; %bb.3999:
	s_or_b64 exec, exec, s[8:9]
	s_and_b64 s[4:5], s[4:5], exec
	s_or_saveexec_b64 s[6:7], s[6:7]
	v_mov_b32_e32 v6, s10
	s_xor_b64 exec, exec, s[6:7]
	s_cbranch_execz .LBB15_1950
.LBB15_4000:
	v_mov_b32_e32 v6, 0
	v_cmp_ne_u16_sdwa s[8:9], v2, v6 src0_sel:BYTE_3 src1_sel:DWORD
	s_andn2_b64 s[4:5], s[4:5], exec
	s_and_b64 s[8:9], s[8:9], exec
	s_or_b64 s[4:5], s[4:5], s[8:9]
	s_or_b64 exec, exec, s[6:7]
	s_and_saveexec_b64 s[6:7], s[4:5]
	s_cbranch_execnz .LBB15_1951
	s_branch .LBB15_1952
.LBB15_4001:
	s_movk_i32 s4, 0x80
	v_cmp_eq_u16_sdwa s[12:13], v7, s4 src0_sel:BYTE_0 src1_sel:DWORD
	s_mov_b64 s[4:5], -1
                                        ; implicit-def: $sgpr10
	s_and_saveexec_b64 s[8:9], s[12:13]
; %bb.4002:
	s_mov_b32 s10, 0x7f800001
	s_xor_b64 s[4:5], exec, -1
; %bb.4003:
	s_or_b64 exec, exec, s[8:9]
	s_and_b64 s[4:5], s[4:5], exec
	s_or_saveexec_b64 s[6:7], s[6:7]
	v_mov_b32_e32 v2, s10
	s_xor_b64 exec, exec, s[6:7]
	s_cbranch_execz .LBB15_1954
.LBB15_4004:
	v_mov_b32_e32 v2, 0
	v_cmp_ne_u16_sdwa s[8:9], v7, v2 src0_sel:BYTE_0 src1_sel:DWORD
	s_andn2_b64 s[4:5], s[4:5], exec
	s_and_b64 s[8:9], s[8:9], exec
	s_or_b64 s[4:5], s[4:5], s[8:9]
	s_or_b64 exec, exec, s[6:7]
	s_and_saveexec_b64 s[6:7], s[4:5]
	s_cbranch_execnz .LBB15_1955
	s_branch .LBB15_1956
.LBB15_4005:
	s_movk_i32 s4, 0x80
	v_cmp_eq_u16_sdwa s[12:13], v3, s4 src0_sel:BYTE_0 src1_sel:DWORD
	s_mov_b64 s[4:5], -1
                                        ; implicit-def: $sgpr10
	s_and_saveexec_b64 s[8:9], s[12:13]
; %bb.4006:
	s_mov_b32 s10, 0x7f800001
	s_xor_b64 s[4:5], exec, -1
; %bb.4007:
	s_or_b64 exec, exec, s[8:9]
	s_and_b64 s[4:5], s[4:5], exec
	s_or_saveexec_b64 s[6:7], s[6:7]
	v_mov_b32_e32 v6, s10
	s_xor_b64 exec, exec, s[6:7]
	s_cbranch_execz .LBB15_1958
.LBB15_4008:
	v_mov_b32_e32 v6, 0
	v_cmp_ne_u16_sdwa s[8:9], v3, v6 src0_sel:BYTE_0 src1_sel:DWORD
	s_andn2_b64 s[4:5], s[4:5], exec
	s_and_b64 s[8:9], s[8:9], exec
	s_or_b64 s[4:5], s[4:5], s[8:9]
	s_or_b64 exec, exec, s[6:7]
	s_and_saveexec_b64 s[6:7], s[4:5]
	s_cbranch_execnz .LBB15_1959
	s_branch .LBB15_1960
.LBB15_4009:
	s_movk_i32 s4, 0x80
	v_cmp_eq_u16_sdwa s[12:13], v6, s4 src0_sel:BYTE_0 src1_sel:DWORD
	s_mov_b64 s[4:5], -1
                                        ; implicit-def: $sgpr10
	s_and_saveexec_b64 s[8:9], s[12:13]
; %bb.4010:
	s_mov_b32 s10, 0x7f800001
	s_xor_b64 s[4:5], exec, -1
; %bb.4011:
	s_or_b64 exec, exec, s[8:9]
	s_and_b64 s[4:5], s[4:5], exec
	s_or_saveexec_b64 s[6:7], s[6:7]
	v_mov_b32_e32 v2, s10
	s_xor_b64 exec, exec, s[6:7]
	s_cbranch_execz .LBB15_1962
.LBB15_4012:
	v_mov_b32_e32 v2, 0
	v_cmp_ne_u16_sdwa s[8:9], v6, v2 src0_sel:BYTE_0 src1_sel:DWORD
	s_andn2_b64 s[4:5], s[4:5], exec
	s_and_b64 s[8:9], s[8:9], exec
	s_or_b64 s[4:5], s[4:5], s[8:9]
	s_or_b64 exec, exec, s[6:7]
	s_and_saveexec_b64 s[6:7], s[4:5]
	s_cbranch_execnz .LBB15_1963
	s_branch .LBB15_1964
.LBB15_4013:
	s_movk_i32 s4, 0x80
	v_cmp_eq_u16_sdwa s[12:13], v6, s4 src0_sel:BYTE_0 src1_sel:DWORD
	s_mov_b64 s[4:5], -1
                                        ; implicit-def: $sgpr10
	s_and_saveexec_b64 s[8:9], s[12:13]
; %bb.4014:
	s_mov_b32 s10, 0x7f800001
	s_xor_b64 s[4:5], exec, -1
; %bb.4015:
	s_or_b64 exec, exec, s[8:9]
	s_and_b64 s[4:5], s[4:5], exec
	s_or_saveexec_b64 s[6:7], s[6:7]
	v_mov_b32_e32 v10, s10
	s_xor_b64 exec, exec, s[6:7]
	s_cbranch_execz .LBB15_1966
.LBB15_4016:
	v_mov_b32_e32 v10, 0
	v_cmp_ne_u16_sdwa s[8:9], v6, v10 src0_sel:BYTE_0 src1_sel:DWORD
	s_andn2_b64 s[4:5], s[4:5], exec
	s_and_b64 s[8:9], s[8:9], exec
	s_or_b64 s[4:5], s[4:5], s[8:9]
	s_or_b64 exec, exec, s[6:7]
	s_and_saveexec_b64 s[6:7], s[4:5]
	s_cbranch_execnz .LBB15_1967
	s_branch .LBB15_1968
.LBB15_4017:
	s_movk_i32 s4, 0x80
	v_cmp_eq_u16_e32 vcc, s4, v6
	s_mov_b64 s[4:5], -1
                                        ; implicit-def: $sgpr10
	s_and_saveexec_b64 s[8:9], vcc
; %bb.4018:
	s_mov_b32 s10, 0x7f800001
	s_xor_b64 s[4:5], exec, -1
; %bb.4019:
	s_or_b64 exec, exec, s[8:9]
	s_and_b64 s[4:5], s[4:5], exec
                                        ; implicit-def: $vgpr6
	s_or_saveexec_b64 s[6:7], s[6:7]
	v_mov_b32_e32 v2, s10
	s_xor_b64 exec, exec, s[6:7]
	s_cbranch_execz .LBB15_1970
.LBB15_4020:
	v_cmp_ne_u16_e32 vcc, 0, v6
	s_andn2_b64 s[4:5], s[4:5], exec
	s_and_b64 s[8:9], vcc, exec
	v_mov_b32_e32 v2, 0
	s_or_b64 s[4:5], s[4:5], s[8:9]
	s_or_b64 exec, exec, s[6:7]
	s_and_saveexec_b64 s[6:7], s[4:5]
	s_cbranch_execnz .LBB15_1971
	s_branch .LBB15_1972
.LBB15_4021:
	s_movk_i32 s4, 0x80
	v_cmp_eq_u16_e32 vcc, s4, v6
	s_mov_b64 s[4:5], -1
                                        ; implicit-def: $sgpr10
	s_and_saveexec_b64 s[8:9], vcc
; %bb.4022:
	s_mov_b32 s10, 0x7f800001
	s_xor_b64 s[4:5], exec, -1
; %bb.4023:
	s_or_b64 exec, exec, s[8:9]
	s_and_b64 s[4:5], s[4:5], exec
                                        ; implicit-def: $vgpr6
	s_or_saveexec_b64 s[6:7], s[6:7]
	v_mov_b32_e32 v10, s10
	s_xor_b64 exec, exec, s[6:7]
	s_cbranch_execz .LBB15_1974
.LBB15_4024:
	v_cmp_ne_u16_e32 vcc, 0, v6
	s_andn2_b64 s[4:5], s[4:5], exec
	s_and_b64 s[8:9], vcc, exec
	v_mov_b32_e32 v10, 0
	s_or_b64 s[4:5], s[4:5], s[8:9]
	s_or_b64 exec, exec, s[6:7]
	s_and_saveexec_b64 s[6:7], s[4:5]
	s_cbranch_execnz .LBB15_1975
	s_branch .LBB15_1976
.LBB15_4025:
	s_movk_i32 s4, 0x80
	v_cmp_eq_u16_sdwa s[12:13], v7, s4 src0_sel:BYTE_3 src1_sel:DWORD
	s_mov_b64 s[4:5], -1
                                        ; implicit-def: $sgpr10
	s_and_saveexec_b64 s[8:9], s[12:13]
; %bb.4026:
	s_mov_b32 s10, 0x7f800001
	s_xor_b64 s[4:5], exec, -1
; %bb.4027:
	s_or_b64 exec, exec, s[8:9]
	s_and_b64 s[4:5], s[4:5], exec
	s_or_saveexec_b64 s[6:7], s[6:7]
	v_mov_b32_e32 v2, s10
	s_xor_b64 exec, exec, s[6:7]
	s_cbranch_execz .LBB15_1978
.LBB15_4028:
	v_mov_b32_e32 v2, 0
	v_cmp_ne_u16_sdwa s[8:9], v7, v2 src0_sel:BYTE_3 src1_sel:DWORD
	s_andn2_b64 s[4:5], s[4:5], exec
	s_and_b64 s[8:9], s[8:9], exec
	s_or_b64 s[4:5], s[4:5], s[8:9]
	s_or_b64 exec, exec, s[6:7]
	s_and_saveexec_b64 s[6:7], s[4:5]
	s_cbranch_execnz .LBB15_1979
	s_branch .LBB15_1980
.LBB15_4029:
	s_movk_i32 s4, 0x80
	v_cmp_eq_u16_sdwa s[12:13], v3, s4 src0_sel:BYTE_3 src1_sel:DWORD
	s_mov_b64 s[4:5], -1
                                        ; implicit-def: $sgpr10
	s_and_saveexec_b64 s[8:9], s[12:13]
; %bb.4030:
	s_mov_b32 s10, 0x7f800001
	s_xor_b64 s[4:5], exec, -1
; %bb.4031:
	s_or_b64 exec, exec, s[8:9]
	s_and_b64 s[4:5], s[4:5], exec
	s_or_saveexec_b64 s[6:7], s[6:7]
	v_mov_b32_e32 v6, s10
	s_xor_b64 exec, exec, s[6:7]
	s_cbranch_execz .LBB15_1982
.LBB15_4032:
	v_mov_b32_e32 v6, 0
	v_cmp_ne_u16_sdwa s[8:9], v3, v6 src0_sel:BYTE_3 src1_sel:DWORD
	s_andn2_b64 s[4:5], s[4:5], exec
	s_and_b64 s[8:9], s[8:9], exec
	s_or_b64 s[4:5], s[4:5], s[8:9]
	s_or_b64 exec, exec, s[6:7]
	s_and_saveexec_b64 s[6:7], s[4:5]
	s_cbranch_execnz .LBB15_1983
	s_branch .LBB15_1984
.LBB15_4033:
	s_movk_i32 s4, 0x80
	v_cmp_eq_u16_sdwa s[12:13], v8, s4 src0_sel:BYTE_0 src1_sel:DWORD
	s_mov_b64 s[4:5], -1
                                        ; implicit-def: $sgpr10
	s_and_saveexec_b64 s[8:9], s[12:13]
; %bb.4034:
	s_mov_b32 s10, 0x7f800001
	s_xor_b64 s[4:5], exec, -1
; %bb.4035:
	s_or_b64 exec, exec, s[8:9]
	s_and_b64 s[4:5], s[4:5], exec
	s_or_saveexec_b64 s[6:7], s[6:7]
	v_mov_b32_e32 v2, s10
	s_xor_b64 exec, exec, s[6:7]
	s_cbranch_execz .LBB15_1986
.LBB15_4036:
	v_mov_b32_e32 v2, 0
	v_cmp_ne_u16_sdwa s[8:9], v8, v2 src0_sel:BYTE_0 src1_sel:DWORD
	s_andn2_b64 s[4:5], s[4:5], exec
	s_and_b64 s[8:9], s[8:9], exec
	s_or_b64 s[4:5], s[4:5], s[8:9]
	s_or_b64 exec, exec, s[6:7]
	s_and_saveexec_b64 s[6:7], s[4:5]
	s_cbranch_execnz .LBB15_1987
	s_branch .LBB15_1988
.LBB15_4037:
	s_movk_i32 s4, 0x80
	v_cmp_eq_u16_sdwa s[12:13], v4, s4 src0_sel:BYTE_0 src1_sel:DWORD
	s_mov_b64 s[4:5], -1
                                        ; implicit-def: $sgpr10
	s_and_saveexec_b64 s[8:9], s[12:13]
; %bb.4038:
	s_mov_b32 s10, 0x7f800001
	s_xor_b64 s[4:5], exec, -1
; %bb.4039:
	s_or_b64 exec, exec, s[8:9]
	s_and_b64 s[4:5], s[4:5], exec
	s_or_saveexec_b64 s[6:7], s[6:7]
	v_mov_b32_e32 v3, s10
	s_xor_b64 exec, exec, s[6:7]
	s_cbranch_execz .LBB15_1990
.LBB15_4040:
	v_mov_b32_e32 v3, 0
	v_cmp_ne_u16_sdwa s[8:9], v4, v3 src0_sel:BYTE_0 src1_sel:DWORD
	s_andn2_b64 s[4:5], s[4:5], exec
	s_and_b64 s[8:9], s[8:9], exec
	s_or_b64 s[4:5], s[4:5], s[8:9]
	s_or_b64 exec, exec, s[6:7]
	s_and_saveexec_b64 s[6:7], s[4:5]
	s_cbranch_execnz .LBB15_1991
	s_branch .LBB15_1992
.LBB15_4041:
	s_movk_i32 s4, 0x80
	v_cmp_eq_u16_sdwa s[12:13], v3, s4 src0_sel:BYTE_0 src1_sel:DWORD
	s_mov_b64 s[4:5], -1
                                        ; implicit-def: $sgpr10
	s_and_saveexec_b64 s[8:9], s[12:13]
; %bb.4042:
	s_mov_b32 s10, 0x7f800001
	s_xor_b64 s[4:5], exec, -1
; %bb.4043:
	s_or_b64 exec, exec, s[8:9]
	s_and_b64 s[4:5], s[4:5], exec
	s_or_saveexec_b64 s[6:7], s[6:7]
	v_mov_b32_e32 v2, s10
	s_xor_b64 exec, exec, s[6:7]
	s_cbranch_execz .LBB15_1994
.LBB15_4044:
	v_mov_b32_e32 v2, 0
	v_cmp_ne_u16_sdwa s[8:9], v3, v2 src0_sel:BYTE_0 src1_sel:DWORD
	s_andn2_b64 s[4:5], s[4:5], exec
	s_and_b64 s[8:9], s[8:9], exec
	s_or_b64 s[4:5], s[4:5], s[8:9]
	s_or_b64 exec, exec, s[6:7]
	s_and_saveexec_b64 s[6:7], s[4:5]
	s_cbranch_execnz .LBB15_1995
	s_branch .LBB15_1996
.LBB15_4045:
	s_movk_i32 s4, 0x80
	v_cmp_eq_u16_sdwa s[12:13], v3, s4 src0_sel:BYTE_0 src1_sel:DWORD
	s_mov_b64 s[4:5], -1
                                        ; implicit-def: $sgpr10
	s_and_saveexec_b64 s[8:9], s[12:13]
; %bb.4046:
	s_mov_b32 s10, 0x7f800001
	s_xor_b64 s[4:5], exec, -1
; %bb.4047:
	s_or_b64 exec, exec, s[8:9]
	s_and_b64 s[4:5], s[4:5], exec
	s_or_saveexec_b64 s[6:7], s[6:7]
	v_mov_b32_e32 v6, s10
	s_xor_b64 exec, exec, s[6:7]
	s_cbranch_execz .LBB15_1998
.LBB15_4048:
	v_mov_b32_e32 v6, 0
	v_cmp_ne_u16_sdwa s[8:9], v3, v6 src0_sel:BYTE_0 src1_sel:DWORD
	s_andn2_b64 s[4:5], s[4:5], exec
	s_and_b64 s[8:9], s[8:9], exec
	s_or_b64 s[4:5], s[4:5], s[8:9]
	s_or_b64 exec, exec, s[6:7]
	s_and_saveexec_b64 s[6:7], s[4:5]
	s_cbranch_execnz .LBB15_1999
	s_branch .LBB15_2000
.LBB15_4049:
	s_movk_i32 s4, 0x80
	v_cmp_eq_u16_e32 vcc, s4, v3
	s_mov_b64 s[4:5], -1
                                        ; implicit-def: $sgpr10
	s_and_saveexec_b64 s[8:9], vcc
; %bb.4050:
	s_mov_b32 s10, 0x7f800001
	s_xor_b64 s[4:5], exec, -1
; %bb.4051:
	s_or_b64 exec, exec, s[8:9]
	s_and_b64 s[4:5], s[4:5], exec
                                        ; implicit-def: $vgpr3
	s_or_saveexec_b64 s[6:7], s[6:7]
	v_mov_b32_e32 v2, s10
	s_xor_b64 exec, exec, s[6:7]
	s_cbranch_execz .LBB15_2002
.LBB15_4052:
	v_cmp_ne_u16_e32 vcc, 0, v3
	s_andn2_b64 s[4:5], s[4:5], exec
	s_and_b64 s[8:9], vcc, exec
	v_mov_b32_e32 v2, 0
	s_or_b64 s[4:5], s[4:5], s[8:9]
	s_or_b64 exec, exec, s[6:7]
	s_and_saveexec_b64 s[6:7], s[4:5]
	s_cbranch_execnz .LBB15_2003
	s_branch .LBB15_2004
.LBB15_4053:
	s_movk_i32 s4, 0x80
	v_cmp_eq_u16_e32 vcc, s4, v3
	s_mov_b64 s[4:5], -1
                                        ; implicit-def: $sgpr10
	s_and_saveexec_b64 s[8:9], vcc
; %bb.4054:
	s_mov_b32 s10, 0x7f800001
	s_xor_b64 s[4:5], exec, -1
; %bb.4055:
	s_or_b64 exec, exec, s[8:9]
	s_and_b64 s[4:5], s[4:5], exec
                                        ; implicit-def: $vgpr3
	s_or_saveexec_b64 s[6:7], s[6:7]
	v_mov_b32_e32 v6, s10
	s_xor_b64 exec, exec, s[6:7]
	s_cbranch_execz .LBB15_2006
.LBB15_4056:
	v_cmp_ne_u16_e32 vcc, 0, v3
	s_andn2_b64 s[4:5], s[4:5], exec
	s_and_b64 s[8:9], vcc, exec
	v_mov_b32_e32 v6, 0
	s_or_b64 s[4:5], s[4:5], s[8:9]
	s_or_b64 exec, exec, s[6:7]
	s_and_saveexec_b64 s[6:7], s[4:5]
	s_cbranch_execnz .LBB15_2007
	s_branch .LBB15_2008
.LBB15_4057:
	s_movk_i32 s4, 0x80
	v_cmp_eq_u16_sdwa s[12:13], v8, s4 src0_sel:BYTE_3 src1_sel:DWORD
	s_mov_b64 s[4:5], -1
                                        ; implicit-def: $sgpr10
	s_and_saveexec_b64 s[8:9], s[12:13]
; %bb.4058:
	s_mov_b32 s10, 0x7f800001
	s_xor_b64 s[4:5], exec, -1
; %bb.4059:
	s_or_b64 exec, exec, s[8:9]
	s_and_b64 s[4:5], s[4:5], exec
	s_or_saveexec_b64 s[6:7], s[6:7]
	v_mov_b32_e32 v2, s10
	s_xor_b64 exec, exec, s[6:7]
	s_cbranch_execz .LBB15_2010
.LBB15_4060:
	v_mov_b32_e32 v2, 0
	v_cmp_ne_u16_sdwa s[8:9], v8, v2 src0_sel:BYTE_3 src1_sel:DWORD
	s_andn2_b64 s[4:5], s[4:5], exec
	s_and_b64 s[8:9], s[8:9], exec
	s_or_b64 s[4:5], s[4:5], s[8:9]
	s_or_b64 exec, exec, s[6:7]
	s_and_saveexec_b64 s[6:7], s[4:5]
	s_cbranch_execnz .LBB15_2011
	s_branch .LBB15_2012
.LBB15_4061:
	s_movk_i32 s4, 0x80
	v_cmp_eq_u16_sdwa s[12:13], v4, s4 src0_sel:BYTE_3 src1_sel:DWORD
	s_mov_b64 s[4:5], -1
                                        ; implicit-def: $sgpr10
	s_and_saveexec_b64 s[8:9], s[12:13]
; %bb.4062:
	s_mov_b32 s10, 0x7f800001
	s_xor_b64 s[4:5], exec, -1
; %bb.4063:
	s_or_b64 exec, exec, s[8:9]
	s_and_b64 s[4:5], s[4:5], exec
	s_or_saveexec_b64 s[6:7], s[6:7]
	v_mov_b32_e32 v3, s10
	s_xor_b64 exec, exec, s[6:7]
	s_cbranch_execz .LBB15_2014
.LBB15_4064:
	v_mov_b32_e32 v3, 0
	v_cmp_ne_u16_sdwa s[8:9], v4, v3 src0_sel:BYTE_3 src1_sel:DWORD
	s_andn2_b64 s[4:5], s[4:5], exec
	s_and_b64 s[8:9], s[8:9], exec
	s_or_b64 s[4:5], s[4:5], s[8:9]
	s_or_b64 exec, exec, s[6:7]
	s_and_saveexec_b64 s[6:7], s[4:5]
	s_cbranch_execnz .LBB15_2015
	s_branch .LBB15_2016
.LBB15_4065:
	s_movk_i32 s4, 0x80
	v_cmp_eq_u16_sdwa s[12:13], v9, s4 src0_sel:BYTE_0 src1_sel:DWORD
	s_mov_b64 s[4:5], -1
                                        ; implicit-def: $sgpr10
	s_and_saveexec_b64 s[8:9], s[12:13]
; %bb.4066:
	s_mov_b32 s10, 0x7f800001
	s_xor_b64 s[4:5], exec, -1
; %bb.4067:
	s_or_b64 exec, exec, s[8:9]
	s_and_b64 s[4:5], s[4:5], exec
	s_or_saveexec_b64 s[6:7], s[6:7]
	v_mov_b32_e32 v2, s10
	s_xor_b64 exec, exec, s[6:7]
	s_cbranch_execz .LBB15_2018
.LBB15_4068:
	v_mov_b32_e32 v2, 0
	v_cmp_ne_u16_sdwa s[8:9], v9, v2 src0_sel:BYTE_0 src1_sel:DWORD
	s_andn2_b64 s[4:5], s[4:5], exec
	s_and_b64 s[8:9], s[8:9], exec
	s_or_b64 s[4:5], s[4:5], s[8:9]
	s_or_b64 exec, exec, s[6:7]
	s_and_saveexec_b64 s[6:7], s[4:5]
	s_cbranch_execnz .LBB15_2019
	s_branch .LBB15_2020
.LBB15_4069:
	s_movk_i32 s4, 0x80
	v_cmp_eq_u16_sdwa s[12:13], v5, s4 src0_sel:BYTE_0 src1_sel:DWORD
	s_mov_b64 s[4:5], -1
                                        ; implicit-def: $sgpr10
	s_and_saveexec_b64 s[8:9], s[12:13]
; %bb.4070:
	s_mov_b32 s10, 0x7f800001
	s_xor_b64 s[4:5], exec, -1
; %bb.4071:
	s_or_b64 exec, exec, s[8:9]
	s_and_b64 s[4:5], s[4:5], exec
	s_or_saveexec_b64 s[6:7], s[6:7]
	v_mov_b32_e32 v3, s10
	s_xor_b64 exec, exec, s[6:7]
	s_cbranch_execz .LBB15_2022
.LBB15_4072:
	v_mov_b32_e32 v3, 0
	v_cmp_ne_u16_sdwa s[8:9], v5, v3 src0_sel:BYTE_0 src1_sel:DWORD
	s_andn2_b64 s[4:5], s[4:5], exec
	s_and_b64 s[8:9], s[8:9], exec
	s_or_b64 s[4:5], s[4:5], s[8:9]
	s_or_b64 exec, exec, s[6:7]
	s_and_saveexec_b64 s[6:7], s[4:5]
	s_cbranch_execnz .LBB15_2023
	s_branch .LBB15_2024
.LBB15_4073:
	s_movk_i32 s4, 0x80
	v_cmp_eq_u16_sdwa s[12:13], v3, s4 src0_sel:BYTE_0 src1_sel:DWORD
	s_mov_b64 s[4:5], -1
                                        ; implicit-def: $sgpr10
	s_and_saveexec_b64 s[8:9], s[12:13]
; %bb.4074:
	s_mov_b32 s10, 0x7f800001
	s_xor_b64 s[4:5], exec, -1
; %bb.4075:
	s_or_b64 exec, exec, s[8:9]
	s_and_b64 s[4:5], s[4:5], exec
	s_or_saveexec_b64 s[6:7], s[6:7]
	v_mov_b32_e32 v2, s10
	s_xor_b64 exec, exec, s[6:7]
	s_cbranch_execz .LBB15_2026
.LBB15_4076:
	v_mov_b32_e32 v2, 0
	v_cmp_ne_u16_sdwa s[8:9], v3, v2 src0_sel:BYTE_0 src1_sel:DWORD
	s_andn2_b64 s[4:5], s[4:5], exec
	s_and_b64 s[8:9], s[8:9], exec
	s_or_b64 s[4:5], s[4:5], s[8:9]
	s_or_b64 exec, exec, s[6:7]
	s_and_saveexec_b64 s[6:7], s[4:5]
	s_cbranch_execnz .LBB15_2027
	s_branch .LBB15_2028
.LBB15_4077:
	s_movk_i32 s4, 0x80
	v_cmp_eq_u16_sdwa s[12:13], v3, s4 src0_sel:BYTE_0 src1_sel:DWORD
	s_mov_b64 s[4:5], -1
                                        ; implicit-def: $sgpr10
	s_and_saveexec_b64 s[8:9], s[12:13]
; %bb.4078:
	s_mov_b32 s10, 0x7f800001
	s_xor_b64 s[4:5], exec, -1
; %bb.4079:
	s_or_b64 exec, exec, s[8:9]
	s_and_b64 s[4:5], s[4:5], exec
	s_or_saveexec_b64 s[6:7], s[6:7]
	v_mov_b32_e32 v4, s10
	s_xor_b64 exec, exec, s[6:7]
	s_cbranch_execz .LBB15_2030
.LBB15_4080:
	v_mov_b32_e32 v4, 0
	v_cmp_ne_u16_sdwa s[8:9], v3, v4 src0_sel:BYTE_0 src1_sel:DWORD
	s_andn2_b64 s[4:5], s[4:5], exec
	s_and_b64 s[8:9], s[8:9], exec
	s_or_b64 s[4:5], s[4:5], s[8:9]
	s_or_b64 exec, exec, s[6:7]
	s_and_saveexec_b64 s[6:7], s[4:5]
	s_cbranch_execnz .LBB15_2031
	s_branch .LBB15_2032
.LBB15_4081:
	s_movk_i32 s4, 0x80
	v_cmp_eq_u16_e32 vcc, s4, v3
	s_mov_b64 s[4:5], -1
                                        ; implicit-def: $sgpr10
	s_and_saveexec_b64 s[8:9], vcc
; %bb.4082:
	s_mov_b32 s10, 0x7f800001
	s_xor_b64 s[4:5], exec, -1
; %bb.4083:
	s_or_b64 exec, exec, s[8:9]
	s_and_b64 s[4:5], s[4:5], exec
                                        ; implicit-def: $vgpr3
	s_or_saveexec_b64 s[6:7], s[6:7]
	v_mov_b32_e32 v2, s10
	s_xor_b64 exec, exec, s[6:7]
	s_cbranch_execz .LBB15_2034
.LBB15_4084:
	v_cmp_ne_u16_e32 vcc, 0, v3
	s_andn2_b64 s[4:5], s[4:5], exec
	s_and_b64 s[8:9], vcc, exec
	v_mov_b32_e32 v2, 0
	s_or_b64 s[4:5], s[4:5], s[8:9]
	s_or_b64 exec, exec, s[6:7]
	s_and_saveexec_b64 s[6:7], s[4:5]
	s_cbranch_execnz .LBB15_2035
	s_branch .LBB15_2036
.LBB15_4085:
	s_movk_i32 s4, 0x80
	v_cmp_eq_u16_e32 vcc, s4, v3
	s_mov_b64 s[4:5], -1
                                        ; implicit-def: $sgpr10
	s_and_saveexec_b64 s[8:9], vcc
; %bb.4086:
	s_mov_b32 s10, 0x7f800001
	s_xor_b64 s[4:5], exec, -1
; %bb.4087:
	s_or_b64 exec, exec, s[8:9]
	s_and_b64 s[4:5], s[4:5], exec
                                        ; implicit-def: $vgpr3
	s_or_saveexec_b64 s[6:7], s[6:7]
	v_mov_b32_e32 v4, s10
	s_xor_b64 exec, exec, s[6:7]
	s_cbranch_execz .LBB15_2038
.LBB15_4088:
	v_cmp_ne_u16_e32 vcc, 0, v3
	s_andn2_b64 s[4:5], s[4:5], exec
	s_and_b64 s[8:9], vcc, exec
	v_mov_b32_e32 v4, 0
	s_or_b64 s[4:5], s[4:5], s[8:9]
	s_or_b64 exec, exec, s[6:7]
	s_and_saveexec_b64 s[6:7], s[4:5]
	s_cbranch_execnz .LBB15_2039
	s_branch .LBB15_2040
.LBB15_4089:
	s_movk_i32 s4, 0x80
	v_cmp_eq_u16_sdwa s[12:13], v9, s4 src0_sel:BYTE_3 src1_sel:DWORD
	s_mov_b64 s[4:5], -1
                                        ; implicit-def: $sgpr10
	s_and_saveexec_b64 s[8:9], s[12:13]
; %bb.4090:
	s_mov_b32 s10, 0x7f800001
	s_xor_b64 s[4:5], exec, -1
; %bb.4091:
	s_or_b64 exec, exec, s[8:9]
	s_and_b64 s[4:5], s[4:5], exec
	s_or_saveexec_b64 s[6:7], s[6:7]
	v_mov_b32_e32 v2, s10
	s_xor_b64 exec, exec, s[6:7]
	s_cbranch_execz .LBB15_2042
.LBB15_4092:
	v_mov_b32_e32 v2, 0
	v_cmp_ne_u16_sdwa s[8:9], v9, v2 src0_sel:BYTE_3 src1_sel:DWORD
	s_andn2_b64 s[4:5], s[4:5], exec
	s_and_b64 s[8:9], s[8:9], exec
	s_or_b64 s[4:5], s[4:5], s[8:9]
	s_or_b64 exec, exec, s[6:7]
	s_and_saveexec_b64 s[6:7], s[4:5]
	s_cbranch_execnz .LBB15_2043
	s_branch .LBB15_2044
.LBB15_4093:
	s_movk_i32 s4, 0x80
	v_cmp_eq_u16_sdwa s[12:13], v5, s4 src0_sel:BYTE_3 src1_sel:DWORD
	s_mov_b64 s[4:5], -1
                                        ; implicit-def: $sgpr10
	s_and_saveexec_b64 s[8:9], s[12:13]
; %bb.4094:
	s_mov_b32 s10, 0x7f800001
	s_xor_b64 s[4:5], exec, -1
; %bb.4095:
	s_or_b64 exec, exec, s[8:9]
	s_and_b64 s[4:5], s[4:5], exec
	s_or_saveexec_b64 s[6:7], s[6:7]
	v_mov_b32_e32 v3, s10
	s_xor_b64 exec, exec, s[6:7]
	s_cbranch_execz .LBB15_2046
.LBB15_4096:
	v_mov_b32_e32 v3, 0
	v_cmp_ne_u16_sdwa s[8:9], v5, v3 src0_sel:BYTE_3 src1_sel:DWORD
	s_andn2_b64 s[4:5], s[4:5], exec
	s_and_b64 s[8:9], s[8:9], exec
	s_or_b64 s[4:5], s[4:5], s[8:9]
	s_or_b64 exec, exec, s[6:7]
	s_and_saveexec_b64 s[6:7], s[4:5]
	s_cbranch_execnz .LBB15_2047
	s_branch .LBB15_2048
.Lfunc_end15:
	.size	_ZNK2ck6detail7applierIiJLi0ELi1ELi2ELi3ELi4ELi5ELi6ELi7ELi8ELi9ELi10ELi11ELi12ELi13ELi14ELi15EEEclIZNKS_11static_fordINS_8SequenceIJLi4ELi4EEEENS5_IJLi0ELi1EEEEEclIZZZZNKS_31BlockwiseGemmXdlops_pipeline_v2ILNS_26BlockGemmPipelineSchedulerE1ELi256ENS_9f8_fnuz_tENS_7pk_i4_tESC_fNS_16TensorDescriptorINS_5TupleIJNS_5EmbedINSF_IJNS_17integral_constantIiLi8EEENSH_IiLi128EEENSH_IiLi16EEEEEENSF_IJSK_SJ_NSH_IiLi1EEEEEELb0EEENS_3XorINSF_IJSJ_SI_EEELb1EEENS_11PassThroughISK_EENS_7UnMergeINSF_IJSI_SM_EEELb0EEENSS_ISJ_EEST_NSS_ISI_EENS_21Merge_v3_division_modINSF_IJSJ_SM_EEEEEST_EEENSF_IJNS5_IJLi0EEEENS5_IJLi2ELi1EEEENS5_IJLi3EEEENS5_IJLi5EEEENS5_IJLi4EEEENS5_IJLi6EEEENS5_IJLi7EEEENS5_IJLi9ELi8EEEENS5_IJLi10EEEEEEENSF_IJNS5_IJLi1ELi2ELi3EEEENS5_IJLi4ELi5EEEES18_NS5_IJLi7ELi8EEEENS5_IJLi9EEEES1B_NS5_IJLi11EEEENS5_IJLi12EEEENS5_IJLi13EEEEEEENS5_IJLi11ELi12ELi13EEEENSH_IlLl16384EEEEENSE_INSF_IJNSG_INSF_IJSK_NSH_IiLi64EEESK_EEENSF_IJSK_NSH_IiLi256EEESM_EEELb0EEENSP_INSF_IJS1O_SK_EEELb1EEEST_NSU_INSF_IJSI_NSH_IiLi2EEEEEELb0EEENSS_IS1O_EEST_SY_NSZ_INSF_IJS1O_S1V_EEEEEST_EEES1C_S1K_S1L_S1M_EENSE_INSF_IJSO_SR_ST_SW_SX_ST_SY_S11_ST_NSZ_INSF_IJSI_SK_EEEEENSU_INSF_IJNSH_IiLi4EEES1V_SK_EEELb0EEEEEENSF_IJS13_S14_S15_S16_S17_S18_S19_S1A_S1B_NS5_IJLi11ELi13EEEES1I_EEENSF_IJS1D_S1E_S18_S1F_S1G_S1B_S1H_S1I_S1J_NS5_IJLi14EEEENS5_IJLi15ELi16ELi17EEEEEEENS5_IJLi15ELi16ELi17ELi14EEEES1M_EENSE_INSF_IJS1S_S1U_ST_S1X_S1Y_ST_SY_S20_ST_S24_S27_EEES2A_S2D_S2E_S1M_EELi16ELi16ELi128ELi128ELi128ELi16ELi16ELi4ELi4ELi16ELb0EE3RunILb1ELNS_10TailNumberE10ENSE_INSF_IJNSG_INSF_IJiiEEENSF_IJiSM_EEELb0EEENSU_IS2L_Lb0EEENSS_IiEEEEENSF_IJS13_NS5_IJLi2EEEENS5_IJLi1EEEEEEENSF_IJNS5_IJLi1ELi2EEEENS5_IJLi3ELi4EEEES16_EEENS5_IJLi3ELi5ELi4EEEElEES1N_NS_35ThreadGroupTensorSliceTransfer_v4r1INS_15ThisThreadBlockILi256EEENS_16tensor_operation12element_wise11PassThroughES34_LNS_25InMemoryDataOperationEnumE0ENS5_IJLi8ELi128ELi16EEEENS5_IJLi8ELi32ELi1EEEENS5_IJLi1ELi0ELi2EEEESC_SC_RKS2Y_KS1N_S38_NS5_IJLi0ELi1ELi2EEEELi2ELi2ELi16ELi16ELi1ELi1ELb0ELb1ELi2EiEENS_13DynamicBufferILNS_16AddressSpaceEnumE1EKSC_lLb1ELNS_22AmdBufferCoherenceEnumE0EiEENS3E_ILS3F_2ESC_S1M_Lb1ELS3H_0EiEENSF_IJiiiEEENSE_INSF_IJNSU_INSF_IJiiiiEEELb0EEENS_23Merge_v2_magic_divisionIS2L_EENSS_INSF_IJiEEEEES2P_EEENSF_IJS13_NS5_IJLi1ELi3EEEES2R_S17_EEENSF_IJNS5_IJLi1ELi2ELi3ELi4EEEES16_S18_S19_EEENS5_IJLi5ELi6ELi7EEEElEES22_NS2Z_IS31_S34_S34_LS35_0ES36_NS5_IJLi4ELi64ELi1EEEES38_SD_SD_RKS3X_KS22_S38_S3C_Li2ELi2ELi16ELi16ELi1ELi1ELb0ELb1ELi2EiEENS3E_ILS3F_1EKSD_lLb1ELS3H_0EiEENS3E_ILS3F_2ESD_S1M_Lb1ELS3H_0EiEES3K_NS_25StaticBufferTupleOfVectorILS3F_4EfLi16ELi4ELb1ELb0EEEEEvRKT1_RKT2_RT3_RKT4_RT5_RKT6_RKT7_RKT8_RT9_RKT10_RT11_RKT12_RT13_iENKUlT_E1_clIS1V_EEDaS56_ENKUlS56_E0_clINSH_IiLi0EEEEEDaS56_ENKUlS56_E1_clISK_EEDaS56_EUlS56_E_EEvS56_EUlS56_E_EEvS56_, .Lfunc_end15-_ZNK2ck6detail7applierIiJLi0ELi1ELi2ELi3ELi4ELi5ELi6ELi7ELi8ELi9ELi10ELi11ELi12ELi13ELi14ELi15EEEclIZNKS_11static_fordINS_8SequenceIJLi4ELi4EEEENS5_IJLi0ELi1EEEEEclIZZZZNKS_31BlockwiseGemmXdlops_pipeline_v2ILNS_26BlockGemmPipelineSchedulerE1ELi256ENS_9f8_fnuz_tENS_7pk_i4_tESC_fNS_16TensorDescriptorINS_5TupleIJNS_5EmbedINSF_IJNS_17integral_constantIiLi8EEENSH_IiLi128EEENSH_IiLi16EEEEEENSF_IJSK_SJ_NSH_IiLi1EEEEEELb0EEENS_3XorINSF_IJSJ_SI_EEELb1EEENS_11PassThroughISK_EENS_7UnMergeINSF_IJSI_SM_EEELb0EEENSS_ISJ_EEST_NSS_ISI_EENS_21Merge_v3_division_modINSF_IJSJ_SM_EEEEEST_EEENSF_IJNS5_IJLi0EEEENS5_IJLi2ELi1EEEENS5_IJLi3EEEENS5_IJLi5EEEENS5_IJLi4EEEENS5_IJLi6EEEENS5_IJLi7EEEENS5_IJLi9ELi8EEEENS5_IJLi10EEEEEEENSF_IJNS5_IJLi1ELi2ELi3EEEENS5_IJLi4ELi5EEEES18_NS5_IJLi7ELi8EEEENS5_IJLi9EEEES1B_NS5_IJLi11EEEENS5_IJLi12EEEENS5_IJLi13EEEEEEENS5_IJLi11ELi12ELi13EEEENSH_IlLl16384EEEEENSE_INSF_IJNSG_INSF_IJSK_NSH_IiLi64EEESK_EEENSF_IJSK_NSH_IiLi256EEESM_EEELb0EEENSP_INSF_IJS1O_SK_EEELb1EEEST_NSU_INSF_IJSI_NSH_IiLi2EEEEEELb0EEENSS_IS1O_EEST_SY_NSZ_INSF_IJS1O_S1V_EEEEEST_EEES1C_S1K_S1L_S1M_EENSE_INSF_IJSO_SR_ST_SW_SX_ST_SY_S11_ST_NSZ_INSF_IJSI_SK_EEEEENSU_INSF_IJNSH_IiLi4EEES1V_SK_EEELb0EEEEEENSF_IJS13_S14_S15_S16_S17_S18_S19_S1A_S1B_NS5_IJLi11ELi13EEEES1I_EEENSF_IJS1D_S1E_S18_S1F_S1G_S1B_S1H_S1I_S1J_NS5_IJLi14EEEENS5_IJLi15ELi16ELi17EEEEEEENS5_IJLi15ELi16ELi17ELi14EEEES1M_EENSE_INSF_IJS1S_S1U_ST_S1X_S1Y_ST_SY_S20_ST_S24_S27_EEES2A_S2D_S2E_S1M_EELi16ELi16ELi128ELi128ELi128ELi16ELi16ELi4ELi4ELi16ELb0EE3RunILb1ELNS_10TailNumberE10ENSE_INSF_IJNSG_INSF_IJiiEEENSF_IJiSM_EEELb0EEENSU_IS2L_Lb0EEENSS_IiEEEEENSF_IJS13_NS5_IJLi2EEEENS5_IJLi1EEEEEEENSF_IJNS5_IJLi1ELi2EEEENS5_IJLi3ELi4EEEES16_EEENS5_IJLi3ELi5ELi4EEEElEES1N_NS_35ThreadGroupTensorSliceTransfer_v4r1INS_15ThisThreadBlockILi256EEENS_16tensor_operation12element_wise11PassThroughES34_LNS_25InMemoryDataOperationEnumE0ENS5_IJLi8ELi128ELi16EEEENS5_IJLi8ELi32ELi1EEEENS5_IJLi1ELi0ELi2EEEESC_SC_RKS2Y_KS1N_S38_NS5_IJLi0ELi1ELi2EEEELi2ELi2ELi16ELi16ELi1ELi1ELb0ELb1ELi2EiEENS_13DynamicBufferILNS_16AddressSpaceEnumE1EKSC_lLb1ELNS_22AmdBufferCoherenceEnumE0EiEENS3E_ILS3F_2ESC_S1M_Lb1ELS3H_0EiEENSF_IJiiiEEENSE_INSF_IJNSU_INSF_IJiiiiEEELb0EEENS_23Merge_v2_magic_divisionIS2L_EENSS_INSF_IJiEEEEES2P_EEENSF_IJS13_NS5_IJLi1ELi3EEEES2R_S17_EEENSF_IJNS5_IJLi1ELi2ELi3ELi4EEEES16_S18_S19_EEENS5_IJLi5ELi6ELi7EEEElEES22_NS2Z_IS31_S34_S34_LS35_0ES36_NS5_IJLi4ELi64ELi1EEEES38_SD_SD_RKS3X_KS22_S38_S3C_Li2ELi2ELi16ELi16ELi1ELi1ELb0ELb1ELi2EiEENS3E_ILS3F_1EKSD_lLb1ELS3H_0EiEENS3E_ILS3F_2ESD_S1M_Lb1ELS3H_0EiEES3K_NS_25StaticBufferTupleOfVectorILS3F_4EfLi16ELi4ELb1ELb0EEEEEvRKT1_RKT2_RT3_RKT4_RT5_RKT6_RKT7_RKT8_RT9_RKT10_RT11_RKT12_RT13_iENKUlT_E1_clIS1V_EEDaS56_ENKUlS56_E0_clINSH_IiLi0EEEEEDaS56_ENKUlS56_E1_clISK_EEDaS56_EUlS56_E_EEvS56_EUlS56_E_EEvS56_
                                        ; -- End function
	.section	.AMDGPU.csdata,"",@progbits
; Function info:
; codeLenInByte = 134352
; NumSgprs: 36
; NumVgprs: 18
; NumAgprs: 4
; TotalNumVgprs: 24
; ScratchSize: 0
; MemoryBound: 1
	.section	.text._ZN2ck27kernel_gemm_xdl_cshuffle_v3INS_28GridwiseGemm_xdl_cshuffle_v3INS_13tensor_layout4gemm8RowMajorENS3_11ColumnMajorES4_NS_9f8_fnuz_tENS_7pk_i4_tEfDF16_DF16_NS_16tensor_operation12element_wise11PassThroughESA_SA_LNS8_6device18GemmSpecializationE0ELi256ELi128ELi128ELi128ELi16ELi16ELi16ELi16ELi4ELi4ENS_8SequenceIJLi8ELi32ELi1EEEENSD_IJLi1ELi0ELi2EEEESF_Li2ELi16ELi16ELb0ELi0ENSD_IJLi4ELi64ELi1EEEESF_SF_Li2ELi16ELi16ELb0ELi0ELi1ELi1ENSD_IJLi1ELi32ELi1ELi8EEEELi4ELNS_26BlockGemmPipelineSchedulerE1ELNS_24BlockGemmPipelineVersionE1ES6_S6_Lb0ELb1ELb0ELi0ELb0EEELb1ELNS_25InMemoryDataOperationEnumE1ELi2ELNS_10TailNumberE10EEEvNT_8ArgumentE,"axG",@progbits,_ZN2ck27kernel_gemm_xdl_cshuffle_v3INS_28GridwiseGemm_xdl_cshuffle_v3INS_13tensor_layout4gemm8RowMajorENS3_11ColumnMajorES4_NS_9f8_fnuz_tENS_7pk_i4_tEfDF16_DF16_NS_16tensor_operation12element_wise11PassThroughESA_SA_LNS8_6device18GemmSpecializationE0ELi256ELi128ELi128ELi128ELi16ELi16ELi16ELi16ELi4ELi4ENS_8SequenceIJLi8ELi32ELi1EEEENSD_IJLi1ELi0ELi2EEEESF_Li2ELi16ELi16ELb0ELi0ENSD_IJLi4ELi64ELi1EEEESF_SF_Li2ELi16ELi16ELb0ELi0ELi1ELi1ENSD_IJLi1ELi32ELi1ELi8EEEELi4ELNS_26BlockGemmPipelineSchedulerE1ELNS_24BlockGemmPipelineVersionE1ES6_S6_Lb0ELb1ELb0ELi0ELb0EEELb1ELNS_25InMemoryDataOperationEnumE1ELi2ELNS_10TailNumberE10EEEvNT_8ArgumentE,comdat
	.protected	_ZN2ck27kernel_gemm_xdl_cshuffle_v3INS_28GridwiseGemm_xdl_cshuffle_v3INS_13tensor_layout4gemm8RowMajorENS3_11ColumnMajorES4_NS_9f8_fnuz_tENS_7pk_i4_tEfDF16_DF16_NS_16tensor_operation12element_wise11PassThroughESA_SA_LNS8_6device18GemmSpecializationE0ELi256ELi128ELi128ELi128ELi16ELi16ELi16ELi16ELi4ELi4ENS_8SequenceIJLi8ELi32ELi1EEEENSD_IJLi1ELi0ELi2EEEESF_Li2ELi16ELi16ELb0ELi0ENSD_IJLi4ELi64ELi1EEEESF_SF_Li2ELi16ELi16ELb0ELi0ELi1ELi1ENSD_IJLi1ELi32ELi1ELi8EEEELi4ELNS_26BlockGemmPipelineSchedulerE1ELNS_24BlockGemmPipelineVersionE1ES6_S6_Lb0ELb1ELb0ELi0ELb0EEELb1ELNS_25InMemoryDataOperationEnumE1ELi2ELNS_10TailNumberE10EEEvNT_8ArgumentE ; -- Begin function _ZN2ck27kernel_gemm_xdl_cshuffle_v3INS_28GridwiseGemm_xdl_cshuffle_v3INS_13tensor_layout4gemm8RowMajorENS3_11ColumnMajorES4_NS_9f8_fnuz_tENS_7pk_i4_tEfDF16_DF16_NS_16tensor_operation12element_wise11PassThroughESA_SA_LNS8_6device18GemmSpecializationE0ELi256ELi128ELi128ELi128ELi16ELi16ELi16ELi16ELi4ELi4ENS_8SequenceIJLi8ELi32ELi1EEEENSD_IJLi1ELi0ELi2EEEESF_Li2ELi16ELi16ELb0ELi0ENSD_IJLi4ELi64ELi1EEEESF_SF_Li2ELi16ELi16ELb0ELi0ELi1ELi1ENSD_IJLi1ELi32ELi1ELi8EEEELi4ELNS_26BlockGemmPipelineSchedulerE1ELNS_24BlockGemmPipelineVersionE1ES6_S6_Lb0ELb1ELb0ELi0ELb0EEELb1ELNS_25InMemoryDataOperationEnumE1ELi2ELNS_10TailNumberE10EEEvNT_8ArgumentE
	.globl	_ZN2ck27kernel_gemm_xdl_cshuffle_v3INS_28GridwiseGemm_xdl_cshuffle_v3INS_13tensor_layout4gemm8RowMajorENS3_11ColumnMajorES4_NS_9f8_fnuz_tENS_7pk_i4_tEfDF16_DF16_NS_16tensor_operation12element_wise11PassThroughESA_SA_LNS8_6device18GemmSpecializationE0ELi256ELi128ELi128ELi128ELi16ELi16ELi16ELi16ELi4ELi4ENS_8SequenceIJLi8ELi32ELi1EEEENSD_IJLi1ELi0ELi2EEEESF_Li2ELi16ELi16ELb0ELi0ENSD_IJLi4ELi64ELi1EEEESF_SF_Li2ELi16ELi16ELb0ELi0ELi1ELi1ENSD_IJLi1ELi32ELi1ELi8EEEELi4ELNS_26BlockGemmPipelineSchedulerE1ELNS_24BlockGemmPipelineVersionE1ES6_S6_Lb0ELb1ELb0ELi0ELb0EEELb1ELNS_25InMemoryDataOperationEnumE1ELi2ELNS_10TailNumberE10EEEvNT_8ArgumentE
	.p2align	8
	.type	_ZN2ck27kernel_gemm_xdl_cshuffle_v3INS_28GridwiseGemm_xdl_cshuffle_v3INS_13tensor_layout4gemm8RowMajorENS3_11ColumnMajorES4_NS_9f8_fnuz_tENS_7pk_i4_tEfDF16_DF16_NS_16tensor_operation12element_wise11PassThroughESA_SA_LNS8_6device18GemmSpecializationE0ELi256ELi128ELi128ELi128ELi16ELi16ELi16ELi16ELi4ELi4ENS_8SequenceIJLi8ELi32ELi1EEEENSD_IJLi1ELi0ELi2EEEESF_Li2ELi16ELi16ELb0ELi0ENSD_IJLi4ELi64ELi1EEEESF_SF_Li2ELi16ELi16ELb0ELi0ELi1ELi1ENSD_IJLi1ELi32ELi1ELi8EEEELi4ELNS_26BlockGemmPipelineSchedulerE1ELNS_24BlockGemmPipelineVersionE1ES6_S6_Lb0ELb1ELb0ELi0ELb0EEELb1ELNS_25InMemoryDataOperationEnumE1ELi2ELNS_10TailNumberE10EEEvNT_8ArgumentE,@function
_ZN2ck27kernel_gemm_xdl_cshuffle_v3INS_28GridwiseGemm_xdl_cshuffle_v3INS_13tensor_layout4gemm8RowMajorENS3_11ColumnMajorES4_NS_9f8_fnuz_tENS_7pk_i4_tEfDF16_DF16_NS_16tensor_operation12element_wise11PassThroughESA_SA_LNS8_6device18GemmSpecializationE0ELi256ELi128ELi128ELi128ELi16ELi16ELi16ELi16ELi4ELi4ENS_8SequenceIJLi8ELi32ELi1EEEENSD_IJLi1ELi0ELi2EEEESF_Li2ELi16ELi16ELb0ELi0ENSD_IJLi4ELi64ELi1EEEESF_SF_Li2ELi16ELi16ELb0ELi0ELi1ELi1ENSD_IJLi1ELi32ELi1ELi8EEEELi4ELNS_26BlockGemmPipelineSchedulerE1ELNS_24BlockGemmPipelineVersionE1ES6_S6_Lb0ELb1ELb0ELi0ELb0EEELb1ELNS_25InMemoryDataOperationEnumE1ELi2ELNS_10TailNumberE10EEEvNT_8ArgumentE: ; @_ZN2ck27kernel_gemm_xdl_cshuffle_v3INS_28GridwiseGemm_xdl_cshuffle_v3INS_13tensor_layout4gemm8RowMajorENS3_11ColumnMajorES4_NS_9f8_fnuz_tENS_7pk_i4_tEfDF16_DF16_NS_16tensor_operation12element_wise11PassThroughESA_SA_LNS8_6device18GemmSpecializationE0ELi256ELi128ELi128ELi128ELi16ELi16ELi16ELi16ELi4ELi4ENS_8SequenceIJLi8ELi32ELi1EEEENSD_IJLi1ELi0ELi2EEEESF_Li2ELi16ELi16ELb0ELi0ENSD_IJLi4ELi64ELi1EEEESF_SF_Li2ELi16ELi16ELb0ELi0ELi1ELi1ENSD_IJLi1ELi32ELi1ELi8EEEELi4ELNS_26BlockGemmPipelineSchedulerE1ELNS_24BlockGemmPipelineVersionE1ES6_S6_Lb0ELb1ELb0ELi0ELb0EEELb1ELNS_25InMemoryDataOperationEnumE1ELi2ELNS_10TailNumberE10EEEvNT_8ArgumentE
; %bb.0:
	s_add_u32 flat_scratch_lo, s6, s10
	s_addc_u32 flat_scratch_hi, s7, 0
	s_add_u32 s0, s0, s10
	s_load_dwordx8 s[16:23], s[4:5], 0x10
	s_load_dword s10, s[4:5], 0x68
	s_load_dwordx2 s[28:29], s[4:5], 0x60
	s_load_dwordx4 s[12:15], s[4:5], 0x50
	s_addc_u32 s1, s1, 0
	s_waitcnt lgkmcnt(0)
	s_cmp_gt_i32 s22, 1
	s_cselect_b64 s[6:7], -1, 0
	s_bitcmp1_b32 s10, 0
	s_cselect_b64 s[10:11], -1, 0
	s_and_b64 s[6:7], s[6:7], s[10:11]
	v_mov_b32_e32 v18, v0
	s_andn2_b64 vcc, exec, s[6:7]
	s_mov_b64 s[34:35], 0
	s_mov_b32 s32, 0x9000
	s_cbranch_vccnz .LBB16_2
; %bb.1:
	s_mul_i32 s6, s16, s9
	s_mul_i32 s34, s6, s17
	s_ashr_i32 s35, s34, 31
.LBB16_2:
	s_load_dword s7, s[4:5], 0x34
	s_load_dword s6, s[4:5], 0x3c
	s_add_i32 s4, s16, -1
	s_cmpk_lt_u32 s4, 0x80
	s_mov_b32 s23, 0
	s_cbranch_scc1 .LBB16_6
; %bb.3:
	s_add_i32 s4, s17, -1
	s_cmpk_lt_u32 s4, 0x80
	s_mov_b32 s4, 0
	s_cbranch_scc1 .LBB16_10
; %bb.4:
	s_add_i32 s4, s16, 0x7f
	s_ashr_i32 s5, s4, 31
	s_lshr_b32 s5, s5, 25
	s_add_i32 s4, s4, s5
	s_ashr_i32 s11, s4, 7
	s_add_i32 s4, s17, 0x7f
	s_ashr_i32 s5, s4, 31
	s_lshr_b32 s5, s5, 25
	s_add_i32 s4, s4, s5
	s_ashr_i32 s10, s4, 7
	s_mul_i32 s4, s10, s11
	s_add_i32 s5, s4, 7
	s_ashr_i32 s24, s5, 31
	s_lshr_b32 s24, s24, 29
	s_add_i32 s5, s5, s24
	s_ashr_i32 s24, s5, 3
	s_and_b32 s5, s5, -8
	s_sub_i32 s25, s4, s5
	s_ashr_i32 s4, s8, 31
	s_lshr_b32 s4, s4, 29
	s_add_i32 s27, s8, s4
	s_and_b32 s4, s27, -8
	s_add_i32 s25, s25, 8
	s_sub_i32 s26, s8, s4
	s_cmp_gt_i32 s26, s25
	s_cbranch_scc1 .LBB16_7
; %bb.5:
	s_mul_i32 s8, s24, s26
	s_ashr_i32 s4, s27, 3
	s_cbranch_execz .LBB16_8
	s_branch .LBB16_9
.LBB16_6:
	s_mov_b32 s11, 0
	s_branch .LBB16_11
.LBB16_7:
                                        ; implicit-def: $sgpr8
	s_ashr_i32 s4, s27, 3
.LBB16_8:
	s_add_i32 s5, s24, -1
	s_mul_i32 s5, s5, s26
	s_add_i32 s8, s25, s5
.LBB16_9:
	s_abs_i32 s5, s10
	v_cvt_f32_u32_e32 v0, s5
	s_sub_i32 s25, 0, s5
	s_add_i32 s4, s8, s4
	s_abs_i32 s24, s4
	v_rcp_iflag_f32_e32 v0, v0
	s_xor_b32 s8, s4, s10
	s_ashr_i32 s8, s8, 31
	v_mul_f32_e32 v0, 0x4f7ffffe, v0
	v_cvt_u32_f32_e32 v0, v0
	v_readfirstlane_b32 s26, v0
	s_mul_i32 s25, s25, s26
	s_mul_hi_u32 s25, s26, s25
	s_add_i32 s26, s26, s25
	s_mul_hi_u32 s25, s24, s26
	s_mul_i32 s26, s25, s5
	s_sub_i32 s24, s24, s26
	s_add_i32 s27, s25, 1
	s_sub_i32 s26, s24, s5
	s_cmp_ge_u32 s24, s5
	s_cselect_b32 s25, s27, s25
	s_cselect_b32 s24, s26, s24
	s_add_i32 s26, s25, 1
	s_cmp_ge_u32 s24, s5
	s_cselect_b32 s5, s26, s25
	s_xor_b32 s5, s5, s8
	s_lshr_b32 s24, s11, 30
	s_sub_i32 s5, s5, s8
	s_add_i32 s24, s11, s24
	s_mul_i32 s8, s5, s10
	s_sub_i32 s4, s4, s8
	s_and_b32 s8, s24, -4
	s_sub_i32 s11, s11, s8
	s_cmp_ge_i32 s5, s8
	s_cselect_b32 s8, s11, 4
	s_abs_i32 s24, s8
	v_cvt_f32_u32_e32 v0, s24
	s_ashr_i32 s11, s5, 31
	s_lshr_b32 s11, s11, 30
	s_add_i32 s11, s5, s11
	v_rcp_iflag_f32_e32 v0, v0
	s_and_b32 s11, s11, -4
	s_sub_i32 s11, s5, s11
	s_sub_i32 s26, 0, s24
	v_mul_f32_e32 v0, 0x4f7ffffe, v0
	v_cvt_u32_f32_e32 v0, v0
	s_mul_i32 s10, s11, s10
	s_add_i32 s10, s10, s4
	s_abs_i32 s25, s10
	v_readfirstlane_b32 s27, v0
	s_mul_i32 s26, s26, s27
	s_mul_hi_u32 s26, s27, s26
	s_add_i32 s27, s27, s26
	s_mul_hi_u32 s26, s25, s27
	s_mul_i32 s27, s26, s24
	s_xor_b32 s4, s10, s8
	s_sub_i32 s25, s25, s27
	s_ashr_i32 s4, s4, 31
	s_add_i32 s27, s26, 1
	s_sub_i32 s30, s25, s24
	s_cmp_ge_u32 s25, s24
	s_cselect_b32 s26, s27, s26
	s_cselect_b32 s25, s30, s25
	s_add_i32 s27, s26, 1
	s_cmp_ge_u32 s25, s24
	s_cselect_b32 s24, s27, s26
	s_xor_b32 s24, s24, s4
	s_sub_i32 s4, s24, s4
	s_mul_i32 s8, s4, s8
	s_sub_i32 s8, s10, s8
	s_add_i32 s8, s8, s5
	s_sub_i32 s8, s8, s11
.LBB16_10:
	s_mov_b32 s11, s8
	s_mov_b32 s8, s4
.LBB16_11:
	s_waitcnt lgkmcnt(0)
	s_mul_i32 s4, s7, s9
	s_mul_i32 s5, s4, s17
	s_lshr_b32 s5, s5, 1
	s_ashr_i32 s10, s4, 31
	s_add_u32 s24, s12, s4
	s_addc_u32 s25, s13, s10
	s_add_u32 s36, s14, s5
	s_addc_u32 s37, s15, 0
	s_add_u32 s42, 0, 0
	s_addc_u32 s43, s16, -1
	s_ashr_i32 s4, s20, 31
	s_lshr_b32 s4, s4, 25
	s_add_i32 s10, s22, -1
	s_add_i32 s4, s20, s4
	s_mul_i32 s12, s10, s7
	s_ashr_i32 s4, s4, 7
	s_lshl_b32 s44, s17, 7
	s_sub_i32 s12, s18, s12
	s_cmp_lt_u32 s9, s10
	v_lshrrev_b32_e32 v3, 1, v18
	s_cselect_b32 s7, s7, s12
	s_lshl_b32 s9, s11, 7
	v_and_b32_e32 v37, 7, v18
	v_and_b32_e32 v5, 0x7c, v3
	;; [unrolled: 1-line block ×3, first 2 shown]
	v_add_u32_e32 v1, s9, v5
	v_xor_b32_e32 v4, v32, v37
	v_lshlrev_b32_e32 v5, 7, v5
	s_mov_b64 s[14:15], src_private_base
	v_lshl_or_b32 v33, v4, 4, v5
	v_lshlrev_b32_e32 v5, 1, v18
	s_lshl_b32 s14, s8, 7
	v_and_b32_e32 v38, 6, v5
	v_and_b32_e32 v6, 0x7e, v3
	v_add_u32_e32 v6, s14, v6
	v_lshlrev_b32_e32 v7, 4, v38
	v_lshl_or_b32 v24, v6, 7, v7
	v_lshrrev_b32_e32 v6, 2, v18
	v_lshlrev_b32_e32 v34, 1, v38
	v_bfe_u32 v35, v18, 2, 4
	v_xor_b32_e32 v36, v34, v35
	v_lshlrev_b32_e32 v7, 8, v6
	v_lshl_or_b32 v39, v36, 4, v7
	v_and_b32_e32 v7, 63, v18
	v_and_b32_e32 v8, 48, v18
	v_sub_u32_e32 v7, v7, v8
	v_and_b32_e32 v72, 16, v6
	v_add_u32_e32 v44, v72, v7
	v_lshrrev_b16_e32 v6, 7, v44
	v_lshrrev_b32_e32 v19, 3, v18
	v_and_b32_e32 v6, 1, v6
	v_and_b32_e32 v8, 0x60, v5
	;; [unrolled: 1-line block ×3, first 2 shown]
	v_add_u16_e32 v6, v44, v6
	v_mov_b32_e32 v45, 1
	v_mov_b32_e32 v50, 11
	v_add_u32_e32 v40, v7, v5
	v_ashrrev_i16_sdwa v46, v45, sext(v6) dst_sel:DWORD dst_unused:UNUSED_PAD src0_sel:DWORD src1_sel:BYTE_0
	v_and_b32_e32 v7, 0xfe, v6
	v_lshrrev_b16_sdwa v6, v50, sext(v6) dst_sel:DWORD dst_unused:UNUSED_PAD src0_sel:DWORD src1_sel:BYTE_0
	v_and_b32_e32 v6, 15, v6
	v_add_u16_e32 v6, v46, v6
	s_mul_i32 s5, s43, s19
	v_lshlrev_b32_e32 v0, 4, v37
	v_mul_lo_u32 v2, v1, s19
	v_and_b32_e32 v6, 0xf0, v6
	v_mov_b32_e32 v48, 0
	v_add_u32_e32 v74, v2, v0
	v_sub_u16_e32 v7, v44, v7
	v_lshrrev_b32_e32 v47, 3, v8
	v_sub_u16_e32 v51, v46, v6
	v_mov_b32_e32 v6, 8
	buffer_store_dword v48, off, s[0:3], 0 offset:556
	buffer_store_dword v48, off, s[0:3], 0 offset:552
	;; [unrolled: 1-line block ×128, first 2 shown]
	s_add_i32 s26, s7, s5
	s_mov_b32 s27, 0x20000
	v_lshrrev_b32_e32 v41, 4, v8
	v_add_u32_sdwa v49, v47, sext(v7) dst_sel:DWORD dst_unused:UNUSED_PAD src0_sel:DWORD src1_sel:BYTE_0
	v_lshlrev_b32_sdwa v58, v6, sext(v46) dst_sel:DWORD dst_unused:UNUSED_PAD src0_sel:DWORD src1_sel:WORD_0
	v_add_u32_e32 v14, s19, v74
	buffer_load_dwordx4 v[6:9], v74, s[24:27], 0 offen
	buffer_load_dwordx4 v[10:13], v14, s[24:27], 0 offen
	v_add_u32_e32 v25, s19, v14
	v_add_u32_e32 v52, s19, v25
	buffer_load_dwordx4 v[14:17], v25, s[24:27], 0 offen
	buffer_load_dwordx4 v[20:23], v52, s[24:27], 0 offen
	v_or_b32_e32 v25, 1, v38
	v_sub_u32_e32 v26, v25, v38
	v_lshlrev_b32_e32 v54, 4, v26
	v_ashrrev_i32_e32 v53, 1, v24
	v_add_u32_e32 v24, v24, v54
	v_sub_u32_e32 v25, v38, v25
	s_mul_i32 s4, s17, s4
	v_ashrrev_i32_e32 v55, 1, v24
	v_add_u32_e32 v24, 0x80, v24
	v_lshlrev_b32_e32 v61, 4, v25
	s_lshl_b32 s38, s4, 6
	s_mov_b32 s39, s27
	v_add_u32_e32 v62, v24, v61
	v_ashrrev_i32_e32 v60, 1, v24
	v_ashrrev_i32_e32 v63, 1, v62
	buffer_load_dwordx2 v[24:25], v53, s[36:39], 0 offen
	buffer_load_dwordx2 v[26:27], v55, s[36:39], 0 offen
	buffer_load_dwordx2 v[28:29], v60, s[36:39], 0 offen
	buffer_load_dwordx2 v[30:31], v63, s[36:39], 0 offen
	s_nop 0
	buffer_store_dword v48, off, s[0:3], 0 offset:308
	buffer_store_dword v48, off, s[0:3], 0 offset:304
	;; [unrolled: 1-line block ×64, first 2 shown]
	s_movk_i32 s5, 0xff00
	s_mul_i32 s4, s19, -3
	s_addk_i32 s4, 0x80
	v_add_u32_e32 v52, s4, v52
	s_add_i32 s4, s44, 0xffffff80
	v_add_u32_e32 v53, s4, v62
	v_lshrrev_b16_e32 v5, 13, v40
	v_add_u16_e32 v5, v40, v5
	v_and_b32_e32 v5, -8, v5
	v_sub_u16_e32 v42, v40, v5
	v_xor_b32_sdwa v43, v41, sext(v42) dst_sel:DWORD dst_unused:UNUSED_PAD src0_sel:DWORD src1_sel:WORD_0
	v_lshlrev_b32_e32 v5, 7, v40
	v_lshl_add_u32 v73, v43, 4, v5
	v_xor_b32_sdwa v56, v49, sext(v51) dst_sel:DWORD dst_unused:UNUSED_PAD src0_sel:DWORD src1_sel:BYTE_0
	v_lshlrev_b32_e32 v57, 4, v56
	v_add_u32_e32 v59, v57, v58
	v_or_b32_e32 v3, 3, v3
	v_xor_b32_e32 v3, v3, v18
	v_and_b32_e32 v3, 7, v3
	s_ashr_i32 s8, s6, 31
	s_lshr_b32 s8, s8, 29
	s_add_i32 s6, s6, s8
	s_movk_i32 s20, 0x130
	s_ashr_i32 s47, s6, 3
	s_mov_b32 s22, 44
	s_movk_i32 s33, 0xac
	s_mov_b32 s6, 41
	s_mov_b32 s8, 40
	v_mov_b32_e32 v75, 2
	s_mov_b32 s40, s15
	s_mov_b32 s41, s15
	s_movk_i32 s18, 0xff80
	v_or_b32_e32 v96, 16, v38
	s_mov_b32 s45, 0
	s_mov_b32 s46, s15
	s_add_i32 s47, s47, -2
	v_mov_b32_e32 v99, 2
	v_add3_u32 v100, v2, s19, v0
	s_movk_i32 s48, 0x190
	v_mov_b32_e32 v101, s15
	v_mov_b32_e32 v102, s8
	;; [unrolled: 1-line block ×11, first 2 shown]
	s_waitcnt vmcnt(62)
	ds_write_b128 v33, v[6:9]
	v_or_b32_e32 v6, 1, v32
	v_xor_b32_e32 v6, v6, v37
	v_or_b32_e32 v8, 2, v32
	v_sub_u32_e32 v7, v6, v4
	v_xor_b32_e32 v8, v8, v37
	v_lshlrev_b32_e32 v77, 4, v7
	v_sub_u32_e32 v6, v8, v6
	v_add_u32_e32 v94, 0x80, v77
	v_lshlrev_b32_e32 v78, 4, v6
	v_add_u32_e32 v7, v94, v33
	v_add_u32_e32 v95, 0x80, v78
	ds_write_b128 v7, v[10:13]
	v_add_u32_e32 v6, v95, v7
	v_or_b32_e32 v7, 3, v32
	v_xor_b32_e32 v7, v7, v37
	v_sub_u32_e32 v9, v7, v8
	v_lshlrev_b32_e32 v9, 4, v9
	v_sub_u32_e32 v7, v4, v7
	ds_write_b128 v6, v[14:17]
	v_add_u32_e32 v6, v9, v6
	v_lshlrev_b32_e32 v7, 4, v7
	ds_write_b128 v6, v[20:23] offset:128
	v_add3_u32 v48, v6, v7, s5
	v_and_b32_e32 v6, 0xff000000, v25
	v_and_b32_e32 v7, 0xff0000, v25
	v_or_b32_e32 v6, v7, v6
	v_and_b32_e32 v7, 0xff00, v25
	v_and_b32_e32 v9, 0xff, v25
	v_or3_b32 v25, v6, v7, v9
	v_lshrrev_b32_e32 v6, 1, v39
	ds_write_b64 v6, v[24:25] offset:16384
	v_or_b32_e32 v6, 1, v34
	v_xor_b32_e32 v6, v6, v35
	v_sub_u32_e32 v7, v6, v36
	v_lshlrev_b32_e32 v81, 4, v7
	v_and_b32_e32 v9, 0xff000000, v31
	v_and_b32_e32 v10, 0xff0000, v31
	v_add_u32_e32 v7, v81, v39
	v_or_b32_e32 v9, v10, v9
	v_and_b32_e32 v10, 0xff00, v31
	v_and_b32_e32 v11, 0xff, v31
	v_or3_b32 v31, v9, v10, v11
	v_ashrrev_i32_e32 v9, 1, v7
	ds_write_b64 v9, v[30:31] offset:16384
	v_or_b32_e32 v9, 3, v34
	v_xor_b32_e32 v9, v9, v35
	v_sub_u32_e32 v6, v9, v6
	v_lshlrev_b32_e32 v82, 4, v6
	v_add_u32_e32 v6, v7, v82
	v_and_b32_e32 v7, 0xff000000, v29
	v_and_b32_e32 v10, 0xff0000, v29
	v_or_b32_e32 v7, v7, v10
	v_and_b32_e32 v10, 0xff00, v29
	v_and_b32_e32 v11, 0xff, v29
	v_or3_b32 v29, v7, v10, v11
	v_ashrrev_i32_e32 v7, 1, v6
	ds_write_b64 v7, v[28:29] offset:16384
	v_or_b32_e32 v7, 2, v34
	v_xor_b32_e32 v7, v7, v35
	v_sub_u32_e32 v10, v7, v9
	v_lshlrev_b32_e32 v83, 4, v10
	v_and_b32_e32 v11, 0xff000000, v27
	v_and_b32_e32 v12, 0xff0000, v27
	v_add_u32_e32 v10, v6, v83
	v_or_b32_e32 v11, v11, v12
	v_and_b32_e32 v12, 0xff00, v27
	v_and_b32_e32 v13, 0xff, v27
	v_or3_b32 v27, v11, v12, v13
	v_ashrrev_i32_e32 v10, 1, v10
	v_sub_u32_e32 v9, v36, v9
	ds_write_b64 v10, v[26:27] offset:16384
	v_sub_u32_e32 v7, v36, v7
	v_lshl_add_u32 v36, v9, 4, v6
	v_add_u32_e32 v6, s19, v52
	buffer_load_dwordx4 v[32:35], v52, s[24:27], 0 offen
	buffer_load_dwordx4 v[24:27], v6, s[24:27], 0 offen
	v_add_u32_e32 v6, s19, v6
	v_add_u32_e32 v9, s19, v6
	buffer_load_dwordx4 v[28:31], v6, s[24:27], 0 offen
	buffer_load_dwordx4 v[20:23], v9, s[24:27], 0 offen
	v_add_u32_e32 v9, v53, v54
	v_lshrrev_b32_e32 v10, 31, v9
	v_add_u32_e32 v10, v9, v10
	v_add_u32_e32 v9, 0x80, v9
	v_lshrrev_b32_e32 v11, 31, v9
	v_add_u32_e32 v11, v9, v11
	v_add_u32_e32 v9, v9, v61
	v_lshrrev_b32_e32 v12, 31, v9
	v_ashrrev_i32_e32 v6, 1, v53
	v_add_u32_e32 v12, v9, v12
	v_ashrrev_i32_e32 v10, 1, v10
	v_ashrrev_i32_e32 v11, 1, v11
	v_ashrrev_i32_e32 v12, 1, v12
	buffer_load_dwordx2 v[62:63], v6, s[36:39], 0 offen
	buffer_load_dwordx2 v[52:53], v10, s[36:39], 0 offen
	;; [unrolled: 1-line block ×4, first 2 shown]
	v_add_u16_e32 v10, 32, v40
	v_ashrrev_i16_e32 v11, 15, v10
	v_xor_b32_e32 v12, v41, v37
	v_or_b32_e32 v6, 1, v41
	v_lshrrev_b16_e32 v11, 13, v11
	v_sub_u32_e32 v12, v12, v43
	v_add_u16_e32 v11, v10, v11
	v_lshl_add_u32 v90, v12, 4, v73
	v_xor_b32_e32 v12, v6, v37
	v_and_b32_e32 v11, -8, v11
	v_sub_u32_e32 v12, v12, v43
	v_sub_u16_e32 v10, v10, v11
	v_lshlrev_b32_e32 v12, 4, v12
	v_add_u32_e32 v111, s4, v9
	v_xor_b32_sdwa v9, v6, sext(v42) dst_sel:DWORD dst_unused:UNUSED_PAD src0_sel:DWORD src1_sel:WORD_0
	v_xor_b32_sdwa v11, v41, sext(v10) dst_sel:DWORD dst_unused:UNUSED_PAD src0_sel:DWORD src1_sel:WORD_0
	;; [unrolled: 1-line block ×3, first 2 shown]
	v_add_u32_e32 v89, v73, v12
	v_add_u16_e32 v12, v57, v58
	v_sub_u32_e32 v6, v6, v41
	v_ashrrev_i16_e32 v12, 1, v12
	v_lshlrev_b32_e32 v6, 1, v6
	v_bfe_i32 v88, v12, 0, 16
	v_add_u32_e32 v12, v49, v6
	v_xor_b32_sdwa v12, v12, sext(v51) dst_sel:DWORD dst_unused:UNUSED_PAD src0_sel:DWORD src1_sel:BYTE_0
	v_lshl_add_u32 v12, v12, 4, v58
	v_ashrrev_i32_e32 v86, 1, v12
	v_add_u16_e32 v12, 32, v44
	v_lshrrev_b16_e32 v13, 7, v12
	v_and_b32_e32 v13, 1, v13
	v_add_u16_e32 v13, v12, v13
	v_ashrrev_i16_sdwa v14, v45, sext(v13) dst_sel:DWORD dst_unused:UNUSED_PAD src0_sel:DWORD src1_sel:BYTE_0
	v_and_b32_e32 v16, 0xfe, v13
	v_lshrrev_b16_sdwa v13, v50, sext(v13) dst_sel:DWORD dst_unused:UNUSED_PAD src0_sel:DWORD src1_sel:BYTE_0
	v_and_b32_e32 v13, 15, v13
	v_add_u16_e32 v13, v14, v13
	v_sub_u16_e32 v12, v12, v16
	v_and_b32_e32 v13, 0xf0, v13
	v_add_u32_sdwa v12, v47, sext(v12) dst_sel:DWORD dst_unused:UNUSED_PAD src0_sel:DWORD src1_sel:BYTE_0
	v_sub_u16_e32 v13, v14, v13
	v_sub_u16_e32 v15, v14, v46
	v_xor_b32_sdwa v14, v12, sext(v13) dst_sel:DWORD dst_unused:UNUSED_PAD src0_sel:DWORD src1_sel:BYTE_0
	v_add_u32_e32 v12, v12, v6
	v_bfe_i32 v15, v15, 0, 16
	v_xor_b32_sdwa v12, v12, sext(v13) dst_sel:DWORD dst_unused:UNUSED_PAD src0_sel:DWORD src1_sel:BYTE_0
	v_sub_u32_e32 v14, v14, v56
	v_lshl_add_u32 v15, v15, 8, v59
	v_sub_u32_e32 v12, v12, v56
	v_lshl_add_u32 v14, v14, 4, v15
	v_lshl_add_u32 v12, v12, 4, v15
	v_ashrrev_i32_e32 v87, 1, v14
	v_ashrrev_i32_e32 v85, 1, v12
	v_add_u32_e32 v12, 64, v44
	v_and_or_b32 v14, v18, 1, v47
	v_lshrrev_b32_e32 v13, 1, v12
	v_bfe_u32 v12, v12, 1, 4
	v_add_u32_e32 v6, v6, v14
	v_sub_u32_sdwa v13, v13, sext(v46) dst_sel:DWORD dst_unused:UNUSED_PAD src0_sel:DWORD src1_sel:WORD_0
	v_xor_b32_e32 v15, v12, v14
	v_xor_b32_e32 v12, v6, v12
	v_lshl_add_u32 v13, v13, 8, v59
	v_sub_u32_e32 v12, v12, v56
	v_lshl_add_u32 v12, v12, 4, v13
	v_sub_u32_e32 v15, v15, v56
	v_ashrrev_i32_e32 v80, 1, v12
	v_add_u32_e32 v12, 0x60, v44
	v_lshl_add_u32 v15, v15, 4, v13
	v_lshrrev_b32_e32 v13, 1, v12
	v_bfe_u32 v12, v12, 1, 4
	v_sub_u32_sdwa v13, v13, sext(v46) dst_sel:DWORD dst_unused:UNUSED_PAD src0_sel:DWORD src1_sel:WORD_0
	v_xor_b32_e32 v6, v6, v12
	v_lshl_add_u32 v13, v13, 8, v59
	v_sub_u32_e32 v6, v6, v56
	v_lshl_add_u32 v6, v6, 4, v13
	v_ashrrev_i32_e32 v76, 1, v6
	v_sub_u32_e32 v6, v3, v8
	v_sub_u32_e32 v3, v4, v3
	v_mov_b32_e32 v4, 0xfffffe80
	v_xor_b32_e32 v14, v12, v14
	v_lshl_add_u32 v93, v3, 4, v4
	v_add_u32_e32 v3, 3, v1
	v_sub_u32_e32 v11, v11, v43
	v_sub_u32_e32 v10, v10, v43
	;; [unrolled: 1-line block ×3, first 2 shown]
	v_mad_u64_u32 v[56:57], s[4:5], s19, v3, v[0:1]
	v_add_u32_e32 v1, 2, v1
	v_lshlrev_b32_e32 v9, 4, v9
	v_lshlrev_b32_e32 v11, 4, v11
	;; [unrolled: 1-line block ×3, first 2 shown]
	v_lshl_add_u32 v14, v14, 4, v13
	v_lshlrev_b32_e32 v92, 4, v6
	v_mad_u64_u32 v[58:59], s[4:5], s19, v1, v[0:1]
	v_ashrrev_i32_e32 v84, 1, v15
	v_ashrrev_i32_e32 v79, 1, v14
	v_add_u32_e32 v97, 0x80, v92
	v_lshlrev_b32_e32 v98, 4, v7
	s_movk_i32 s19, 0xfef0
	v_add_u32_e32 v91, v9, v5
	v_add_u32_e32 v59, v73, v11
	;; [unrolled: 1-line block ×3, first 2 shown]
.LBB16_12:                              ; =>This Inner Loop Header: Depth=1
	s_waitcnt lgkmcnt(0)
	s_barrier
	ds_read_b128 v[0:3], v73
	ds_read_b128 v[4:7], v90 offset:8192
	ds_read_b128 v[8:11], v91
	v_add_u32_e32 v113, s48, v74
	v_lshlrev_b32_e32 v64, 7, v99
	s_waitcnt lgkmcnt(2)
	buffer_store_dword v0, off, s[0:3], 0 offset:44
	buffer_store_dword v1, off, s[0:3], 0 offset:48
	;; [unrolled: 1-line block ×4, first 2 shown]
	ds_read_b128 v[0:3], v59 offset:4096
	s_waitcnt lgkmcnt(1)
	buffer_store_dword v8, off, s[0:3], 0 offset:60
	buffer_store_dword v9, off, s[0:3], 0 offset:64
	;; [unrolled: 1-line block ×4, first 2 shown]
	ds_read_b128 v[8:11], v57 offset:4096
	s_waitcnt lgkmcnt(1)
	buffer_store_dword v0, off, s[0:3], 0 offset:76
	buffer_store_dword v1, off, s[0:3], 0 offset:80
	;; [unrolled: 1-line block ×4, first 2 shown]
	s_waitcnt lgkmcnt(0)
	buffer_store_dword v8, off, s[0:3], 0 offset:92
	buffer_store_dword v9, off, s[0:3], 0 offset:96
	;; [unrolled: 1-line block ×5, first 2 shown]
	ds_read_b128 v[0:3], v89 offset:8192
	buffer_store_dword v5, off, s[0:3], 0 offset:112
	buffer_store_dword v6, off, s[0:3], 0 offset:116
	;; [unrolled: 1-line block ×3, first 2 shown]
	ds_read_b128 v[4:7], v90 offset:12288
	s_waitcnt lgkmcnt(1)
	buffer_store_dword v0, off, s[0:3], 0 offset:124
	buffer_store_dword v1, off, s[0:3], 0 offset:128
	;; [unrolled: 1-line block ×4, first 2 shown]
	s_waitcnt lgkmcnt(0)
	buffer_store_dword v4, off, s[0:3], 0 offset:140
	ds_read_b128 v[0:3], v89 offset:12288
	buffer_store_dword v5, off, s[0:3], 0 offset:144
	buffer_store_dword v6, off, s[0:3], 0 offset:148
	buffer_store_dword v7, off, s[0:3], 0 offset:152
	ds_read_b64 v[4:5], v88 offset:16384
	s_waitcnt lgkmcnt(1)
	buffer_store_dword v0, off, s[0:3], 0 offset:156
	buffer_store_dword v1, off, s[0:3], 0 offset:160
	buffer_store_dword v2, off, s[0:3], 0 offset:164
	buffer_store_dword v3, off, s[0:3], 0 offset:168
	s_waitcnt lgkmcnt(0)
	;;#ASMSTART
	v_cvt_off_f32_i4 v0, v4
v_cvt_off_f32_i4 v1, v4, src0_sel:BYTE_2
v_cvt_pk_fp8_f32 v3, v0, v1
v_cvt_off_f32_i4 v0, v4, src0_sel:BYTE_1
v_cvt_off_f32_i4 v1, v4, src0_sel:BYTE_3
v_cvt_pk_fp8_f32 v6, v0, v1
v_lshrrev_b32 v2, 4, v4
v_cvt_off_f32_i4 v0, v2
v_cvt_off_f32_i4 v1, v2, src0_sel:BYTE_2
v_cvt_pk_fp8_f32 v3, v0, v1, op_sel:[0, 0, 1]
v_cvt_off_f32_i4 v0, v2, src0_sel:BYTE_1
v_cvt_off_f32_i4 v1, v2, src0_sel:BYTE_3
v_cvt_pk_fp8_f32 v6, v0, v1, op_sel:[0, 0, 1]

	;;#ASMEND
	;;#ASMSTART
	v_cvt_off_f32_i4 v0, v5
v_cvt_off_f32_i4 v1, v5, src0_sel:BYTE_2
v_cvt_pk_fp8_f32 v4, v0, v1
v_cvt_off_f32_i4 v0, v5, src0_sel:BYTE_1
v_cvt_off_f32_i4 v1, v5, src0_sel:BYTE_3
v_cvt_pk_fp8_f32 v7, v0, v1
v_lshrrev_b32 v2, 4, v5
v_cvt_off_f32_i4 v0, v2
v_cvt_off_f32_i4 v1, v2, src0_sel:BYTE_2
v_cvt_pk_fp8_f32 v4, v0, v1, op_sel:[0, 0, 1]
v_cvt_off_f32_i4 v0, v2, src0_sel:BYTE_1
v_cvt_off_f32_i4 v1, v2, src0_sel:BYTE_3
v_cvt_pk_fp8_f32 v7, v0, v1, op_sel:[0, 0, 1]

	;;#ASMEND
	ds_read_b64 v[0:1], v86 offset:16384
	buffer_store_dword v3, off, s[0:3], 0 offset:172
	buffer_store_dword v6, off, s[0:3], 0 offset:176
	buffer_store_dword v4, off, s[0:3], 0 offset:180
	buffer_store_dword v7, off, s[0:3], 0 offset:184
	s_waitcnt lgkmcnt(0)
	;;#ASMSTART
	v_cvt_off_f32_i4 v2, v0
v_cvt_off_f32_i4 v3, v0, src0_sel:BYTE_2
v_cvt_pk_fp8_f32 v5, v2, v3
v_cvt_off_f32_i4 v2, v0, src0_sel:BYTE_1
v_cvt_off_f32_i4 v3, v0, src0_sel:BYTE_3
v_cvt_pk_fp8_f32 v6, v2, v3
v_lshrrev_b32 v4, 4, v0
v_cvt_off_f32_i4 v2, v4
v_cvt_off_f32_i4 v3, v4, src0_sel:BYTE_2
v_cvt_pk_fp8_f32 v5, v2, v3, op_sel:[0, 0, 1]
v_cvt_off_f32_i4 v2, v4, src0_sel:BYTE_1
v_cvt_off_f32_i4 v3, v4, src0_sel:BYTE_3
v_cvt_pk_fp8_f32 v6, v2, v3, op_sel:[0, 0, 1]

	;;#ASMEND
	;;#ASMSTART
	v_cvt_off_f32_i4 v0, v1
v_cvt_off_f32_i4 v2, v1, src0_sel:BYTE_2
v_cvt_pk_fp8_f32 v4, v0, v2
v_cvt_off_f32_i4 v0, v1, src0_sel:BYTE_1
v_cvt_off_f32_i4 v2, v1, src0_sel:BYTE_3
v_cvt_pk_fp8_f32 v7, v0, v2
v_lshrrev_b32 v3, 4, v1
v_cvt_off_f32_i4 v0, v3
v_cvt_off_f32_i4 v2, v3, src0_sel:BYTE_2
v_cvt_pk_fp8_f32 v4, v0, v2, op_sel:[0, 0, 1]
v_cvt_off_f32_i4 v0, v3, src0_sel:BYTE_1
v_cvt_off_f32_i4 v2, v3, src0_sel:BYTE_3
v_cvt_pk_fp8_f32 v7, v0, v2, op_sel:[0, 0, 1]

	;;#ASMEND
	ds_read_b64 v[0:1], v87 offset:16384
	;; [unrolled: 38-line block ×7, first 2 shown]
	buffer_store_dword v5, off, s[0:3], 0 offset:268
	buffer_store_dword v6, off, s[0:3], 0 offset:272
	;; [unrolled: 1-line block ×4, first 2 shown]
	s_waitcnt lgkmcnt(0)
	;;#ASMSTART
	v_cvt_off_f32_i4 v2, v0
v_cvt_off_f32_i4 v3, v0, src0_sel:BYTE_2
v_cvt_pk_fp8_f32 v5, v2, v3
v_cvt_off_f32_i4 v2, v0, src0_sel:BYTE_1
v_cvt_off_f32_i4 v3, v0, src0_sel:BYTE_3
v_cvt_pk_fp8_f32 v6, v2, v3
v_lshrrev_b32 v4, 4, v0
v_cvt_off_f32_i4 v2, v4
v_cvt_off_f32_i4 v3, v4, src0_sel:BYTE_2
v_cvt_pk_fp8_f32 v5, v2, v3, op_sel:[0, 0, 1]
v_cvt_off_f32_i4 v2, v4, src0_sel:BYTE_1
v_cvt_off_f32_i4 v3, v4, src0_sel:BYTE_3
v_cvt_pk_fp8_f32 v6, v2, v3, op_sel:[0, 0, 1]

	;;#ASMEND
	v_add_u32_e32 v37, 0xffffff70, v113
	;;#ASMSTART
	v_cvt_off_f32_i4 v0, v1
v_cvt_off_f32_i4 v2, v1, src0_sel:BYTE_2
v_cvt_pk_fp8_f32 v4, v0, v2
v_cvt_off_f32_i4 v0, v1, src0_sel:BYTE_1
v_cvt_off_f32_i4 v2, v1, src0_sel:BYTE_3
v_cvt_pk_fp8_f32 v7, v0, v2
v_lshrrev_b32 v3, 4, v1
v_cvt_off_f32_i4 v0, v3
v_cvt_off_f32_i4 v2, v3, src0_sel:BYTE_2
v_cvt_pk_fp8_f32 v4, v0, v2, op_sel:[0, 0, 1]
v_cvt_off_f32_i4 v0, v3, src0_sel:BYTE_1
v_cvt_off_f32_i4 v2, v3, src0_sel:BYTE_3
v_cvt_pk_fp8_f32 v7, v0, v2, op_sel:[0, 0, 1]

	;;#ASMEND
	buffer_store_dword v5, off, s[0:3], 0 offset:284
	buffer_store_dword v6, off, s[0:3], 0 offset:288
	;; [unrolled: 1-line block ×4, first 2 shown]
	; sched_barrier mask(0x00000000)
	s_barrier
	; sched_barrier mask(0x00000000)
	v_mov_b32_e32 v0, s45
	v_mov_b32_e32 v1, s46
	buffer_store_dword v101, off, s[0:3], 0 offset:4
	buffer_store_dword v102, off, s[0:3], 0
	buffer_store_dword v103, off, s[0:3], 0 offset:12
	buffer_store_dword v104, off, s[0:3], 0 offset:8
	;; [unrolled: 1-line block ×8, first 2 shown]
	s_getpc_b64 s[4:5]
	s_add_u32 s4, s4, _ZNK2ck6detail7applierIiJLi0ELi1ELi2ELi3ELi4ELi5ELi6ELi7ELi8ELi9ELi10ELi11ELi12ELi13ELi14ELi15EEEclIZNKS_11static_fordINS_8SequenceIJLi4ELi4EEEENS5_IJLi0ELi1EEEEEclIZZZZNKS_31BlockwiseGemmXdlops_pipeline_v2ILNS_26BlockGemmPipelineSchedulerE1ELi256ENS_9f8_fnuz_tENS_7pk_i4_tESC_fNS_16TensorDescriptorINS_5TupleIJNS_5EmbedINSF_IJNS_17integral_constantIiLi8EEENSH_IiLi128EEENSH_IiLi16EEEEEENSF_IJSK_SJ_NSH_IiLi1EEEEEELb0EEENS_3XorINSF_IJSJ_SI_EEELb1EEENS_11PassThroughISK_EENS_7UnMergeINSF_IJSI_SM_EEELb0EEENSS_ISJ_EEST_NSS_ISI_EENS_21Merge_v3_division_modINSF_IJSJ_SM_EEEEEST_EEENSF_IJNS5_IJLi0EEEENS5_IJLi2ELi1EEEENS5_IJLi3EEEENS5_IJLi5EEEENS5_IJLi4EEEENS5_IJLi6EEEENS5_IJLi7EEEENS5_IJLi9ELi8EEEENS5_IJLi10EEEEEEENSF_IJNS5_IJLi1ELi2ELi3EEEENS5_IJLi4ELi5EEEES18_NS5_IJLi7ELi8EEEENS5_IJLi9EEEES1B_NS5_IJLi11EEEENS5_IJLi12EEEENS5_IJLi13EEEEEEENS5_IJLi11ELi12ELi13EEEENSH_IlLl16384EEEEENSE_INSF_IJNSG_INSF_IJSK_NSH_IiLi64EEESK_EEENSF_IJSK_NSH_IiLi256EEESM_EEELb0EEENSP_INSF_IJS1O_SK_EEELb1EEEST_NSU_INSF_IJSI_NSH_IiLi2EEEEEELb0EEENSS_IS1O_EEST_SY_NSZ_INSF_IJS1O_S1V_EEEEEST_EEES1C_S1K_S1L_S1M_EENSE_INSF_IJSO_SR_ST_SW_SX_ST_SY_S11_ST_NSZ_INSF_IJSI_SK_EEEEENSU_INSF_IJNSH_IiLi4EEES1V_SK_EEELb0EEEEEENSF_IJS13_S14_S15_S16_S17_S18_S19_S1A_S1B_NS5_IJLi11ELi13EEEES1I_EEENSF_IJS1D_S1E_S18_S1F_S1G_S1B_S1H_S1I_S1J_NS5_IJLi14EEEENS5_IJLi15ELi16ELi17EEEEEEENS5_IJLi15ELi16ELi17ELi14EEEES1M_EENSE_INSF_IJS1S_S1U_ST_S1X_S1Y_ST_SY_S20_ST_S24_S27_EEES2A_S2D_S2E_S1M_EELi16ELi16ELi128ELi128ELi128ELi16ELi16ELi4ELi4ELi16ELb0EE3RunILb1ELNS_10TailNumberE10ENSE_INSF_IJNSG_INSF_IJiiEEENSF_IJiSM_EEELb0EEENSU_IS2L_Lb0EEENSS_IiEEEEENSF_IJS13_NS5_IJLi2EEEENS5_IJLi1EEEEEEENSF_IJNS5_IJLi1ELi2EEEENS5_IJLi3ELi4EEEES16_EEENS5_IJLi3ELi5ELi4EEEElEES1N_NS_35ThreadGroupTensorSliceTransfer_v4r1INS_15ThisThreadBlockILi256EEENS_16tensor_operation12element_wise11PassThroughES34_LNS_25InMemoryDataOperationEnumE0ENS5_IJLi8ELi128ELi16EEEENS5_IJLi8ELi32ELi1EEEENS5_IJLi1ELi0ELi2EEEESC_SC_RKS2Y_KS1N_S38_NS5_IJLi0ELi1ELi2EEEELi2ELi2ELi16ELi16ELi1ELi1ELb0ELb1ELi2EiEENS_13DynamicBufferILNS_16AddressSpaceEnumE1EKSC_lLb1ELNS_22AmdBufferCoherenceEnumE0EiEENS3E_ILS3F_2ESC_S1M_Lb1ELS3H_0EiEENSF_IJiiiEEENSE_INSF_IJNSU_INSF_IJiiiiEEELb0EEENS_23Merge_v2_magic_divisionIS2L_EENSS_INSF_IJiEEEEES2P_EEENSF_IJS13_NS5_IJLi1ELi3EEEES2R_S17_EEENSF_IJNS5_IJLi1ELi2ELi3ELi4EEEES16_S18_S19_EEENS5_IJLi5ELi6ELi7EEEElEES22_NS2Z_IS31_S34_S34_LS35_0ES36_NS5_IJLi4ELi64ELi1EEEES38_SD_SD_RKS3X_KS22_S38_S3C_Li2ELi2ELi16ELi16ELi1ELi1ELb0ELb1ELi2EiEENS3E_ILS3F_1EKSD_lLb1ELS3H_0EiEENS3E_ILS3F_2ESD_S1M_Lb1ELS3H_0EiEES3K_NS_25StaticBufferTupleOfVectorILS3F_4EfLi16ELi4ELb1ELb0EEEEEvRKT1_RKT2_RT3_RKT4_RT5_RKT6_RKT7_RKT8_RT9_RKT10_RT11_RKT12_RT13_iENKUlT_E0_clINSH_IiLi0EEEEEDaS56_ENKUlS56_E_clIS59_EEDaS56_ENKUlS56_E1_clIS59_EEDaS56_EUlS56_E_EEvS56_EUlS56_E_EEvS56_@rel32@lo+4
	s_addc_u32 s5, s5, _ZNK2ck6detail7applierIiJLi0ELi1ELi2ELi3ELi4ELi5ELi6ELi7ELi8ELi9ELi10ELi11ELi12ELi13ELi14ELi15EEEclIZNKS_11static_fordINS_8SequenceIJLi4ELi4EEEENS5_IJLi0ELi1EEEEEclIZZZZNKS_31BlockwiseGemmXdlops_pipeline_v2ILNS_26BlockGemmPipelineSchedulerE1ELi256ENS_9f8_fnuz_tENS_7pk_i4_tESC_fNS_16TensorDescriptorINS_5TupleIJNS_5EmbedINSF_IJNS_17integral_constantIiLi8EEENSH_IiLi128EEENSH_IiLi16EEEEEENSF_IJSK_SJ_NSH_IiLi1EEEEEELb0EEENS_3XorINSF_IJSJ_SI_EEELb1EEENS_11PassThroughISK_EENS_7UnMergeINSF_IJSI_SM_EEELb0EEENSS_ISJ_EEST_NSS_ISI_EENS_21Merge_v3_division_modINSF_IJSJ_SM_EEEEEST_EEENSF_IJNS5_IJLi0EEEENS5_IJLi2ELi1EEEENS5_IJLi3EEEENS5_IJLi5EEEENS5_IJLi4EEEENS5_IJLi6EEEENS5_IJLi7EEEENS5_IJLi9ELi8EEEENS5_IJLi10EEEEEEENSF_IJNS5_IJLi1ELi2ELi3EEEENS5_IJLi4ELi5EEEES18_NS5_IJLi7ELi8EEEENS5_IJLi9EEEES1B_NS5_IJLi11EEEENS5_IJLi12EEEENS5_IJLi13EEEEEEENS5_IJLi11ELi12ELi13EEEENSH_IlLl16384EEEEENSE_INSF_IJNSG_INSF_IJSK_NSH_IiLi64EEESK_EEENSF_IJSK_NSH_IiLi256EEESM_EEELb0EEENSP_INSF_IJS1O_SK_EEELb1EEEST_NSU_INSF_IJSI_NSH_IiLi2EEEEEELb0EEENSS_IS1O_EEST_SY_NSZ_INSF_IJS1O_S1V_EEEEEST_EEES1C_S1K_S1L_S1M_EENSE_INSF_IJSO_SR_ST_SW_SX_ST_SY_S11_ST_NSZ_INSF_IJSI_SK_EEEEENSU_INSF_IJNSH_IiLi4EEES1V_SK_EEELb0EEEEEENSF_IJS13_S14_S15_S16_S17_S18_S19_S1A_S1B_NS5_IJLi11ELi13EEEES1I_EEENSF_IJS1D_S1E_S18_S1F_S1G_S1B_S1H_S1I_S1J_NS5_IJLi14EEEENS5_IJLi15ELi16ELi17EEEEEEENS5_IJLi15ELi16ELi17ELi14EEEES1M_EENSE_INSF_IJS1S_S1U_ST_S1X_S1Y_ST_SY_S20_ST_S24_S27_EEES2A_S2D_S2E_S1M_EELi16ELi16ELi128ELi128ELi128ELi16ELi16ELi4ELi4ELi16ELb0EE3RunILb1ELNS_10TailNumberE10ENSE_INSF_IJNSG_INSF_IJiiEEENSF_IJiSM_EEELb0EEENSU_IS2L_Lb0EEENSS_IiEEEEENSF_IJS13_NS5_IJLi2EEEENS5_IJLi1EEEEEEENSF_IJNS5_IJLi1ELi2EEEENS5_IJLi3ELi4EEEES16_EEENS5_IJLi3ELi5ELi4EEEElEES1N_NS_35ThreadGroupTensorSliceTransfer_v4r1INS_15ThisThreadBlockILi256EEENS_16tensor_operation12element_wise11PassThroughES34_LNS_25InMemoryDataOperationEnumE0ENS5_IJLi8ELi128ELi16EEEENS5_IJLi8ELi32ELi1EEEENS5_IJLi1ELi0ELi2EEEESC_SC_RKS2Y_KS1N_S38_NS5_IJLi0ELi1ELi2EEEELi2ELi2ELi16ELi16ELi1ELi1ELb0ELb1ELi2EiEENS_13DynamicBufferILNS_16AddressSpaceEnumE1EKSC_lLb1ELNS_22AmdBufferCoherenceEnumE0EiEENS3E_ILS3F_2ESC_S1M_Lb1ELS3H_0EiEENSF_IJiiiEEENSE_INSF_IJNSU_INSF_IJiiiiEEELb0EEENS_23Merge_v2_magic_divisionIS2L_EENSS_INSF_IJiEEEEES2P_EEENSF_IJS13_NS5_IJLi1ELi3EEEES2R_S17_EEENSF_IJNS5_IJLi1ELi2ELi3ELi4EEEES16_S18_S19_EEENS5_IJLi5ELi6ELi7EEEElEES22_NS2Z_IS31_S34_S34_LS35_0ES36_NS5_IJLi4ELi64ELi1EEEES38_SD_SD_RKS3X_KS22_S38_S3C_Li2ELi2ELi16ELi16ELi1ELi1ELb0ELb1ELi2EiEENS3E_ILS3F_1EKSD_lLb1ELS3H_0EiEENS3E_ILS3F_2ESD_S1M_Lb1ELS3H_0EiEES3K_NS_25StaticBufferTupleOfVectorILS3F_4EfLi16ELi4ELb1ELb0EEEEEvRKT1_RKT2_RT3_RKT4_RT5_RKT6_RKT7_RKT8_RT9_RKT10_RT11_RKT12_RT13_iENKUlT_E0_clINSH_IiLi0EEEEEDaS56_ENKUlS56_E_clIS59_EEDaS56_ENKUlS56_E1_clIS59_EEDaS56_EUlS56_E_EEvS56_EUlS56_E_EEvS56_@rel32@hi+12
	s_swappc_b64 s[30:31], s[4:5]
	v_mov_b32_e32 v0, s45
	v_mov_b32_e32 v1, s46
	buffer_store_dword v101, off, s[0:3], 0 offset:4
	buffer_store_dword v102, off, s[0:3], 0
	buffer_store_dword v103, off, s[0:3], 0 offset:12
	buffer_store_dword v104, off, s[0:3], 0 offset:8
	;; [unrolled: 1-line block ×8, first 2 shown]
	s_getpc_b64 s[4:5]
	s_add_u32 s4, s4, _ZNK2ck6detail7applierIiJLi0ELi1ELi2ELi3ELi4ELi5ELi6ELi7ELi8ELi9ELi10ELi11ELi12ELi13ELi14ELi15EEEclIZNKS_11static_fordINS_8SequenceIJLi4ELi4EEEENS5_IJLi0ELi1EEEEEclIZZZZNKS_31BlockwiseGemmXdlops_pipeline_v2ILNS_26BlockGemmPipelineSchedulerE1ELi256ENS_9f8_fnuz_tENS_7pk_i4_tESC_fNS_16TensorDescriptorINS_5TupleIJNS_5EmbedINSF_IJNS_17integral_constantIiLi8EEENSH_IiLi128EEENSH_IiLi16EEEEEENSF_IJSK_SJ_NSH_IiLi1EEEEEELb0EEENS_3XorINSF_IJSJ_SI_EEELb1EEENS_11PassThroughISK_EENS_7UnMergeINSF_IJSI_SM_EEELb0EEENSS_ISJ_EEST_NSS_ISI_EENS_21Merge_v3_division_modINSF_IJSJ_SM_EEEEEST_EEENSF_IJNS5_IJLi0EEEENS5_IJLi2ELi1EEEENS5_IJLi3EEEENS5_IJLi5EEEENS5_IJLi4EEEENS5_IJLi6EEEENS5_IJLi7EEEENS5_IJLi9ELi8EEEENS5_IJLi10EEEEEEENSF_IJNS5_IJLi1ELi2ELi3EEEENS5_IJLi4ELi5EEEES18_NS5_IJLi7ELi8EEEENS5_IJLi9EEEES1B_NS5_IJLi11EEEENS5_IJLi12EEEENS5_IJLi13EEEEEEENS5_IJLi11ELi12ELi13EEEENSH_IlLl16384EEEEENSE_INSF_IJNSG_INSF_IJSK_NSH_IiLi64EEESK_EEENSF_IJSK_NSH_IiLi256EEESM_EEELb0EEENSP_INSF_IJS1O_SK_EEELb1EEEST_NSU_INSF_IJSI_NSH_IiLi2EEEEEELb0EEENSS_IS1O_EEST_SY_NSZ_INSF_IJS1O_S1V_EEEEEST_EEES1C_S1K_S1L_S1M_EENSE_INSF_IJSO_SR_ST_SW_SX_ST_SY_S11_ST_NSZ_INSF_IJSI_SK_EEEEENSU_INSF_IJNSH_IiLi4EEES1V_SK_EEELb0EEEEEENSF_IJS13_S14_S15_S16_S17_S18_S19_S1A_S1B_NS5_IJLi11ELi13EEEES1I_EEENSF_IJS1D_S1E_S18_S1F_S1G_S1B_S1H_S1I_S1J_NS5_IJLi14EEEENS5_IJLi15ELi16ELi17EEEEEEENS5_IJLi15ELi16ELi17ELi14EEEES1M_EENSE_INSF_IJS1S_S1U_ST_S1X_S1Y_ST_SY_S20_ST_S24_S27_EEES2A_S2D_S2E_S1M_EELi16ELi16ELi128ELi128ELi128ELi16ELi16ELi4ELi4ELi16ELb0EE3RunILb1ELNS_10TailNumberE10ENSE_INSF_IJNSG_INSF_IJiiEEENSF_IJiSM_EEELb0EEENSU_IS2L_Lb0EEENSS_IiEEEEENSF_IJS13_NS5_IJLi2EEEENS5_IJLi1EEEEEEENSF_IJNS5_IJLi1ELi2EEEENS5_IJLi3ELi4EEEES16_EEENS5_IJLi3ELi5ELi4EEEElEES1N_NS_35ThreadGroupTensorSliceTransfer_v4r1INS_15ThisThreadBlockILi256EEENS_16tensor_operation12element_wise11PassThroughES34_LNS_25InMemoryDataOperationEnumE0ENS5_IJLi8ELi128ELi16EEEENS5_IJLi8ELi32ELi1EEEENS5_IJLi1ELi0ELi2EEEESC_SC_RKS2Y_KS1N_S38_NS5_IJLi0ELi1ELi2EEEELi2ELi2ELi16ELi16ELi1ELi1ELb0ELb1ELi2EiEENS_13DynamicBufferILNS_16AddressSpaceEnumE1EKSC_lLb1ELNS_22AmdBufferCoherenceEnumE0EiEENS3E_ILS3F_2ESC_S1M_Lb1ELS3H_0EiEENSF_IJiiiEEENSE_INSF_IJNSU_INSF_IJiiiiEEELb0EEENS_23Merge_v2_magic_divisionIS2L_EENSS_INSF_IJiEEEEES2P_EEENSF_IJS13_NS5_IJLi1ELi3EEEES2R_S17_EEENSF_IJNS5_IJLi1ELi2ELi3ELi4EEEES16_S18_S19_EEENS5_IJLi5ELi6ELi7EEEElEES22_NS2Z_IS31_S34_S34_LS35_0ES36_NS5_IJLi4ELi64ELi1EEEES38_SD_SD_RKS3X_KS22_S38_S3C_Li2ELi2ELi16ELi16ELi1ELi1ELb0ELb1ELi2EiEENS3E_ILS3F_1EKSD_lLb1ELS3H_0EiEENS3E_ILS3F_2ESD_S1M_Lb1ELS3H_0EiEES3K_NS_25StaticBufferTupleOfVectorILS3F_4EfLi16ELi4ELb1ELb0EEEEEvRKT1_RKT2_RT3_RKT4_RT5_RKT6_RKT7_RKT8_RT9_RKT10_RT11_RKT12_RT13_iENKUlT_E0_clINSH_IiLi0EEEEEDaS56_ENKUlS56_E_clIS59_EEDaS56_ENKUlS56_E1_clISK_EEDaS56_EUlS56_E_EEvS56_EUlS56_E_EEvS56_@rel32@lo+4
	s_addc_u32 s5, s5, _ZNK2ck6detail7applierIiJLi0ELi1ELi2ELi3ELi4ELi5ELi6ELi7ELi8ELi9ELi10ELi11ELi12ELi13ELi14ELi15EEEclIZNKS_11static_fordINS_8SequenceIJLi4ELi4EEEENS5_IJLi0ELi1EEEEEclIZZZZNKS_31BlockwiseGemmXdlops_pipeline_v2ILNS_26BlockGemmPipelineSchedulerE1ELi256ENS_9f8_fnuz_tENS_7pk_i4_tESC_fNS_16TensorDescriptorINS_5TupleIJNS_5EmbedINSF_IJNS_17integral_constantIiLi8EEENSH_IiLi128EEENSH_IiLi16EEEEEENSF_IJSK_SJ_NSH_IiLi1EEEEEELb0EEENS_3XorINSF_IJSJ_SI_EEELb1EEENS_11PassThroughISK_EENS_7UnMergeINSF_IJSI_SM_EEELb0EEENSS_ISJ_EEST_NSS_ISI_EENS_21Merge_v3_division_modINSF_IJSJ_SM_EEEEEST_EEENSF_IJNS5_IJLi0EEEENS5_IJLi2ELi1EEEENS5_IJLi3EEEENS5_IJLi5EEEENS5_IJLi4EEEENS5_IJLi6EEEENS5_IJLi7EEEENS5_IJLi9ELi8EEEENS5_IJLi10EEEEEEENSF_IJNS5_IJLi1ELi2ELi3EEEENS5_IJLi4ELi5EEEES18_NS5_IJLi7ELi8EEEENS5_IJLi9EEEES1B_NS5_IJLi11EEEENS5_IJLi12EEEENS5_IJLi13EEEEEEENS5_IJLi11ELi12ELi13EEEENSH_IlLl16384EEEEENSE_INSF_IJNSG_INSF_IJSK_NSH_IiLi64EEESK_EEENSF_IJSK_NSH_IiLi256EEESM_EEELb0EEENSP_INSF_IJS1O_SK_EEELb1EEEST_NSU_INSF_IJSI_NSH_IiLi2EEEEEELb0EEENSS_IS1O_EEST_SY_NSZ_INSF_IJS1O_S1V_EEEEEST_EEES1C_S1K_S1L_S1M_EENSE_INSF_IJSO_SR_ST_SW_SX_ST_SY_S11_ST_NSZ_INSF_IJSI_SK_EEEEENSU_INSF_IJNSH_IiLi4EEES1V_SK_EEELb0EEEEEENSF_IJS13_S14_S15_S16_S17_S18_S19_S1A_S1B_NS5_IJLi11ELi13EEEES1I_EEENSF_IJS1D_S1E_S18_S1F_S1G_S1B_S1H_S1I_S1J_NS5_IJLi14EEEENS5_IJLi15ELi16ELi17EEEEEEENS5_IJLi15ELi16ELi17ELi14EEEES1M_EENSE_INSF_IJS1S_S1U_ST_S1X_S1Y_ST_SY_S20_ST_S24_S27_EEES2A_S2D_S2E_S1M_EELi16ELi16ELi128ELi128ELi128ELi16ELi16ELi4ELi4ELi16ELb0EE3RunILb1ELNS_10TailNumberE10ENSE_INSF_IJNSG_INSF_IJiiEEENSF_IJiSM_EEELb0EEENSU_IS2L_Lb0EEENSS_IiEEEEENSF_IJS13_NS5_IJLi2EEEENS5_IJLi1EEEEEEENSF_IJNS5_IJLi1ELi2EEEENS5_IJLi3ELi4EEEES16_EEENS5_IJLi3ELi5ELi4EEEElEES1N_NS_35ThreadGroupTensorSliceTransfer_v4r1INS_15ThisThreadBlockILi256EEENS_16tensor_operation12element_wise11PassThroughES34_LNS_25InMemoryDataOperationEnumE0ENS5_IJLi8ELi128ELi16EEEENS5_IJLi8ELi32ELi1EEEENS5_IJLi1ELi0ELi2EEEESC_SC_RKS2Y_KS1N_S38_NS5_IJLi0ELi1ELi2EEEELi2ELi2ELi16ELi16ELi1ELi1ELb0ELb1ELi2EiEENS_13DynamicBufferILNS_16AddressSpaceEnumE1EKSC_lLb1ELNS_22AmdBufferCoherenceEnumE0EiEENS3E_ILS3F_2ESC_S1M_Lb1ELS3H_0EiEENSF_IJiiiEEENSE_INSF_IJNSU_INSF_IJiiiiEEELb0EEENS_23Merge_v2_magic_divisionIS2L_EENSS_INSF_IJiEEEEES2P_EEENSF_IJS13_NS5_IJLi1ELi3EEEES2R_S17_EEENSF_IJNS5_IJLi1ELi2ELi3ELi4EEEES16_S18_S19_EEENS5_IJLi5ELi6ELi7EEEElEES22_NS2Z_IS31_S34_S34_LS35_0ES36_NS5_IJLi4ELi64ELi1EEEES38_SD_SD_RKS3X_KS22_S38_S3C_Li2ELi2ELi16ELi16ELi1ELi1ELb0ELb1ELi2EiEENS3E_ILS3F_1EKSD_lLb1ELS3H_0EiEENS3E_ILS3F_2ESD_S1M_Lb1ELS3H_0EiEES3K_NS_25StaticBufferTupleOfVectorILS3F_4EfLi16ELi4ELb1ELb0EEEEEvRKT1_RKT2_RT3_RKT4_RT5_RKT6_RKT7_RKT8_RT9_RKT10_RT11_RKT12_RT13_iENKUlT_E0_clINSH_IiLi0EEEEEDaS56_ENKUlS56_E_clIS59_EEDaS56_ENKUlS56_E1_clISK_EEDaS56_EUlS56_E_EEvS56_EUlS56_E_EEvS56_@rel32@hi+12
	s_swappc_b64 s[30:31], s[4:5]
	; sched_barrier mask(0x00000000)
	s_setprio 0
	; sched_barrier mask(0x00000000)
	v_add_u32_e32 v0, v48, v77
	ds_write_b128 v48, v[32:35]
	ds_write_b128 v0, v[24:27] offset:128
	v_add3_u32 v1, v48, v94, v95
	v_add_u32_e32 v0, v0, v95
	ds_write_b128 v0, v[28:31] offset:128
	v_add_u32_e32 v114, v0, v97
	v_add3_u32 v115, v1, v97, v93
	v_and_b32_e32 v0, 0xff000000, v63
	v_and_b32_e32 v1, 0xff0000, v63
	v_or_b32_e32 v0, v1, v0
	v_and_b32_e32 v1, 0xff00, v63
	v_and_b32_e32 v2, 0xff, v63
	v_or3_b32 v63, v0, v1, v2
	v_lshrrev_b32_e32 v0, 31, v36
	v_add_u32_e32 v0, v36, v0
	v_ashrrev_i32_e32 v0, 1, v0
	v_and_b32_e32 v1, 0xff000000, v61
	v_and_b32_e32 v2, 0xff0000, v61
	ds_write_b128 v114, v[20:23] offset:128
	ds_write_b64 v0, v[62:63] offset:16384
	v_add_u32_e32 v0, v36, v81
	v_or_b32_e32 v1, v2, v1
	v_and_b32_e32 v2, 0xff00, v61
	v_and_b32_e32 v3, 0xff, v61
	v_or3_b32 v61, v1, v2, v3
	v_lshrrev_b32_e32 v1, 31, v0
	v_add_u32_e32 v1, v0, v1
	v_ashrrev_i32_e32 v1, 1, v1
	ds_write_b64 v1, v[60:61] offset:16384
	v_and_b32_e32 v1, 0xff000000, v55
	v_and_b32_e32 v2, 0xff0000, v55
	v_add_u32_e32 v0, v0, v82
	v_or_b32_e32 v1, v2, v1
	v_and_b32_e32 v2, 0xff00, v55
	v_and_b32_e32 v3, 0xff, v55
	v_or3_b32 v55, v1, v2, v3
	v_lshrrev_b32_e32 v1, 31, v0
	v_add_u32_e32 v1, v0, v1
	v_ashrrev_i32_e32 v1, 1, v1
	ds_write_b64 v1, v[54:55] offset:16384
	v_and_b32_e32 v1, 0xff000000, v53
	v_and_b32_e32 v2, 0xff0000, v53
	v_add_u32_e32 v0, v0, v83
	v_or_b32_e32 v1, v2, v1
	v_and_b32_e32 v2, 0xff00, v53
	v_and_b32_e32 v3, 0xff, v53
	v_or3_b32 v53, v1, v2, v3
	v_lshrrev_b32_e32 v1, 31, v0
	v_add_u32_e32 v1, v0, v1
	v_ashrrev_i32_e32 v1, 1, v1
	v_add_u32_e32 v20, s48, v100
	ds_write_b64 v1, v[52:53] offset:16384
	v_add_u32_e32 v116, v0, v98
	v_add_u32_e32 v0, 0xffffff70, v20
	;; [unrolled: 1-line block ×4, first 2 shown]
	buffer_load_dwordx4 v[48:51], v37, s[24:27], 0 offen
	buffer_load_dwordx4 v[40:43], v0, s[24:27], 0 offen
	v_add_u32_e32 v0, 0xffffff70, v21
	v_add_u32_e32 v1, 0xffffff70, v22
	v_add_u32_e64 v4, 2, s23
	buffer_load_dwordx4 v[44:47], v0, s[24:27], 0 offen
	buffer_load_dwordx4 v[36:39], v1, s[24:27], 0 offen
	v_sub_u32_e32 v1, v4, v112
	v_mul_lo_u32 v5, v1, s44
	v_sub_u32_e32 v1, v75, v112
	v_add_u32_e32 v2, s48, v111
	v_mul_lo_u32 v1, s44, v1
	v_sub_u32_e32 v3, v2, v64
	v_add3_u32 v3, v3, v1, s18
	v_add_u32_e32 v1, v2, v1
	v_sub_u32_e32 v1, v1, v64
	v_lshrrev_b32_e32 v2, 31, v1
	v_lshrrev_b32_e32 v0, 31, v111
	;; [unrolled: 1-line block ×3, first 2 shown]
	v_add_u32_e32 v2, v1, v2
	v_add3_u32 v1, s19, v64, v1
	v_add_u32_e32 v0, v111, v0
	v_add_u32_e32 v3, v3, v6
	v_lshrrev_b32_e32 v6, 31, v1
	v_ashrrev_i32_e32 v0, 1, v0
	v_add_u32_e32 v1, v1, v6
	v_ashrrev_i32_e32 v3, 1, v3
	v_ashrrev_i32_e32 v2, 1, v2
	;; [unrolled: 1-line block ×3, first 2 shown]
	buffer_load_dwordx2 v[70:71], v0, s[36:39], 0 offen
	buffer_load_dwordx2 v[64:65], v3, s[36:39], 0 offen
	;; [unrolled: 1-line block ×4, first 2 shown]
	s_waitcnt lgkmcnt(0)
	s_barrier
	ds_read_b128 v[0:3], v73
	v_add_u32_e32 v53, -16, v113
	v_add_u32_e64 v113, 3, s23
	v_sub_u32_e32 v4, v113, v4
	v_mul_lo_u32 v4, v4, s44
	ds_read_b128 v[8:11], v91
	v_add3_u32 v52, v5, v111, v4
	ds_read_b128 v[4:7], v90 offset:8192
	s_waitcnt lgkmcnt(2)
	buffer_store_dword v0, off, s[0:3], 0 offset:44
	buffer_store_dword v1, off, s[0:3], 0 offset:48
	buffer_store_dword v2, off, s[0:3], 0 offset:52
	buffer_store_dword v3, off, s[0:3], 0 offset:56
	ds_read_b128 v[0:3], v59 offset:4096
	s_waitcnt lgkmcnt(2)
	buffer_store_dword v8, off, s[0:3], 0 offset:60
	buffer_store_dword v9, off, s[0:3], 0 offset:64
	buffer_store_dword v10, off, s[0:3], 0 offset:68
	buffer_store_dword v11, off, s[0:3], 0 offset:72
	ds_read_b128 v[8:11], v57 offset:4096
	s_waitcnt lgkmcnt(1)
	buffer_store_dword v0, off, s[0:3], 0 offset:76
	buffer_store_dword v1, off, s[0:3], 0 offset:80
	buffer_store_dword v2, off, s[0:3], 0 offset:84
	buffer_store_dword v3, off, s[0:3], 0 offset:88
	s_waitcnt lgkmcnt(0)
	buffer_store_dword v8, off, s[0:3], 0 offset:92
	buffer_store_dword v9, off, s[0:3], 0 offset:96
	;; [unrolled: 1-line block ×5, first 2 shown]
	ds_read_b128 v[0:3], v89 offset:8192
	buffer_store_dword v5, off, s[0:3], 0 offset:112
	buffer_store_dword v6, off, s[0:3], 0 offset:116
	;; [unrolled: 1-line block ×3, first 2 shown]
	ds_read_b128 v[4:7], v90 offset:12288
	s_waitcnt lgkmcnt(1)
	buffer_store_dword v0, off, s[0:3], 0 offset:124
	buffer_store_dword v1, off, s[0:3], 0 offset:128
	;; [unrolled: 1-line block ×4, first 2 shown]
	s_waitcnt lgkmcnt(0)
	buffer_store_dword v4, off, s[0:3], 0 offset:140
	ds_read_b128 v[0:3], v89 offset:12288
	buffer_store_dword v5, off, s[0:3], 0 offset:144
	buffer_store_dword v6, off, s[0:3], 0 offset:148
	;; [unrolled: 1-line block ×3, first 2 shown]
	ds_read_b64 v[4:5], v88 offset:16384
	s_waitcnt lgkmcnt(1)
	buffer_store_dword v0, off, s[0:3], 0 offset:156
	buffer_store_dword v1, off, s[0:3], 0 offset:160
	buffer_store_dword v2, off, s[0:3], 0 offset:164
	buffer_store_dword v3, off, s[0:3], 0 offset:168
	s_waitcnt lgkmcnt(0)
	;;#ASMSTART
	v_cvt_off_f32_i4 v0, v4
v_cvt_off_f32_i4 v1, v4, src0_sel:BYTE_2
v_cvt_pk_fp8_f32 v3, v0, v1
v_cvt_off_f32_i4 v0, v4, src0_sel:BYTE_1
v_cvt_off_f32_i4 v1, v4, src0_sel:BYTE_3
v_cvt_pk_fp8_f32 v6, v0, v1
v_lshrrev_b32 v2, 4, v4
v_cvt_off_f32_i4 v0, v2
v_cvt_off_f32_i4 v1, v2, src0_sel:BYTE_2
v_cvt_pk_fp8_f32 v3, v0, v1, op_sel:[0, 0, 1]
v_cvt_off_f32_i4 v0, v2, src0_sel:BYTE_1
v_cvt_off_f32_i4 v1, v2, src0_sel:BYTE_3
v_cvt_pk_fp8_f32 v6, v0, v1, op_sel:[0, 0, 1]

	;;#ASMEND
	;;#ASMSTART
	v_cvt_off_f32_i4 v0, v5
v_cvt_off_f32_i4 v1, v5, src0_sel:BYTE_2
v_cvt_pk_fp8_f32 v4, v0, v1
v_cvt_off_f32_i4 v0, v5, src0_sel:BYTE_1
v_cvt_off_f32_i4 v1, v5, src0_sel:BYTE_3
v_cvt_pk_fp8_f32 v7, v0, v1
v_lshrrev_b32 v2, 4, v5
v_cvt_off_f32_i4 v0, v2
v_cvt_off_f32_i4 v1, v2, src0_sel:BYTE_2
v_cvt_pk_fp8_f32 v4, v0, v1, op_sel:[0, 0, 1]
v_cvt_off_f32_i4 v0, v2, src0_sel:BYTE_1
v_cvt_off_f32_i4 v1, v2, src0_sel:BYTE_3
v_cvt_pk_fp8_f32 v7, v0, v1, op_sel:[0, 0, 1]

	;;#ASMEND
	ds_read_b64 v[0:1], v86 offset:16384
	buffer_store_dword v3, off, s[0:3], 0 offset:172
	buffer_store_dword v6, off, s[0:3], 0 offset:176
	buffer_store_dword v4, off, s[0:3], 0 offset:180
	buffer_store_dword v7, off, s[0:3], 0 offset:184
	s_waitcnt lgkmcnt(0)
	;;#ASMSTART
	v_cvt_off_f32_i4 v2, v0
v_cvt_off_f32_i4 v3, v0, src0_sel:BYTE_2
v_cvt_pk_fp8_f32 v5, v2, v3
v_cvt_off_f32_i4 v2, v0, src0_sel:BYTE_1
v_cvt_off_f32_i4 v3, v0, src0_sel:BYTE_3
v_cvt_pk_fp8_f32 v6, v2, v3
v_lshrrev_b32 v4, 4, v0
v_cvt_off_f32_i4 v2, v4
v_cvt_off_f32_i4 v3, v4, src0_sel:BYTE_2
v_cvt_pk_fp8_f32 v5, v2, v3, op_sel:[0, 0, 1]
v_cvt_off_f32_i4 v2, v4, src0_sel:BYTE_1
v_cvt_off_f32_i4 v3, v4, src0_sel:BYTE_3
v_cvt_pk_fp8_f32 v6, v2, v3, op_sel:[0, 0, 1]

	;;#ASMEND
	;;#ASMSTART
	v_cvt_off_f32_i4 v0, v1
v_cvt_off_f32_i4 v2, v1, src0_sel:BYTE_2
v_cvt_pk_fp8_f32 v4, v0, v2
v_cvt_off_f32_i4 v0, v1, src0_sel:BYTE_1
v_cvt_off_f32_i4 v2, v1, src0_sel:BYTE_3
v_cvt_pk_fp8_f32 v7, v0, v2
v_lshrrev_b32 v3, 4, v1
v_cvt_off_f32_i4 v0, v3
v_cvt_off_f32_i4 v2, v3, src0_sel:BYTE_2
v_cvt_pk_fp8_f32 v4, v0, v2, op_sel:[0, 0, 1]
v_cvt_off_f32_i4 v0, v3, src0_sel:BYTE_1
v_cvt_off_f32_i4 v2, v3, src0_sel:BYTE_3
v_cvt_pk_fp8_f32 v7, v0, v2, op_sel:[0, 0, 1]

	;;#ASMEND
	ds_read_b64 v[0:1], v87 offset:16384
	;; [unrolled: 38-line block ×7, first 2 shown]
	buffer_store_dword v5, off, s[0:3], 0 offset:268
	buffer_store_dword v6, off, s[0:3], 0 offset:272
	;; [unrolled: 1-line block ×4, first 2 shown]
	s_waitcnt lgkmcnt(0)
	;;#ASMSTART
	v_cvt_off_f32_i4 v2, v0
v_cvt_off_f32_i4 v3, v0, src0_sel:BYTE_2
v_cvt_pk_fp8_f32 v5, v2, v3
v_cvt_off_f32_i4 v2, v0, src0_sel:BYTE_1
v_cvt_off_f32_i4 v3, v0, src0_sel:BYTE_3
v_cvt_pk_fp8_f32 v6, v2, v3
v_lshrrev_b32 v4, 4, v0
v_cvt_off_f32_i4 v2, v4
v_cvt_off_f32_i4 v3, v4, src0_sel:BYTE_2
v_cvt_pk_fp8_f32 v5, v2, v3, op_sel:[0, 0, 1]
v_cvt_off_f32_i4 v2, v4, src0_sel:BYTE_1
v_cvt_off_f32_i4 v3, v4, src0_sel:BYTE_3
v_cvt_pk_fp8_f32 v6, v2, v3, op_sel:[0, 0, 1]

	;;#ASMEND
	;;#ASMSTART
	v_cvt_off_f32_i4 v0, v1
v_cvt_off_f32_i4 v2, v1, src0_sel:BYTE_2
v_cvt_pk_fp8_f32 v4, v0, v2
v_cvt_off_f32_i4 v0, v1, src0_sel:BYTE_1
v_cvt_off_f32_i4 v2, v1, src0_sel:BYTE_3
v_cvt_pk_fp8_f32 v7, v0, v2
v_lshrrev_b32 v3, 4, v1
v_cvt_off_f32_i4 v0, v3
v_cvt_off_f32_i4 v2, v3, src0_sel:BYTE_2
v_cvt_pk_fp8_f32 v4, v0, v2, op_sel:[0, 0, 1]
v_cvt_off_f32_i4 v0, v3, src0_sel:BYTE_1
v_cvt_off_f32_i4 v2, v3, src0_sel:BYTE_3
v_cvt_pk_fp8_f32 v7, v0, v2, op_sel:[0, 0, 1]

	;;#ASMEND
	buffer_store_dword v5, off, s[0:3], 0 offset:284
	buffer_store_dword v6, off, s[0:3], 0 offset:288
	buffer_store_dword v4, off, s[0:3], 0 offset:292
	buffer_store_dword v7, off, s[0:3], 0 offset:296
	; sched_barrier mask(0x00000000)
	s_barrier
	; sched_barrier mask(0x00000000)
	v_mov_b32_e32 v0, s45
	v_mov_b32_e32 v1, s46
	buffer_store_dword v101, off, s[0:3], 0 offset:4
	buffer_store_dword v102, off, s[0:3], 0
	buffer_store_dword v103, off, s[0:3], 0 offset:12
	buffer_store_dword v104, off, s[0:3], 0 offset:8
	;; [unrolled: 1-line block ×8, first 2 shown]
	s_getpc_b64 s[4:5]
	s_add_u32 s4, s4, _ZNK2ck6detail7applierIiJLi0ELi1ELi2ELi3ELi4ELi5ELi6ELi7ELi8ELi9ELi10ELi11ELi12ELi13ELi14ELi15EEEclIZNKS_11static_fordINS_8SequenceIJLi4ELi4EEEENS5_IJLi0ELi1EEEEEclIZZZZNKS_31BlockwiseGemmXdlops_pipeline_v2ILNS_26BlockGemmPipelineSchedulerE1ELi256ENS_9f8_fnuz_tENS_7pk_i4_tESC_fNS_16TensorDescriptorINS_5TupleIJNS_5EmbedINSF_IJNS_17integral_constantIiLi8EEENSH_IiLi128EEENSH_IiLi16EEEEEENSF_IJSK_SJ_NSH_IiLi1EEEEEELb0EEENS_3XorINSF_IJSJ_SI_EEELb1EEENS_11PassThroughISK_EENS_7UnMergeINSF_IJSI_SM_EEELb0EEENSS_ISJ_EEST_NSS_ISI_EENS_21Merge_v3_division_modINSF_IJSJ_SM_EEEEEST_EEENSF_IJNS5_IJLi0EEEENS5_IJLi2ELi1EEEENS5_IJLi3EEEENS5_IJLi5EEEENS5_IJLi4EEEENS5_IJLi6EEEENS5_IJLi7EEEENS5_IJLi9ELi8EEEENS5_IJLi10EEEEEEENSF_IJNS5_IJLi1ELi2ELi3EEEENS5_IJLi4ELi5EEEES18_NS5_IJLi7ELi8EEEENS5_IJLi9EEEES1B_NS5_IJLi11EEEENS5_IJLi12EEEENS5_IJLi13EEEEEEENS5_IJLi11ELi12ELi13EEEENSH_IlLl16384EEEEENSE_INSF_IJNSG_INSF_IJSK_NSH_IiLi64EEESK_EEENSF_IJSK_NSH_IiLi256EEESM_EEELb0EEENSP_INSF_IJS1O_SK_EEELb1EEEST_NSU_INSF_IJSI_NSH_IiLi2EEEEEELb0EEENSS_IS1O_EEST_SY_NSZ_INSF_IJS1O_S1V_EEEEEST_EEES1C_S1K_S1L_S1M_EENSE_INSF_IJSO_SR_ST_SW_SX_ST_SY_S11_ST_NSZ_INSF_IJSI_SK_EEEEENSU_INSF_IJNSH_IiLi4EEES1V_SK_EEELb0EEEEEENSF_IJS13_S14_S15_S16_S17_S18_S19_S1A_S1B_NS5_IJLi11ELi13EEEES1I_EEENSF_IJS1D_S1E_S18_S1F_S1G_S1B_S1H_S1I_S1J_NS5_IJLi14EEEENS5_IJLi15ELi16ELi17EEEEEEENS5_IJLi15ELi16ELi17ELi14EEEES1M_EENSE_INSF_IJS1S_S1U_ST_S1X_S1Y_ST_SY_S20_ST_S24_S27_EEES2A_S2D_S2E_S1M_EELi16ELi16ELi128ELi128ELi128ELi16ELi16ELi4ELi4ELi16ELb0EE3RunILb1ELNS_10TailNumberE10ENSE_INSF_IJNSG_INSF_IJiiEEENSF_IJiSM_EEELb0EEENSU_IS2L_Lb0EEENSS_IiEEEEENSF_IJS13_NS5_IJLi2EEEENS5_IJLi1EEEEEEENSF_IJNS5_IJLi1ELi2EEEENS5_IJLi3ELi4EEEES16_EEENS5_IJLi3ELi5ELi4EEEElEES1N_NS_35ThreadGroupTensorSliceTransfer_v4r1INS_15ThisThreadBlockILi256EEENS_16tensor_operation12element_wise11PassThroughES34_LNS_25InMemoryDataOperationEnumE0ENS5_IJLi8ELi128ELi16EEEENS5_IJLi8ELi32ELi1EEEENS5_IJLi1ELi0ELi2EEEESC_SC_RKS2Y_KS1N_S38_NS5_IJLi0ELi1ELi2EEEELi2ELi2ELi16ELi16ELi1ELi1ELb0ELb1ELi2EiEENS_13DynamicBufferILNS_16AddressSpaceEnumE1EKSC_lLb1ELNS_22AmdBufferCoherenceEnumE0EiEENS3E_ILS3F_2ESC_S1M_Lb1ELS3H_0EiEENSF_IJiiiEEENSE_INSF_IJNSU_INSF_IJiiiiEEELb0EEENS_23Merge_v2_magic_divisionIS2L_EENSS_INSF_IJiEEEEES2P_EEENSF_IJS13_NS5_IJLi1ELi3EEEES2R_S17_EEENSF_IJNS5_IJLi1ELi2ELi3ELi4EEEES16_S18_S19_EEENS5_IJLi5ELi6ELi7EEEElEES22_NS2Z_IS31_S34_S34_LS35_0ES36_NS5_IJLi4ELi64ELi1EEEES38_SD_SD_RKS3X_KS22_S38_S3C_Li2ELi2ELi16ELi16ELi1ELi1ELb0ELb1ELi2EiEENS3E_ILS3F_1EKSD_lLb1ELS3H_0EiEENS3E_ILS3F_2ESD_S1M_Lb1ELS3H_0EiEES3K_NS_25StaticBufferTupleOfVectorILS3F_4EfLi16ELi4ELb1ELb0EEEEEvRKT1_RKT2_RT3_RKT4_RT5_RKT6_RKT7_RKT8_RT9_RKT10_RT11_RKT12_RT13_iENKUlT_E0_clISM_EEDaS56_ENKUlS56_E_clINSH_IiLi0EEEEEDaS56_ENKUlS56_E1_clIS5B_EEDaS56_EUlS56_E_EEvS56_EUlS56_E_EEvS56_@rel32@lo+4
	s_addc_u32 s5, s5, _ZNK2ck6detail7applierIiJLi0ELi1ELi2ELi3ELi4ELi5ELi6ELi7ELi8ELi9ELi10ELi11ELi12ELi13ELi14ELi15EEEclIZNKS_11static_fordINS_8SequenceIJLi4ELi4EEEENS5_IJLi0ELi1EEEEEclIZZZZNKS_31BlockwiseGemmXdlops_pipeline_v2ILNS_26BlockGemmPipelineSchedulerE1ELi256ENS_9f8_fnuz_tENS_7pk_i4_tESC_fNS_16TensorDescriptorINS_5TupleIJNS_5EmbedINSF_IJNS_17integral_constantIiLi8EEENSH_IiLi128EEENSH_IiLi16EEEEEENSF_IJSK_SJ_NSH_IiLi1EEEEEELb0EEENS_3XorINSF_IJSJ_SI_EEELb1EEENS_11PassThroughISK_EENS_7UnMergeINSF_IJSI_SM_EEELb0EEENSS_ISJ_EEST_NSS_ISI_EENS_21Merge_v3_division_modINSF_IJSJ_SM_EEEEEST_EEENSF_IJNS5_IJLi0EEEENS5_IJLi2ELi1EEEENS5_IJLi3EEEENS5_IJLi5EEEENS5_IJLi4EEEENS5_IJLi6EEEENS5_IJLi7EEEENS5_IJLi9ELi8EEEENS5_IJLi10EEEEEEENSF_IJNS5_IJLi1ELi2ELi3EEEENS5_IJLi4ELi5EEEES18_NS5_IJLi7ELi8EEEENS5_IJLi9EEEES1B_NS5_IJLi11EEEENS5_IJLi12EEEENS5_IJLi13EEEEEEENS5_IJLi11ELi12ELi13EEEENSH_IlLl16384EEEEENSE_INSF_IJNSG_INSF_IJSK_NSH_IiLi64EEESK_EEENSF_IJSK_NSH_IiLi256EEESM_EEELb0EEENSP_INSF_IJS1O_SK_EEELb1EEEST_NSU_INSF_IJSI_NSH_IiLi2EEEEEELb0EEENSS_IS1O_EEST_SY_NSZ_INSF_IJS1O_S1V_EEEEEST_EEES1C_S1K_S1L_S1M_EENSE_INSF_IJSO_SR_ST_SW_SX_ST_SY_S11_ST_NSZ_INSF_IJSI_SK_EEEEENSU_INSF_IJNSH_IiLi4EEES1V_SK_EEELb0EEEEEENSF_IJS13_S14_S15_S16_S17_S18_S19_S1A_S1B_NS5_IJLi11ELi13EEEES1I_EEENSF_IJS1D_S1E_S18_S1F_S1G_S1B_S1H_S1I_S1J_NS5_IJLi14EEEENS5_IJLi15ELi16ELi17EEEEEEENS5_IJLi15ELi16ELi17ELi14EEEES1M_EENSE_INSF_IJS1S_S1U_ST_S1X_S1Y_ST_SY_S20_ST_S24_S27_EEES2A_S2D_S2E_S1M_EELi16ELi16ELi128ELi128ELi128ELi16ELi16ELi4ELi4ELi16ELb0EE3RunILb1ELNS_10TailNumberE10ENSE_INSF_IJNSG_INSF_IJiiEEENSF_IJiSM_EEELb0EEENSU_IS2L_Lb0EEENSS_IiEEEEENSF_IJS13_NS5_IJLi2EEEENS5_IJLi1EEEEEEENSF_IJNS5_IJLi1ELi2EEEENS5_IJLi3ELi4EEEES16_EEENS5_IJLi3ELi5ELi4EEEElEES1N_NS_35ThreadGroupTensorSliceTransfer_v4r1INS_15ThisThreadBlockILi256EEENS_16tensor_operation12element_wise11PassThroughES34_LNS_25InMemoryDataOperationEnumE0ENS5_IJLi8ELi128ELi16EEEENS5_IJLi8ELi32ELi1EEEENS5_IJLi1ELi0ELi2EEEESC_SC_RKS2Y_KS1N_S38_NS5_IJLi0ELi1ELi2EEEELi2ELi2ELi16ELi16ELi1ELi1ELb0ELb1ELi2EiEENS_13DynamicBufferILNS_16AddressSpaceEnumE1EKSC_lLb1ELNS_22AmdBufferCoherenceEnumE0EiEENS3E_ILS3F_2ESC_S1M_Lb1ELS3H_0EiEENSF_IJiiiEEENSE_INSF_IJNSU_INSF_IJiiiiEEELb0EEENS_23Merge_v2_magic_divisionIS2L_EENSS_INSF_IJiEEEEES2P_EEENSF_IJS13_NS5_IJLi1ELi3EEEES2R_S17_EEENSF_IJNS5_IJLi1ELi2ELi3ELi4EEEES16_S18_S19_EEENS5_IJLi5ELi6ELi7EEEElEES22_NS2Z_IS31_S34_S34_LS35_0ES36_NS5_IJLi4ELi64ELi1EEEES38_SD_SD_RKS3X_KS22_S38_S3C_Li2ELi2ELi16ELi16ELi1ELi1ELb0ELb1ELi2EiEENS3E_ILS3F_1EKSD_lLb1ELS3H_0EiEENS3E_ILS3F_2ESD_S1M_Lb1ELS3H_0EiEES3K_NS_25StaticBufferTupleOfVectorILS3F_4EfLi16ELi4ELb1ELb0EEEEEvRKT1_RKT2_RT3_RKT4_RT5_RKT6_RKT7_RKT8_RT9_RKT10_RT11_RKT12_RT13_iENKUlT_E0_clISM_EEDaS56_ENKUlS56_E_clINSH_IiLi0EEEEEDaS56_ENKUlS56_E1_clIS5B_EEDaS56_EUlS56_E_EEvS56_EUlS56_E_EEvS56_@rel32@hi+12
	s_swappc_b64 s[30:31], s[4:5]
	v_mov_b32_e32 v0, s45
	v_mov_b32_e32 v1, s46
	buffer_store_dword v101, off, s[0:3], 0 offset:4
	buffer_store_dword v102, off, s[0:3], 0
	buffer_store_dword v103, off, s[0:3], 0 offset:12
	buffer_store_dword v104, off, s[0:3], 0 offset:8
	;; [unrolled: 1-line block ×8, first 2 shown]
	s_getpc_b64 s[4:5]
	s_add_u32 s4, s4, _ZNK2ck6detail7applierIiJLi0ELi1ELi2ELi3ELi4ELi5ELi6ELi7ELi8ELi9ELi10ELi11ELi12ELi13ELi14ELi15EEEclIZNKS_11static_fordINS_8SequenceIJLi4ELi4EEEENS5_IJLi0ELi1EEEEEclIZZZZNKS_31BlockwiseGemmXdlops_pipeline_v2ILNS_26BlockGemmPipelineSchedulerE1ELi256ENS_9f8_fnuz_tENS_7pk_i4_tESC_fNS_16TensorDescriptorINS_5TupleIJNS_5EmbedINSF_IJNS_17integral_constantIiLi8EEENSH_IiLi128EEENSH_IiLi16EEEEEENSF_IJSK_SJ_NSH_IiLi1EEEEEELb0EEENS_3XorINSF_IJSJ_SI_EEELb1EEENS_11PassThroughISK_EENS_7UnMergeINSF_IJSI_SM_EEELb0EEENSS_ISJ_EEST_NSS_ISI_EENS_21Merge_v3_division_modINSF_IJSJ_SM_EEEEEST_EEENSF_IJNS5_IJLi0EEEENS5_IJLi2ELi1EEEENS5_IJLi3EEEENS5_IJLi5EEEENS5_IJLi4EEEENS5_IJLi6EEEENS5_IJLi7EEEENS5_IJLi9ELi8EEEENS5_IJLi10EEEEEEENSF_IJNS5_IJLi1ELi2ELi3EEEENS5_IJLi4ELi5EEEES18_NS5_IJLi7ELi8EEEENS5_IJLi9EEEES1B_NS5_IJLi11EEEENS5_IJLi12EEEENS5_IJLi13EEEEEEENS5_IJLi11ELi12ELi13EEEENSH_IlLl16384EEEEENSE_INSF_IJNSG_INSF_IJSK_NSH_IiLi64EEESK_EEENSF_IJSK_NSH_IiLi256EEESM_EEELb0EEENSP_INSF_IJS1O_SK_EEELb1EEEST_NSU_INSF_IJSI_NSH_IiLi2EEEEEELb0EEENSS_IS1O_EEST_SY_NSZ_INSF_IJS1O_S1V_EEEEEST_EEES1C_S1K_S1L_S1M_EENSE_INSF_IJSO_SR_ST_SW_SX_ST_SY_S11_ST_NSZ_INSF_IJSI_SK_EEEEENSU_INSF_IJNSH_IiLi4EEES1V_SK_EEELb0EEEEEENSF_IJS13_S14_S15_S16_S17_S18_S19_S1A_S1B_NS5_IJLi11ELi13EEEES1I_EEENSF_IJS1D_S1E_S18_S1F_S1G_S1B_S1H_S1I_S1J_NS5_IJLi14EEEENS5_IJLi15ELi16ELi17EEEEEEENS5_IJLi15ELi16ELi17ELi14EEEES1M_EENSE_INSF_IJS1S_S1U_ST_S1X_S1Y_ST_SY_S20_ST_S24_S27_EEES2A_S2D_S2E_S1M_EELi16ELi16ELi128ELi128ELi128ELi16ELi16ELi4ELi4ELi16ELb0EE3RunILb1ELNS_10TailNumberE10ENSE_INSF_IJNSG_INSF_IJiiEEENSF_IJiSM_EEELb0EEENSU_IS2L_Lb0EEENSS_IiEEEEENSF_IJS13_NS5_IJLi2EEEENS5_IJLi1EEEEEEENSF_IJNS5_IJLi1ELi2EEEENS5_IJLi3ELi4EEEES16_EEENS5_IJLi3ELi5ELi4EEEElEES1N_NS_35ThreadGroupTensorSliceTransfer_v4r1INS_15ThisThreadBlockILi256EEENS_16tensor_operation12element_wise11PassThroughES34_LNS_25InMemoryDataOperationEnumE0ENS5_IJLi8ELi128ELi16EEEENS5_IJLi8ELi32ELi1EEEENS5_IJLi1ELi0ELi2EEEESC_SC_RKS2Y_KS1N_S38_NS5_IJLi0ELi1ELi2EEEELi2ELi2ELi16ELi16ELi1ELi1ELb0ELb1ELi2EiEENS_13DynamicBufferILNS_16AddressSpaceEnumE1EKSC_lLb1ELNS_22AmdBufferCoherenceEnumE0EiEENS3E_ILS3F_2ESC_S1M_Lb1ELS3H_0EiEENSF_IJiiiEEENSE_INSF_IJNSU_INSF_IJiiiiEEELb0EEENS_23Merge_v2_magic_divisionIS2L_EENSS_INSF_IJiEEEEES2P_EEENSF_IJS13_NS5_IJLi1ELi3EEEES2R_S17_EEENSF_IJNS5_IJLi1ELi2ELi3ELi4EEEES16_S18_S19_EEENS5_IJLi5ELi6ELi7EEEElEES22_NS2Z_IS31_S34_S34_LS35_0ES36_NS5_IJLi4ELi64ELi1EEEES38_SD_SD_RKS3X_KS22_S38_S3C_Li2ELi2ELi16ELi16ELi1ELi1ELb0ELb1ELi2EiEENS3E_ILS3F_1EKSD_lLb1ELS3H_0EiEENS3E_ILS3F_2ESD_S1M_Lb1ELS3H_0EiEES3K_NS_25StaticBufferTupleOfVectorILS3F_4EfLi16ELi4ELb1ELb0EEEEEvRKT1_RKT2_RT3_RKT4_RT5_RKT6_RKT7_RKT8_RT9_RKT10_RT11_RKT12_RT13_iENKUlT_E0_clISM_EEDaS56_ENKUlS56_E_clINSH_IiLi0EEEEEDaS56_ENKUlS56_E1_clISK_EEDaS56_EUlS56_E_EEvS56_EUlS56_E_EEvS56_@rel32@lo+4
	s_addc_u32 s5, s5, _ZNK2ck6detail7applierIiJLi0ELi1ELi2ELi3ELi4ELi5ELi6ELi7ELi8ELi9ELi10ELi11ELi12ELi13ELi14ELi15EEEclIZNKS_11static_fordINS_8SequenceIJLi4ELi4EEEENS5_IJLi0ELi1EEEEEclIZZZZNKS_31BlockwiseGemmXdlops_pipeline_v2ILNS_26BlockGemmPipelineSchedulerE1ELi256ENS_9f8_fnuz_tENS_7pk_i4_tESC_fNS_16TensorDescriptorINS_5TupleIJNS_5EmbedINSF_IJNS_17integral_constantIiLi8EEENSH_IiLi128EEENSH_IiLi16EEEEEENSF_IJSK_SJ_NSH_IiLi1EEEEEELb0EEENS_3XorINSF_IJSJ_SI_EEELb1EEENS_11PassThroughISK_EENS_7UnMergeINSF_IJSI_SM_EEELb0EEENSS_ISJ_EEST_NSS_ISI_EENS_21Merge_v3_division_modINSF_IJSJ_SM_EEEEEST_EEENSF_IJNS5_IJLi0EEEENS5_IJLi2ELi1EEEENS5_IJLi3EEEENS5_IJLi5EEEENS5_IJLi4EEEENS5_IJLi6EEEENS5_IJLi7EEEENS5_IJLi9ELi8EEEENS5_IJLi10EEEEEEENSF_IJNS5_IJLi1ELi2ELi3EEEENS5_IJLi4ELi5EEEES18_NS5_IJLi7ELi8EEEENS5_IJLi9EEEES1B_NS5_IJLi11EEEENS5_IJLi12EEEENS5_IJLi13EEEEEEENS5_IJLi11ELi12ELi13EEEENSH_IlLl16384EEEEENSE_INSF_IJNSG_INSF_IJSK_NSH_IiLi64EEESK_EEENSF_IJSK_NSH_IiLi256EEESM_EEELb0EEENSP_INSF_IJS1O_SK_EEELb1EEEST_NSU_INSF_IJSI_NSH_IiLi2EEEEEELb0EEENSS_IS1O_EEST_SY_NSZ_INSF_IJS1O_S1V_EEEEEST_EEES1C_S1K_S1L_S1M_EENSE_INSF_IJSO_SR_ST_SW_SX_ST_SY_S11_ST_NSZ_INSF_IJSI_SK_EEEEENSU_INSF_IJNSH_IiLi4EEES1V_SK_EEELb0EEEEEENSF_IJS13_S14_S15_S16_S17_S18_S19_S1A_S1B_NS5_IJLi11ELi13EEEES1I_EEENSF_IJS1D_S1E_S18_S1F_S1G_S1B_S1H_S1I_S1J_NS5_IJLi14EEEENS5_IJLi15ELi16ELi17EEEEEEENS5_IJLi15ELi16ELi17ELi14EEEES1M_EENSE_INSF_IJS1S_S1U_ST_S1X_S1Y_ST_SY_S20_ST_S24_S27_EEES2A_S2D_S2E_S1M_EELi16ELi16ELi128ELi128ELi128ELi16ELi16ELi4ELi4ELi16ELb0EE3RunILb1ELNS_10TailNumberE10ENSE_INSF_IJNSG_INSF_IJiiEEENSF_IJiSM_EEELb0EEENSU_IS2L_Lb0EEENSS_IiEEEEENSF_IJS13_NS5_IJLi2EEEENS5_IJLi1EEEEEEENSF_IJNS5_IJLi1ELi2EEEENS5_IJLi3ELi4EEEES16_EEENS5_IJLi3ELi5ELi4EEEElEES1N_NS_35ThreadGroupTensorSliceTransfer_v4r1INS_15ThisThreadBlockILi256EEENS_16tensor_operation12element_wise11PassThroughES34_LNS_25InMemoryDataOperationEnumE0ENS5_IJLi8ELi128ELi16EEEENS5_IJLi8ELi32ELi1EEEENS5_IJLi1ELi0ELi2EEEESC_SC_RKS2Y_KS1N_S38_NS5_IJLi0ELi1ELi2EEEELi2ELi2ELi16ELi16ELi1ELi1ELb0ELb1ELi2EiEENS_13DynamicBufferILNS_16AddressSpaceEnumE1EKSC_lLb1ELNS_22AmdBufferCoherenceEnumE0EiEENS3E_ILS3F_2ESC_S1M_Lb1ELS3H_0EiEENSF_IJiiiEEENSE_INSF_IJNSU_INSF_IJiiiiEEELb0EEENS_23Merge_v2_magic_divisionIS2L_EENSS_INSF_IJiEEEEES2P_EEENSF_IJS13_NS5_IJLi1ELi3EEEES2R_S17_EEENSF_IJNS5_IJLi1ELi2ELi3ELi4EEEES16_S18_S19_EEENS5_IJLi5ELi6ELi7EEEElEES22_NS2Z_IS31_S34_S34_LS35_0ES36_NS5_IJLi4ELi64ELi1EEEES38_SD_SD_RKS3X_KS22_S38_S3C_Li2ELi2ELi16ELi16ELi1ELi1ELb0ELb1ELi2EiEENS3E_ILS3F_1EKSD_lLb1ELS3H_0EiEENS3E_ILS3F_2ESD_S1M_Lb1ELS3H_0EiEES3K_NS_25StaticBufferTupleOfVectorILS3F_4EfLi16ELi4ELb1ELb0EEEEEvRKT1_RKT2_RT3_RKT4_RT5_RKT6_RKT7_RKT8_RT9_RKT10_RT11_RKT12_RT13_iENKUlT_E0_clISM_EEDaS56_ENKUlS56_E_clINSH_IiLi0EEEEEDaS56_ENKUlS56_E1_clISK_EEDaS56_EUlS56_E_EEvS56_EUlS56_E_EEvS56_@rel32@hi+12
	s_swappc_b64 s[30:31], s[4:5]
	; sched_barrier mask(0x00000000)
	s_setprio 0
	; sched_barrier mask(0x00000000)
	v_add_u32_e32 v0, -16, v20
	v_add_u32_e32 v1, -16, v21
	v_sub_u32_e32 v4, v113, v113
	v_add_u32_e32 v2, -16, v22
	v_lshrrev_b32_e32 v3, 31, v52
	buffer_load_dwordx4 v[32:35], v53, s[24:27], 0 offen
	buffer_load_dwordx4 v[24:27], v0, s[24:27], 0 offen
	buffer_load_dwordx4 v[28:31], v1, s[24:27], 0 offen
	buffer_load_dwordx4 v[20:23], v2, s[24:27], 0 offen
	v_mad_u64_u32 v[0:1], s[4:5], v4, s44, v[52:53]
	v_add_u32_e32 v2, v52, v3
	v_mul_lo_u32 v1, v4, s44
	v_add_u32_e32 v3, 16, v0
	v_add_u32_e32 v0, 0x90, v0
	v_ashrrev_i32_e32 v2, 1, v2
	v_lshrrev_b32_e32 v4, 31, v3
	v_add3_u32 v1, v1, v0, -16
	v_lshrrev_b32_e32 v5, 31, v0
	buffer_load_dwordx2 v[62:63], v2, s[36:39], 0 offen
	v_add_u32_e32 v2, v3, v4
	v_lshrrev_b32_e32 v3, 31, v1
	v_add_u32_e32 v0, v0, v5
	v_ashrrev_i32_e32 v2, 1, v2
	v_add_u32_e32 v3, v1, v3
	v_ashrrev_i32_e32 v0, 1, v0
	v_ashrrev_i32_e32 v3, 1, v3
	buffer_load_dwordx2 v[52:53], v2, s[36:39], 0 offen
	buffer_load_dwordx2 v[54:55], v0, s[36:39], 0 offen
	;; [unrolled: 1-line block ×3, first 2 shown]
	v_add_u32_e32 v0, v114, v93
	v_add3_u32 v2, v115, v94, v95
	v_and_b32_e32 v3, 0xff000000, v71
	v_and_b32_e32 v4, 0xff0000, v71
	v_lshrrev_b32_e32 v7, 31, v116
	v_add_u32_e32 v8, v116, v81
	v_and_b32_e32 v9, 0xff000000, v69
	v_and_b32_e32 v10, 0xff0000, v69
	;; [unrolled: 1-line block ×8, first 2 shown]
	v_add_u32_e64 v69, 4, s23
	ds_write_b128 v0, v[48:51] offset:128
	v_add_u32_e32 v49, v0, v77
	v_add3_u32 v0, v0, v94, v95
	v_add3_u32 v48, v2, v97, v93
	v_or_b32_e32 v2, v4, v3
	v_add_u32_e32 v3, v116, v7
	v_or_b32_e32 v4, v10, v9
	v_lshrrev_b32_e32 v7, 31, v8
	v_add_u32_e32 v9, v8, v82
	v_or_b32_e32 v10, v14, v13
	v_sub_u32_e32 v14, v69, v113
	ds_write_b128 v49, v[40:43] offset:256
	ds_write_b128 v0, v[44:47] offset:128
	v_add_u32_e32 v40, v0, v97
	v_or3_b32 v71, v2, v5, v6
	v_ashrrev_i32_e32 v0, 1, v3
	v_or3_b32 v69, v4, v11, v12
	v_add_u32_e32 v2, v8, v7
	v_lshrrev_b32_e32 v3, 31, v9
	v_add_u32_e32 v4, v9, v83
	v_and_b32_e32 v15, 0xff00, v67
	v_and_b32_e32 v16, 0xff, v67
	;; [unrolled: 1-line block ×4, first 2 shown]
	ds_write_b128 v40, v[36:39] offset:128
	ds_write_b64 v0, v[70:71] offset:16384
	v_ashrrev_i32_e32 v0, 1, v2
	v_add_u32_e32 v2, v9, v3
	v_lshrrev_b32_e32 v3, 31, v4
	v_and_b32_e32 v111, 0xff00, v65
	v_and_b32_e32 v65, 0xff, v65
	v_add_u32_e32 v96, 16, v96
	s_add_i32 s23, s23, 2
	s_addk_i32 s19, 0xff00
	s_addk_i32 s48, 0x100
	v_or_b32_e32 v13, v67, v17
	v_or3_b32 v67, v10, v15, v16
	v_mul_lo_u32 v5, v14, s44
	ds_write_b64 v0, v[68:69] offset:16384
	v_ashrrev_i32_e32 v0, 1, v2
	v_add_u32_e32 v2, v4, v3
	v_add_u32_e32 v99, 2, v99
	;; [unrolled: 1-line block ×3, first 2 shown]
	v_lshrrev_b32_e32 v112, 3, v96
	s_cmp_lt_i32 s23, s47
	v_or3_b32 v65, v13, v111, v65
	v_add_u32_e32 v36, v4, v98
	v_add3_u32 v111, v5, v1, s18
	ds_write_b64 v0, v[66:67] offset:16384
	v_ashrrev_i32_e32 v0, 1, v2
	ds_write_b64 v0, v[64:65] offset:16384
	s_cbranch_scc1 .LBB16_12
; %bb.13:
	s_waitcnt lgkmcnt(0)
	s_barrier
	ds_read_b128 v[0:3], v73
	ds_read_b128 v[4:7], v90 offset:8192
	ds_read_b128 v[8:11], v91
	s_lshl_b64 s[4:5], s[34:35], 1
	s_add_u32 s24, s28, s4
	s_waitcnt lgkmcnt(2)
	buffer_store_dword v0, off, s[0:3], 0 offset:44
	buffer_store_dword v1, off, s[0:3], 0 offset:48
	;; [unrolled: 1-line block ×4, first 2 shown]
	ds_read_b128 v[0:3], v59 offset:4096
	s_waitcnt lgkmcnt(1)
	buffer_store_dword v8, off, s[0:3], 0 offset:60
	buffer_store_dword v9, off, s[0:3], 0 offset:64
	;; [unrolled: 1-line block ×4, first 2 shown]
	ds_read_b128 v[8:11], v57 offset:4096
	s_waitcnt lgkmcnt(1)
	buffer_store_dword v0, off, s[0:3], 0 offset:76
	buffer_store_dword v1, off, s[0:3], 0 offset:80
	;; [unrolled: 1-line block ×4, first 2 shown]
	s_waitcnt lgkmcnt(0)
	buffer_store_dword v8, off, s[0:3], 0 offset:92
	buffer_store_dword v9, off, s[0:3], 0 offset:96
	;; [unrolled: 1-line block ×5, first 2 shown]
	ds_read_b128 v[0:3], v89 offset:8192
	buffer_store_dword v5, off, s[0:3], 0 offset:112
	buffer_store_dword v6, off, s[0:3], 0 offset:116
	;; [unrolled: 1-line block ×3, first 2 shown]
	ds_read_b128 v[4:7], v90 offset:12288
	s_waitcnt lgkmcnt(1)
	buffer_store_dword v0, off, s[0:3], 0 offset:124
	buffer_store_dword v1, off, s[0:3], 0 offset:128
	buffer_store_dword v2, off, s[0:3], 0 offset:132
	buffer_store_dword v3, off, s[0:3], 0 offset:136
	s_waitcnt lgkmcnt(0)
	buffer_store_dword v4, off, s[0:3], 0 offset:140
	ds_read_b128 v[0:3], v89 offset:12288
	buffer_store_dword v5, off, s[0:3], 0 offset:144
	buffer_store_dword v6, off, s[0:3], 0 offset:148
	;; [unrolled: 1-line block ×3, first 2 shown]
	ds_read_b64 v[4:5], v88 offset:16384
	s_waitcnt lgkmcnt(1)
	buffer_store_dword v0, off, s[0:3], 0 offset:156
	buffer_store_dword v1, off, s[0:3], 0 offset:160
	buffer_store_dword v2, off, s[0:3], 0 offset:164
	buffer_store_dword v3, off, s[0:3], 0 offset:168
	s_waitcnt lgkmcnt(0)
	;;#ASMSTART
	v_cvt_off_f32_i4 v0, v4
v_cvt_off_f32_i4 v1, v4, src0_sel:BYTE_2
v_cvt_pk_fp8_f32 v3, v0, v1
v_cvt_off_f32_i4 v0, v4, src0_sel:BYTE_1
v_cvt_off_f32_i4 v1, v4, src0_sel:BYTE_3
v_cvt_pk_fp8_f32 v6, v0, v1
v_lshrrev_b32 v2, 4, v4
v_cvt_off_f32_i4 v0, v2
v_cvt_off_f32_i4 v1, v2, src0_sel:BYTE_2
v_cvt_pk_fp8_f32 v3, v0, v1, op_sel:[0, 0, 1]
v_cvt_off_f32_i4 v0, v2, src0_sel:BYTE_1
v_cvt_off_f32_i4 v1, v2, src0_sel:BYTE_3
v_cvt_pk_fp8_f32 v6, v0, v1, op_sel:[0, 0, 1]

	;;#ASMEND
	;;#ASMSTART
	v_cvt_off_f32_i4 v0, v5
v_cvt_off_f32_i4 v1, v5, src0_sel:BYTE_2
v_cvt_pk_fp8_f32 v4, v0, v1
v_cvt_off_f32_i4 v0, v5, src0_sel:BYTE_1
v_cvt_off_f32_i4 v1, v5, src0_sel:BYTE_3
v_cvt_pk_fp8_f32 v7, v0, v1
v_lshrrev_b32 v2, 4, v5
v_cvt_off_f32_i4 v0, v2
v_cvt_off_f32_i4 v1, v2, src0_sel:BYTE_2
v_cvt_pk_fp8_f32 v4, v0, v1, op_sel:[0, 0, 1]
v_cvt_off_f32_i4 v0, v2, src0_sel:BYTE_1
v_cvt_off_f32_i4 v1, v2, src0_sel:BYTE_3
v_cvt_pk_fp8_f32 v7, v0, v1, op_sel:[0, 0, 1]

	;;#ASMEND
	ds_read_b64 v[0:1], v86 offset:16384
	buffer_store_dword v3, off, s[0:3], 0 offset:172
	buffer_store_dword v6, off, s[0:3], 0 offset:176
	buffer_store_dword v4, off, s[0:3], 0 offset:180
	buffer_store_dword v7, off, s[0:3], 0 offset:184
	s_waitcnt lgkmcnt(0)
	;;#ASMSTART
	v_cvt_off_f32_i4 v2, v0
v_cvt_off_f32_i4 v3, v0, src0_sel:BYTE_2
v_cvt_pk_fp8_f32 v5, v2, v3
v_cvt_off_f32_i4 v2, v0, src0_sel:BYTE_1
v_cvt_off_f32_i4 v3, v0, src0_sel:BYTE_3
v_cvt_pk_fp8_f32 v6, v2, v3
v_lshrrev_b32 v4, 4, v0
v_cvt_off_f32_i4 v2, v4
v_cvt_off_f32_i4 v3, v4, src0_sel:BYTE_2
v_cvt_pk_fp8_f32 v5, v2, v3, op_sel:[0, 0, 1]
v_cvt_off_f32_i4 v2, v4, src0_sel:BYTE_1
v_cvt_off_f32_i4 v3, v4, src0_sel:BYTE_3
v_cvt_pk_fp8_f32 v6, v2, v3, op_sel:[0, 0, 1]

	;;#ASMEND
	;;#ASMSTART
	v_cvt_off_f32_i4 v0, v1
v_cvt_off_f32_i4 v2, v1, src0_sel:BYTE_2
v_cvt_pk_fp8_f32 v4, v0, v2
v_cvt_off_f32_i4 v0, v1, src0_sel:BYTE_1
v_cvt_off_f32_i4 v2, v1, src0_sel:BYTE_3
v_cvt_pk_fp8_f32 v7, v0, v2
v_lshrrev_b32 v3, 4, v1
v_cvt_off_f32_i4 v0, v3
v_cvt_off_f32_i4 v2, v3, src0_sel:BYTE_2
v_cvt_pk_fp8_f32 v4, v0, v2, op_sel:[0, 0, 1]
v_cvt_off_f32_i4 v0, v3, src0_sel:BYTE_1
v_cvt_off_f32_i4 v2, v3, src0_sel:BYTE_3
v_cvt_pk_fp8_f32 v7, v0, v2, op_sel:[0, 0, 1]

	;;#ASMEND
	ds_read_b64 v[0:1], v87 offset:16384
	buffer_store_dword v5, off, s[0:3], 0 offset:188
	buffer_store_dword v6, off, s[0:3], 0 offset:192
	buffer_store_dword v4, off, s[0:3], 0 offset:196
	buffer_store_dword v7, off, s[0:3], 0 offset:200
	s_waitcnt lgkmcnt(0)
	;;#ASMSTART
	v_cvt_off_f32_i4 v2, v0
v_cvt_off_f32_i4 v3, v0, src0_sel:BYTE_2
v_cvt_pk_fp8_f32 v5, v2, v3
v_cvt_off_f32_i4 v2, v0, src0_sel:BYTE_1
v_cvt_off_f32_i4 v3, v0, src0_sel:BYTE_3
v_cvt_pk_fp8_f32 v6, v2, v3
v_lshrrev_b32 v4, 4, v0
v_cvt_off_f32_i4 v2, v4
v_cvt_off_f32_i4 v3, v4, src0_sel:BYTE_2
v_cvt_pk_fp8_f32 v5, v2, v3, op_sel:[0, 0, 1]
v_cvt_off_f32_i4 v2, v4, src0_sel:BYTE_1
v_cvt_off_f32_i4 v3, v4, src0_sel:BYTE_3
v_cvt_pk_fp8_f32 v6, v2, v3, op_sel:[0, 0, 1]

	;;#ASMEND
	;;#ASMSTART
	v_cvt_off_f32_i4 v0, v1
v_cvt_off_f32_i4 v2, v1, src0_sel:BYTE_2
v_cvt_pk_fp8_f32 v4, v0, v2
v_cvt_off_f32_i4 v0, v1, src0_sel:BYTE_1
v_cvt_off_f32_i4 v2, v1, src0_sel:BYTE_3
v_cvt_pk_fp8_f32 v7, v0, v2
v_lshrrev_b32 v3, 4, v1
v_cvt_off_f32_i4 v0, v3
v_cvt_off_f32_i4 v2, v3, src0_sel:BYTE_2
v_cvt_pk_fp8_f32 v4, v0, v2, op_sel:[0, 0, 1]
v_cvt_off_f32_i4 v0, v3, src0_sel:BYTE_1
v_cvt_off_f32_i4 v2, v3, src0_sel:BYTE_3
v_cvt_pk_fp8_f32 v7, v0, v2, op_sel:[0, 0, 1]

	;;#ASMEND
	ds_read_b64 v[0:1], v85 offset:16384
	buffer_store_dword v5, off, s[0:3], 0 offset:204
	buffer_store_dword v6, off, s[0:3], 0 offset:208
	buffer_store_dword v4, off, s[0:3], 0 offset:212
	buffer_store_dword v7, off, s[0:3], 0 offset:216
	s_waitcnt lgkmcnt(0)
	;;#ASMSTART
	v_cvt_off_f32_i4 v2, v0
v_cvt_off_f32_i4 v3, v0, src0_sel:BYTE_2
v_cvt_pk_fp8_f32 v5, v2, v3
v_cvt_off_f32_i4 v2, v0, src0_sel:BYTE_1
v_cvt_off_f32_i4 v3, v0, src0_sel:BYTE_3
v_cvt_pk_fp8_f32 v6, v2, v3
v_lshrrev_b32 v4, 4, v0
v_cvt_off_f32_i4 v2, v4
v_cvt_off_f32_i4 v3, v4, src0_sel:BYTE_2
v_cvt_pk_fp8_f32 v5, v2, v3, op_sel:[0, 0, 1]
v_cvt_off_f32_i4 v2, v4, src0_sel:BYTE_1
v_cvt_off_f32_i4 v3, v4, src0_sel:BYTE_3
v_cvt_pk_fp8_f32 v6, v2, v3, op_sel:[0, 0, 1]

	;;#ASMEND
	;;#ASMSTART
	v_cvt_off_f32_i4 v0, v1
v_cvt_off_f32_i4 v2, v1, src0_sel:BYTE_2
v_cvt_pk_fp8_f32 v4, v0, v2
v_cvt_off_f32_i4 v0, v1, src0_sel:BYTE_1
v_cvt_off_f32_i4 v2, v1, src0_sel:BYTE_3
v_cvt_pk_fp8_f32 v7, v0, v2
v_lshrrev_b32 v3, 4, v1
v_cvt_off_f32_i4 v0, v3
v_cvt_off_f32_i4 v2, v3, src0_sel:BYTE_2
v_cvt_pk_fp8_f32 v4, v0, v2, op_sel:[0, 0, 1]
v_cvt_off_f32_i4 v0, v3, src0_sel:BYTE_1
v_cvt_off_f32_i4 v2, v3, src0_sel:BYTE_3
v_cvt_pk_fp8_f32 v7, v0, v2, op_sel:[0, 0, 1]

	;;#ASMEND
	ds_read_b64 v[0:1], v84 offset:16384
	buffer_store_dword v5, off, s[0:3], 0 offset:220
	buffer_store_dword v6, off, s[0:3], 0 offset:224
	buffer_store_dword v4, off, s[0:3], 0 offset:228
	buffer_store_dword v7, off, s[0:3], 0 offset:232
	s_waitcnt lgkmcnt(0)
	;;#ASMSTART
	v_cvt_off_f32_i4 v2, v0
v_cvt_off_f32_i4 v3, v0, src0_sel:BYTE_2
v_cvt_pk_fp8_f32 v5, v2, v3
v_cvt_off_f32_i4 v2, v0, src0_sel:BYTE_1
v_cvt_off_f32_i4 v3, v0, src0_sel:BYTE_3
v_cvt_pk_fp8_f32 v6, v2, v3
v_lshrrev_b32 v4, 4, v0
v_cvt_off_f32_i4 v2, v4
v_cvt_off_f32_i4 v3, v4, src0_sel:BYTE_2
v_cvt_pk_fp8_f32 v5, v2, v3, op_sel:[0, 0, 1]
v_cvt_off_f32_i4 v2, v4, src0_sel:BYTE_1
v_cvt_off_f32_i4 v3, v4, src0_sel:BYTE_3
v_cvt_pk_fp8_f32 v6, v2, v3, op_sel:[0, 0, 1]

	;;#ASMEND
	;;#ASMSTART
	v_cvt_off_f32_i4 v0, v1
v_cvt_off_f32_i4 v2, v1, src0_sel:BYTE_2
v_cvt_pk_fp8_f32 v4, v0, v2
v_cvt_off_f32_i4 v0, v1, src0_sel:BYTE_1
v_cvt_off_f32_i4 v2, v1, src0_sel:BYTE_3
v_cvt_pk_fp8_f32 v7, v0, v2
v_lshrrev_b32 v3, 4, v1
v_cvt_off_f32_i4 v0, v3
v_cvt_off_f32_i4 v2, v3, src0_sel:BYTE_2
v_cvt_pk_fp8_f32 v4, v0, v2, op_sel:[0, 0, 1]
v_cvt_off_f32_i4 v0, v3, src0_sel:BYTE_1
v_cvt_off_f32_i4 v2, v3, src0_sel:BYTE_3
v_cvt_pk_fp8_f32 v7, v0, v2, op_sel:[0, 0, 1]

	;;#ASMEND
	ds_read_b64 v[0:1], v80 offset:16384
	buffer_store_dword v5, off, s[0:3], 0 offset:236
	buffer_store_dword v6, off, s[0:3], 0 offset:240
	buffer_store_dword v4, off, s[0:3], 0 offset:244
	buffer_store_dword v7, off, s[0:3], 0 offset:248
	s_waitcnt lgkmcnt(0)
	;;#ASMSTART
	v_cvt_off_f32_i4 v2, v0
v_cvt_off_f32_i4 v3, v0, src0_sel:BYTE_2
v_cvt_pk_fp8_f32 v5, v2, v3
v_cvt_off_f32_i4 v2, v0, src0_sel:BYTE_1
v_cvt_off_f32_i4 v3, v0, src0_sel:BYTE_3
v_cvt_pk_fp8_f32 v6, v2, v3
v_lshrrev_b32 v4, 4, v0
v_cvt_off_f32_i4 v2, v4
v_cvt_off_f32_i4 v3, v4, src0_sel:BYTE_2
v_cvt_pk_fp8_f32 v5, v2, v3, op_sel:[0, 0, 1]
v_cvt_off_f32_i4 v2, v4, src0_sel:BYTE_1
v_cvt_off_f32_i4 v3, v4, src0_sel:BYTE_3
v_cvt_pk_fp8_f32 v6, v2, v3, op_sel:[0, 0, 1]

	;;#ASMEND
	;;#ASMSTART
	v_cvt_off_f32_i4 v0, v1
v_cvt_off_f32_i4 v2, v1, src0_sel:BYTE_2
v_cvt_pk_fp8_f32 v4, v0, v2
v_cvt_off_f32_i4 v0, v1, src0_sel:BYTE_1
v_cvt_off_f32_i4 v2, v1, src0_sel:BYTE_3
v_cvt_pk_fp8_f32 v7, v0, v2
v_lshrrev_b32 v3, 4, v1
v_cvt_off_f32_i4 v0, v3
v_cvt_off_f32_i4 v2, v3, src0_sel:BYTE_2
v_cvt_pk_fp8_f32 v4, v0, v2, op_sel:[0, 0, 1]
v_cvt_off_f32_i4 v0, v3, src0_sel:BYTE_1
v_cvt_off_f32_i4 v2, v3, src0_sel:BYTE_3
v_cvt_pk_fp8_f32 v7, v0, v2, op_sel:[0, 0, 1]

	;;#ASMEND
	ds_read_b64 v[0:1], v79 offset:16384
	buffer_store_dword v5, off, s[0:3], 0 offset:252
	buffer_store_dword v6, off, s[0:3], 0 offset:256
	buffer_store_dword v4, off, s[0:3], 0 offset:260
	buffer_store_dword v7, off, s[0:3], 0 offset:264
	s_waitcnt lgkmcnt(0)
	;;#ASMSTART
	v_cvt_off_f32_i4 v2, v0
v_cvt_off_f32_i4 v3, v0, src0_sel:BYTE_2
v_cvt_pk_fp8_f32 v5, v2, v3
v_cvt_off_f32_i4 v2, v0, src0_sel:BYTE_1
v_cvt_off_f32_i4 v3, v0, src0_sel:BYTE_3
v_cvt_pk_fp8_f32 v6, v2, v3
v_lshrrev_b32 v4, 4, v0
v_cvt_off_f32_i4 v2, v4
v_cvt_off_f32_i4 v3, v4, src0_sel:BYTE_2
v_cvt_pk_fp8_f32 v5, v2, v3, op_sel:[0, 0, 1]
v_cvt_off_f32_i4 v2, v4, src0_sel:BYTE_1
v_cvt_off_f32_i4 v3, v4, src0_sel:BYTE_3
v_cvt_pk_fp8_f32 v6, v2, v3, op_sel:[0, 0, 1]

	;;#ASMEND
	;;#ASMSTART
	v_cvt_off_f32_i4 v0, v1
v_cvt_off_f32_i4 v2, v1, src0_sel:BYTE_2
v_cvt_pk_fp8_f32 v4, v0, v2
v_cvt_off_f32_i4 v0, v1, src0_sel:BYTE_1
v_cvt_off_f32_i4 v2, v1, src0_sel:BYTE_3
v_cvt_pk_fp8_f32 v7, v0, v2
v_lshrrev_b32 v3, 4, v1
v_cvt_off_f32_i4 v0, v3
v_cvt_off_f32_i4 v2, v3, src0_sel:BYTE_2
v_cvt_pk_fp8_f32 v4, v0, v2, op_sel:[0, 0, 1]
v_cvt_off_f32_i4 v0, v3, src0_sel:BYTE_1
v_cvt_off_f32_i4 v2, v3, src0_sel:BYTE_3
v_cvt_pk_fp8_f32 v7, v0, v2, op_sel:[0, 0, 1]

	;;#ASMEND
	ds_read_b64 v[0:1], v76 offset:16384
	s_mul_i32 s43, s43, s21
	s_mul_hi_u32 s23, s42, s21
	buffer_store_dword v5, off, s[0:3], 0 offset:268
	buffer_store_dword v6, off, s[0:3], 0 offset:272
	;; [unrolled: 1-line block ×4, first 2 shown]
	s_waitcnt lgkmcnt(0)
	;;#ASMSTART
	v_cvt_off_f32_i4 v2, v0
v_cvt_off_f32_i4 v3, v0, src0_sel:BYTE_2
v_cvt_pk_fp8_f32 v5, v2, v3
v_cvt_off_f32_i4 v2, v0, src0_sel:BYTE_1
v_cvt_off_f32_i4 v3, v0, src0_sel:BYTE_3
v_cvt_pk_fp8_f32 v6, v2, v3
v_lshrrev_b32 v4, 4, v0
v_cvt_off_f32_i4 v2, v4
v_cvt_off_f32_i4 v3, v4, src0_sel:BYTE_2
v_cvt_pk_fp8_f32 v5, v2, v3, op_sel:[0, 0, 1]
v_cvt_off_f32_i4 v2, v4, src0_sel:BYTE_1
v_cvt_off_f32_i4 v3, v4, src0_sel:BYTE_3
v_cvt_pk_fp8_f32 v6, v2, v3, op_sel:[0, 0, 1]

	;;#ASMEND
	s_waitcnt vmcnt(62)
	v_lshrrev_b32_e32 v37, 24, v63
	v_lshrrev_b32_e32 v38, 24, v53
	s_waitcnt vmcnt(61)
	v_lshrrev_b32_e32 v39, 24, v55
	s_waitcnt vmcnt(60)
	v_lshrrev_b32_e32 v41, 24, v61
	s_addc_u32 s25, s29, s5
	s_add_i32 s23, s23, s43
	s_mov_b64 s[18:19], src_private_base
	;;#ASMSTART
	v_cvt_off_f32_i4 v0, v1
v_cvt_off_f32_i4 v2, v1, src0_sel:BYTE_2
v_cvt_pk_fp8_f32 v4, v0, v2
v_cvt_off_f32_i4 v0, v1, src0_sel:BYTE_1
v_cvt_off_f32_i4 v2, v1, src0_sel:BYTE_3
v_cvt_pk_fp8_f32 v7, v0, v2
v_lshrrev_b32 v3, 4, v1
v_cvt_off_f32_i4 v0, v3
v_cvt_off_f32_i4 v2, v3, src0_sel:BYTE_2
v_cvt_pk_fp8_f32 v4, v0, v2, op_sel:[0, 0, 1]
v_cvt_off_f32_i4 v0, v3, src0_sel:BYTE_1
v_cvt_off_f32_i4 v2, v3, src0_sel:BYTE_3
v_cvt_pk_fp8_f32 v7, v0, v2, op_sel:[0, 0, 1]

	;;#ASMEND
	buffer_store_dword v5, off, s[0:3], 0 offset:284
	buffer_store_dword v6, off, s[0:3], 0 offset:288
	;; [unrolled: 1-line block ×4, first 2 shown]
	; sched_barrier mask(0x00000000)
	s_barrier
	; sched_barrier mask(0x00000000)
	v_mov_b32_e32 v42, s19
	v_mov_b32_e32 v43, 40
	;; [unrolled: 1-line block ×11, first 2 shown]
	buffer_store_dword v42, off, s[0:3], 0 offset:4
	buffer_store_dword v43, off, s[0:3], 0
	buffer_store_dword v44, off, s[0:3], 0 offset:12
	buffer_store_dword v45, off, s[0:3], 0 offset:8
	;; [unrolled: 1-line block ×8, first 2 shown]
	s_getpc_b64 s[4:5]
	s_add_u32 s4, s4, _ZNK2ck6detail7applierIiJLi0ELi1ELi2ELi3ELi4ELi5ELi6ELi7ELi8ELi9ELi10ELi11ELi12ELi13ELi14ELi15EEEclIZNKS_11static_fordINS_8SequenceIJLi4ELi4EEEENS5_IJLi0ELi1EEEEEclIZZZZZNKS_31BlockwiseGemmXdlops_pipeline_v2ILNS_26BlockGemmPipelineSchedulerE1ELi256ENS_9f8_fnuz_tENS_7pk_i4_tESC_fNS_16TensorDescriptorINS_5TupleIJNS_5EmbedINSF_IJNS_17integral_constantIiLi8EEENSH_IiLi128EEENSH_IiLi16EEEEEENSF_IJSK_SJ_NSH_IiLi1EEEEEELb0EEENS_3XorINSF_IJSJ_SI_EEELb1EEENS_11PassThroughISK_EENS_7UnMergeINSF_IJSI_SM_EEELb0EEENSS_ISJ_EEST_NSS_ISI_EENS_21Merge_v3_division_modINSF_IJSJ_SM_EEEEEST_EEENSF_IJNS5_IJLi0EEEENS5_IJLi2ELi1EEEENS5_IJLi3EEEENS5_IJLi5EEEENS5_IJLi4EEEENS5_IJLi6EEEENS5_IJLi7EEEENS5_IJLi9ELi8EEEENS5_IJLi10EEEEEEENSF_IJNS5_IJLi1ELi2ELi3EEEENS5_IJLi4ELi5EEEES18_NS5_IJLi7ELi8EEEENS5_IJLi9EEEES1B_NS5_IJLi11EEEENS5_IJLi12EEEENS5_IJLi13EEEEEEENS5_IJLi11ELi12ELi13EEEENSH_IlLl16384EEEEENSE_INSF_IJNSG_INSF_IJSK_NSH_IiLi64EEESK_EEENSF_IJSK_NSH_IiLi256EEESM_EEELb0EEENSP_INSF_IJS1O_SK_EEELb1EEEST_NSU_INSF_IJSI_NSH_IiLi2EEEEEELb0EEENSS_IS1O_EEST_SY_NSZ_INSF_IJS1O_S1V_EEEEEST_EEES1C_S1K_S1L_S1M_EENSE_INSF_IJSO_SR_ST_SW_SX_ST_SY_S11_ST_NSZ_INSF_IJSI_SK_EEEEENSU_INSF_IJNSH_IiLi4EEES1V_SK_EEELb0EEEEEENSF_IJS13_S14_S15_S16_S17_S18_S19_S1A_S1B_NS5_IJLi11ELi13EEEES1I_EEENSF_IJS1D_S1E_S18_S1F_S1G_S1B_S1H_S1I_S1J_NS5_IJLi14EEEENS5_IJLi15ELi16ELi17EEEEEEENS5_IJLi15ELi16ELi17ELi14EEEES1M_EENSE_INSF_IJS1S_S1U_ST_S1X_S1Y_ST_SY_S20_ST_S24_S27_EEES2A_S2D_S2E_S1M_EELi16ELi16ELi128ELi128ELi128ELi16ELi16ELi4ELi4ELi16ELb0EE3RunILb1ELNS_10TailNumberE10ENSE_INSF_IJNSG_INSF_IJiiEEENSF_IJiSM_EEELb0EEENSU_IS2L_Lb0EEENSS_IiEEEEENSF_IJS13_NS5_IJLi2EEEENS5_IJLi1EEEEEEENSF_IJNS5_IJLi1ELi2EEEENS5_IJLi3ELi4EEEES16_EEENS5_IJLi3ELi5ELi4EEEElEES1N_NS_35ThreadGroupTensorSliceTransfer_v4r1INS_15ThisThreadBlockILi256EEENS_16tensor_operation12element_wise11PassThroughES34_LNS_25InMemoryDataOperationEnumE0ENS5_IJLi8ELi128ELi16EEEENS5_IJLi8ELi32ELi1EEEENS5_IJLi1ELi0ELi2EEEESC_SC_RKS2Y_KS1N_S38_NS5_IJLi0ELi1ELi2EEEELi2ELi2ELi16ELi16ELi1ELi1ELb0ELb1ELi2EiEENS_13DynamicBufferILNS_16AddressSpaceEnumE1EKSC_lLb1ELNS_22AmdBufferCoherenceEnumE0EiEENS3E_ILS3F_2ESC_S1M_Lb1ELS3H_0EiEENSF_IJiiiEEENSE_INSF_IJNSU_INSF_IJiiiiEEELb0EEENS_23Merge_v2_magic_divisionIS2L_EENSS_INSF_IJiEEEEES2P_EEENSF_IJS13_NS5_IJLi1ELi3EEEES2R_S17_EEENSF_IJNS5_IJLi1ELi2ELi3ELi4EEEES16_S18_S19_EEENS5_IJLi5ELi6ELi7EEEElEES22_NS2Z_IS31_S34_S34_LS35_0ES36_NS5_IJLi4ELi64ELi1EEEES38_SD_SD_RKS3X_KS22_S38_S3C_Li2ELi2ELi16ELi16ELi1ELi1ELb0ELb1ELi2EiEENS3E_ILS3F_1EKSD_lLb1ELS3H_0EiEENS3E_ILS3F_2ESD_S1M_Lb1ELS3H_0EiEES3K_NS_25StaticBufferTupleOfVectorILS3F_4EfLi16ELi4ELb1ELb0EEEEEvRKT1_RKT2_RT3_RKT4_RT5_RKT6_RKT7_RKT8_RT9_RKT10_RT11_RKT12_RT13_iENKUlT_E1_clIS1V_EEDaS56_ENKUlS56_E_clISM_EEDaS56_ENKUlS56_E_clINSH_IiLi0EEEEEDaS56_ENKUlS56_E1_clIS5D_EEDaS56_EUlS56_E_EEvS56_EUlS56_E_EEvS56_@rel32@lo+4
	s_addc_u32 s5, s5, _ZNK2ck6detail7applierIiJLi0ELi1ELi2ELi3ELi4ELi5ELi6ELi7ELi8ELi9ELi10ELi11ELi12ELi13ELi14ELi15EEEclIZNKS_11static_fordINS_8SequenceIJLi4ELi4EEEENS5_IJLi0ELi1EEEEEclIZZZZZNKS_31BlockwiseGemmXdlops_pipeline_v2ILNS_26BlockGemmPipelineSchedulerE1ELi256ENS_9f8_fnuz_tENS_7pk_i4_tESC_fNS_16TensorDescriptorINS_5TupleIJNS_5EmbedINSF_IJNS_17integral_constantIiLi8EEENSH_IiLi128EEENSH_IiLi16EEEEEENSF_IJSK_SJ_NSH_IiLi1EEEEEELb0EEENS_3XorINSF_IJSJ_SI_EEELb1EEENS_11PassThroughISK_EENS_7UnMergeINSF_IJSI_SM_EEELb0EEENSS_ISJ_EEST_NSS_ISI_EENS_21Merge_v3_division_modINSF_IJSJ_SM_EEEEEST_EEENSF_IJNS5_IJLi0EEEENS5_IJLi2ELi1EEEENS5_IJLi3EEEENS5_IJLi5EEEENS5_IJLi4EEEENS5_IJLi6EEEENS5_IJLi7EEEENS5_IJLi9ELi8EEEENS5_IJLi10EEEEEEENSF_IJNS5_IJLi1ELi2ELi3EEEENS5_IJLi4ELi5EEEES18_NS5_IJLi7ELi8EEEENS5_IJLi9EEEES1B_NS5_IJLi11EEEENS5_IJLi12EEEENS5_IJLi13EEEEEEENS5_IJLi11ELi12ELi13EEEENSH_IlLl16384EEEEENSE_INSF_IJNSG_INSF_IJSK_NSH_IiLi64EEESK_EEENSF_IJSK_NSH_IiLi256EEESM_EEELb0EEENSP_INSF_IJS1O_SK_EEELb1EEEST_NSU_INSF_IJSI_NSH_IiLi2EEEEEELb0EEENSS_IS1O_EEST_SY_NSZ_INSF_IJS1O_S1V_EEEEEST_EEES1C_S1K_S1L_S1M_EENSE_INSF_IJSO_SR_ST_SW_SX_ST_SY_S11_ST_NSZ_INSF_IJSI_SK_EEEEENSU_INSF_IJNSH_IiLi4EEES1V_SK_EEELb0EEEEEENSF_IJS13_S14_S15_S16_S17_S18_S19_S1A_S1B_NS5_IJLi11ELi13EEEES1I_EEENSF_IJS1D_S1E_S18_S1F_S1G_S1B_S1H_S1I_S1J_NS5_IJLi14EEEENS5_IJLi15ELi16ELi17EEEEEEENS5_IJLi15ELi16ELi17ELi14EEEES1M_EENSE_INSF_IJS1S_S1U_ST_S1X_S1Y_ST_SY_S20_ST_S24_S27_EEES2A_S2D_S2E_S1M_EELi16ELi16ELi128ELi128ELi128ELi16ELi16ELi4ELi4ELi16ELb0EE3RunILb1ELNS_10TailNumberE10ENSE_INSF_IJNSG_INSF_IJiiEEENSF_IJiSM_EEELb0EEENSU_IS2L_Lb0EEENSS_IiEEEEENSF_IJS13_NS5_IJLi2EEEENS5_IJLi1EEEEEEENSF_IJNS5_IJLi1ELi2EEEENS5_IJLi3ELi4EEEES16_EEENS5_IJLi3ELi5ELi4EEEElEES1N_NS_35ThreadGroupTensorSliceTransfer_v4r1INS_15ThisThreadBlockILi256EEENS_16tensor_operation12element_wise11PassThroughES34_LNS_25InMemoryDataOperationEnumE0ENS5_IJLi8ELi128ELi16EEEENS5_IJLi8ELi32ELi1EEEENS5_IJLi1ELi0ELi2EEEESC_SC_RKS2Y_KS1N_S38_NS5_IJLi0ELi1ELi2EEEELi2ELi2ELi16ELi16ELi1ELi1ELb0ELb1ELi2EiEENS_13DynamicBufferILNS_16AddressSpaceEnumE1EKSC_lLb1ELNS_22AmdBufferCoherenceEnumE0EiEENS3E_ILS3F_2ESC_S1M_Lb1ELS3H_0EiEENSF_IJiiiEEENSE_INSF_IJNSU_INSF_IJiiiiEEELb0EEENS_23Merge_v2_magic_divisionIS2L_EENSS_INSF_IJiEEEEES2P_EEENSF_IJS13_NS5_IJLi1ELi3EEEES2R_S17_EEENSF_IJNS5_IJLi1ELi2ELi3ELi4EEEES16_S18_S19_EEENS5_IJLi5ELi6ELi7EEEElEES22_NS2Z_IS31_S34_S34_LS35_0ES36_NS5_IJLi4ELi64ELi1EEEES38_SD_SD_RKS3X_KS22_S38_S3C_Li2ELi2ELi16ELi16ELi1ELi1ELb0ELb1ELi2EiEENS3E_ILS3F_1EKSD_lLb1ELS3H_0EiEENS3E_ILS3F_2ESD_S1M_Lb1ELS3H_0EiEES3K_NS_25StaticBufferTupleOfVectorILS3F_4EfLi16ELi4ELb1ELb0EEEEEvRKT1_RKT2_RT3_RKT4_RT5_RKT6_RKT7_RKT8_RT9_RKT10_RT11_RKT12_RT13_iENKUlT_E1_clIS1V_EEDaS56_ENKUlS56_E_clISM_EEDaS56_ENKUlS56_E_clINSH_IiLi0EEEEEDaS56_ENKUlS56_E1_clIS5D_EEDaS56_EUlS56_E_EEvS56_EUlS56_E_EEvS56_@rel32@hi+12
	s_swappc_b64 s[30:31], s[4:5]
	v_mov_b32_e32 v0, 0
	v_mov_b32_e32 v1, s19
	buffer_store_dword v42, off, s[0:3], 0 offset:4
	buffer_store_dword v43, off, s[0:3], 0
	buffer_store_dword v44, off, s[0:3], 0 offset:12
	buffer_store_dword v45, off, s[0:3], 0 offset:8
	;; [unrolled: 1-line block ×8, first 2 shown]
	s_getpc_b64 s[4:5]
	s_add_u32 s4, s4, _ZNK2ck6detail7applierIiJLi0ELi1ELi2ELi3ELi4ELi5ELi6ELi7ELi8ELi9ELi10ELi11ELi12ELi13ELi14ELi15EEEclIZNKS_11static_fordINS_8SequenceIJLi4ELi4EEEENS5_IJLi0ELi1EEEEEclIZZZZZNKS_31BlockwiseGemmXdlops_pipeline_v2ILNS_26BlockGemmPipelineSchedulerE1ELi256ENS_9f8_fnuz_tENS_7pk_i4_tESC_fNS_16TensorDescriptorINS_5TupleIJNS_5EmbedINSF_IJNS_17integral_constantIiLi8EEENSH_IiLi128EEENSH_IiLi16EEEEEENSF_IJSK_SJ_NSH_IiLi1EEEEEELb0EEENS_3XorINSF_IJSJ_SI_EEELb1EEENS_11PassThroughISK_EENS_7UnMergeINSF_IJSI_SM_EEELb0EEENSS_ISJ_EEST_NSS_ISI_EENS_21Merge_v3_division_modINSF_IJSJ_SM_EEEEEST_EEENSF_IJNS5_IJLi0EEEENS5_IJLi2ELi1EEEENS5_IJLi3EEEENS5_IJLi5EEEENS5_IJLi4EEEENS5_IJLi6EEEENS5_IJLi7EEEENS5_IJLi9ELi8EEEENS5_IJLi10EEEEEEENSF_IJNS5_IJLi1ELi2ELi3EEEENS5_IJLi4ELi5EEEES18_NS5_IJLi7ELi8EEEENS5_IJLi9EEEES1B_NS5_IJLi11EEEENS5_IJLi12EEEENS5_IJLi13EEEEEEENS5_IJLi11ELi12ELi13EEEENSH_IlLl16384EEEEENSE_INSF_IJNSG_INSF_IJSK_NSH_IiLi64EEESK_EEENSF_IJSK_NSH_IiLi256EEESM_EEELb0EEENSP_INSF_IJS1O_SK_EEELb1EEEST_NSU_INSF_IJSI_NSH_IiLi2EEEEEELb0EEENSS_IS1O_EEST_SY_NSZ_INSF_IJS1O_S1V_EEEEEST_EEES1C_S1K_S1L_S1M_EENSE_INSF_IJSO_SR_ST_SW_SX_ST_SY_S11_ST_NSZ_INSF_IJSI_SK_EEEEENSU_INSF_IJNSH_IiLi4EEES1V_SK_EEELb0EEEEEENSF_IJS13_S14_S15_S16_S17_S18_S19_S1A_S1B_NS5_IJLi11ELi13EEEES1I_EEENSF_IJS1D_S1E_S18_S1F_S1G_S1B_S1H_S1I_S1J_NS5_IJLi14EEEENS5_IJLi15ELi16ELi17EEEEEEENS5_IJLi15ELi16ELi17ELi14EEEES1M_EENSE_INSF_IJS1S_S1U_ST_S1X_S1Y_ST_SY_S20_ST_S24_S27_EEES2A_S2D_S2E_S1M_EELi16ELi16ELi128ELi128ELi128ELi16ELi16ELi4ELi4ELi16ELb0EE3RunILb1ELNS_10TailNumberE10ENSE_INSF_IJNSG_INSF_IJiiEEENSF_IJiSM_EEELb0EEENSU_IS2L_Lb0EEENSS_IiEEEEENSF_IJS13_NS5_IJLi2EEEENS5_IJLi1EEEEEEENSF_IJNS5_IJLi1ELi2EEEENS5_IJLi3ELi4EEEES16_EEENS5_IJLi3ELi5ELi4EEEElEES1N_NS_35ThreadGroupTensorSliceTransfer_v4r1INS_15ThisThreadBlockILi256EEENS_16tensor_operation12element_wise11PassThroughES34_LNS_25InMemoryDataOperationEnumE0ENS5_IJLi8ELi128ELi16EEEENS5_IJLi8ELi32ELi1EEEENS5_IJLi1ELi0ELi2EEEESC_SC_RKS2Y_KS1N_S38_NS5_IJLi0ELi1ELi2EEEELi2ELi2ELi16ELi16ELi1ELi1ELb0ELb1ELi2EiEENS_13DynamicBufferILNS_16AddressSpaceEnumE1EKSC_lLb1ELNS_22AmdBufferCoherenceEnumE0EiEENS3E_ILS3F_2ESC_S1M_Lb1ELS3H_0EiEENSF_IJiiiEEENSE_INSF_IJNSU_INSF_IJiiiiEEELb0EEENS_23Merge_v2_magic_divisionIS2L_EENSS_INSF_IJiEEEEES2P_EEENSF_IJS13_NS5_IJLi1ELi3EEEES2R_S17_EEENSF_IJNS5_IJLi1ELi2ELi3ELi4EEEES16_S18_S19_EEENS5_IJLi5ELi6ELi7EEEElEES22_NS2Z_IS31_S34_S34_LS35_0ES36_NS5_IJLi4ELi64ELi1EEEES38_SD_SD_RKS3X_KS22_S38_S3C_Li2ELi2ELi16ELi16ELi1ELi1ELb0ELb1ELi2EiEENS3E_ILS3F_1EKSD_lLb1ELS3H_0EiEENS3E_ILS3F_2ESD_S1M_Lb1ELS3H_0EiEES3K_NS_25StaticBufferTupleOfVectorILS3F_4EfLi16ELi4ELb1ELb0EEEEEvRKT1_RKT2_RT3_RKT4_RT5_RKT6_RKT7_RKT8_RT9_RKT10_RT11_RKT12_RT13_iENKUlT_E1_clIS1V_EEDaS56_ENKUlS56_E_clISM_EEDaS56_ENKUlS56_E_clINSH_IiLi0EEEEEDaS56_ENKUlS56_E1_clISK_EEDaS56_EUlS56_E_EEvS56_EUlS56_E_EEvS56_@rel32@lo+4
	s_addc_u32 s5, s5, _ZNK2ck6detail7applierIiJLi0ELi1ELi2ELi3ELi4ELi5ELi6ELi7ELi8ELi9ELi10ELi11ELi12ELi13ELi14ELi15EEEclIZNKS_11static_fordINS_8SequenceIJLi4ELi4EEEENS5_IJLi0ELi1EEEEEclIZZZZZNKS_31BlockwiseGemmXdlops_pipeline_v2ILNS_26BlockGemmPipelineSchedulerE1ELi256ENS_9f8_fnuz_tENS_7pk_i4_tESC_fNS_16TensorDescriptorINS_5TupleIJNS_5EmbedINSF_IJNS_17integral_constantIiLi8EEENSH_IiLi128EEENSH_IiLi16EEEEEENSF_IJSK_SJ_NSH_IiLi1EEEEEELb0EEENS_3XorINSF_IJSJ_SI_EEELb1EEENS_11PassThroughISK_EENS_7UnMergeINSF_IJSI_SM_EEELb0EEENSS_ISJ_EEST_NSS_ISI_EENS_21Merge_v3_division_modINSF_IJSJ_SM_EEEEEST_EEENSF_IJNS5_IJLi0EEEENS5_IJLi2ELi1EEEENS5_IJLi3EEEENS5_IJLi5EEEENS5_IJLi4EEEENS5_IJLi6EEEENS5_IJLi7EEEENS5_IJLi9ELi8EEEENS5_IJLi10EEEEEEENSF_IJNS5_IJLi1ELi2ELi3EEEENS5_IJLi4ELi5EEEES18_NS5_IJLi7ELi8EEEENS5_IJLi9EEEES1B_NS5_IJLi11EEEENS5_IJLi12EEEENS5_IJLi13EEEEEEENS5_IJLi11ELi12ELi13EEEENSH_IlLl16384EEEEENSE_INSF_IJNSG_INSF_IJSK_NSH_IiLi64EEESK_EEENSF_IJSK_NSH_IiLi256EEESM_EEELb0EEENSP_INSF_IJS1O_SK_EEELb1EEEST_NSU_INSF_IJSI_NSH_IiLi2EEEEEELb0EEENSS_IS1O_EEST_SY_NSZ_INSF_IJS1O_S1V_EEEEEST_EEES1C_S1K_S1L_S1M_EENSE_INSF_IJSO_SR_ST_SW_SX_ST_SY_S11_ST_NSZ_INSF_IJSI_SK_EEEEENSU_INSF_IJNSH_IiLi4EEES1V_SK_EEELb0EEEEEENSF_IJS13_S14_S15_S16_S17_S18_S19_S1A_S1B_NS5_IJLi11ELi13EEEES1I_EEENSF_IJS1D_S1E_S18_S1F_S1G_S1B_S1H_S1I_S1J_NS5_IJLi14EEEENS5_IJLi15ELi16ELi17EEEEEEENS5_IJLi15ELi16ELi17ELi14EEEES1M_EENSE_INSF_IJS1S_S1U_ST_S1X_S1Y_ST_SY_S20_ST_S24_S27_EEES2A_S2D_S2E_S1M_EELi16ELi16ELi128ELi128ELi128ELi16ELi16ELi4ELi4ELi16ELb0EE3RunILb1ELNS_10TailNumberE10ENSE_INSF_IJNSG_INSF_IJiiEEENSF_IJiSM_EEELb0EEENSU_IS2L_Lb0EEENSS_IiEEEEENSF_IJS13_NS5_IJLi2EEEENS5_IJLi1EEEEEEENSF_IJNS5_IJLi1ELi2EEEENS5_IJLi3ELi4EEEES16_EEENS5_IJLi3ELi5ELi4EEEElEES1N_NS_35ThreadGroupTensorSliceTransfer_v4r1INS_15ThisThreadBlockILi256EEENS_16tensor_operation12element_wise11PassThroughES34_LNS_25InMemoryDataOperationEnumE0ENS5_IJLi8ELi128ELi16EEEENS5_IJLi8ELi32ELi1EEEENS5_IJLi1ELi0ELi2EEEESC_SC_RKS2Y_KS1N_S38_NS5_IJLi0ELi1ELi2EEEELi2ELi2ELi16ELi16ELi1ELi1ELb0ELb1ELi2EiEENS_13DynamicBufferILNS_16AddressSpaceEnumE1EKSC_lLb1ELNS_22AmdBufferCoherenceEnumE0EiEENS3E_ILS3F_2ESC_S1M_Lb1ELS3H_0EiEENSF_IJiiiEEENSE_INSF_IJNSU_INSF_IJiiiiEEELb0EEENS_23Merge_v2_magic_divisionIS2L_EENSS_INSF_IJiEEEEES2P_EEENSF_IJS13_NS5_IJLi1ELi3EEEES2R_S17_EEENSF_IJNS5_IJLi1ELi2ELi3ELi4EEEES16_S18_S19_EEENS5_IJLi5ELi6ELi7EEEElEES22_NS2Z_IS31_S34_S34_LS35_0ES36_NS5_IJLi4ELi64ELi1EEEES38_SD_SD_RKS3X_KS22_S38_S3C_Li2ELi2ELi16ELi16ELi1ELi1ELb0ELb1ELi2EiEENS3E_ILS3F_1EKSD_lLb1ELS3H_0EiEENS3E_ILS3F_2ESD_S1M_Lb1ELS3H_0EiEES3K_NS_25StaticBufferTupleOfVectorILS3F_4EfLi16ELi4ELb1ELb0EEEEEvRKT1_RKT2_RT3_RKT4_RT5_RKT6_RKT7_RKT8_RT9_RKT10_RT11_RKT12_RT13_iENKUlT_E1_clIS1V_EEDaS56_ENKUlS56_E_clISM_EEDaS56_ENKUlS56_E_clINSH_IiLi0EEEEEDaS56_ENKUlS56_E1_clISK_EEDaS56_EUlS56_E_EEvS56_EUlS56_E_EEvS56_@rel32@hi+12
	s_swappc_b64 s[30:31], s[4:5]
	; sched_barrier mask(0x00000000)
	s_setprio 0
	; sched_barrier mask(0x00000000)
	v_add_u32_e32 v0, v40, v93
	s_movk_i32 s4, 0x80
	ds_write_b128 v0, v[32:35] offset:128
	v_add3_u32 v0, v0, s4, v77
	ds_write_b128 v0, v[24:27] offset:128
	v_add3_u32 v0, v0, s4, v78
	;; [unrolled: 2-line block ×3, first 2 shown]
	ds_write_b128 v0, v[20:23] offset:128
	v_lshlrev_b32_e32 v0, 24, v37
	v_and_b32_e32 v1, 0xff0000, v63
	v_or_b32_e32 v0, v1, v0
	v_and_b32_e32 v1, 0xff00, v63
	v_and_b32_e32 v2, 0xff, v63
	v_or3_b32 v63, v0, v1, v2
	v_lshrrev_b32_e32 v0, 31, v36
	v_add_u32_e32 v0, v36, v0
	v_ashrrev_i32_e32 v0, 1, v0
	v_lshlrev_b32_e32 v1, 24, v41
	v_and_b32_e32 v2, 0xff0000, v61
	ds_write_b64 v0, v[62:63] offset:16384
	v_add_u32_e32 v0, v36, v81
	v_or_b32_e32 v1, v2, v1
	v_and_b32_e32 v2, 0xff00, v61
	v_and_b32_e32 v3, 0xff, v61
	v_or3_b32 v61, v1, v2, v3
	v_lshrrev_b32_e32 v1, 31, v0
	v_add_u32_e32 v1, v0, v1
	v_ashrrev_i32_e32 v1, 1, v1
	ds_write_b64 v1, v[60:61] offset:16384
	v_lshlrev_b32_e32 v1, 24, v39
	v_and_b32_e32 v2, 0xff0000, v55
	v_add_u32_e32 v0, v0, v82
	v_or_b32_e32 v1, v2, v1
	v_and_b32_e32 v2, 0xff00, v55
	v_and_b32_e32 v3, 0xff, v55
	v_or3_b32 v55, v1, v2, v3
	v_lshrrev_b32_e32 v1, 31, v0
	v_add_u32_e32 v1, v0, v1
	v_ashrrev_i32_e32 v1, 1, v1
	ds_write_b64 v1, v[54:55] offset:16384
	v_lshlrev_b32_e32 v1, 24, v38
	v_and_b32_e32 v2, 0xff0000, v53
	v_add_u32_e32 v0, v0, v83
	v_or_b32_e32 v1, v2, v1
	v_and_b32_e32 v2, 0xff00, v53
	v_and_b32_e32 v3, 0xff, v53
	v_or3_b32 v53, v1, v2, v3
	v_lshrrev_b32_e32 v1, 31, v0
	v_add_u32_e32 v0, v0, v1
	v_ashrrev_i32_e32 v0, 1, v0
	ds_write_b64 v0, v[52:53] offset:16384
	s_waitcnt lgkmcnt(0)
	s_barrier
	ds_read_b128 v[0:3], v73
	ds_read_b128 v[4:7], v90 offset:8192
	ds_read_b128 v[8:11], v91
	s_waitcnt lgkmcnt(2)
	buffer_store_dword v0, off, s[0:3], 0 offset:44
	buffer_store_dword v1, off, s[0:3], 0 offset:48
	;; [unrolled: 1-line block ×4, first 2 shown]
	ds_read_b128 v[0:3], v59 offset:4096
	s_waitcnt lgkmcnt(1)
	buffer_store_dword v8, off, s[0:3], 0 offset:60
	buffer_store_dword v9, off, s[0:3], 0 offset:64
	;; [unrolled: 1-line block ×4, first 2 shown]
	ds_read_b128 v[8:11], v57 offset:4096
	s_waitcnt lgkmcnt(1)
	buffer_store_dword v0, off, s[0:3], 0 offset:76
	buffer_store_dword v1, off, s[0:3], 0 offset:80
	;; [unrolled: 1-line block ×4, first 2 shown]
	s_waitcnt lgkmcnt(0)
	buffer_store_dword v8, off, s[0:3], 0 offset:92
	buffer_store_dword v9, off, s[0:3], 0 offset:96
	;; [unrolled: 1-line block ×5, first 2 shown]
	ds_read_b128 v[0:3], v89 offset:8192
	buffer_store_dword v5, off, s[0:3], 0 offset:112
	buffer_store_dword v6, off, s[0:3], 0 offset:116
	;; [unrolled: 1-line block ×3, first 2 shown]
	ds_read_b128 v[4:7], v90 offset:12288
	s_waitcnt lgkmcnt(1)
	buffer_store_dword v0, off, s[0:3], 0 offset:124
	buffer_store_dword v1, off, s[0:3], 0 offset:128
	;; [unrolled: 1-line block ×4, first 2 shown]
	s_waitcnt lgkmcnt(0)
	buffer_store_dword v4, off, s[0:3], 0 offset:140
	ds_read_b128 v[0:3], v89 offset:12288
	buffer_store_dword v5, off, s[0:3], 0 offset:144
	buffer_store_dword v6, off, s[0:3], 0 offset:148
	;; [unrolled: 1-line block ×3, first 2 shown]
	ds_read_b64 v[4:5], v88 offset:16384
	s_waitcnt lgkmcnt(1)
	buffer_store_dword v0, off, s[0:3], 0 offset:156
	buffer_store_dword v1, off, s[0:3], 0 offset:160
	buffer_store_dword v2, off, s[0:3], 0 offset:164
	buffer_store_dword v3, off, s[0:3], 0 offset:168
	s_waitcnt lgkmcnt(0)
	;;#ASMSTART
	v_cvt_off_f32_i4 v0, v4
v_cvt_off_f32_i4 v1, v4, src0_sel:BYTE_2
v_cvt_pk_fp8_f32 v3, v0, v1
v_cvt_off_f32_i4 v0, v4, src0_sel:BYTE_1
v_cvt_off_f32_i4 v1, v4, src0_sel:BYTE_3
v_cvt_pk_fp8_f32 v6, v0, v1
v_lshrrev_b32 v2, 4, v4
v_cvt_off_f32_i4 v0, v2
v_cvt_off_f32_i4 v1, v2, src0_sel:BYTE_2
v_cvt_pk_fp8_f32 v3, v0, v1, op_sel:[0, 0, 1]
v_cvt_off_f32_i4 v0, v2, src0_sel:BYTE_1
v_cvt_off_f32_i4 v1, v2, src0_sel:BYTE_3
v_cvt_pk_fp8_f32 v6, v0, v1, op_sel:[0, 0, 1]

	;;#ASMEND
	;;#ASMSTART
	v_cvt_off_f32_i4 v0, v5
v_cvt_off_f32_i4 v1, v5, src0_sel:BYTE_2
v_cvt_pk_fp8_f32 v4, v0, v1
v_cvt_off_f32_i4 v0, v5, src0_sel:BYTE_1
v_cvt_off_f32_i4 v1, v5, src0_sel:BYTE_3
v_cvt_pk_fp8_f32 v7, v0, v1
v_lshrrev_b32 v2, 4, v5
v_cvt_off_f32_i4 v0, v2
v_cvt_off_f32_i4 v1, v2, src0_sel:BYTE_2
v_cvt_pk_fp8_f32 v4, v0, v1, op_sel:[0, 0, 1]
v_cvt_off_f32_i4 v0, v2, src0_sel:BYTE_1
v_cvt_off_f32_i4 v1, v2, src0_sel:BYTE_3
v_cvt_pk_fp8_f32 v7, v0, v1, op_sel:[0, 0, 1]

	;;#ASMEND
	ds_read_b64 v[0:1], v86 offset:16384
	buffer_store_dword v3, off, s[0:3], 0 offset:172
	buffer_store_dword v6, off, s[0:3], 0 offset:176
	buffer_store_dword v4, off, s[0:3], 0 offset:180
	buffer_store_dword v7, off, s[0:3], 0 offset:184
	s_waitcnt lgkmcnt(0)
	;;#ASMSTART
	v_cvt_off_f32_i4 v2, v0
v_cvt_off_f32_i4 v3, v0, src0_sel:BYTE_2
v_cvt_pk_fp8_f32 v5, v2, v3
v_cvt_off_f32_i4 v2, v0, src0_sel:BYTE_1
v_cvt_off_f32_i4 v3, v0, src0_sel:BYTE_3
v_cvt_pk_fp8_f32 v6, v2, v3
v_lshrrev_b32 v4, 4, v0
v_cvt_off_f32_i4 v2, v4
v_cvt_off_f32_i4 v3, v4, src0_sel:BYTE_2
v_cvt_pk_fp8_f32 v5, v2, v3, op_sel:[0, 0, 1]
v_cvt_off_f32_i4 v2, v4, src0_sel:BYTE_1
v_cvt_off_f32_i4 v3, v4, src0_sel:BYTE_3
v_cvt_pk_fp8_f32 v6, v2, v3, op_sel:[0, 0, 1]

	;;#ASMEND
	;;#ASMSTART
	v_cvt_off_f32_i4 v0, v1
v_cvt_off_f32_i4 v2, v1, src0_sel:BYTE_2
v_cvt_pk_fp8_f32 v4, v0, v2
v_cvt_off_f32_i4 v0, v1, src0_sel:BYTE_1
v_cvt_off_f32_i4 v2, v1, src0_sel:BYTE_3
v_cvt_pk_fp8_f32 v7, v0, v2
v_lshrrev_b32 v3, 4, v1
v_cvt_off_f32_i4 v0, v3
v_cvt_off_f32_i4 v2, v3, src0_sel:BYTE_2
v_cvt_pk_fp8_f32 v4, v0, v2, op_sel:[0, 0, 1]
v_cvt_off_f32_i4 v0, v3, src0_sel:BYTE_1
v_cvt_off_f32_i4 v2, v3, src0_sel:BYTE_3
v_cvt_pk_fp8_f32 v7, v0, v2, op_sel:[0, 0, 1]

	;;#ASMEND
	ds_read_b64 v[0:1], v87 offset:16384
	;; [unrolled: 38-line block ×7, first 2 shown]
	buffer_store_dword v5, off, s[0:3], 0 offset:268
	buffer_store_dword v6, off, s[0:3], 0 offset:272
	buffer_store_dword v4, off, s[0:3], 0 offset:276
	buffer_store_dword v7, off, s[0:3], 0 offset:280
	s_waitcnt lgkmcnt(0)
	;;#ASMSTART
	v_cvt_off_f32_i4 v2, v0
v_cvt_off_f32_i4 v3, v0, src0_sel:BYTE_2
v_cvt_pk_fp8_f32 v5, v2, v3
v_cvt_off_f32_i4 v2, v0, src0_sel:BYTE_1
v_cvt_off_f32_i4 v3, v0, src0_sel:BYTE_3
v_cvt_pk_fp8_f32 v6, v2, v3
v_lshrrev_b32 v4, 4, v0
v_cvt_off_f32_i4 v2, v4
v_cvt_off_f32_i4 v3, v4, src0_sel:BYTE_2
v_cvt_pk_fp8_f32 v5, v2, v3, op_sel:[0, 0, 1]
v_cvt_off_f32_i4 v2, v4, src0_sel:BYTE_1
v_cvt_off_f32_i4 v3, v4, src0_sel:BYTE_3
v_cvt_pk_fp8_f32 v6, v2, v3, op_sel:[0, 0, 1]

	;;#ASMEND
	;;#ASMSTART
	v_cvt_off_f32_i4 v0, v1
v_cvt_off_f32_i4 v2, v1, src0_sel:BYTE_2
v_cvt_pk_fp8_f32 v4, v0, v2
v_cvt_off_f32_i4 v0, v1, src0_sel:BYTE_1
v_cvt_off_f32_i4 v2, v1, src0_sel:BYTE_3
v_cvt_pk_fp8_f32 v7, v0, v2
v_lshrrev_b32 v3, 4, v1
v_cvt_off_f32_i4 v0, v3
v_cvt_off_f32_i4 v2, v3, src0_sel:BYTE_2
v_cvt_pk_fp8_f32 v4, v0, v2, op_sel:[0, 0, 1]
v_cvt_off_f32_i4 v0, v3, src0_sel:BYTE_1
v_cvt_off_f32_i4 v2, v3, src0_sel:BYTE_3
v_cvt_pk_fp8_f32 v7, v0, v2, op_sel:[0, 0, 1]

	;;#ASMEND
	buffer_store_dword v5, off, s[0:3], 0 offset:284
	buffer_store_dword v6, off, s[0:3], 0 offset:288
	;; [unrolled: 1-line block ×4, first 2 shown]
	; sched_barrier mask(0x00000000)
	s_barrier
	; sched_barrier mask(0x00000000)
	v_mov_b32_e32 v0, 0
	v_mov_b32_e32 v1, s19
	buffer_store_dword v42, off, s[0:3], 0 offset:4
	buffer_store_dword v43, off, s[0:3], 0
	buffer_store_dword v44, off, s[0:3], 0 offset:12
	buffer_store_dword v45, off, s[0:3], 0 offset:8
	;; [unrolled: 1-line block ×8, first 2 shown]
	s_getpc_b64 s[4:5]
	s_add_u32 s4, s4, _ZNK2ck6detail7applierIiJLi0ELi1ELi2ELi3ELi4ELi5ELi6ELi7ELi8ELi9ELi10ELi11ELi12ELi13ELi14ELi15EEEclIZNKS_11static_fordINS_8SequenceIJLi4ELi4EEEENS5_IJLi0ELi1EEEEEclIZZZZNKS_31BlockwiseGemmXdlops_pipeline_v2ILNS_26BlockGemmPipelineSchedulerE1ELi256ENS_9f8_fnuz_tENS_7pk_i4_tESC_fNS_16TensorDescriptorINS_5TupleIJNS_5EmbedINSF_IJNS_17integral_constantIiLi8EEENSH_IiLi128EEENSH_IiLi16EEEEEENSF_IJSK_SJ_NSH_IiLi1EEEEEELb0EEENS_3XorINSF_IJSJ_SI_EEELb1EEENS_11PassThroughISK_EENS_7UnMergeINSF_IJSI_SM_EEELb0EEENSS_ISJ_EEST_NSS_ISI_EENS_21Merge_v3_division_modINSF_IJSJ_SM_EEEEEST_EEENSF_IJNS5_IJLi0EEEENS5_IJLi2ELi1EEEENS5_IJLi3EEEENS5_IJLi5EEEENS5_IJLi4EEEENS5_IJLi6EEEENS5_IJLi7EEEENS5_IJLi9ELi8EEEENS5_IJLi10EEEEEEENSF_IJNS5_IJLi1ELi2ELi3EEEENS5_IJLi4ELi5EEEES18_NS5_IJLi7ELi8EEEENS5_IJLi9EEEES1B_NS5_IJLi11EEEENS5_IJLi12EEEENS5_IJLi13EEEEEEENS5_IJLi11ELi12ELi13EEEENSH_IlLl16384EEEEENSE_INSF_IJNSG_INSF_IJSK_NSH_IiLi64EEESK_EEENSF_IJSK_NSH_IiLi256EEESM_EEELb0EEENSP_INSF_IJS1O_SK_EEELb1EEEST_NSU_INSF_IJSI_NSH_IiLi2EEEEEELb0EEENSS_IS1O_EEST_SY_NSZ_INSF_IJS1O_S1V_EEEEEST_EEES1C_S1K_S1L_S1M_EENSE_INSF_IJSO_SR_ST_SW_SX_ST_SY_S11_ST_NSZ_INSF_IJSI_SK_EEEEENSU_INSF_IJNSH_IiLi4EEES1V_SK_EEELb0EEEEEENSF_IJS13_S14_S15_S16_S17_S18_S19_S1A_S1B_NS5_IJLi11ELi13EEEES1I_EEENSF_IJS1D_S1E_S18_S1F_S1G_S1B_S1H_S1I_S1J_NS5_IJLi14EEEENS5_IJLi15ELi16ELi17EEEEEEENS5_IJLi15ELi16ELi17ELi14EEEES1M_EENSE_INSF_IJS1S_S1U_ST_S1X_S1Y_ST_SY_S20_ST_S24_S27_EEES2A_S2D_S2E_S1M_EELi16ELi16ELi128ELi128ELi128ELi16ELi16ELi4ELi4ELi16ELb0EE3RunILb1ELNS_10TailNumberE10ENSE_INSF_IJNSG_INSF_IJiiEEENSF_IJiSM_EEELb0EEENSU_IS2L_Lb0EEENSS_IiEEEEENSF_IJS13_NS5_IJLi2EEEENS5_IJLi1EEEEEEENSF_IJNS5_IJLi1ELi2EEEENS5_IJLi3ELi4EEEES16_EEENS5_IJLi3ELi5ELi4EEEElEES1N_NS_35ThreadGroupTensorSliceTransfer_v4r1INS_15ThisThreadBlockILi256EEENS_16tensor_operation12element_wise11PassThroughES34_LNS_25InMemoryDataOperationEnumE0ENS5_IJLi8ELi128ELi16EEEENS5_IJLi8ELi32ELi1EEEENS5_IJLi1ELi0ELi2EEEESC_SC_RKS2Y_KS1N_S38_NS5_IJLi0ELi1ELi2EEEELi2ELi2ELi16ELi16ELi1ELi1ELb0ELb1ELi2EiEENS_13DynamicBufferILNS_16AddressSpaceEnumE1EKSC_lLb1ELNS_22AmdBufferCoherenceEnumE0EiEENS3E_ILS3F_2ESC_S1M_Lb1ELS3H_0EiEENSF_IJiiiEEENSE_INSF_IJNSU_INSF_IJiiiiEEELb0EEENS_23Merge_v2_magic_divisionIS2L_EENSS_INSF_IJiEEEEES2P_EEENSF_IJS13_NS5_IJLi1ELi3EEEES2R_S17_EEENSF_IJNS5_IJLi1ELi2ELi3ELi4EEEES16_S18_S19_EEENS5_IJLi5ELi6ELi7EEEElEES22_NS2Z_IS31_S34_S34_LS35_0ES36_NS5_IJLi4ELi64ELi1EEEES38_SD_SD_RKS3X_KS22_S38_S3C_Li2ELi2ELi16ELi16ELi1ELi1ELb0ELb1ELi2EiEENS3E_ILS3F_1EKSD_lLb1ELS3H_0EiEENS3E_ILS3F_2ESD_S1M_Lb1ELS3H_0EiEES3K_NS_25StaticBufferTupleOfVectorILS3F_4EfLi16ELi4ELb1ELb0EEEEEvRKT1_RKT2_RT3_RKT4_RT5_RKT6_RKT7_RKT8_RT9_RKT10_RT11_RKT12_RT13_iENKUlT_E1_clIS1V_EEDaS56_ENKUlS56_E0_clINSH_IiLi0EEEEEDaS56_ENKUlS56_E1_clIS5B_EEDaS56_EUlS56_E_EEvS56_EUlS56_E_EEvS56_@rel32@lo+4
	s_addc_u32 s5, s5, _ZNK2ck6detail7applierIiJLi0ELi1ELi2ELi3ELi4ELi5ELi6ELi7ELi8ELi9ELi10ELi11ELi12ELi13ELi14ELi15EEEclIZNKS_11static_fordINS_8SequenceIJLi4ELi4EEEENS5_IJLi0ELi1EEEEEclIZZZZNKS_31BlockwiseGemmXdlops_pipeline_v2ILNS_26BlockGemmPipelineSchedulerE1ELi256ENS_9f8_fnuz_tENS_7pk_i4_tESC_fNS_16TensorDescriptorINS_5TupleIJNS_5EmbedINSF_IJNS_17integral_constantIiLi8EEENSH_IiLi128EEENSH_IiLi16EEEEEENSF_IJSK_SJ_NSH_IiLi1EEEEEELb0EEENS_3XorINSF_IJSJ_SI_EEELb1EEENS_11PassThroughISK_EENS_7UnMergeINSF_IJSI_SM_EEELb0EEENSS_ISJ_EEST_NSS_ISI_EENS_21Merge_v3_division_modINSF_IJSJ_SM_EEEEEST_EEENSF_IJNS5_IJLi0EEEENS5_IJLi2ELi1EEEENS5_IJLi3EEEENS5_IJLi5EEEENS5_IJLi4EEEENS5_IJLi6EEEENS5_IJLi7EEEENS5_IJLi9ELi8EEEENS5_IJLi10EEEEEEENSF_IJNS5_IJLi1ELi2ELi3EEEENS5_IJLi4ELi5EEEES18_NS5_IJLi7ELi8EEEENS5_IJLi9EEEES1B_NS5_IJLi11EEEENS5_IJLi12EEEENS5_IJLi13EEEEEEENS5_IJLi11ELi12ELi13EEEENSH_IlLl16384EEEEENSE_INSF_IJNSG_INSF_IJSK_NSH_IiLi64EEESK_EEENSF_IJSK_NSH_IiLi256EEESM_EEELb0EEENSP_INSF_IJS1O_SK_EEELb1EEEST_NSU_INSF_IJSI_NSH_IiLi2EEEEEELb0EEENSS_IS1O_EEST_SY_NSZ_INSF_IJS1O_S1V_EEEEEST_EEES1C_S1K_S1L_S1M_EENSE_INSF_IJSO_SR_ST_SW_SX_ST_SY_S11_ST_NSZ_INSF_IJSI_SK_EEEEENSU_INSF_IJNSH_IiLi4EEES1V_SK_EEELb0EEEEEENSF_IJS13_S14_S15_S16_S17_S18_S19_S1A_S1B_NS5_IJLi11ELi13EEEES1I_EEENSF_IJS1D_S1E_S18_S1F_S1G_S1B_S1H_S1I_S1J_NS5_IJLi14EEEENS5_IJLi15ELi16ELi17EEEEEEENS5_IJLi15ELi16ELi17ELi14EEEES1M_EENSE_INSF_IJS1S_S1U_ST_S1X_S1Y_ST_SY_S20_ST_S24_S27_EEES2A_S2D_S2E_S1M_EELi16ELi16ELi128ELi128ELi128ELi16ELi16ELi4ELi4ELi16ELb0EE3RunILb1ELNS_10TailNumberE10ENSE_INSF_IJNSG_INSF_IJiiEEENSF_IJiSM_EEELb0EEENSU_IS2L_Lb0EEENSS_IiEEEEENSF_IJS13_NS5_IJLi2EEEENS5_IJLi1EEEEEEENSF_IJNS5_IJLi1ELi2EEEENS5_IJLi3ELi4EEEES16_EEENS5_IJLi3ELi5ELi4EEEElEES1N_NS_35ThreadGroupTensorSliceTransfer_v4r1INS_15ThisThreadBlockILi256EEENS_16tensor_operation12element_wise11PassThroughES34_LNS_25InMemoryDataOperationEnumE0ENS5_IJLi8ELi128ELi16EEEENS5_IJLi8ELi32ELi1EEEENS5_IJLi1ELi0ELi2EEEESC_SC_RKS2Y_KS1N_S38_NS5_IJLi0ELi1ELi2EEEELi2ELi2ELi16ELi16ELi1ELi1ELb0ELb1ELi2EiEENS_13DynamicBufferILNS_16AddressSpaceEnumE1EKSC_lLb1ELNS_22AmdBufferCoherenceEnumE0EiEENS3E_ILS3F_2ESC_S1M_Lb1ELS3H_0EiEENSF_IJiiiEEENSE_INSF_IJNSU_INSF_IJiiiiEEELb0EEENS_23Merge_v2_magic_divisionIS2L_EENSS_INSF_IJiEEEEES2P_EEENSF_IJS13_NS5_IJLi1ELi3EEEES2R_S17_EEENSF_IJNS5_IJLi1ELi2ELi3ELi4EEEES16_S18_S19_EEENS5_IJLi5ELi6ELi7EEEElEES22_NS2Z_IS31_S34_S34_LS35_0ES36_NS5_IJLi4ELi64ELi1EEEES38_SD_SD_RKS3X_KS22_S38_S3C_Li2ELi2ELi16ELi16ELi1ELi1ELb0ELb1ELi2EiEENS3E_ILS3F_1EKSD_lLb1ELS3H_0EiEENS3E_ILS3F_2ESD_S1M_Lb1ELS3H_0EiEES3K_NS_25StaticBufferTupleOfVectorILS3F_4EfLi16ELi4ELb1ELb0EEEEEvRKT1_RKT2_RT3_RKT4_RT5_RKT6_RKT7_RKT8_RT9_RKT10_RT11_RKT12_RT13_iENKUlT_E1_clIS1V_EEDaS56_ENKUlS56_E0_clINSH_IiLi0EEEEEDaS56_ENKUlS56_E1_clIS5B_EEDaS56_EUlS56_E_EEvS56_EUlS56_E_EEvS56_@rel32@hi+12
	s_swappc_b64 s[30:31], s[4:5]
	v_mov_b32_e32 v0, 0
	v_mov_b32_e32 v1, s19
	buffer_store_dword v42, off, s[0:3], 0 offset:4
	buffer_store_dword v43, off, s[0:3], 0
	buffer_store_dword v44, off, s[0:3], 0 offset:12
	buffer_store_dword v45, off, s[0:3], 0 offset:8
	;; [unrolled: 1-line block ×8, first 2 shown]
	s_getpc_b64 s[4:5]
	s_add_u32 s4, s4, _ZNK2ck6detail7applierIiJLi0ELi1ELi2ELi3ELi4ELi5ELi6ELi7ELi8ELi9ELi10ELi11ELi12ELi13ELi14ELi15EEEclIZNKS_11static_fordINS_8SequenceIJLi4ELi4EEEENS5_IJLi0ELi1EEEEEclIZZZZNKS_31BlockwiseGemmXdlops_pipeline_v2ILNS_26BlockGemmPipelineSchedulerE1ELi256ENS_9f8_fnuz_tENS_7pk_i4_tESC_fNS_16TensorDescriptorINS_5TupleIJNS_5EmbedINSF_IJNS_17integral_constantIiLi8EEENSH_IiLi128EEENSH_IiLi16EEEEEENSF_IJSK_SJ_NSH_IiLi1EEEEEELb0EEENS_3XorINSF_IJSJ_SI_EEELb1EEENS_11PassThroughISK_EENS_7UnMergeINSF_IJSI_SM_EEELb0EEENSS_ISJ_EEST_NSS_ISI_EENS_21Merge_v3_division_modINSF_IJSJ_SM_EEEEEST_EEENSF_IJNS5_IJLi0EEEENS5_IJLi2ELi1EEEENS5_IJLi3EEEENS5_IJLi5EEEENS5_IJLi4EEEENS5_IJLi6EEEENS5_IJLi7EEEENS5_IJLi9ELi8EEEENS5_IJLi10EEEEEEENSF_IJNS5_IJLi1ELi2ELi3EEEENS5_IJLi4ELi5EEEES18_NS5_IJLi7ELi8EEEENS5_IJLi9EEEES1B_NS5_IJLi11EEEENS5_IJLi12EEEENS5_IJLi13EEEEEEENS5_IJLi11ELi12ELi13EEEENSH_IlLl16384EEEEENSE_INSF_IJNSG_INSF_IJSK_NSH_IiLi64EEESK_EEENSF_IJSK_NSH_IiLi256EEESM_EEELb0EEENSP_INSF_IJS1O_SK_EEELb1EEEST_NSU_INSF_IJSI_NSH_IiLi2EEEEEELb0EEENSS_IS1O_EEST_SY_NSZ_INSF_IJS1O_S1V_EEEEEST_EEES1C_S1K_S1L_S1M_EENSE_INSF_IJSO_SR_ST_SW_SX_ST_SY_S11_ST_NSZ_INSF_IJSI_SK_EEEEENSU_INSF_IJNSH_IiLi4EEES1V_SK_EEELb0EEEEEENSF_IJS13_S14_S15_S16_S17_S18_S19_S1A_S1B_NS5_IJLi11ELi13EEEES1I_EEENSF_IJS1D_S1E_S18_S1F_S1G_S1B_S1H_S1I_S1J_NS5_IJLi14EEEENS5_IJLi15ELi16ELi17EEEEEEENS5_IJLi15ELi16ELi17ELi14EEEES1M_EENSE_INSF_IJS1S_S1U_ST_S1X_S1Y_ST_SY_S20_ST_S24_S27_EEES2A_S2D_S2E_S1M_EELi16ELi16ELi128ELi128ELi128ELi16ELi16ELi4ELi4ELi16ELb0EE3RunILb1ELNS_10TailNumberE10ENSE_INSF_IJNSG_INSF_IJiiEEENSF_IJiSM_EEELb0EEENSU_IS2L_Lb0EEENSS_IiEEEEENSF_IJS13_NS5_IJLi2EEEENS5_IJLi1EEEEEEENSF_IJNS5_IJLi1ELi2EEEENS5_IJLi3ELi4EEEES16_EEENS5_IJLi3ELi5ELi4EEEElEES1N_NS_35ThreadGroupTensorSliceTransfer_v4r1INS_15ThisThreadBlockILi256EEENS_16tensor_operation12element_wise11PassThroughES34_LNS_25InMemoryDataOperationEnumE0ENS5_IJLi8ELi128ELi16EEEENS5_IJLi8ELi32ELi1EEEENS5_IJLi1ELi0ELi2EEEESC_SC_RKS2Y_KS1N_S38_NS5_IJLi0ELi1ELi2EEEELi2ELi2ELi16ELi16ELi1ELi1ELb0ELb1ELi2EiEENS_13DynamicBufferILNS_16AddressSpaceEnumE1EKSC_lLb1ELNS_22AmdBufferCoherenceEnumE0EiEENS3E_ILS3F_2ESC_S1M_Lb1ELS3H_0EiEENSF_IJiiiEEENSE_INSF_IJNSU_INSF_IJiiiiEEELb0EEENS_23Merge_v2_magic_divisionIS2L_EENSS_INSF_IJiEEEEES2P_EEENSF_IJS13_NS5_IJLi1ELi3EEEES2R_S17_EEENSF_IJNS5_IJLi1ELi2ELi3ELi4EEEES16_S18_S19_EEENS5_IJLi5ELi6ELi7EEEElEES22_NS2Z_IS31_S34_S34_LS35_0ES36_NS5_IJLi4ELi64ELi1EEEES38_SD_SD_RKS3X_KS22_S38_S3C_Li2ELi2ELi16ELi16ELi1ELi1ELb0ELb1ELi2EiEENS3E_ILS3F_1EKSD_lLb1ELS3H_0EiEENS3E_ILS3F_2ESD_S1M_Lb1ELS3H_0EiEES3K_NS_25StaticBufferTupleOfVectorILS3F_4EfLi16ELi4ELb1ELb0EEEEEvRKT1_RKT2_RT3_RKT4_RT5_RKT6_RKT7_RKT8_RT9_RKT10_RT11_RKT12_RT13_iENKUlT_E1_clIS1V_EEDaS56_ENKUlS56_E0_clINSH_IiLi0EEEEEDaS56_ENKUlS56_E1_clISK_EEDaS56_EUlS56_E_EEvS56_EUlS56_E_EEvS56_@rel32@lo+4
	s_addc_u32 s5, s5, _ZNK2ck6detail7applierIiJLi0ELi1ELi2ELi3ELi4ELi5ELi6ELi7ELi8ELi9ELi10ELi11ELi12ELi13ELi14ELi15EEEclIZNKS_11static_fordINS_8SequenceIJLi4ELi4EEEENS5_IJLi0ELi1EEEEEclIZZZZNKS_31BlockwiseGemmXdlops_pipeline_v2ILNS_26BlockGemmPipelineSchedulerE1ELi256ENS_9f8_fnuz_tENS_7pk_i4_tESC_fNS_16TensorDescriptorINS_5TupleIJNS_5EmbedINSF_IJNS_17integral_constantIiLi8EEENSH_IiLi128EEENSH_IiLi16EEEEEENSF_IJSK_SJ_NSH_IiLi1EEEEEELb0EEENS_3XorINSF_IJSJ_SI_EEELb1EEENS_11PassThroughISK_EENS_7UnMergeINSF_IJSI_SM_EEELb0EEENSS_ISJ_EEST_NSS_ISI_EENS_21Merge_v3_division_modINSF_IJSJ_SM_EEEEEST_EEENSF_IJNS5_IJLi0EEEENS5_IJLi2ELi1EEEENS5_IJLi3EEEENS5_IJLi5EEEENS5_IJLi4EEEENS5_IJLi6EEEENS5_IJLi7EEEENS5_IJLi9ELi8EEEENS5_IJLi10EEEEEEENSF_IJNS5_IJLi1ELi2ELi3EEEENS5_IJLi4ELi5EEEES18_NS5_IJLi7ELi8EEEENS5_IJLi9EEEES1B_NS5_IJLi11EEEENS5_IJLi12EEEENS5_IJLi13EEEEEEENS5_IJLi11ELi12ELi13EEEENSH_IlLl16384EEEEENSE_INSF_IJNSG_INSF_IJSK_NSH_IiLi64EEESK_EEENSF_IJSK_NSH_IiLi256EEESM_EEELb0EEENSP_INSF_IJS1O_SK_EEELb1EEEST_NSU_INSF_IJSI_NSH_IiLi2EEEEEELb0EEENSS_IS1O_EEST_SY_NSZ_INSF_IJS1O_S1V_EEEEEST_EEES1C_S1K_S1L_S1M_EENSE_INSF_IJSO_SR_ST_SW_SX_ST_SY_S11_ST_NSZ_INSF_IJSI_SK_EEEEENSU_INSF_IJNSH_IiLi4EEES1V_SK_EEELb0EEEEEENSF_IJS13_S14_S15_S16_S17_S18_S19_S1A_S1B_NS5_IJLi11ELi13EEEES1I_EEENSF_IJS1D_S1E_S18_S1F_S1G_S1B_S1H_S1I_S1J_NS5_IJLi14EEEENS5_IJLi15ELi16ELi17EEEEEEENS5_IJLi15ELi16ELi17ELi14EEEES1M_EENSE_INSF_IJS1S_S1U_ST_S1X_S1Y_ST_SY_S20_ST_S24_S27_EEES2A_S2D_S2E_S1M_EELi16ELi16ELi128ELi128ELi128ELi16ELi16ELi4ELi4ELi16ELb0EE3RunILb1ELNS_10TailNumberE10ENSE_INSF_IJNSG_INSF_IJiiEEENSF_IJiSM_EEELb0EEENSU_IS2L_Lb0EEENSS_IiEEEEENSF_IJS13_NS5_IJLi2EEEENS5_IJLi1EEEEEEENSF_IJNS5_IJLi1ELi2EEEENS5_IJLi3ELi4EEEES16_EEENS5_IJLi3ELi5ELi4EEEElEES1N_NS_35ThreadGroupTensorSliceTransfer_v4r1INS_15ThisThreadBlockILi256EEENS_16tensor_operation12element_wise11PassThroughES34_LNS_25InMemoryDataOperationEnumE0ENS5_IJLi8ELi128ELi16EEEENS5_IJLi8ELi32ELi1EEEENS5_IJLi1ELi0ELi2EEEESC_SC_RKS2Y_KS1N_S38_NS5_IJLi0ELi1ELi2EEEELi2ELi2ELi16ELi16ELi1ELi1ELb0ELb1ELi2EiEENS_13DynamicBufferILNS_16AddressSpaceEnumE1EKSC_lLb1ELNS_22AmdBufferCoherenceEnumE0EiEENS3E_ILS3F_2ESC_S1M_Lb1ELS3H_0EiEENSF_IJiiiEEENSE_INSF_IJNSU_INSF_IJiiiiEEELb0EEENS_23Merge_v2_magic_divisionIS2L_EENSS_INSF_IJiEEEEES2P_EEENSF_IJS13_NS5_IJLi1ELi3EEEES2R_S17_EEENSF_IJNS5_IJLi1ELi2ELi3ELi4EEEES16_S18_S19_EEENS5_IJLi5ELi6ELi7EEEElEES22_NS2Z_IS31_S34_S34_LS35_0ES36_NS5_IJLi4ELi64ELi1EEEES38_SD_SD_RKS3X_KS22_S38_S3C_Li2ELi2ELi16ELi16ELi1ELi1ELb0ELb1ELi2EiEENS3E_ILS3F_1EKSD_lLb1ELS3H_0EiEENS3E_ILS3F_2ESD_S1M_Lb1ELS3H_0EiEES3K_NS_25StaticBufferTupleOfVectorILS3F_4EfLi16ELi4ELb1ELb0EEEEEvRKT1_RKT2_RT3_RKT4_RT5_RKT6_RKT7_RKT8_RT9_RKT10_RT11_RKT12_RT13_iENKUlT_E1_clIS1V_EEDaS56_ENKUlS56_E0_clINSH_IiLi0EEEEEDaS56_ENKUlS56_E1_clISK_EEDaS56_EUlS56_E_EEvS56_EUlS56_E_EEvS56_@rel32@hi+12
	s_swappc_b64 s[30:31], s[4:5]
	; sched_barrier mask(0x00000000)
	s_setprio 0
	; sched_barrier mask(0x00000000)
	s_waitcnt lgkmcnt(0)
	s_barrier
	buffer_load_dword v1, off, s[0:3], 0 offset:304
	buffer_load_dword v4, off, s[0:3], 0 offset:308
	;; [unrolled: 1-line block ×4, first 2 shown]
	v_and_b32_e32 v0, 15, v18
	v_lshlrev_b32_e32 v2, 2, v18
	v_lshlrev_b32_e32 v3, 3, v18
	s_movk_i32 s4, 0x180
	v_and_b32_e32 v9, 0x200, v2
	v_and_or_b32 v0, v3, s4, v0
	v_and_b32_e32 v2, 28, v2
	v_lshl_or_b32 v7, s11, 7, v19
	s_add_i32 s5, s17, s23
	v_or3_b32 v9, v0, v9, v72
	v_or_b32_e32 v0, s14, v2
	s_lshl_b32 s26, s5, 1
	v_lshlrev_b32_e32 v10, 1, v2
	v_cmp_gt_i32_e64 s[10:11], s16, v7
	v_cmp_gt_i32_e32 vcc, s17, v0
	v_bfrev_b32_e32 v8, 1
	s_mov_b32 s27, 0x20000
	v_or_b32_e32 v11, 32, v0
	s_lshl_b32 s14, s21, 5
	v_mov_b32_e32 v12, 0x7fffff80
	v_or_b32_e32 v13, 64, v7
	v_mov_b32_e32 v14, 0x80000080
	s_waitcnt vmcnt(3)
	v_mad_u64_u32 v[2:3], s[4:5], v7, s21, v[0:1]
	v_cvt_f16_f32_e32 v1, v1
	s_waitcnt vmcnt(2)
	v_cvt_f16_f32_e32 v4, v4
	s_waitcnt vmcnt(1)
	v_cvt_f16_f32_e32 v5, v5
	v_lshlrev_b32_e32 v3, 1, v9
	v_lshl_or_b32 v9, v19, 6, v10
	s_waitcnt vmcnt(0)
	v_cvt_f16_f32_e32 v6, v6
	ds_write_b16 v3, v1
	ds_write_b16 v3, v4 offset:64
	ds_write_b16 v3, v5 offset:128
	;; [unrolled: 1-line block ×3, first 2 shown]
	s_waitcnt lgkmcnt(0)
	s_barrier
	ds_read_b64 v[4:5], v9
	s_and_b64 s[4:5], s[10:11], vcc
	v_lshlrev_b32_e32 v1, 1, v2
	v_cndmask_b32_e64 v6, v8, 0, s[4:5]
	v_add_u32_e32 v6, v6, v1
	s_waitcnt lgkmcnt(0)
	buffer_atomic_pk_add_f16 v4, v6, s[24:27], 0 offen
	buffer_atomic_pk_add_f16 v5, v6, s[24:27], 4 offen
	s_waitcnt lgkmcnt(0)
	s_barrier
	buffer_load_dword v4, off, s[0:3], 0 offset:320
	buffer_load_dword v5, off, s[0:3], 0 offset:324
	;; [unrolled: 1-line block ×4, first 2 shown]
	v_cmp_gt_i32_e64 s[4:5], s17, v11
	s_and_b64 s[6:7], s[10:11], s[4:5]
	v_or_b32_e32 v11, 64, v0
	s_waitcnt vmcnt(3)
	v_cvt_f16_f32_e32 v4, v4
	s_waitcnt vmcnt(2)
	v_cvt_f16_f32_e32 v5, v5
	;; [unrolled: 2-line block ×4, first 2 shown]
	ds_write_b16 v3, v4
	ds_write_b16 v3, v5 offset:64
	ds_write_b16 v3, v6 offset:128
	;; [unrolled: 1-line block ×3, first 2 shown]
	s_waitcnt lgkmcnt(0)
	s_barrier
	ds_read_b64 v[4:5], v9
	v_cndmask_b32_e64 v6, v8, 0, s[6:7]
	v_add_u32_e32 v6, v1, v6
	s_waitcnt lgkmcnt(0)
	buffer_atomic_pk_add_f16 v4, v6, s[24:27], 0 offen offset:64
	buffer_atomic_pk_add_f16 v5, v6, s[24:27], 4 offen offset:64
	s_waitcnt lgkmcnt(0)
	s_barrier
	buffer_load_dword v4, off, s[0:3], 0 offset:336
	buffer_load_dword v5, off, s[0:3], 0 offset:340
	;; [unrolled: 1-line block ×4, first 2 shown]
	v_cmp_gt_i32_e64 s[6:7], s17, v11
	s_and_b64 s[8:9], s[10:11], s[6:7]
	v_add_u32_e32 v11, 0x60, v2
	v_add_u32_e32 v2, s14, v2
	s_waitcnt vmcnt(3)
	v_cvt_f16_f32_e32 v4, v4
	s_waitcnt vmcnt(2)
	v_cvt_f16_f32_e32 v5, v5
	;; [unrolled: 2-line block ×4, first 2 shown]
	ds_write_b16 v3, v4
	ds_write_b16 v3, v5 offset:64
	ds_write_b16 v3, v6 offset:128
	;; [unrolled: 1-line block ×3, first 2 shown]
	s_waitcnt lgkmcnt(0)
	s_barrier
	ds_read_b64 v[4:5], v9
	v_cndmask_b32_e64 v6, v8, 0, s[8:9]
	v_add_u32_e32 v1, v1, v6
	s_waitcnt lgkmcnt(0)
	buffer_atomic_pk_add_f16 v4, v1, s[24:27], 0 offen offset:128
	buffer_atomic_pk_add_f16 v5, v1, s[24:27], 4 offen offset:128
	s_waitcnt lgkmcnt(0)
	s_barrier
	buffer_load_dword v1, off, s[0:3], 0 offset:352
	buffer_load_dword v4, off, s[0:3], 0 offset:356
	;; [unrolled: 1-line block ×4, first 2 shown]
	v_or_b32_e32 v10, 0x60, v0
	v_cmp_gt_i32_e64 s[8:9], s17, v10
	s_and_b64 s[10:11], s[10:11], s[8:9]
	v_mov_b32_e32 v10, 0x7fffffc0
	s_waitcnt vmcnt(3)
	v_cvt_f16_f32_e32 v0, v1
	s_waitcnt vmcnt(2)
	v_cvt_f16_f32_e32 v1, v4
	;; [unrolled: 2-line block ×4, first 2 shown]
	ds_write_b16 v3, v0
	ds_write_b16 v3, v1 offset:64
	ds_write_b16 v3, v4 offset:128
	;; [unrolled: 1-line block ×3, first 2 shown]
	s_waitcnt lgkmcnt(0)
	s_barrier
	ds_read_b64 v[0:1], v9
	v_cndmask_b32_e64 v4, v8, 0, s[10:11]
	v_lshl_add_u32 v4, v11, 1, v4
	s_waitcnt lgkmcnt(0)
	buffer_atomic_pk_add_f16 v0, v4, s[24:27], 0 offen
	buffer_atomic_pk_add_f16 v1, v4, s[24:27], 4 offen
	s_waitcnt lgkmcnt(0)
	s_barrier
	buffer_load_dword v0, off, s[0:3], 0 offset:416
	buffer_load_dword v1, off, s[0:3], 0 offset:420
	;; [unrolled: 1-line block ×4, first 2 shown]
	v_or_b32_e32 v6, 32, v7
	v_cmp_gt_i32_e64 s[10:11], s16, v6
	s_and_b64 s[12:13], s[10:11], s[8:9]
	v_or_b32_e32 v7, 0x60, v7
	s_waitcnt vmcnt(3)
	v_cvt_f16_f32_e32 v0, v0
	s_waitcnt vmcnt(2)
	v_cvt_f16_f32_e32 v1, v1
	;; [unrolled: 2-line block ×4, first 2 shown]
	ds_write_b16 v3, v0
	ds_write_b16 v3, v1 offset:64
	ds_write_b16 v3, v4 offset:128
	;; [unrolled: 1-line block ×3, first 2 shown]
	s_waitcnt lgkmcnt(0)
	s_barrier
	ds_read_b64 v[0:1], v9
	v_add_lshl_u32 v4, v11, s14, 1
	v_cndmask_b32_e64 v5, v8, 0, s[12:13]
	v_add_u32_e32 v5, v4, v5
	s_waitcnt lgkmcnt(0)
	buffer_atomic_pk_add_f16 v0, v5, s[24:27], 0 offen
	buffer_atomic_pk_add_f16 v1, v5, s[24:27], 4 offen
	s_waitcnt lgkmcnt(0)
	s_barrier
	buffer_load_dword v0, off, s[0:3], 0 offset:400
	buffer_load_dword v1, off, s[0:3], 0 offset:404
	;; [unrolled: 1-line block ×4, first 2 shown]
	s_and_b64 s[12:13], s[10:11], s[6:7]
	s_waitcnt vmcnt(3)
	v_cvt_f16_f32_e32 v0, v0
	s_waitcnt vmcnt(2)
	v_cvt_f16_f32_e32 v1, v1
	;; [unrolled: 2-line block ×4, first 2 shown]
	ds_write_b16 v3, v0
	ds_write_b16 v3, v1 offset:64
	ds_write_b16 v3, v5 offset:128
	;; [unrolled: 1-line block ×3, first 2 shown]
	s_waitcnt lgkmcnt(0)
	s_barrier
	ds_read_b64 v[0:1], v9
	v_not_b32_e32 v5, 63
	v_cndmask_b32_e64 v6, v10, v5, s[12:13]
	v_add_u32_e32 v6, v4, v6
	s_waitcnt lgkmcnt(0)
	buffer_atomic_pk_add_f16 v0, v6, s[24:27], 0 offen
	buffer_atomic_pk_add_f16 v1, v6, s[24:27], 4 offen
	s_waitcnt lgkmcnt(0)
	s_barrier
	buffer_load_dword v0, off, s[0:3], 0 offset:384
	buffer_load_dword v1, off, s[0:3], 0 offset:388
	;; [unrolled: 1-line block ×4, first 2 shown]
	s_and_b64 s[12:13], s[10:11], s[4:5]
	s_and_b64 s[10:11], vcc, s[10:11]
	s_waitcnt vmcnt(3)
	v_cvt_f16_f32_e32 v0, v0
	s_waitcnt vmcnt(2)
	v_cvt_f16_f32_e32 v1, v1
	;; [unrolled: 2-line block ×4, first 2 shown]
	ds_write_b16 v3, v0
	ds_write_b16 v3, v1 offset:64
	ds_write_b16 v3, v6 offset:128
	;; [unrolled: 1-line block ×3, first 2 shown]
	s_waitcnt lgkmcnt(0)
	s_barrier
	ds_read_b64 v[0:1], v9
	v_mov_b32_e32 v6, 0xffffff80
	v_cndmask_b32_e64 v11, v12, v6, s[12:13]
	v_add_u32_e32 v4, v4, v11
	s_waitcnt lgkmcnt(0)
	buffer_atomic_pk_add_f16 v0, v4, s[24:27], 0 offen
	buffer_atomic_pk_add_f16 v1, v4, s[24:27], 4 offen
	s_waitcnt lgkmcnt(0)
	s_barrier
	buffer_load_dword v0, off, s[0:3], 0 offset:368
	buffer_load_dword v1, off, s[0:3], 0 offset:372
	;; [unrolled: 1-line block ×4, first 2 shown]
	s_waitcnt vmcnt(3)
	v_cvt_f16_f32_e32 v0, v0
	s_waitcnt vmcnt(2)
	v_cvt_f16_f32_e32 v1, v1
	;; [unrolled: 2-line block ×4, first 2 shown]
	ds_write_b16 v3, v0
	ds_write_b16 v3, v1 offset:64
	ds_write_b16 v3, v4 offset:128
	;; [unrolled: 1-line block ×3, first 2 shown]
	s_waitcnt lgkmcnt(0)
	s_barrier
	ds_read_b64 v[0:1], v9
	v_cndmask_b32_e64 v4, v8, 0, s[10:11]
	v_lshl_add_u32 v4, v2, 1, v4
	s_waitcnt lgkmcnt(0)
	buffer_atomic_pk_add_f16 v0, v4, s[24:27], 0 offen
	buffer_atomic_pk_add_f16 v1, v4, s[24:27], 4 offen
	s_waitcnt lgkmcnt(0)
	s_barrier
	buffer_load_dword v0, off, s[0:3], 0 offset:432
	buffer_load_dword v1, off, s[0:3], 0 offset:436
	;; [unrolled: 1-line block ×4, first 2 shown]
	v_cmp_gt_i32_e64 s[10:11], s16, v13
	s_and_b64 s[12:13], vcc, s[10:11]
	v_add_u32_e32 v2, s14, v2
	s_waitcnt vmcnt(3)
	v_cvt_f16_f32_e32 v0, v0
	s_waitcnt vmcnt(2)
	v_cvt_f16_f32_e32 v1, v1
	;; [unrolled: 2-line block ×4, first 2 shown]
	ds_write_b16 v3, v0
	ds_write_b16 v3, v1 offset:64
	ds_write_b16 v3, v4 offset:128
	;; [unrolled: 1-line block ×3, first 2 shown]
	s_waitcnt lgkmcnt(0)
	s_barrier
	ds_read_b64 v[0:1], v9
	v_cndmask_b32_e64 v4, v8, 0, s[12:13]
	v_lshlrev_b32_e32 v11, 1, v2
	v_add_u32_e32 v4, v11, v4
	s_waitcnt lgkmcnt(0)
	buffer_atomic_pk_add_f16 v0, v4, s[24:27], 0 offen
	buffer_atomic_pk_add_f16 v1, v4, s[24:27], 4 offen
	s_waitcnt lgkmcnt(0)
	s_barrier
	buffer_load_dword v0, off, s[0:3], 0 offset:448
	buffer_load_dword v1, off, s[0:3], 0 offset:452
	;; [unrolled: 1-line block ×4, first 2 shown]
	s_and_b64 s[12:13], s[10:11], s[4:5]
	s_waitcnt vmcnt(3)
	v_cvt_f16_f32_e32 v0, v0
	s_waitcnt vmcnt(2)
	v_cvt_f16_f32_e32 v1, v1
	;; [unrolled: 2-line block ×4, first 2 shown]
	ds_write_b16 v3, v0
	ds_write_b16 v3, v1 offset:64
	ds_write_b16 v3, v4 offset:128
	;; [unrolled: 1-line block ×3, first 2 shown]
	s_waitcnt lgkmcnt(0)
	s_barrier
	ds_read_b64 v[0:1], v9
	v_mov_b32_e32 v4, 0x80000040
	v_cndmask_b32_e64 v4, v4, 64, s[12:13]
	v_add_u32_e32 v4, v11, v4
	s_waitcnt lgkmcnt(0)
	buffer_atomic_pk_add_f16 v0, v4, s[24:27], 0 offen
	buffer_atomic_pk_add_f16 v1, v4, s[24:27], 4 offen
	s_waitcnt lgkmcnt(0)
	s_barrier
	buffer_load_dword v0, off, s[0:3], 0 offset:464
	buffer_load_dword v1, off, s[0:3], 0 offset:468
	;; [unrolled: 1-line block ×4, first 2 shown]
	s_and_b64 s[12:13], s[10:11], s[6:7]
	s_and_b64 s[10:11], s[10:11], s[8:9]
	s_waitcnt vmcnt(3)
	v_cvt_f16_f32_e32 v0, v0
	s_waitcnt vmcnt(2)
	v_cvt_f16_f32_e32 v1, v1
	;; [unrolled: 2-line block ×4, first 2 shown]
	ds_write_b16 v3, v0
	ds_write_b16 v3, v1 offset:64
	ds_write_b16 v3, v4 offset:128
	;; [unrolled: 1-line block ×3, first 2 shown]
	s_waitcnt lgkmcnt(0)
	s_barrier
	ds_read_b64 v[0:1], v9
	v_mov_b32_e32 v4, 0x80
	v_cndmask_b32_e64 v4, v14, v4, s[12:13]
	v_add_u32_e32 v4, v11, v4
	s_waitcnt lgkmcnt(0)
	buffer_atomic_pk_add_f16 v0, v4, s[24:27], 0 offen
	buffer_atomic_pk_add_f16 v1, v4, s[24:27], 4 offen
	s_waitcnt lgkmcnt(0)
	s_barrier
	buffer_load_dword v0, off, s[0:3], 0 offset:480
	buffer_load_dword v1, off, s[0:3], 0 offset:484
	;; [unrolled: 1-line block ×4, first 2 shown]
	s_waitcnt vmcnt(3)
	v_cvt_f16_f32_e32 v0, v0
	s_waitcnt vmcnt(2)
	v_cvt_f16_f32_e32 v1, v1
	;; [unrolled: 2-line block ×4, first 2 shown]
	ds_write_b16 v3, v0
	ds_write_b16 v3, v1 offset:64
	ds_write_b16 v3, v4 offset:128
	;; [unrolled: 1-line block ×3, first 2 shown]
	s_waitcnt lgkmcnt(0)
	s_barrier
	ds_read_b64 v[0:1], v9
	v_cndmask_b32_e64 v4, v8, 0, s[10:11]
	v_add_u32_e32 v11, 0x60, v2
	v_lshl_add_u32 v4, v11, 1, v4
	s_waitcnt lgkmcnt(0)
	buffer_atomic_pk_add_f16 v0, v4, s[24:27], 0 offen
	buffer_atomic_pk_add_f16 v1, v4, s[24:27], 4 offen
	s_waitcnt lgkmcnt(0)
	s_barrier
	buffer_load_dword v0, off, s[0:3], 0 offset:544
	buffer_load_dword v1, off, s[0:3], 0 offset:548
	;; [unrolled: 1-line block ×4, first 2 shown]
	v_cmp_gt_i32_e64 s[10:11], s16, v7
	s_and_b64 s[8:9], s[10:11], s[8:9]
	s_and_b64 s[6:7], s[10:11], s[6:7]
	;; [unrolled: 1-line block ×3, first 2 shown]
	v_add_u32_e32 v2, s14, v2
	s_waitcnt vmcnt(3)
	v_cvt_f16_f32_e32 v0, v0
	s_waitcnt vmcnt(2)
	v_cvt_f16_f32_e32 v1, v1
	;; [unrolled: 2-line block ×4, first 2 shown]
	ds_write_b16 v3, v0
	ds_write_b16 v3, v1 offset:64
	ds_write_b16 v3, v4 offset:128
	ds_write_b16 v3, v7 offset:192
	s_waitcnt lgkmcnt(0)
	s_barrier
	ds_read_b64 v[0:1], v9
	v_cndmask_b32_e64 v4, v8, 0, s[8:9]
	v_add_lshl_u32 v7, v11, s14, 1
	v_add_u32_e32 v4, v7, v4
	s_waitcnt lgkmcnt(0)
	buffer_atomic_pk_add_f16 v0, v4, s[24:27], 0 offen
	buffer_atomic_pk_add_f16 v1, v4, s[24:27], 4 offen
	s_waitcnt lgkmcnt(0)
	s_barrier
	buffer_load_dword v0, off, s[0:3], 0 offset:528
	buffer_load_dword v1, off, s[0:3], 0 offset:532
	;; [unrolled: 1-line block ×4, first 2 shown]
	s_waitcnt vmcnt(3)
	v_cvt_f16_f32_e32 v0, v0
	s_waitcnt vmcnt(2)
	v_cvt_f16_f32_e32 v1, v1
	;; [unrolled: 2-line block ×4, first 2 shown]
	ds_write_b16 v3, v0
	ds_write_b16 v3, v1 offset:64
	ds_write_b16 v3, v4 offset:128
	;; [unrolled: 1-line block ×3, first 2 shown]
	s_waitcnt lgkmcnt(0)
	s_barrier
	ds_read_b64 v[0:1], v9
	v_cndmask_b32_e64 v4, v10, v5, s[6:7]
	v_add_u32_e32 v4, v7, v4
	s_waitcnt lgkmcnt(0)
	buffer_atomic_pk_add_f16 v0, v4, s[24:27], 0 offen
	buffer_atomic_pk_add_f16 v1, v4, s[24:27], 4 offen
	s_waitcnt lgkmcnt(0)
	s_barrier
	buffer_load_dword v0, off, s[0:3], 0 offset:512
	buffer_load_dword v1, off, s[0:3], 0 offset:516
	;; [unrolled: 1-line block ×4, first 2 shown]
	s_waitcnt vmcnt(3)
	v_cvt_f16_f32_e32 v0, v0
	s_waitcnt vmcnt(2)
	v_cvt_f16_f32_e32 v1, v1
	s_waitcnt vmcnt(1)
	v_cvt_f16_f32_e32 v4, v4
	s_waitcnt vmcnt(0)
	v_cvt_f16_f32_e32 v5, v5
	ds_write_b16 v3, v0
	ds_write_b16 v3, v1 offset:64
	ds_write_b16 v3, v4 offset:128
	;; [unrolled: 1-line block ×3, first 2 shown]
	s_waitcnt lgkmcnt(0)
	s_barrier
	ds_read_b64 v[0:1], v9
	v_cndmask_b32_e64 v4, v12, v6, s[4:5]
	v_add_u32_e32 v4, v7, v4
	s_waitcnt lgkmcnt(0)
	buffer_atomic_pk_add_f16 v0, v4, s[24:27], 0 offen
	buffer_atomic_pk_add_f16 v1, v4, s[24:27], 4 offen
	s_waitcnt lgkmcnt(0)
	s_barrier
	buffer_load_dword v0, off, s[0:3], 0 offset:496
	buffer_load_dword v1, off, s[0:3], 0 offset:500
	;; [unrolled: 1-line block ×4, first 2 shown]
	s_and_b64 s[4:5], vcc, s[10:11]
	s_waitcnt vmcnt(3)
	v_cvt_f16_f32_e32 v0, v0
	s_waitcnt vmcnt(2)
	v_cvt_f16_f32_e32 v1, v1
	;; [unrolled: 2-line block ×4, first 2 shown]
	ds_write_b16 v3, v0
	ds_write_b16 v3, v1 offset:64
	ds_write_b16 v3, v4 offset:128
	;; [unrolled: 1-line block ×3, first 2 shown]
	s_waitcnt lgkmcnt(0)
	s_barrier
	ds_read_b64 v[0:1], v9
	v_cndmask_b32_e64 v3, v8, 0, s[4:5]
	v_lshl_add_u32 v2, v2, 1, v3
	s_waitcnt lgkmcnt(0)
	buffer_atomic_pk_add_f16 v0, v2, s[24:27], 0 offen
	buffer_atomic_pk_add_f16 v1, v2, s[24:27], 4 offen
	s_endpgm
	.section	.rodata,"a",@progbits
	.p2align	6, 0x0
	.amdhsa_kernel _ZN2ck27kernel_gemm_xdl_cshuffle_v3INS_28GridwiseGemm_xdl_cshuffle_v3INS_13tensor_layout4gemm8RowMajorENS3_11ColumnMajorES4_NS_9f8_fnuz_tENS_7pk_i4_tEfDF16_DF16_NS_16tensor_operation12element_wise11PassThroughESA_SA_LNS8_6device18GemmSpecializationE0ELi256ELi128ELi128ELi128ELi16ELi16ELi16ELi16ELi4ELi4ENS_8SequenceIJLi8ELi32ELi1EEEENSD_IJLi1ELi0ELi2EEEESF_Li2ELi16ELi16ELb0ELi0ENSD_IJLi4ELi64ELi1EEEESF_SF_Li2ELi16ELi16ELb0ELi0ELi1ELi1ENSD_IJLi1ELi32ELi1ELi8EEEELi4ELNS_26BlockGemmPipelineSchedulerE1ELNS_24BlockGemmPipelineVersionE1ES6_S6_Lb0ELb1ELb0ELi0ELb0EEELb1ELNS_25InMemoryDataOperationEnumE1ELi2ELNS_10TailNumberE10EEEvNT_8ArgumentE
		.amdhsa_group_segment_fixed_size 24576
		.amdhsa_private_segment_fixed_size 576
		.amdhsa_kernarg_size 112
		.amdhsa_user_sgpr_count 8
		.amdhsa_user_sgpr_private_segment_buffer 1
		.amdhsa_user_sgpr_dispatch_ptr 0
		.amdhsa_user_sgpr_queue_ptr 0
		.amdhsa_user_sgpr_kernarg_segment_ptr 1
		.amdhsa_user_sgpr_dispatch_id 0
		.amdhsa_user_sgpr_flat_scratch_init 1
		.amdhsa_user_sgpr_kernarg_preload_length 0
		.amdhsa_user_sgpr_kernarg_preload_offset 0
		.amdhsa_user_sgpr_private_segment_size 0
		.amdhsa_uses_dynamic_stack 0
		.amdhsa_system_sgpr_private_segment_wavefront_offset 1
		.amdhsa_system_sgpr_workgroup_id_x 1
		.amdhsa_system_sgpr_workgroup_id_y 0
		.amdhsa_system_sgpr_workgroup_id_z 1
		.amdhsa_system_sgpr_workgroup_info 0
		.amdhsa_system_vgpr_workitem_id 0
		.amdhsa_next_free_vgpr 124
		.amdhsa_next_free_sgpr 49
		.amdhsa_accum_offset 120
		.amdhsa_reserve_vcc 1
		.amdhsa_reserve_flat_scratch 1
		.amdhsa_float_round_mode_32 0
		.amdhsa_float_round_mode_16_64 0
		.amdhsa_float_denorm_mode_32 3
		.amdhsa_float_denorm_mode_16_64 3
		.amdhsa_dx10_clamp 1
		.amdhsa_ieee_mode 1
		.amdhsa_fp16_overflow 0
		.amdhsa_tg_split 0
		.amdhsa_exception_fp_ieee_invalid_op 0
		.amdhsa_exception_fp_denorm_src 0
		.amdhsa_exception_fp_ieee_div_zero 0
		.amdhsa_exception_fp_ieee_overflow 0
		.amdhsa_exception_fp_ieee_underflow 0
		.amdhsa_exception_fp_ieee_inexact 0
		.amdhsa_exception_int_div_zero 0
	.end_amdhsa_kernel
	.section	.text._ZN2ck27kernel_gemm_xdl_cshuffle_v3INS_28GridwiseGemm_xdl_cshuffle_v3INS_13tensor_layout4gemm8RowMajorENS3_11ColumnMajorES4_NS_9f8_fnuz_tENS_7pk_i4_tEfDF16_DF16_NS_16tensor_operation12element_wise11PassThroughESA_SA_LNS8_6device18GemmSpecializationE0ELi256ELi128ELi128ELi128ELi16ELi16ELi16ELi16ELi4ELi4ENS_8SequenceIJLi8ELi32ELi1EEEENSD_IJLi1ELi0ELi2EEEESF_Li2ELi16ELi16ELb0ELi0ENSD_IJLi4ELi64ELi1EEEESF_SF_Li2ELi16ELi16ELb0ELi0ELi1ELi1ENSD_IJLi1ELi32ELi1ELi8EEEELi4ELNS_26BlockGemmPipelineSchedulerE1ELNS_24BlockGemmPipelineVersionE1ES6_S6_Lb0ELb1ELb0ELi0ELb0EEELb1ELNS_25InMemoryDataOperationEnumE1ELi2ELNS_10TailNumberE10EEEvNT_8ArgumentE,"axG",@progbits,_ZN2ck27kernel_gemm_xdl_cshuffle_v3INS_28GridwiseGemm_xdl_cshuffle_v3INS_13tensor_layout4gemm8RowMajorENS3_11ColumnMajorES4_NS_9f8_fnuz_tENS_7pk_i4_tEfDF16_DF16_NS_16tensor_operation12element_wise11PassThroughESA_SA_LNS8_6device18GemmSpecializationE0ELi256ELi128ELi128ELi128ELi16ELi16ELi16ELi16ELi4ELi4ENS_8SequenceIJLi8ELi32ELi1EEEENSD_IJLi1ELi0ELi2EEEESF_Li2ELi16ELi16ELb0ELi0ENSD_IJLi4ELi64ELi1EEEESF_SF_Li2ELi16ELi16ELb0ELi0ELi1ELi1ENSD_IJLi1ELi32ELi1ELi8EEEELi4ELNS_26BlockGemmPipelineSchedulerE1ELNS_24BlockGemmPipelineVersionE1ES6_S6_Lb0ELb1ELb0ELi0ELb0EEELb1ELNS_25InMemoryDataOperationEnumE1ELi2ELNS_10TailNumberE10EEEvNT_8ArgumentE,comdat
.Lfunc_end16:
	.size	_ZN2ck27kernel_gemm_xdl_cshuffle_v3INS_28GridwiseGemm_xdl_cshuffle_v3INS_13tensor_layout4gemm8RowMajorENS3_11ColumnMajorES4_NS_9f8_fnuz_tENS_7pk_i4_tEfDF16_DF16_NS_16tensor_operation12element_wise11PassThroughESA_SA_LNS8_6device18GemmSpecializationE0ELi256ELi128ELi128ELi128ELi16ELi16ELi16ELi16ELi4ELi4ENS_8SequenceIJLi8ELi32ELi1EEEENSD_IJLi1ELi0ELi2EEEESF_Li2ELi16ELi16ELb0ELi0ENSD_IJLi4ELi64ELi1EEEESF_SF_Li2ELi16ELi16ELb0ELi0ELi1ELi1ENSD_IJLi1ELi32ELi1ELi8EEEELi4ELNS_26BlockGemmPipelineSchedulerE1ELNS_24BlockGemmPipelineVersionE1ES6_S6_Lb0ELb1ELb0ELi0ELb0EEELb1ELNS_25InMemoryDataOperationEnumE1ELi2ELNS_10TailNumberE10EEEvNT_8ArgumentE, .Lfunc_end16-_ZN2ck27kernel_gemm_xdl_cshuffle_v3INS_28GridwiseGemm_xdl_cshuffle_v3INS_13tensor_layout4gemm8RowMajorENS3_11ColumnMajorES4_NS_9f8_fnuz_tENS_7pk_i4_tEfDF16_DF16_NS_16tensor_operation12element_wise11PassThroughESA_SA_LNS8_6device18GemmSpecializationE0ELi256ELi128ELi128ELi128ELi16ELi16ELi16ELi16ELi4ELi4ENS_8SequenceIJLi8ELi32ELi1EEEENSD_IJLi1ELi0ELi2EEEESF_Li2ELi16ELi16ELb0ELi0ENSD_IJLi4ELi64ELi1EEEESF_SF_Li2ELi16ELi16ELb0ELi0ELi1ELi1ENSD_IJLi1ELi32ELi1ELi8EEEELi4ELNS_26BlockGemmPipelineSchedulerE1ELNS_24BlockGemmPipelineVersionE1ES6_S6_Lb0ELb1ELb0ELi0ELb0EEELb1ELNS_25InMemoryDataOperationEnumE1ELi2ELNS_10TailNumberE10EEEvNT_8ArgumentE
                                        ; -- End function
	.section	.AMDGPU.csdata,"",@progbits
; Kernel info:
; codeLenInByte = 18784
; NumSgprs: 55
; NumVgprs: 117
; NumAgprs: 4
; TotalNumVgprs: 124
; ScratchSize: 576
; MemoryBound: 0
; FloatMode: 240
; IeeeMode: 1
; LDSByteSize: 24576 bytes/workgroup (compile time only)
; SGPRBlocks: 6
; VGPRBlocks: 15
; NumSGPRsForWavesPerEU: 55
; NumVGPRsForWavesPerEU: 124
; AccumOffset: 120
; Occupancy: 2
; WaveLimiterHint : 1
; COMPUTE_PGM_RSRC2:SCRATCH_EN: 1
; COMPUTE_PGM_RSRC2:USER_SGPR: 8
; COMPUTE_PGM_RSRC2:TRAP_HANDLER: 0
; COMPUTE_PGM_RSRC2:TGID_X_EN: 1
; COMPUTE_PGM_RSRC2:TGID_Y_EN: 0
; COMPUTE_PGM_RSRC2:TGID_Z_EN: 1
; COMPUTE_PGM_RSRC2:TIDIG_COMP_CNT: 0
; COMPUTE_PGM_RSRC3_GFX90A:ACCUM_OFFSET: 29
; COMPUTE_PGM_RSRC3_GFX90A:TG_SPLIT: 0
	.section	.text._ZN2ck27kernel_gemm_xdl_cshuffle_v3INS_28GridwiseGemm_xdl_cshuffle_v3INS_13tensor_layout4gemm8RowMajorENS3_11ColumnMajorES4_NS_9f8_fnuz_tENS_7pk_i4_tEfDF16_DF16_NS_16tensor_operation12element_wise11PassThroughESA_SA_LNS8_6device18GemmSpecializationE0ELi256ELi128ELi128ELi128ELi16ELi16ELi16ELi16ELi4ELi4ENS_8SequenceIJLi8ELi32ELi1EEEENSD_IJLi1ELi0ELi2EEEESF_Li2ELi16ELi16ELb0ELi0ENSD_IJLi4ELi64ELi1EEEESF_SF_Li2ELi16ELi16ELb0ELi0ELi1ELi1ENSD_IJLi1ELi32ELi1ELi8EEEELi4ELNS_26BlockGemmPipelineSchedulerE1ELNS_24BlockGemmPipelineVersionE1ES6_S6_Lb0ELb1ELb0ELi0ELb0EEELb1ELNS_25InMemoryDataOperationEnumE0ELi2ELNS_10TailNumberE2EEEvNT_8ArgumentE,"axG",@progbits,_ZN2ck27kernel_gemm_xdl_cshuffle_v3INS_28GridwiseGemm_xdl_cshuffle_v3INS_13tensor_layout4gemm8RowMajorENS3_11ColumnMajorES4_NS_9f8_fnuz_tENS_7pk_i4_tEfDF16_DF16_NS_16tensor_operation12element_wise11PassThroughESA_SA_LNS8_6device18GemmSpecializationE0ELi256ELi128ELi128ELi128ELi16ELi16ELi16ELi16ELi4ELi4ENS_8SequenceIJLi8ELi32ELi1EEEENSD_IJLi1ELi0ELi2EEEESF_Li2ELi16ELi16ELb0ELi0ENSD_IJLi4ELi64ELi1EEEESF_SF_Li2ELi16ELi16ELb0ELi0ELi1ELi1ENSD_IJLi1ELi32ELi1ELi8EEEELi4ELNS_26BlockGemmPipelineSchedulerE1ELNS_24BlockGemmPipelineVersionE1ES6_S6_Lb0ELb1ELb0ELi0ELb0EEELb1ELNS_25InMemoryDataOperationEnumE0ELi2ELNS_10TailNumberE2EEEvNT_8ArgumentE,comdat
	.protected	_ZN2ck27kernel_gemm_xdl_cshuffle_v3INS_28GridwiseGemm_xdl_cshuffle_v3INS_13tensor_layout4gemm8RowMajorENS3_11ColumnMajorES4_NS_9f8_fnuz_tENS_7pk_i4_tEfDF16_DF16_NS_16tensor_operation12element_wise11PassThroughESA_SA_LNS8_6device18GemmSpecializationE0ELi256ELi128ELi128ELi128ELi16ELi16ELi16ELi16ELi4ELi4ENS_8SequenceIJLi8ELi32ELi1EEEENSD_IJLi1ELi0ELi2EEEESF_Li2ELi16ELi16ELb0ELi0ENSD_IJLi4ELi64ELi1EEEESF_SF_Li2ELi16ELi16ELb0ELi0ELi1ELi1ENSD_IJLi1ELi32ELi1ELi8EEEELi4ELNS_26BlockGemmPipelineSchedulerE1ELNS_24BlockGemmPipelineVersionE1ES6_S6_Lb0ELb1ELb0ELi0ELb0EEELb1ELNS_25InMemoryDataOperationEnumE0ELi2ELNS_10TailNumberE2EEEvNT_8ArgumentE ; -- Begin function _ZN2ck27kernel_gemm_xdl_cshuffle_v3INS_28GridwiseGemm_xdl_cshuffle_v3INS_13tensor_layout4gemm8RowMajorENS3_11ColumnMajorES4_NS_9f8_fnuz_tENS_7pk_i4_tEfDF16_DF16_NS_16tensor_operation12element_wise11PassThroughESA_SA_LNS8_6device18GemmSpecializationE0ELi256ELi128ELi128ELi128ELi16ELi16ELi16ELi16ELi4ELi4ENS_8SequenceIJLi8ELi32ELi1EEEENSD_IJLi1ELi0ELi2EEEESF_Li2ELi16ELi16ELb0ELi0ENSD_IJLi4ELi64ELi1EEEESF_SF_Li2ELi16ELi16ELb0ELi0ELi1ELi1ENSD_IJLi1ELi32ELi1ELi8EEEELi4ELNS_26BlockGemmPipelineSchedulerE1ELNS_24BlockGemmPipelineVersionE1ES6_S6_Lb0ELb1ELb0ELi0ELb0EEELb1ELNS_25InMemoryDataOperationEnumE0ELi2ELNS_10TailNumberE2EEEvNT_8ArgumentE
	.globl	_ZN2ck27kernel_gemm_xdl_cshuffle_v3INS_28GridwiseGemm_xdl_cshuffle_v3INS_13tensor_layout4gemm8RowMajorENS3_11ColumnMajorES4_NS_9f8_fnuz_tENS_7pk_i4_tEfDF16_DF16_NS_16tensor_operation12element_wise11PassThroughESA_SA_LNS8_6device18GemmSpecializationE0ELi256ELi128ELi128ELi128ELi16ELi16ELi16ELi16ELi4ELi4ENS_8SequenceIJLi8ELi32ELi1EEEENSD_IJLi1ELi0ELi2EEEESF_Li2ELi16ELi16ELb0ELi0ENSD_IJLi4ELi64ELi1EEEESF_SF_Li2ELi16ELi16ELb0ELi0ELi1ELi1ENSD_IJLi1ELi32ELi1ELi8EEEELi4ELNS_26BlockGemmPipelineSchedulerE1ELNS_24BlockGemmPipelineVersionE1ES6_S6_Lb0ELb1ELb0ELi0ELb0EEELb1ELNS_25InMemoryDataOperationEnumE0ELi2ELNS_10TailNumberE2EEEvNT_8ArgumentE
	.p2align	8
	.type	_ZN2ck27kernel_gemm_xdl_cshuffle_v3INS_28GridwiseGemm_xdl_cshuffle_v3INS_13tensor_layout4gemm8RowMajorENS3_11ColumnMajorES4_NS_9f8_fnuz_tENS_7pk_i4_tEfDF16_DF16_NS_16tensor_operation12element_wise11PassThroughESA_SA_LNS8_6device18GemmSpecializationE0ELi256ELi128ELi128ELi128ELi16ELi16ELi16ELi16ELi4ELi4ENS_8SequenceIJLi8ELi32ELi1EEEENSD_IJLi1ELi0ELi2EEEESF_Li2ELi16ELi16ELb0ELi0ENSD_IJLi4ELi64ELi1EEEESF_SF_Li2ELi16ELi16ELb0ELi0ELi1ELi1ENSD_IJLi1ELi32ELi1ELi8EEEELi4ELNS_26BlockGemmPipelineSchedulerE1ELNS_24BlockGemmPipelineVersionE1ES6_S6_Lb0ELb1ELb0ELi0ELb0EEELb1ELNS_25InMemoryDataOperationEnumE0ELi2ELNS_10TailNumberE2EEEvNT_8ArgumentE,@function
_ZN2ck27kernel_gemm_xdl_cshuffle_v3INS_28GridwiseGemm_xdl_cshuffle_v3INS_13tensor_layout4gemm8RowMajorENS3_11ColumnMajorES4_NS_9f8_fnuz_tENS_7pk_i4_tEfDF16_DF16_NS_16tensor_operation12element_wise11PassThroughESA_SA_LNS8_6device18GemmSpecializationE0ELi256ELi128ELi128ELi128ELi16ELi16ELi16ELi16ELi4ELi4ENS_8SequenceIJLi8ELi32ELi1EEEENSD_IJLi1ELi0ELi2EEEESF_Li2ELi16ELi16ELb0ELi0ENSD_IJLi4ELi64ELi1EEEESF_SF_Li2ELi16ELi16ELb0ELi0ELi1ELi1ENSD_IJLi1ELi32ELi1ELi8EEEELi4ELNS_26BlockGemmPipelineSchedulerE1ELNS_24BlockGemmPipelineVersionE1ES6_S6_Lb0ELb1ELb0ELi0ELb0EEELb1ELNS_25InMemoryDataOperationEnumE0ELi2ELNS_10TailNumberE2EEEvNT_8ArgumentE: ; @_ZN2ck27kernel_gemm_xdl_cshuffle_v3INS_28GridwiseGemm_xdl_cshuffle_v3INS_13tensor_layout4gemm8RowMajorENS3_11ColumnMajorES4_NS_9f8_fnuz_tENS_7pk_i4_tEfDF16_DF16_NS_16tensor_operation12element_wise11PassThroughESA_SA_LNS8_6device18GemmSpecializationE0ELi256ELi128ELi128ELi128ELi16ELi16ELi16ELi16ELi4ELi4ENS_8SequenceIJLi8ELi32ELi1EEEENSD_IJLi1ELi0ELi2EEEESF_Li2ELi16ELi16ELb0ELi0ENSD_IJLi4ELi64ELi1EEEESF_SF_Li2ELi16ELi16ELb0ELi0ELi1ELi1ENSD_IJLi1ELi32ELi1ELi8EEEELi4ELNS_26BlockGemmPipelineSchedulerE1ELNS_24BlockGemmPipelineVersionE1ES6_S6_Lb0ELb1ELb0ELi0ELb0EEELb1ELNS_25InMemoryDataOperationEnumE0ELi2ELNS_10TailNumberE2EEEvNT_8ArgumentE
; %bb.0:
	s_add_u32 flat_scratch_lo, s6, s10
	s_addc_u32 flat_scratch_hi, s7, 0
	s_add_u32 s0, s0, s10
	s_load_dwordx8 s[16:23], s[4:5], 0x10
	s_load_dword s10, s[4:5], 0x68
	s_load_dwordx2 s[28:29], s[4:5], 0x60
	s_load_dwordx4 s[12:15], s[4:5], 0x50
	s_addc_u32 s1, s1, 0
	s_waitcnt lgkmcnt(0)
	s_cmp_gt_i32 s22, 1
	s_cselect_b64 s[6:7], -1, 0
	s_bitcmp1_b32 s10, 0
	s_cselect_b64 s[10:11], -1, 0
	s_and_b64 s[6:7], s[6:7], s[10:11]
	v_mov_b32_e32 v18, v0
	s_andn2_b64 vcc, exec, s[6:7]
	s_mov_b64 s[34:35], 0
	s_mov_b32 s32, 0x9000
	s_cbranch_vccnz .LBB17_2
; %bb.1:
	s_mul_i32 s6, s16, s9
	s_mul_i32 s34, s6, s17
	s_ashr_i32 s35, s34, 31
.LBB17_2:
	s_load_dword s7, s[4:5], 0x34
	s_load_dword s6, s[4:5], 0x3c
	s_add_i32 s4, s16, -1
	s_cmpk_lt_u32 s4, 0x80
	s_mov_b32 s23, 0
	s_cbranch_scc1 .LBB17_6
; %bb.3:
	s_add_i32 s4, s17, -1
	s_cmpk_lt_u32 s4, 0x80
	s_mov_b32 s4, 0
	s_cbranch_scc1 .LBB17_10
; %bb.4:
	s_add_i32 s4, s16, 0x7f
	s_ashr_i32 s5, s4, 31
	s_lshr_b32 s5, s5, 25
	s_add_i32 s4, s4, s5
	s_ashr_i32 s11, s4, 7
	s_add_i32 s4, s17, 0x7f
	s_ashr_i32 s5, s4, 31
	s_lshr_b32 s5, s5, 25
	s_add_i32 s4, s4, s5
	s_ashr_i32 s10, s4, 7
	s_mul_i32 s4, s10, s11
	s_add_i32 s5, s4, 7
	s_ashr_i32 s24, s5, 31
	s_lshr_b32 s24, s24, 29
	s_add_i32 s5, s5, s24
	s_ashr_i32 s24, s5, 3
	s_and_b32 s5, s5, -8
	s_sub_i32 s25, s4, s5
	s_ashr_i32 s4, s8, 31
	s_lshr_b32 s4, s4, 29
	s_add_i32 s27, s8, s4
	s_and_b32 s4, s27, -8
	s_add_i32 s25, s25, 8
	s_sub_i32 s26, s8, s4
	s_cmp_gt_i32 s26, s25
	s_cbranch_scc1 .LBB17_7
; %bb.5:
	s_mul_i32 s8, s24, s26
	s_ashr_i32 s4, s27, 3
	s_cbranch_execz .LBB17_8
	s_branch .LBB17_9
.LBB17_6:
	s_mov_b32 s11, 0
	s_branch .LBB17_11
.LBB17_7:
                                        ; implicit-def: $sgpr8
	s_ashr_i32 s4, s27, 3
.LBB17_8:
	s_add_i32 s5, s24, -1
	s_mul_i32 s5, s5, s26
	s_add_i32 s8, s25, s5
.LBB17_9:
	s_abs_i32 s5, s10
	v_cvt_f32_u32_e32 v0, s5
	s_sub_i32 s25, 0, s5
	s_add_i32 s4, s8, s4
	s_abs_i32 s24, s4
	v_rcp_iflag_f32_e32 v0, v0
	s_xor_b32 s8, s4, s10
	s_ashr_i32 s8, s8, 31
	v_mul_f32_e32 v0, 0x4f7ffffe, v0
	v_cvt_u32_f32_e32 v0, v0
	v_readfirstlane_b32 s26, v0
	s_mul_i32 s25, s25, s26
	s_mul_hi_u32 s25, s26, s25
	s_add_i32 s26, s26, s25
	s_mul_hi_u32 s25, s24, s26
	s_mul_i32 s26, s25, s5
	s_sub_i32 s24, s24, s26
	s_add_i32 s27, s25, 1
	s_sub_i32 s26, s24, s5
	s_cmp_ge_u32 s24, s5
	s_cselect_b32 s25, s27, s25
	s_cselect_b32 s24, s26, s24
	s_add_i32 s26, s25, 1
	s_cmp_ge_u32 s24, s5
	s_cselect_b32 s5, s26, s25
	s_xor_b32 s5, s5, s8
	s_lshr_b32 s24, s11, 30
	s_sub_i32 s5, s5, s8
	s_add_i32 s24, s11, s24
	s_mul_i32 s8, s5, s10
	s_sub_i32 s4, s4, s8
	s_and_b32 s8, s24, -4
	s_sub_i32 s11, s11, s8
	s_cmp_ge_i32 s5, s8
	s_cselect_b32 s8, s11, 4
	s_abs_i32 s24, s8
	v_cvt_f32_u32_e32 v0, s24
	s_ashr_i32 s11, s5, 31
	s_lshr_b32 s11, s11, 30
	s_add_i32 s11, s5, s11
	v_rcp_iflag_f32_e32 v0, v0
	s_and_b32 s11, s11, -4
	s_sub_i32 s11, s5, s11
	s_sub_i32 s26, 0, s24
	v_mul_f32_e32 v0, 0x4f7ffffe, v0
	v_cvt_u32_f32_e32 v0, v0
	s_mul_i32 s10, s11, s10
	s_add_i32 s10, s10, s4
	s_abs_i32 s25, s10
	v_readfirstlane_b32 s27, v0
	s_mul_i32 s26, s26, s27
	s_mul_hi_u32 s26, s27, s26
	s_add_i32 s27, s27, s26
	s_mul_hi_u32 s26, s25, s27
	s_mul_i32 s27, s26, s24
	s_xor_b32 s4, s10, s8
	s_sub_i32 s25, s25, s27
	s_ashr_i32 s4, s4, 31
	s_add_i32 s27, s26, 1
	s_sub_i32 s30, s25, s24
	s_cmp_ge_u32 s25, s24
	s_cselect_b32 s26, s27, s26
	s_cselect_b32 s25, s30, s25
	s_add_i32 s27, s26, 1
	s_cmp_ge_u32 s25, s24
	s_cselect_b32 s24, s27, s26
	s_xor_b32 s24, s24, s4
	s_sub_i32 s4, s24, s4
	s_mul_i32 s8, s4, s8
	s_sub_i32 s8, s10, s8
	s_add_i32 s8, s8, s5
	s_sub_i32 s8, s8, s11
.LBB17_10:
	s_mov_b32 s11, s8
	s_mov_b32 s8, s4
.LBB17_11:
	s_waitcnt lgkmcnt(0)
	s_mul_i32 s4, s7, s9
	s_mul_i32 s5, s4, s17
	s_lshr_b32 s5, s5, 1
	s_ashr_i32 s10, s4, 31
	s_add_u32 s24, s12, s4
	s_addc_u32 s25, s13, s10
	s_add_u32 s36, s14, s5
	s_addc_u32 s37, s15, 0
	s_add_u32 s42, 0, 0
	s_addc_u32 s43, s16, -1
	s_ashr_i32 s4, s20, 31
	s_lshr_b32 s4, s4, 25
	s_add_i32 s10, s22, -1
	s_add_i32 s4, s20, s4
	s_mul_i32 s12, s10, s7
	s_ashr_i32 s4, s4, 7
	s_lshl_b32 s44, s17, 7
	s_sub_i32 s12, s18, s12
	s_cmp_lt_u32 s9, s10
	v_lshrrev_b32_e32 v3, 1, v18
	s_cselect_b32 s7, s7, s12
	s_lshl_b32 s9, s11, 7
	v_and_b32_e32 v37, 7, v18
	v_and_b32_e32 v5, 0x7c, v3
	v_and_b32_e32 v32, 4, v3
	v_add_u32_e32 v1, s9, v5
	v_xor_b32_e32 v4, v32, v37
	v_lshlrev_b32_e32 v5, 7, v5
	s_mov_b64 s[14:15], src_private_base
	v_lshl_or_b32 v33, v4, 4, v5
	v_lshlrev_b32_e32 v5, 1, v18
	s_lshl_b32 s14, s8, 7
	v_and_b32_e32 v38, 6, v5
	v_and_b32_e32 v6, 0x7e, v3
	v_add_u32_e32 v6, s14, v6
	v_lshlrev_b32_e32 v7, 4, v38
	v_lshl_or_b32 v24, v6, 7, v7
	v_lshrrev_b32_e32 v6, 2, v18
	v_lshlrev_b32_e32 v34, 1, v38
	v_bfe_u32 v35, v18, 2, 4
	v_xor_b32_e32 v36, v34, v35
	v_lshlrev_b32_e32 v7, 8, v6
	v_lshl_or_b32 v39, v36, 4, v7
	v_and_b32_e32 v7, 63, v18
	v_and_b32_e32 v8, 48, v18
	v_sub_u32_e32 v7, v7, v8
	v_and_b32_e32 v72, 16, v6
	v_add_u32_e32 v44, v72, v7
	v_lshrrev_b16_e32 v6, 7, v44
	v_lshrrev_b32_e32 v19, 3, v18
	v_and_b32_e32 v6, 1, v6
	v_and_b32_e32 v8, 0x60, v5
	;; [unrolled: 1-line block ×3, first 2 shown]
	v_add_u16_e32 v6, v44, v6
	v_mov_b32_e32 v45, 1
	v_mov_b32_e32 v50, 11
	v_add_u32_e32 v40, v7, v5
	v_ashrrev_i16_sdwa v46, v45, sext(v6) dst_sel:DWORD dst_unused:UNUSED_PAD src0_sel:DWORD src1_sel:BYTE_0
	v_and_b32_e32 v7, 0xfe, v6
	v_lshrrev_b16_sdwa v6, v50, sext(v6) dst_sel:DWORD dst_unused:UNUSED_PAD src0_sel:DWORD src1_sel:BYTE_0
	v_and_b32_e32 v6, 15, v6
	v_add_u16_e32 v6, v46, v6
	s_mul_i32 s5, s43, s19
	v_lshlrev_b32_e32 v0, 4, v37
	v_mul_lo_u32 v2, v1, s19
	v_and_b32_e32 v6, 0xf0, v6
	v_mov_b32_e32 v48, 0
	v_add_u32_e32 v73, v2, v0
	v_sub_u16_e32 v7, v44, v7
	v_lshrrev_b32_e32 v47, 3, v8
	v_sub_u16_e32 v51, v46, v6
	v_mov_b32_e32 v6, 8
	buffer_store_dword v48, off, s[0:3], 0 offset:556
	buffer_store_dword v48, off, s[0:3], 0 offset:552
	;; [unrolled: 1-line block ×128, first 2 shown]
	s_add_i32 s26, s7, s5
	s_mov_b32 s27, 0x20000
	v_lshrrev_b32_e32 v41, 4, v8
	v_add_u32_sdwa v49, v47, sext(v7) dst_sel:DWORD dst_unused:UNUSED_PAD src0_sel:DWORD src1_sel:BYTE_0
	v_lshlrev_b32_sdwa v54, v6, sext(v46) dst_sel:DWORD dst_unused:UNUSED_PAD src0_sel:DWORD src1_sel:WORD_0
	v_add_u32_e32 v14, s19, v73
	buffer_load_dwordx4 v[6:9], v73, s[24:27], 0 offen
	buffer_load_dwordx4 v[10:13], v14, s[24:27], 0 offen
	v_add_u32_e32 v25, s19, v14
	v_add_u32_e32 v56, s19, v25
	buffer_load_dwordx4 v[14:17], v25, s[24:27], 0 offen
	buffer_load_dwordx4 v[20:23], v56, s[24:27], 0 offen
	v_or_b32_e32 v25, 1, v38
	v_sub_u32_e32 v26, v25, v38
	v_lshlrev_b32_e32 v58, 4, v26
	v_ashrrev_i32_e32 v57, 1, v24
	v_add_u32_e32 v24, v24, v58
	v_sub_u32_e32 v25, v38, v25
	s_mul_i32 s4, s17, s4
	v_ashrrev_i32_e32 v59, 1, v24
	v_add_u32_e32 v24, 0x80, v24
	v_lshlrev_b32_e32 v61, 4, v25
	s_lshl_b32 s38, s4, 6
	s_mov_b32 s39, s27
	v_add_u32_e32 v62, v24, v61
	v_ashrrev_i32_e32 v60, 1, v24
	v_ashrrev_i32_e32 v63, 1, v62
	buffer_load_dwordx2 v[24:25], v57, s[36:39], 0 offen
	buffer_load_dwordx2 v[26:27], v59, s[36:39], 0 offen
	;; [unrolled: 1-line block ×4, first 2 shown]
	s_nop 0
	buffer_store_dword v48, off, s[0:3], 0 offset:308
	buffer_store_dword v48, off, s[0:3], 0 offset:304
	buffer_store_dword v48, off, s[0:3], 0 offset:316
	buffer_store_dword v48, off, s[0:3], 0 offset:312
	buffer_store_dword v48, off, s[0:3], 0 offset:324
	buffer_store_dword v48, off, s[0:3], 0 offset:320
	buffer_store_dword v48, off, s[0:3], 0 offset:332
	buffer_store_dword v48, off, s[0:3], 0 offset:328
	buffer_store_dword v48, off, s[0:3], 0 offset:340
	buffer_store_dword v48, off, s[0:3], 0 offset:336
	buffer_store_dword v48, off, s[0:3], 0 offset:348
	buffer_store_dword v48, off, s[0:3], 0 offset:344
	buffer_store_dword v48, off, s[0:3], 0 offset:356
	buffer_store_dword v48, off, s[0:3], 0 offset:352
	buffer_store_dword v48, off, s[0:3], 0 offset:364
	buffer_store_dword v48, off, s[0:3], 0 offset:360
	buffer_store_dword v48, off, s[0:3], 0 offset:372
	buffer_store_dword v48, off, s[0:3], 0 offset:368
	buffer_store_dword v48, off, s[0:3], 0 offset:380
	buffer_store_dword v48, off, s[0:3], 0 offset:376
	buffer_store_dword v48, off, s[0:3], 0 offset:388
	buffer_store_dword v48, off, s[0:3], 0 offset:384
	buffer_store_dword v48, off, s[0:3], 0 offset:396
	buffer_store_dword v48, off, s[0:3], 0 offset:392
	buffer_store_dword v48, off, s[0:3], 0 offset:404
	buffer_store_dword v48, off, s[0:3], 0 offset:400
	buffer_store_dword v48, off, s[0:3], 0 offset:412
	buffer_store_dword v48, off, s[0:3], 0 offset:408
	buffer_store_dword v48, off, s[0:3], 0 offset:420
	buffer_store_dword v48, off, s[0:3], 0 offset:416
	buffer_store_dword v48, off, s[0:3], 0 offset:428
	buffer_store_dword v48, off, s[0:3], 0 offset:424
	buffer_store_dword v48, off, s[0:3], 0 offset:436
	buffer_store_dword v48, off, s[0:3], 0 offset:432
	buffer_store_dword v48, off, s[0:3], 0 offset:444
	buffer_store_dword v48, off, s[0:3], 0 offset:440
	buffer_store_dword v48, off, s[0:3], 0 offset:452
	buffer_store_dword v48, off, s[0:3], 0 offset:448
	buffer_store_dword v48, off, s[0:3], 0 offset:460
	buffer_store_dword v48, off, s[0:3], 0 offset:456
	buffer_store_dword v48, off, s[0:3], 0 offset:468
	buffer_store_dword v48, off, s[0:3], 0 offset:464
	buffer_store_dword v48, off, s[0:3], 0 offset:476
	buffer_store_dword v48, off, s[0:3], 0 offset:472
	buffer_store_dword v48, off, s[0:3], 0 offset:484
	buffer_store_dword v48, off, s[0:3], 0 offset:480
	buffer_store_dword v48, off, s[0:3], 0 offset:492
	buffer_store_dword v48, off, s[0:3], 0 offset:488
	buffer_store_dword v48, off, s[0:3], 0 offset:500
	buffer_store_dword v48, off, s[0:3], 0 offset:496
	buffer_store_dword v48, off, s[0:3], 0 offset:508
	buffer_store_dword v48, off, s[0:3], 0 offset:504
	buffer_store_dword v48, off, s[0:3], 0 offset:516
	buffer_store_dword v48, off, s[0:3], 0 offset:512
	buffer_store_dword v48, off, s[0:3], 0 offset:524
	buffer_store_dword v48, off, s[0:3], 0 offset:520
	buffer_store_dword v48, off, s[0:3], 0 offset:532
	buffer_store_dword v48, off, s[0:3], 0 offset:528
	buffer_store_dword v48, off, s[0:3], 0 offset:540
	buffer_store_dword v48, off, s[0:3], 0 offset:536
	buffer_store_dword v48, off, s[0:3], 0 offset:548
	buffer_store_dword v48, off, s[0:3], 0 offset:544
	buffer_store_dword v48, off, s[0:3], 0 offset:556
	buffer_store_dword v48, off, s[0:3], 0 offset:552
	s_movk_i32 s5, 0xff00
	s_mul_i32 s4, s19, -3
	s_addk_i32 s4, 0x80
	v_add_u32_e32 v56, s4, v56
	s_add_i32 s4, s44, 0xffffff80
	v_add_u32_e32 v57, s4, v62
	v_lshrrev_b16_e32 v5, 13, v40
	v_add_u16_e32 v5, v40, v5
	v_and_b32_e32 v5, -8, v5
	v_sub_u16_e32 v42, v40, v5
	v_xor_b32_sdwa v43, v41, sext(v42) dst_sel:DWORD dst_unused:UNUSED_PAD src0_sel:DWORD src1_sel:WORD_0
	v_lshlrev_b32_e32 v5, 7, v40
	v_lshl_add_u32 v75, v43, 4, v5
	v_xor_b32_sdwa v52, v49, sext(v51) dst_sel:DWORD dst_unused:UNUSED_PAD src0_sel:DWORD src1_sel:BYTE_0
	v_lshlrev_b32_e32 v53, 4, v52
	v_add_u32_e32 v55, v53, v54
	v_or_b32_e32 v3, 3, v3
	v_xor_b32_e32 v3, v3, v18
	v_and_b32_e32 v3, 7, v3
	s_ashr_i32 s8, s6, 31
	s_lshr_b32 s8, s8, 29
	s_add_i32 s6, s6, s8
	s_movk_i32 s20, 0x130
	s_ashr_i32 s47, s6, 3
	s_mov_b32 s22, 44
	s_movk_i32 s33, 0xac
	s_mov_b32 s6, 41
	s_mov_b32 s8, 40
	v_mov_b32_e32 v74, 2
	s_mov_b32 s40, s15
	s_mov_b32 s41, s15
	s_movk_i32 s18, 0xff80
	v_or_b32_e32 v92, 16, v38
	s_mov_b32 s45, 0
	s_mov_b32 s46, s15
	s_add_i32 s47, s47, -2
	v_mov_b32_e32 v97, 2
	v_add3_u32 v98, v2, s19, v0
	s_movk_i32 s48, 0x190
	v_mov_b32_e32 v99, s15
	v_mov_b32_e32 v100, s8
	v_mov_b32_e32 v101, s15
	v_mov_b32_e32 v102, s22
	v_mov_b32_e32 v103, s15
	v_mov_b32_e32 v104, s33
	v_mov_b32_e32 v105, s15
	v_mov_b32_e32 v106, s6
	v_mov_b32_e32 v107, s15
	v_mov_b32_e32 v108, s20
	v_mov_b32_e32 v110, 2
	s_waitcnt vmcnt(62)
	ds_write_b128 v33, v[6:9]
	v_or_b32_e32 v6, 1, v32
	v_xor_b32_e32 v6, v6, v37
	v_sub_u32_e32 v7, v6, v4
	v_or_b32_e32 v8, 2, v32
	v_lshlrev_b32_e32 v76, 4, v7
	v_xor_b32_e32 v8, v8, v37
	v_add_u32_e32 v77, 0x80, v76
	v_sub_u32_e32 v6, v8, v6
	v_mov_b32_e32 v9, 0x80
	v_add_u32_e32 v7, v77, v33
	v_lshl_add_u32 v78, v6, 4, v9
	ds_write_b128 v7, v[10:13]
	v_add_u32_e32 v6, v78, v7
	v_or_b32_e32 v7, 3, v32
	v_xor_b32_e32 v7, v7, v37
	v_sub_u32_e32 v10, v7, v8
	v_lshlrev_b32_e32 v10, 4, v10
	v_sub_u32_e32 v7, v4, v7
	ds_write_b128 v6, v[14:17]
	v_add_u32_e32 v6, v10, v6
	v_lshlrev_b32_e32 v7, 4, v7
	ds_write_b128 v6, v[20:23] offset:128
	v_add3_u32 v48, v6, v7, s5
	v_and_b32_e32 v6, 0xff000000, v25
	v_and_b32_e32 v7, 0xff0000, v25
	v_or_b32_e32 v6, v7, v6
	v_and_b32_e32 v7, 0xff00, v25
	v_and_b32_e32 v10, 0xff, v25
	v_or3_b32 v25, v6, v7, v10
	v_lshrrev_b32_e32 v6, 1, v39
	ds_write_b64 v6, v[24:25] offset:16384
	v_or_b32_e32 v6, 1, v34
	v_xor_b32_e32 v6, v6, v35
	v_sub_u32_e32 v7, v6, v36
	v_lshlrev_b32_e32 v79, 4, v7
	v_and_b32_e32 v10, 0xff000000, v31
	v_and_b32_e32 v11, 0xff0000, v31
	v_add_u32_e32 v7, v79, v39
	v_or_b32_e32 v10, v11, v10
	v_and_b32_e32 v11, 0xff00, v31
	v_and_b32_e32 v12, 0xff, v31
	v_or3_b32 v31, v10, v11, v12
	v_ashrrev_i32_e32 v10, 1, v7
	ds_write_b64 v10, v[30:31] offset:16384
	v_or_b32_e32 v10, 3, v34
	v_xor_b32_e32 v10, v10, v35
	v_sub_u32_e32 v6, v10, v6
	v_lshlrev_b32_e32 v81, 4, v6
	v_add_u32_e32 v6, v7, v81
	v_and_b32_e32 v7, 0xff000000, v29
	v_and_b32_e32 v11, 0xff0000, v29
	v_or_b32_e32 v7, v7, v11
	v_and_b32_e32 v11, 0xff00, v29
	v_and_b32_e32 v12, 0xff, v29
	v_or3_b32 v29, v7, v11, v12
	v_ashrrev_i32_e32 v7, 1, v6
	ds_write_b64 v7, v[28:29] offset:16384
	v_or_b32_e32 v7, 2, v34
	v_xor_b32_e32 v7, v7, v35
	v_sub_u32_e32 v11, v7, v10
	v_lshlrev_b32_e32 v84, 4, v11
	v_and_b32_e32 v12, 0xff000000, v27
	v_and_b32_e32 v13, 0xff0000, v27
	v_add_u32_e32 v11, v6, v84
	v_or_b32_e32 v12, v12, v13
	v_and_b32_e32 v13, 0xff00, v27
	v_and_b32_e32 v14, 0xff, v27
	v_or3_b32 v27, v12, v13, v14
	v_ashrrev_i32_e32 v11, 1, v11
	v_sub_u32_e32 v10, v36, v10
	ds_write_b64 v11, v[26:27] offset:16384
	v_sub_u32_e32 v7, v36, v7
	v_lshl_add_u32 v36, v10, 4, v6
	v_add_u32_e32 v6, s19, v56
	buffer_load_dwordx4 v[20:23], v56, s[24:27], 0 offen
	buffer_load_dwordx4 v[24:27], v6, s[24:27], 0 offen
	v_add_u32_e32 v6, s19, v6
	v_add_u32_e32 v10, s19, v6
	buffer_load_dwordx4 v[28:31], v6, s[24:27], 0 offen
	buffer_load_dwordx4 v[32:35], v10, s[24:27], 0 offen
	v_add_u32_e32 v10, v57, v58
	v_lshrrev_b32_e32 v11, 31, v10
	v_add_u32_e32 v11, v10, v11
	v_add_u32_e32 v10, 0x80, v10
	v_lshrrev_b32_e32 v12, 31, v10
	v_add_u32_e32 v12, v10, v12
	v_add_u32_e32 v10, v10, v61
	v_lshrrev_b32_e32 v13, 31, v10
	v_ashrrev_i32_e32 v6, 1, v57
	v_add_u32_e32 v13, v10, v13
	v_ashrrev_i32_e32 v11, 1, v11
	v_ashrrev_i32_e32 v12, 1, v12
	;; [unrolled: 1-line block ×3, first 2 shown]
	buffer_load_dwordx2 v[62:63], v6, s[36:39], 0 offen
	buffer_load_dwordx2 v[56:57], v11, s[36:39], 0 offen
	;; [unrolled: 1-line block ×4, first 2 shown]
	v_add_u16_e32 v11, 32, v40
	v_ashrrev_i16_e32 v12, 15, v11
	v_xor_b32_e32 v13, v41, v37
	v_or_b32_e32 v6, 1, v41
	v_lshrrev_b16_e32 v12, 13, v12
	v_sub_u32_e32 v13, v13, v43
	v_add_u16_e32 v12, v11, v12
	v_lshl_add_u32 v91, v13, 4, v75
	v_xor_b32_e32 v13, v6, v37
	v_and_b32_e32 v12, -8, v12
	v_sub_u32_e32 v13, v13, v43
	v_sub_u16_e32 v11, v11, v12
	v_lshlrev_b32_e32 v13, 4, v13
	v_add_u32_e32 v109, s4, v10
	v_xor_b32_sdwa v10, v6, sext(v42) dst_sel:DWORD dst_unused:UNUSED_PAD src0_sel:DWORD src1_sel:WORD_0
	v_xor_b32_sdwa v12, v41, sext(v11) dst_sel:DWORD dst_unused:UNUSED_PAD src0_sel:DWORD src1_sel:WORD_0
	;; [unrolled: 1-line block ×3, first 2 shown]
	v_add_u32_e32 v90, v75, v13
	v_add_u16_e32 v13, v53, v54
	v_sub_u32_e32 v6, v6, v41
	v_ashrrev_i16_e32 v13, 1, v13
	v_lshlrev_b32_e32 v6, 1, v6
	v_bfe_i32 v89, v13, 0, 16
	v_add_u32_e32 v13, v49, v6
	v_xor_b32_sdwa v13, v13, sext(v51) dst_sel:DWORD dst_unused:UNUSED_PAD src0_sel:DWORD src1_sel:BYTE_0
	v_lshl_add_u32 v13, v13, 4, v54
	v_ashrrev_i32_e32 v87, 1, v13
	v_add_u16_e32 v13, 32, v44
	v_lshrrev_b16_e32 v14, 7, v13
	v_and_b32_e32 v14, 1, v14
	v_add_u16_e32 v14, v13, v14
	v_ashrrev_i16_sdwa v15, v45, sext(v14) dst_sel:DWORD dst_unused:UNUSED_PAD src0_sel:DWORD src1_sel:BYTE_0
	v_and_b32_e32 v17, 0xfe, v14
	v_lshrrev_b16_sdwa v14, v50, sext(v14) dst_sel:DWORD dst_unused:UNUSED_PAD src0_sel:DWORD src1_sel:BYTE_0
	v_and_b32_e32 v14, 15, v14
	v_add_u16_e32 v14, v15, v14
	v_sub_u16_e32 v13, v13, v17
	v_and_b32_e32 v14, 0xf0, v14
	v_add_u32_sdwa v13, v47, sext(v13) dst_sel:DWORD dst_unused:UNUSED_PAD src0_sel:DWORD src1_sel:BYTE_0
	v_sub_u16_e32 v14, v15, v14
	v_sub_u16_e32 v16, v15, v46
	v_xor_b32_sdwa v15, v13, sext(v14) dst_sel:DWORD dst_unused:UNUSED_PAD src0_sel:DWORD src1_sel:BYTE_0
	v_add_u32_e32 v13, v13, v6
	v_bfe_i32 v16, v16, 0, 16
	v_xor_b32_sdwa v13, v13, sext(v14) dst_sel:DWORD dst_unused:UNUSED_PAD src0_sel:DWORD src1_sel:BYTE_0
	v_sub_u32_e32 v15, v15, v52
	v_lshl_add_u32 v16, v16, 8, v55
	v_sub_u32_e32 v13, v13, v52
	v_lshl_add_u32 v15, v15, 4, v16
	v_lshl_add_u32 v13, v13, 4, v16
	v_ashrrev_i32_e32 v88, 1, v15
	v_ashrrev_i32_e32 v86, 1, v13
	v_add_u32_e32 v13, 64, v44
	v_and_or_b32 v15, v18, 1, v47
	v_lshrrev_b32_e32 v14, 1, v13
	v_bfe_u32 v13, v13, 1, 4
	v_add_u32_e32 v6, v6, v15
	v_sub_u32_sdwa v14, v14, sext(v46) dst_sel:DWORD dst_unused:UNUSED_PAD src0_sel:DWORD src1_sel:WORD_0
	v_xor_b32_e32 v16, v13, v15
	v_xor_b32_e32 v13, v6, v13
	v_lshl_add_u32 v14, v14, 8, v55
	v_sub_u32_e32 v13, v13, v52
	v_lshl_add_u32 v13, v13, 4, v14
	v_sub_u32_e32 v16, v16, v52
	v_ashrrev_i32_e32 v83, 1, v13
	v_add_u32_e32 v13, 0x60, v44
	v_lshl_add_u32 v16, v16, 4, v14
	v_lshrrev_b32_e32 v14, 1, v13
	v_bfe_u32 v13, v13, 1, 4
	v_sub_u32_sdwa v14, v14, sext(v46) dst_sel:DWORD dst_unused:UNUSED_PAD src0_sel:DWORD src1_sel:WORD_0
	v_xor_b32_e32 v6, v6, v13
	v_lshl_add_u32 v14, v14, 8, v55
	v_sub_u32_e32 v6, v6, v52
	v_lshl_add_u32 v6, v6, 4, v14
	v_ashrrev_i32_e32 v80, 1, v6
	v_sub_u32_e32 v6, v3, v8
	v_sub_u32_e32 v3, v4, v3
	v_mov_b32_e32 v4, 0xfffffe80
	v_xor_b32_e32 v15, v13, v15
	v_lshl_add_u32 v95, v3, 4, v4
	v_add_u32_e32 v3, 3, v1
	v_sub_u32_e32 v12, v12, v43
	v_sub_u32_e32 v11, v11, v43
	;; [unrolled: 1-line block ×3, first 2 shown]
	v_mad_u64_u32 v[52:53], s[4:5], s19, v3, v[0:1]
	v_add_u32_e32 v1, 2, v1
	v_lshlrev_b32_e32 v10, 4, v10
	v_lshlrev_b32_e32 v12, 4, v12
	v_lshlrev_b32_e32 v11, 4, v11
	v_lshl_add_u32 v15, v15, 4, v14
	v_mad_u64_u32 v[54:55], s[4:5], s19, v1, v[0:1]
	v_ashrrev_i32_e32 v85, 1, v16
	v_ashrrev_i32_e32 v82, 1, v15
	v_lshl_add_u32 v94, v6, 4, v9
	v_lshlrev_b32_e32 v96, 4, v7
	s_movk_i32 s19, 0xfef0
	v_add_u32_e32 v93, v10, v5
	v_add_u32_e32 v55, v75, v12
	;; [unrolled: 1-line block ×3, first 2 shown]
.LBB17_12:                              ; =>This Inner Loop Header: Depth=1
	s_waitcnt lgkmcnt(0)
	s_barrier
	ds_read_b128 v[0:3], v75
	ds_read_b128 v[4:7], v91 offset:8192
	ds_read_b128 v[8:11], v93
	v_add_u32_e32 v111, s48, v73
	v_lshlrev_b32_e32 v64, 7, v97
	s_waitcnt lgkmcnt(2)
	buffer_store_dword v0, off, s[0:3], 0 offset:44
	buffer_store_dword v1, off, s[0:3], 0 offset:48
	;; [unrolled: 1-line block ×4, first 2 shown]
	ds_read_b128 v[0:3], v55 offset:4096
	s_waitcnt lgkmcnt(1)
	buffer_store_dword v8, off, s[0:3], 0 offset:60
	buffer_store_dword v9, off, s[0:3], 0 offset:64
	;; [unrolled: 1-line block ×4, first 2 shown]
	ds_read_b128 v[8:11], v53 offset:4096
	s_waitcnt lgkmcnt(1)
	buffer_store_dword v0, off, s[0:3], 0 offset:76
	buffer_store_dword v1, off, s[0:3], 0 offset:80
	buffer_store_dword v2, off, s[0:3], 0 offset:84
	buffer_store_dword v3, off, s[0:3], 0 offset:88
	s_waitcnt lgkmcnt(0)
	buffer_store_dword v8, off, s[0:3], 0 offset:92
	buffer_store_dword v9, off, s[0:3], 0 offset:96
	;; [unrolled: 1-line block ×5, first 2 shown]
	ds_read_b128 v[0:3], v90 offset:8192
	buffer_store_dword v5, off, s[0:3], 0 offset:112
	buffer_store_dword v6, off, s[0:3], 0 offset:116
	;; [unrolled: 1-line block ×3, first 2 shown]
	ds_read_b128 v[4:7], v91 offset:12288
	s_waitcnt lgkmcnt(1)
	buffer_store_dword v0, off, s[0:3], 0 offset:124
	buffer_store_dword v1, off, s[0:3], 0 offset:128
	;; [unrolled: 1-line block ×4, first 2 shown]
	s_waitcnt lgkmcnt(0)
	buffer_store_dword v4, off, s[0:3], 0 offset:140
	ds_read_b128 v[0:3], v90 offset:12288
	buffer_store_dword v5, off, s[0:3], 0 offset:144
	buffer_store_dword v6, off, s[0:3], 0 offset:148
	;; [unrolled: 1-line block ×3, first 2 shown]
	ds_read_b64 v[4:5], v89 offset:16384
	s_waitcnt lgkmcnt(1)
	buffer_store_dword v0, off, s[0:3], 0 offset:156
	buffer_store_dword v1, off, s[0:3], 0 offset:160
	buffer_store_dword v2, off, s[0:3], 0 offset:164
	buffer_store_dword v3, off, s[0:3], 0 offset:168
	s_waitcnt lgkmcnt(0)
	;;#ASMSTART
	v_cvt_off_f32_i4 v0, v4
v_cvt_off_f32_i4 v1, v4, src0_sel:BYTE_2
v_cvt_pk_fp8_f32 v3, v0, v1
v_cvt_off_f32_i4 v0, v4, src0_sel:BYTE_1
v_cvt_off_f32_i4 v1, v4, src0_sel:BYTE_3
v_cvt_pk_fp8_f32 v6, v0, v1
v_lshrrev_b32 v2, 4, v4
v_cvt_off_f32_i4 v0, v2
v_cvt_off_f32_i4 v1, v2, src0_sel:BYTE_2
v_cvt_pk_fp8_f32 v3, v0, v1, op_sel:[0, 0, 1]
v_cvt_off_f32_i4 v0, v2, src0_sel:BYTE_1
v_cvt_off_f32_i4 v1, v2, src0_sel:BYTE_3
v_cvt_pk_fp8_f32 v6, v0, v1, op_sel:[0, 0, 1]

	;;#ASMEND
	;;#ASMSTART
	v_cvt_off_f32_i4 v0, v5
v_cvt_off_f32_i4 v1, v5, src0_sel:BYTE_2
v_cvt_pk_fp8_f32 v4, v0, v1
v_cvt_off_f32_i4 v0, v5, src0_sel:BYTE_1
v_cvt_off_f32_i4 v1, v5, src0_sel:BYTE_3
v_cvt_pk_fp8_f32 v7, v0, v1
v_lshrrev_b32 v2, 4, v5
v_cvt_off_f32_i4 v0, v2
v_cvt_off_f32_i4 v1, v2, src0_sel:BYTE_2
v_cvt_pk_fp8_f32 v4, v0, v1, op_sel:[0, 0, 1]
v_cvt_off_f32_i4 v0, v2, src0_sel:BYTE_1
v_cvt_off_f32_i4 v1, v2, src0_sel:BYTE_3
v_cvt_pk_fp8_f32 v7, v0, v1, op_sel:[0, 0, 1]

	;;#ASMEND
	ds_read_b64 v[0:1], v87 offset:16384
	buffer_store_dword v3, off, s[0:3], 0 offset:172
	buffer_store_dword v6, off, s[0:3], 0 offset:176
	buffer_store_dword v4, off, s[0:3], 0 offset:180
	buffer_store_dword v7, off, s[0:3], 0 offset:184
	s_waitcnt lgkmcnt(0)
	;;#ASMSTART
	v_cvt_off_f32_i4 v2, v0
v_cvt_off_f32_i4 v3, v0, src0_sel:BYTE_2
v_cvt_pk_fp8_f32 v5, v2, v3
v_cvt_off_f32_i4 v2, v0, src0_sel:BYTE_1
v_cvt_off_f32_i4 v3, v0, src0_sel:BYTE_3
v_cvt_pk_fp8_f32 v6, v2, v3
v_lshrrev_b32 v4, 4, v0
v_cvt_off_f32_i4 v2, v4
v_cvt_off_f32_i4 v3, v4, src0_sel:BYTE_2
v_cvt_pk_fp8_f32 v5, v2, v3, op_sel:[0, 0, 1]
v_cvt_off_f32_i4 v2, v4, src0_sel:BYTE_1
v_cvt_off_f32_i4 v3, v4, src0_sel:BYTE_3
v_cvt_pk_fp8_f32 v6, v2, v3, op_sel:[0, 0, 1]

	;;#ASMEND
	;;#ASMSTART
	v_cvt_off_f32_i4 v0, v1
v_cvt_off_f32_i4 v2, v1, src0_sel:BYTE_2
v_cvt_pk_fp8_f32 v4, v0, v2
v_cvt_off_f32_i4 v0, v1, src0_sel:BYTE_1
v_cvt_off_f32_i4 v2, v1, src0_sel:BYTE_3
v_cvt_pk_fp8_f32 v7, v0, v2
v_lshrrev_b32 v3, 4, v1
v_cvt_off_f32_i4 v0, v3
v_cvt_off_f32_i4 v2, v3, src0_sel:BYTE_2
v_cvt_pk_fp8_f32 v4, v0, v2, op_sel:[0, 0, 1]
v_cvt_off_f32_i4 v0, v3, src0_sel:BYTE_1
v_cvt_off_f32_i4 v2, v3, src0_sel:BYTE_3
v_cvt_pk_fp8_f32 v7, v0, v2, op_sel:[0, 0, 1]

	;;#ASMEND
	ds_read_b64 v[0:1], v88 offset:16384
	;; [unrolled: 38-line block ×7, first 2 shown]
	buffer_store_dword v5, off, s[0:3], 0 offset:268
	buffer_store_dword v6, off, s[0:3], 0 offset:272
	buffer_store_dword v4, off, s[0:3], 0 offset:276
	buffer_store_dword v7, off, s[0:3], 0 offset:280
	s_waitcnt lgkmcnt(0)
	;;#ASMSTART
	v_cvt_off_f32_i4 v2, v0
v_cvt_off_f32_i4 v3, v0, src0_sel:BYTE_2
v_cvt_pk_fp8_f32 v5, v2, v3
v_cvt_off_f32_i4 v2, v0, src0_sel:BYTE_1
v_cvt_off_f32_i4 v3, v0, src0_sel:BYTE_3
v_cvt_pk_fp8_f32 v6, v2, v3
v_lshrrev_b32 v4, 4, v0
v_cvt_off_f32_i4 v2, v4
v_cvt_off_f32_i4 v3, v4, src0_sel:BYTE_2
v_cvt_pk_fp8_f32 v5, v2, v3, op_sel:[0, 0, 1]
v_cvt_off_f32_i4 v2, v4, src0_sel:BYTE_1
v_cvt_off_f32_i4 v3, v4, src0_sel:BYTE_3
v_cvt_pk_fp8_f32 v6, v2, v3, op_sel:[0, 0, 1]

	;;#ASMEND
	v_add_u32_e32 v37, 0xffffff70, v111
	;;#ASMSTART
	v_cvt_off_f32_i4 v0, v1
v_cvt_off_f32_i4 v2, v1, src0_sel:BYTE_2
v_cvt_pk_fp8_f32 v4, v0, v2
v_cvt_off_f32_i4 v0, v1, src0_sel:BYTE_1
v_cvt_off_f32_i4 v2, v1, src0_sel:BYTE_3
v_cvt_pk_fp8_f32 v7, v0, v2
v_lshrrev_b32 v3, 4, v1
v_cvt_off_f32_i4 v0, v3
v_cvt_off_f32_i4 v2, v3, src0_sel:BYTE_2
v_cvt_pk_fp8_f32 v4, v0, v2, op_sel:[0, 0, 1]
v_cvt_off_f32_i4 v0, v3, src0_sel:BYTE_1
v_cvt_off_f32_i4 v2, v3, src0_sel:BYTE_3
v_cvt_pk_fp8_f32 v7, v0, v2, op_sel:[0, 0, 1]

	;;#ASMEND
	buffer_store_dword v5, off, s[0:3], 0 offset:284
	buffer_store_dword v6, off, s[0:3], 0 offset:288
	;; [unrolled: 1-line block ×4, first 2 shown]
	; sched_barrier mask(0x00000000)
	s_barrier
	; sched_barrier mask(0x00000000)
	v_mov_b32_e32 v0, s45
	v_mov_b32_e32 v1, s46
	buffer_store_dword v99, off, s[0:3], 0 offset:4
	buffer_store_dword v100, off, s[0:3], 0
	buffer_store_dword v101, off, s[0:3], 0 offset:12
	buffer_store_dword v102, off, s[0:3], 0 offset:8
	;; [unrolled: 1-line block ×8, first 2 shown]
	s_getpc_b64 s[4:5]
	s_add_u32 s4, s4, _ZNK2ck6detail7applierIiJLi0ELi1ELi2ELi3ELi4ELi5ELi6ELi7ELi8ELi9ELi10ELi11ELi12ELi13ELi14ELi15EEEclIZNKS_11static_fordINS_8SequenceIJLi4ELi4EEEENS5_IJLi0ELi1EEEEEclIZZZZNKS_31BlockwiseGemmXdlops_pipeline_v2ILNS_26BlockGemmPipelineSchedulerE1ELi256ENS_9f8_fnuz_tENS_7pk_i4_tESC_fNS_16TensorDescriptorINS_5TupleIJNS_5EmbedINSF_IJNS_17integral_constantIiLi8EEENSH_IiLi128EEENSH_IiLi16EEEEEENSF_IJSK_SJ_NSH_IiLi1EEEEEELb0EEENS_3XorINSF_IJSJ_SI_EEELb1EEENS_11PassThroughISK_EENS_7UnMergeINSF_IJSI_SM_EEELb0EEENSS_ISJ_EEST_NSS_ISI_EENS_21Merge_v3_division_modINSF_IJSJ_SM_EEEEEST_EEENSF_IJNS5_IJLi0EEEENS5_IJLi2ELi1EEEENS5_IJLi3EEEENS5_IJLi5EEEENS5_IJLi4EEEENS5_IJLi6EEEENS5_IJLi7EEEENS5_IJLi9ELi8EEEENS5_IJLi10EEEEEEENSF_IJNS5_IJLi1ELi2ELi3EEEENS5_IJLi4ELi5EEEES18_NS5_IJLi7ELi8EEEENS5_IJLi9EEEES1B_NS5_IJLi11EEEENS5_IJLi12EEEENS5_IJLi13EEEEEEENS5_IJLi11ELi12ELi13EEEENSH_IlLl16384EEEEENSE_INSF_IJNSG_INSF_IJSK_NSH_IiLi64EEESK_EEENSF_IJSK_NSH_IiLi256EEESM_EEELb0EEENSP_INSF_IJS1O_SK_EEELb1EEEST_NSU_INSF_IJSI_NSH_IiLi2EEEEEELb0EEENSS_IS1O_EEST_SY_NSZ_INSF_IJS1O_S1V_EEEEEST_EEES1C_S1K_S1L_S1M_EENSE_INSF_IJSO_SR_ST_SW_SX_ST_SY_S11_ST_NSZ_INSF_IJSI_SK_EEEEENSU_INSF_IJNSH_IiLi4EEES1V_SK_EEELb0EEEEEENSF_IJS13_S14_S15_S16_S17_S18_S19_S1A_S1B_NS5_IJLi11ELi13EEEES1I_EEENSF_IJS1D_S1E_S18_S1F_S1G_S1B_S1H_S1I_S1J_NS5_IJLi14EEEENS5_IJLi15ELi16ELi17EEEEEEENS5_IJLi15ELi16ELi17ELi14EEEES1M_EENSE_INSF_IJS1S_S1U_ST_S1X_S1Y_ST_SY_S20_ST_S24_S27_EEES2A_S2D_S2E_S1M_EELi16ELi16ELi128ELi128ELi128ELi16ELi16ELi4ELi4ELi16ELb0EE3RunILb1ELNS_10TailNumberE2ENSE_INSF_IJNSG_INSF_IJiiEEENSF_IJiSM_EEELb0EEENSU_IS2L_Lb0EEENSS_IiEEEEENSF_IJS13_NS5_IJLi2EEEENS5_IJLi1EEEEEEENSF_IJNS5_IJLi1ELi2EEEENS5_IJLi3ELi4EEEES16_EEENS5_IJLi3ELi5ELi4EEEElEES1N_NS_35ThreadGroupTensorSliceTransfer_v4r1INS_15ThisThreadBlockILi256EEENS_16tensor_operation12element_wise11PassThroughES34_LNS_25InMemoryDataOperationEnumE0ENS5_IJLi8ELi128ELi16EEEENS5_IJLi8ELi32ELi1EEEENS5_IJLi1ELi0ELi2EEEESC_SC_RKS2Y_KS1N_S38_NS5_IJLi0ELi1ELi2EEEELi2ELi2ELi16ELi16ELi1ELi1ELb0ELb1ELi2EiEENS_13DynamicBufferILNS_16AddressSpaceEnumE1EKSC_lLb1ELNS_22AmdBufferCoherenceEnumE0EiEENS3E_ILS3F_2ESC_S1M_Lb1ELS3H_0EiEENSF_IJiiiEEENSE_INSF_IJNSU_INSF_IJiiiiEEELb0EEENS_23Merge_v2_magic_divisionIS2L_EENSS_INSF_IJiEEEEES2P_EEENSF_IJS13_NS5_IJLi1ELi3EEEES2R_S17_EEENSF_IJNS5_IJLi1ELi2ELi3ELi4EEEES16_S18_S19_EEENS5_IJLi5ELi6ELi7EEEElEES22_NS2Z_IS31_S34_S34_LS35_0ES36_NS5_IJLi4ELi64ELi1EEEES38_SD_SD_RKS3X_KS22_S38_S3C_Li2ELi2ELi16ELi16ELi1ELi1ELb0ELb1ELi2EiEENS3E_ILS3F_1EKSD_lLb1ELS3H_0EiEENS3E_ILS3F_2ESD_S1M_Lb1ELS3H_0EiEES3K_NS_25StaticBufferTupleOfVectorILS3F_4EfLi16ELi4ELb1ELb0EEEEEvRKT1_RKT2_RT3_RKT4_RT5_RKT6_RKT7_RKT8_RT9_RKT10_RT11_RKT12_RT13_iENKUlT_E0_clINSH_IiLi0EEEEEDaS56_ENKUlS56_E_clIS59_EEDaS56_ENKUlS56_E1_clIS59_EEDaS56_EUlS56_E_EEvS56_EUlS56_E_EEvS56_@rel32@lo+4
	s_addc_u32 s5, s5, _ZNK2ck6detail7applierIiJLi0ELi1ELi2ELi3ELi4ELi5ELi6ELi7ELi8ELi9ELi10ELi11ELi12ELi13ELi14ELi15EEEclIZNKS_11static_fordINS_8SequenceIJLi4ELi4EEEENS5_IJLi0ELi1EEEEEclIZZZZNKS_31BlockwiseGemmXdlops_pipeline_v2ILNS_26BlockGemmPipelineSchedulerE1ELi256ENS_9f8_fnuz_tENS_7pk_i4_tESC_fNS_16TensorDescriptorINS_5TupleIJNS_5EmbedINSF_IJNS_17integral_constantIiLi8EEENSH_IiLi128EEENSH_IiLi16EEEEEENSF_IJSK_SJ_NSH_IiLi1EEEEEELb0EEENS_3XorINSF_IJSJ_SI_EEELb1EEENS_11PassThroughISK_EENS_7UnMergeINSF_IJSI_SM_EEELb0EEENSS_ISJ_EEST_NSS_ISI_EENS_21Merge_v3_division_modINSF_IJSJ_SM_EEEEEST_EEENSF_IJNS5_IJLi0EEEENS5_IJLi2ELi1EEEENS5_IJLi3EEEENS5_IJLi5EEEENS5_IJLi4EEEENS5_IJLi6EEEENS5_IJLi7EEEENS5_IJLi9ELi8EEEENS5_IJLi10EEEEEEENSF_IJNS5_IJLi1ELi2ELi3EEEENS5_IJLi4ELi5EEEES18_NS5_IJLi7ELi8EEEENS5_IJLi9EEEES1B_NS5_IJLi11EEEENS5_IJLi12EEEENS5_IJLi13EEEEEEENS5_IJLi11ELi12ELi13EEEENSH_IlLl16384EEEEENSE_INSF_IJNSG_INSF_IJSK_NSH_IiLi64EEESK_EEENSF_IJSK_NSH_IiLi256EEESM_EEELb0EEENSP_INSF_IJS1O_SK_EEELb1EEEST_NSU_INSF_IJSI_NSH_IiLi2EEEEEELb0EEENSS_IS1O_EEST_SY_NSZ_INSF_IJS1O_S1V_EEEEEST_EEES1C_S1K_S1L_S1M_EENSE_INSF_IJSO_SR_ST_SW_SX_ST_SY_S11_ST_NSZ_INSF_IJSI_SK_EEEEENSU_INSF_IJNSH_IiLi4EEES1V_SK_EEELb0EEEEEENSF_IJS13_S14_S15_S16_S17_S18_S19_S1A_S1B_NS5_IJLi11ELi13EEEES1I_EEENSF_IJS1D_S1E_S18_S1F_S1G_S1B_S1H_S1I_S1J_NS5_IJLi14EEEENS5_IJLi15ELi16ELi17EEEEEEENS5_IJLi15ELi16ELi17ELi14EEEES1M_EENSE_INSF_IJS1S_S1U_ST_S1X_S1Y_ST_SY_S20_ST_S24_S27_EEES2A_S2D_S2E_S1M_EELi16ELi16ELi128ELi128ELi128ELi16ELi16ELi4ELi4ELi16ELb0EE3RunILb1ELNS_10TailNumberE2ENSE_INSF_IJNSG_INSF_IJiiEEENSF_IJiSM_EEELb0EEENSU_IS2L_Lb0EEENSS_IiEEEEENSF_IJS13_NS5_IJLi2EEEENS5_IJLi1EEEEEEENSF_IJNS5_IJLi1ELi2EEEENS5_IJLi3ELi4EEEES16_EEENS5_IJLi3ELi5ELi4EEEElEES1N_NS_35ThreadGroupTensorSliceTransfer_v4r1INS_15ThisThreadBlockILi256EEENS_16tensor_operation12element_wise11PassThroughES34_LNS_25InMemoryDataOperationEnumE0ENS5_IJLi8ELi128ELi16EEEENS5_IJLi8ELi32ELi1EEEENS5_IJLi1ELi0ELi2EEEESC_SC_RKS2Y_KS1N_S38_NS5_IJLi0ELi1ELi2EEEELi2ELi2ELi16ELi16ELi1ELi1ELb0ELb1ELi2EiEENS_13DynamicBufferILNS_16AddressSpaceEnumE1EKSC_lLb1ELNS_22AmdBufferCoherenceEnumE0EiEENS3E_ILS3F_2ESC_S1M_Lb1ELS3H_0EiEENSF_IJiiiEEENSE_INSF_IJNSU_INSF_IJiiiiEEELb0EEENS_23Merge_v2_magic_divisionIS2L_EENSS_INSF_IJiEEEEES2P_EEENSF_IJS13_NS5_IJLi1ELi3EEEES2R_S17_EEENSF_IJNS5_IJLi1ELi2ELi3ELi4EEEES16_S18_S19_EEENS5_IJLi5ELi6ELi7EEEElEES22_NS2Z_IS31_S34_S34_LS35_0ES36_NS5_IJLi4ELi64ELi1EEEES38_SD_SD_RKS3X_KS22_S38_S3C_Li2ELi2ELi16ELi16ELi1ELi1ELb0ELb1ELi2EiEENS3E_ILS3F_1EKSD_lLb1ELS3H_0EiEENS3E_ILS3F_2ESD_S1M_Lb1ELS3H_0EiEES3K_NS_25StaticBufferTupleOfVectorILS3F_4EfLi16ELi4ELb1ELb0EEEEEvRKT1_RKT2_RT3_RKT4_RT5_RKT6_RKT7_RKT8_RT9_RKT10_RT11_RKT12_RT13_iENKUlT_E0_clINSH_IiLi0EEEEEDaS56_ENKUlS56_E_clIS59_EEDaS56_ENKUlS56_E1_clIS59_EEDaS56_EUlS56_E_EEvS56_EUlS56_E_EEvS56_@rel32@hi+12
	s_swappc_b64 s[30:31], s[4:5]
	v_mov_b32_e32 v0, s45
	v_mov_b32_e32 v1, s46
	buffer_store_dword v99, off, s[0:3], 0 offset:4
	buffer_store_dword v100, off, s[0:3], 0
	buffer_store_dword v101, off, s[0:3], 0 offset:12
	buffer_store_dword v102, off, s[0:3], 0 offset:8
	;; [unrolled: 1-line block ×8, first 2 shown]
	s_getpc_b64 s[4:5]
	s_add_u32 s4, s4, _ZNK2ck6detail7applierIiJLi0ELi1ELi2ELi3ELi4ELi5ELi6ELi7ELi8ELi9ELi10ELi11ELi12ELi13ELi14ELi15EEEclIZNKS_11static_fordINS_8SequenceIJLi4ELi4EEEENS5_IJLi0ELi1EEEEEclIZZZZNKS_31BlockwiseGemmXdlops_pipeline_v2ILNS_26BlockGemmPipelineSchedulerE1ELi256ENS_9f8_fnuz_tENS_7pk_i4_tESC_fNS_16TensorDescriptorINS_5TupleIJNS_5EmbedINSF_IJNS_17integral_constantIiLi8EEENSH_IiLi128EEENSH_IiLi16EEEEEENSF_IJSK_SJ_NSH_IiLi1EEEEEELb0EEENS_3XorINSF_IJSJ_SI_EEELb1EEENS_11PassThroughISK_EENS_7UnMergeINSF_IJSI_SM_EEELb0EEENSS_ISJ_EEST_NSS_ISI_EENS_21Merge_v3_division_modINSF_IJSJ_SM_EEEEEST_EEENSF_IJNS5_IJLi0EEEENS5_IJLi2ELi1EEEENS5_IJLi3EEEENS5_IJLi5EEEENS5_IJLi4EEEENS5_IJLi6EEEENS5_IJLi7EEEENS5_IJLi9ELi8EEEENS5_IJLi10EEEEEEENSF_IJNS5_IJLi1ELi2ELi3EEEENS5_IJLi4ELi5EEEES18_NS5_IJLi7ELi8EEEENS5_IJLi9EEEES1B_NS5_IJLi11EEEENS5_IJLi12EEEENS5_IJLi13EEEEEEENS5_IJLi11ELi12ELi13EEEENSH_IlLl16384EEEEENSE_INSF_IJNSG_INSF_IJSK_NSH_IiLi64EEESK_EEENSF_IJSK_NSH_IiLi256EEESM_EEELb0EEENSP_INSF_IJS1O_SK_EEELb1EEEST_NSU_INSF_IJSI_NSH_IiLi2EEEEEELb0EEENSS_IS1O_EEST_SY_NSZ_INSF_IJS1O_S1V_EEEEEST_EEES1C_S1K_S1L_S1M_EENSE_INSF_IJSO_SR_ST_SW_SX_ST_SY_S11_ST_NSZ_INSF_IJSI_SK_EEEEENSU_INSF_IJNSH_IiLi4EEES1V_SK_EEELb0EEEEEENSF_IJS13_S14_S15_S16_S17_S18_S19_S1A_S1B_NS5_IJLi11ELi13EEEES1I_EEENSF_IJS1D_S1E_S18_S1F_S1G_S1B_S1H_S1I_S1J_NS5_IJLi14EEEENS5_IJLi15ELi16ELi17EEEEEEENS5_IJLi15ELi16ELi17ELi14EEEES1M_EENSE_INSF_IJS1S_S1U_ST_S1X_S1Y_ST_SY_S20_ST_S24_S27_EEES2A_S2D_S2E_S1M_EELi16ELi16ELi128ELi128ELi128ELi16ELi16ELi4ELi4ELi16ELb0EE3RunILb1ELNS_10TailNumberE2ENSE_INSF_IJNSG_INSF_IJiiEEENSF_IJiSM_EEELb0EEENSU_IS2L_Lb0EEENSS_IiEEEEENSF_IJS13_NS5_IJLi2EEEENS5_IJLi1EEEEEEENSF_IJNS5_IJLi1ELi2EEEENS5_IJLi3ELi4EEEES16_EEENS5_IJLi3ELi5ELi4EEEElEES1N_NS_35ThreadGroupTensorSliceTransfer_v4r1INS_15ThisThreadBlockILi256EEENS_16tensor_operation12element_wise11PassThroughES34_LNS_25InMemoryDataOperationEnumE0ENS5_IJLi8ELi128ELi16EEEENS5_IJLi8ELi32ELi1EEEENS5_IJLi1ELi0ELi2EEEESC_SC_RKS2Y_KS1N_S38_NS5_IJLi0ELi1ELi2EEEELi2ELi2ELi16ELi16ELi1ELi1ELb0ELb1ELi2EiEENS_13DynamicBufferILNS_16AddressSpaceEnumE1EKSC_lLb1ELNS_22AmdBufferCoherenceEnumE0EiEENS3E_ILS3F_2ESC_S1M_Lb1ELS3H_0EiEENSF_IJiiiEEENSE_INSF_IJNSU_INSF_IJiiiiEEELb0EEENS_23Merge_v2_magic_divisionIS2L_EENSS_INSF_IJiEEEEES2P_EEENSF_IJS13_NS5_IJLi1ELi3EEEES2R_S17_EEENSF_IJNS5_IJLi1ELi2ELi3ELi4EEEES16_S18_S19_EEENS5_IJLi5ELi6ELi7EEEElEES22_NS2Z_IS31_S34_S34_LS35_0ES36_NS5_IJLi4ELi64ELi1EEEES38_SD_SD_RKS3X_KS22_S38_S3C_Li2ELi2ELi16ELi16ELi1ELi1ELb0ELb1ELi2EiEENS3E_ILS3F_1EKSD_lLb1ELS3H_0EiEENS3E_ILS3F_2ESD_S1M_Lb1ELS3H_0EiEES3K_NS_25StaticBufferTupleOfVectorILS3F_4EfLi16ELi4ELb1ELb0EEEEEvRKT1_RKT2_RT3_RKT4_RT5_RKT6_RKT7_RKT8_RT9_RKT10_RT11_RKT12_RT13_iENKUlT_E0_clINSH_IiLi0EEEEEDaS56_ENKUlS56_E_clIS59_EEDaS56_ENKUlS56_E1_clISK_EEDaS56_EUlS56_E_EEvS56_EUlS56_E_EEvS56_@rel32@lo+4
	s_addc_u32 s5, s5, _ZNK2ck6detail7applierIiJLi0ELi1ELi2ELi3ELi4ELi5ELi6ELi7ELi8ELi9ELi10ELi11ELi12ELi13ELi14ELi15EEEclIZNKS_11static_fordINS_8SequenceIJLi4ELi4EEEENS5_IJLi0ELi1EEEEEclIZZZZNKS_31BlockwiseGemmXdlops_pipeline_v2ILNS_26BlockGemmPipelineSchedulerE1ELi256ENS_9f8_fnuz_tENS_7pk_i4_tESC_fNS_16TensorDescriptorINS_5TupleIJNS_5EmbedINSF_IJNS_17integral_constantIiLi8EEENSH_IiLi128EEENSH_IiLi16EEEEEENSF_IJSK_SJ_NSH_IiLi1EEEEEELb0EEENS_3XorINSF_IJSJ_SI_EEELb1EEENS_11PassThroughISK_EENS_7UnMergeINSF_IJSI_SM_EEELb0EEENSS_ISJ_EEST_NSS_ISI_EENS_21Merge_v3_division_modINSF_IJSJ_SM_EEEEEST_EEENSF_IJNS5_IJLi0EEEENS5_IJLi2ELi1EEEENS5_IJLi3EEEENS5_IJLi5EEEENS5_IJLi4EEEENS5_IJLi6EEEENS5_IJLi7EEEENS5_IJLi9ELi8EEEENS5_IJLi10EEEEEEENSF_IJNS5_IJLi1ELi2ELi3EEEENS5_IJLi4ELi5EEEES18_NS5_IJLi7ELi8EEEENS5_IJLi9EEEES1B_NS5_IJLi11EEEENS5_IJLi12EEEENS5_IJLi13EEEEEEENS5_IJLi11ELi12ELi13EEEENSH_IlLl16384EEEEENSE_INSF_IJNSG_INSF_IJSK_NSH_IiLi64EEESK_EEENSF_IJSK_NSH_IiLi256EEESM_EEELb0EEENSP_INSF_IJS1O_SK_EEELb1EEEST_NSU_INSF_IJSI_NSH_IiLi2EEEEEELb0EEENSS_IS1O_EEST_SY_NSZ_INSF_IJS1O_S1V_EEEEEST_EEES1C_S1K_S1L_S1M_EENSE_INSF_IJSO_SR_ST_SW_SX_ST_SY_S11_ST_NSZ_INSF_IJSI_SK_EEEEENSU_INSF_IJNSH_IiLi4EEES1V_SK_EEELb0EEEEEENSF_IJS13_S14_S15_S16_S17_S18_S19_S1A_S1B_NS5_IJLi11ELi13EEEES1I_EEENSF_IJS1D_S1E_S18_S1F_S1G_S1B_S1H_S1I_S1J_NS5_IJLi14EEEENS5_IJLi15ELi16ELi17EEEEEEENS5_IJLi15ELi16ELi17ELi14EEEES1M_EENSE_INSF_IJS1S_S1U_ST_S1X_S1Y_ST_SY_S20_ST_S24_S27_EEES2A_S2D_S2E_S1M_EELi16ELi16ELi128ELi128ELi128ELi16ELi16ELi4ELi4ELi16ELb0EE3RunILb1ELNS_10TailNumberE2ENSE_INSF_IJNSG_INSF_IJiiEEENSF_IJiSM_EEELb0EEENSU_IS2L_Lb0EEENSS_IiEEEEENSF_IJS13_NS5_IJLi2EEEENS5_IJLi1EEEEEEENSF_IJNS5_IJLi1ELi2EEEENS5_IJLi3ELi4EEEES16_EEENS5_IJLi3ELi5ELi4EEEElEES1N_NS_35ThreadGroupTensorSliceTransfer_v4r1INS_15ThisThreadBlockILi256EEENS_16tensor_operation12element_wise11PassThroughES34_LNS_25InMemoryDataOperationEnumE0ENS5_IJLi8ELi128ELi16EEEENS5_IJLi8ELi32ELi1EEEENS5_IJLi1ELi0ELi2EEEESC_SC_RKS2Y_KS1N_S38_NS5_IJLi0ELi1ELi2EEEELi2ELi2ELi16ELi16ELi1ELi1ELb0ELb1ELi2EiEENS_13DynamicBufferILNS_16AddressSpaceEnumE1EKSC_lLb1ELNS_22AmdBufferCoherenceEnumE0EiEENS3E_ILS3F_2ESC_S1M_Lb1ELS3H_0EiEENSF_IJiiiEEENSE_INSF_IJNSU_INSF_IJiiiiEEELb0EEENS_23Merge_v2_magic_divisionIS2L_EENSS_INSF_IJiEEEEES2P_EEENSF_IJS13_NS5_IJLi1ELi3EEEES2R_S17_EEENSF_IJNS5_IJLi1ELi2ELi3ELi4EEEES16_S18_S19_EEENS5_IJLi5ELi6ELi7EEEElEES22_NS2Z_IS31_S34_S34_LS35_0ES36_NS5_IJLi4ELi64ELi1EEEES38_SD_SD_RKS3X_KS22_S38_S3C_Li2ELi2ELi16ELi16ELi1ELi1ELb0ELb1ELi2EiEENS3E_ILS3F_1EKSD_lLb1ELS3H_0EiEENS3E_ILS3F_2ESD_S1M_Lb1ELS3H_0EiEES3K_NS_25StaticBufferTupleOfVectorILS3F_4EfLi16ELi4ELb1ELb0EEEEEvRKT1_RKT2_RT3_RKT4_RT5_RKT6_RKT7_RKT8_RT9_RKT10_RT11_RKT12_RT13_iENKUlT_E0_clINSH_IiLi0EEEEEDaS56_ENKUlS56_E_clIS59_EEDaS56_ENKUlS56_E1_clISK_EEDaS56_EUlS56_E_EEvS56_EUlS56_E_EEvS56_@rel32@hi+12
	s_swappc_b64 s[30:31], s[4:5]
	; sched_barrier mask(0x00000000)
	s_setprio 0
	; sched_barrier mask(0x00000000)
	v_add_u32_e32 v0, v48, v76
	ds_write_b128 v48, v[20:23]
	ds_write_b128 v0, v[24:27] offset:128
	v_add3_u32 v1, v48, v77, v78
	v_add_u32_e32 v0, v0, v78
	ds_write_b128 v0, v[28:31] offset:128
	v_add_u32_e32 v112, v0, v94
	v_add3_u32 v113, v1, v94, v95
	v_and_b32_e32 v0, 0xff000000, v63
	v_and_b32_e32 v1, 0xff0000, v63
	v_or_b32_e32 v0, v1, v0
	v_and_b32_e32 v1, 0xff00, v63
	v_and_b32_e32 v2, 0xff, v63
	v_or3_b32 v63, v0, v1, v2
	v_lshrrev_b32_e32 v0, 31, v36
	v_add_u32_e32 v0, v36, v0
	v_ashrrev_i32_e32 v0, 1, v0
	v_and_b32_e32 v1, 0xff000000, v61
	v_and_b32_e32 v2, 0xff0000, v61
	ds_write_b128 v112, v[32:35] offset:128
	ds_write_b64 v0, v[62:63] offset:16384
	v_add_u32_e32 v0, v36, v79
	v_or_b32_e32 v1, v2, v1
	v_and_b32_e32 v2, 0xff00, v61
	v_and_b32_e32 v3, 0xff, v61
	v_or3_b32 v61, v1, v2, v3
	v_lshrrev_b32_e32 v1, 31, v0
	v_add_u32_e32 v1, v0, v1
	v_ashrrev_i32_e32 v1, 1, v1
	ds_write_b64 v1, v[60:61] offset:16384
	v_and_b32_e32 v1, 0xff000000, v59
	v_and_b32_e32 v2, 0xff0000, v59
	v_add_u32_e32 v0, v0, v81
	v_or_b32_e32 v1, v2, v1
	v_and_b32_e32 v2, 0xff00, v59
	v_and_b32_e32 v3, 0xff, v59
	v_or3_b32 v59, v1, v2, v3
	v_lshrrev_b32_e32 v1, 31, v0
	v_add_u32_e32 v1, v0, v1
	v_ashrrev_i32_e32 v1, 1, v1
	ds_write_b64 v1, v[58:59] offset:16384
	v_and_b32_e32 v1, 0xff000000, v57
	v_and_b32_e32 v2, 0xff0000, v57
	v_add_u32_e32 v0, v0, v84
	v_or_b32_e32 v1, v2, v1
	v_and_b32_e32 v2, 0xff00, v57
	v_and_b32_e32 v3, 0xff, v57
	v_or3_b32 v57, v1, v2, v3
	v_lshrrev_b32_e32 v1, 31, v0
	v_add_u32_e32 v1, v0, v1
	v_ashrrev_i32_e32 v1, 1, v1
	v_add_u32_e32 v20, s48, v98
	ds_write_b64 v1, v[56:57] offset:16384
	v_add_u32_e32 v114, v0, v96
	v_add_u32_e32 v0, 0xffffff70, v20
	;; [unrolled: 1-line block ×4, first 2 shown]
	buffer_load_dwordx4 v[48:51], v37, s[24:27], 0 offen
	buffer_load_dwordx4 v[40:43], v0, s[24:27], 0 offen
	v_add_u32_e32 v0, 0xffffff70, v21
	v_add_u32_e32 v1, 0xffffff70, v22
	v_add_u32_e64 v4, 2, s23
	buffer_load_dwordx4 v[44:47], v0, s[24:27], 0 offen
	buffer_load_dwordx4 v[36:39], v1, s[24:27], 0 offen
	v_sub_u32_e32 v1, v4, v110
	v_mul_lo_u32 v5, v1, s44
	v_sub_u32_e32 v1, v74, v110
	v_add_u32_e32 v2, s48, v109
	v_mul_lo_u32 v1, s44, v1
	v_sub_u32_e32 v3, v2, v64
	v_add3_u32 v3, v3, v1, s18
	v_add_u32_e32 v1, v2, v1
	v_sub_u32_e32 v1, v1, v64
	v_lshrrev_b32_e32 v2, 31, v1
	v_lshrrev_b32_e32 v0, 31, v109
	;; [unrolled: 1-line block ×3, first 2 shown]
	v_add_u32_e32 v2, v1, v2
	v_add3_u32 v1, s19, v64, v1
	v_add_u32_e32 v0, v109, v0
	v_add_u32_e32 v3, v3, v6
	v_lshrrev_b32_e32 v6, 31, v1
	v_ashrrev_i32_e32 v0, 1, v0
	v_add_u32_e32 v1, v1, v6
	v_ashrrev_i32_e32 v3, 1, v3
	v_ashrrev_i32_e32 v2, 1, v2
	v_ashrrev_i32_e32 v1, 1, v1
	buffer_load_dwordx2 v[70:71], v0, s[36:39], 0 offen
	buffer_load_dwordx2 v[64:65], v3, s[36:39], 0 offen
	buffer_load_dwordx2 v[66:67], v2, s[36:39], 0 offen
	buffer_load_dwordx2 v[68:69], v1, s[36:39], 0 offen
	s_waitcnt lgkmcnt(0)
	s_barrier
	ds_read_b128 v[0:3], v75
	v_add_u32_e32 v57, -16, v111
	v_add_u32_e64 v111, 3, s23
	v_sub_u32_e32 v4, v111, v4
	v_mul_lo_u32 v4, v4, s44
	ds_read_b128 v[8:11], v93
	v_add3_u32 v56, v5, v109, v4
	ds_read_b128 v[4:7], v91 offset:8192
	s_waitcnt lgkmcnt(2)
	buffer_store_dword v0, off, s[0:3], 0 offset:44
	buffer_store_dword v1, off, s[0:3], 0 offset:48
	buffer_store_dword v2, off, s[0:3], 0 offset:52
	buffer_store_dword v3, off, s[0:3], 0 offset:56
	ds_read_b128 v[0:3], v55 offset:4096
	s_waitcnt lgkmcnt(2)
	buffer_store_dword v8, off, s[0:3], 0 offset:60
	buffer_store_dword v9, off, s[0:3], 0 offset:64
	buffer_store_dword v10, off, s[0:3], 0 offset:68
	buffer_store_dword v11, off, s[0:3], 0 offset:72
	;; [unrolled: 6-line block ×3, first 2 shown]
	s_waitcnt lgkmcnt(0)
	buffer_store_dword v8, off, s[0:3], 0 offset:92
	buffer_store_dword v9, off, s[0:3], 0 offset:96
	;; [unrolled: 1-line block ×5, first 2 shown]
	ds_read_b128 v[0:3], v90 offset:8192
	buffer_store_dword v5, off, s[0:3], 0 offset:112
	buffer_store_dword v6, off, s[0:3], 0 offset:116
	;; [unrolled: 1-line block ×3, first 2 shown]
	ds_read_b128 v[4:7], v91 offset:12288
	s_waitcnt lgkmcnt(1)
	buffer_store_dword v0, off, s[0:3], 0 offset:124
	buffer_store_dword v1, off, s[0:3], 0 offset:128
	;; [unrolled: 1-line block ×4, first 2 shown]
	s_waitcnt lgkmcnt(0)
	buffer_store_dword v4, off, s[0:3], 0 offset:140
	ds_read_b128 v[0:3], v90 offset:12288
	buffer_store_dword v5, off, s[0:3], 0 offset:144
	buffer_store_dword v6, off, s[0:3], 0 offset:148
	;; [unrolled: 1-line block ×3, first 2 shown]
	ds_read_b64 v[4:5], v89 offset:16384
	s_waitcnt lgkmcnt(1)
	buffer_store_dword v0, off, s[0:3], 0 offset:156
	buffer_store_dword v1, off, s[0:3], 0 offset:160
	buffer_store_dword v2, off, s[0:3], 0 offset:164
	buffer_store_dword v3, off, s[0:3], 0 offset:168
	s_waitcnt lgkmcnt(0)
	;;#ASMSTART
	v_cvt_off_f32_i4 v0, v4
v_cvt_off_f32_i4 v1, v4, src0_sel:BYTE_2
v_cvt_pk_fp8_f32 v3, v0, v1
v_cvt_off_f32_i4 v0, v4, src0_sel:BYTE_1
v_cvt_off_f32_i4 v1, v4, src0_sel:BYTE_3
v_cvt_pk_fp8_f32 v6, v0, v1
v_lshrrev_b32 v2, 4, v4
v_cvt_off_f32_i4 v0, v2
v_cvt_off_f32_i4 v1, v2, src0_sel:BYTE_2
v_cvt_pk_fp8_f32 v3, v0, v1, op_sel:[0, 0, 1]
v_cvt_off_f32_i4 v0, v2, src0_sel:BYTE_1
v_cvt_off_f32_i4 v1, v2, src0_sel:BYTE_3
v_cvt_pk_fp8_f32 v6, v0, v1, op_sel:[0, 0, 1]

	;;#ASMEND
	;;#ASMSTART
	v_cvt_off_f32_i4 v0, v5
v_cvt_off_f32_i4 v1, v5, src0_sel:BYTE_2
v_cvt_pk_fp8_f32 v4, v0, v1
v_cvt_off_f32_i4 v0, v5, src0_sel:BYTE_1
v_cvt_off_f32_i4 v1, v5, src0_sel:BYTE_3
v_cvt_pk_fp8_f32 v7, v0, v1
v_lshrrev_b32 v2, 4, v5
v_cvt_off_f32_i4 v0, v2
v_cvt_off_f32_i4 v1, v2, src0_sel:BYTE_2
v_cvt_pk_fp8_f32 v4, v0, v1, op_sel:[0, 0, 1]
v_cvt_off_f32_i4 v0, v2, src0_sel:BYTE_1
v_cvt_off_f32_i4 v1, v2, src0_sel:BYTE_3
v_cvt_pk_fp8_f32 v7, v0, v1, op_sel:[0, 0, 1]

	;;#ASMEND
	ds_read_b64 v[0:1], v87 offset:16384
	buffer_store_dword v3, off, s[0:3], 0 offset:172
	buffer_store_dword v6, off, s[0:3], 0 offset:176
	buffer_store_dword v4, off, s[0:3], 0 offset:180
	buffer_store_dword v7, off, s[0:3], 0 offset:184
	s_waitcnt lgkmcnt(0)
	;;#ASMSTART
	v_cvt_off_f32_i4 v2, v0
v_cvt_off_f32_i4 v3, v0, src0_sel:BYTE_2
v_cvt_pk_fp8_f32 v5, v2, v3
v_cvt_off_f32_i4 v2, v0, src0_sel:BYTE_1
v_cvt_off_f32_i4 v3, v0, src0_sel:BYTE_3
v_cvt_pk_fp8_f32 v6, v2, v3
v_lshrrev_b32 v4, 4, v0
v_cvt_off_f32_i4 v2, v4
v_cvt_off_f32_i4 v3, v4, src0_sel:BYTE_2
v_cvt_pk_fp8_f32 v5, v2, v3, op_sel:[0, 0, 1]
v_cvt_off_f32_i4 v2, v4, src0_sel:BYTE_1
v_cvt_off_f32_i4 v3, v4, src0_sel:BYTE_3
v_cvt_pk_fp8_f32 v6, v2, v3, op_sel:[0, 0, 1]

	;;#ASMEND
	;;#ASMSTART
	v_cvt_off_f32_i4 v0, v1
v_cvt_off_f32_i4 v2, v1, src0_sel:BYTE_2
v_cvt_pk_fp8_f32 v4, v0, v2
v_cvt_off_f32_i4 v0, v1, src0_sel:BYTE_1
v_cvt_off_f32_i4 v2, v1, src0_sel:BYTE_3
v_cvt_pk_fp8_f32 v7, v0, v2
v_lshrrev_b32 v3, 4, v1
v_cvt_off_f32_i4 v0, v3
v_cvt_off_f32_i4 v2, v3, src0_sel:BYTE_2
v_cvt_pk_fp8_f32 v4, v0, v2, op_sel:[0, 0, 1]
v_cvt_off_f32_i4 v0, v3, src0_sel:BYTE_1
v_cvt_off_f32_i4 v2, v3, src0_sel:BYTE_3
v_cvt_pk_fp8_f32 v7, v0, v2, op_sel:[0, 0, 1]

	;;#ASMEND
	ds_read_b64 v[0:1], v88 offset:16384
	;; [unrolled: 38-line block ×7, first 2 shown]
	buffer_store_dword v5, off, s[0:3], 0 offset:268
	buffer_store_dword v6, off, s[0:3], 0 offset:272
	buffer_store_dword v4, off, s[0:3], 0 offset:276
	buffer_store_dword v7, off, s[0:3], 0 offset:280
	s_waitcnt lgkmcnt(0)
	;;#ASMSTART
	v_cvt_off_f32_i4 v2, v0
v_cvt_off_f32_i4 v3, v0, src0_sel:BYTE_2
v_cvt_pk_fp8_f32 v5, v2, v3
v_cvt_off_f32_i4 v2, v0, src0_sel:BYTE_1
v_cvt_off_f32_i4 v3, v0, src0_sel:BYTE_3
v_cvt_pk_fp8_f32 v6, v2, v3
v_lshrrev_b32 v4, 4, v0
v_cvt_off_f32_i4 v2, v4
v_cvt_off_f32_i4 v3, v4, src0_sel:BYTE_2
v_cvt_pk_fp8_f32 v5, v2, v3, op_sel:[0, 0, 1]
v_cvt_off_f32_i4 v2, v4, src0_sel:BYTE_1
v_cvt_off_f32_i4 v3, v4, src0_sel:BYTE_3
v_cvt_pk_fp8_f32 v6, v2, v3, op_sel:[0, 0, 1]

	;;#ASMEND
	;;#ASMSTART
	v_cvt_off_f32_i4 v0, v1
v_cvt_off_f32_i4 v2, v1, src0_sel:BYTE_2
v_cvt_pk_fp8_f32 v4, v0, v2
v_cvt_off_f32_i4 v0, v1, src0_sel:BYTE_1
v_cvt_off_f32_i4 v2, v1, src0_sel:BYTE_3
v_cvt_pk_fp8_f32 v7, v0, v2
v_lshrrev_b32 v3, 4, v1
v_cvt_off_f32_i4 v0, v3
v_cvt_off_f32_i4 v2, v3, src0_sel:BYTE_2
v_cvt_pk_fp8_f32 v4, v0, v2, op_sel:[0, 0, 1]
v_cvt_off_f32_i4 v0, v3, src0_sel:BYTE_1
v_cvt_off_f32_i4 v2, v3, src0_sel:BYTE_3
v_cvt_pk_fp8_f32 v7, v0, v2, op_sel:[0, 0, 1]

	;;#ASMEND
	buffer_store_dword v5, off, s[0:3], 0 offset:284
	buffer_store_dword v6, off, s[0:3], 0 offset:288
	;; [unrolled: 1-line block ×4, first 2 shown]
	; sched_barrier mask(0x00000000)
	s_barrier
	; sched_barrier mask(0x00000000)
	v_mov_b32_e32 v0, s45
	v_mov_b32_e32 v1, s46
	buffer_store_dword v99, off, s[0:3], 0 offset:4
	buffer_store_dword v100, off, s[0:3], 0
	buffer_store_dword v101, off, s[0:3], 0 offset:12
	buffer_store_dword v102, off, s[0:3], 0 offset:8
	;; [unrolled: 1-line block ×8, first 2 shown]
	s_getpc_b64 s[4:5]
	s_add_u32 s4, s4, _ZNK2ck6detail7applierIiJLi0ELi1ELi2ELi3ELi4ELi5ELi6ELi7ELi8ELi9ELi10ELi11ELi12ELi13ELi14ELi15EEEclIZNKS_11static_fordINS_8SequenceIJLi4ELi4EEEENS5_IJLi0ELi1EEEEEclIZZZZNKS_31BlockwiseGemmXdlops_pipeline_v2ILNS_26BlockGemmPipelineSchedulerE1ELi256ENS_9f8_fnuz_tENS_7pk_i4_tESC_fNS_16TensorDescriptorINS_5TupleIJNS_5EmbedINSF_IJNS_17integral_constantIiLi8EEENSH_IiLi128EEENSH_IiLi16EEEEEENSF_IJSK_SJ_NSH_IiLi1EEEEEELb0EEENS_3XorINSF_IJSJ_SI_EEELb1EEENS_11PassThroughISK_EENS_7UnMergeINSF_IJSI_SM_EEELb0EEENSS_ISJ_EEST_NSS_ISI_EENS_21Merge_v3_division_modINSF_IJSJ_SM_EEEEEST_EEENSF_IJNS5_IJLi0EEEENS5_IJLi2ELi1EEEENS5_IJLi3EEEENS5_IJLi5EEEENS5_IJLi4EEEENS5_IJLi6EEEENS5_IJLi7EEEENS5_IJLi9ELi8EEEENS5_IJLi10EEEEEEENSF_IJNS5_IJLi1ELi2ELi3EEEENS5_IJLi4ELi5EEEES18_NS5_IJLi7ELi8EEEENS5_IJLi9EEEES1B_NS5_IJLi11EEEENS5_IJLi12EEEENS5_IJLi13EEEEEEENS5_IJLi11ELi12ELi13EEEENSH_IlLl16384EEEEENSE_INSF_IJNSG_INSF_IJSK_NSH_IiLi64EEESK_EEENSF_IJSK_NSH_IiLi256EEESM_EEELb0EEENSP_INSF_IJS1O_SK_EEELb1EEEST_NSU_INSF_IJSI_NSH_IiLi2EEEEEELb0EEENSS_IS1O_EEST_SY_NSZ_INSF_IJS1O_S1V_EEEEEST_EEES1C_S1K_S1L_S1M_EENSE_INSF_IJSO_SR_ST_SW_SX_ST_SY_S11_ST_NSZ_INSF_IJSI_SK_EEEEENSU_INSF_IJNSH_IiLi4EEES1V_SK_EEELb0EEEEEENSF_IJS13_S14_S15_S16_S17_S18_S19_S1A_S1B_NS5_IJLi11ELi13EEEES1I_EEENSF_IJS1D_S1E_S18_S1F_S1G_S1B_S1H_S1I_S1J_NS5_IJLi14EEEENS5_IJLi15ELi16ELi17EEEEEEENS5_IJLi15ELi16ELi17ELi14EEEES1M_EENSE_INSF_IJS1S_S1U_ST_S1X_S1Y_ST_SY_S20_ST_S24_S27_EEES2A_S2D_S2E_S1M_EELi16ELi16ELi128ELi128ELi128ELi16ELi16ELi4ELi4ELi16ELb0EE3RunILb1ELNS_10TailNumberE2ENSE_INSF_IJNSG_INSF_IJiiEEENSF_IJiSM_EEELb0EEENSU_IS2L_Lb0EEENSS_IiEEEEENSF_IJS13_NS5_IJLi2EEEENS5_IJLi1EEEEEEENSF_IJNS5_IJLi1ELi2EEEENS5_IJLi3ELi4EEEES16_EEENS5_IJLi3ELi5ELi4EEEElEES1N_NS_35ThreadGroupTensorSliceTransfer_v4r1INS_15ThisThreadBlockILi256EEENS_16tensor_operation12element_wise11PassThroughES34_LNS_25InMemoryDataOperationEnumE0ENS5_IJLi8ELi128ELi16EEEENS5_IJLi8ELi32ELi1EEEENS5_IJLi1ELi0ELi2EEEESC_SC_RKS2Y_KS1N_S38_NS5_IJLi0ELi1ELi2EEEELi2ELi2ELi16ELi16ELi1ELi1ELb0ELb1ELi2EiEENS_13DynamicBufferILNS_16AddressSpaceEnumE1EKSC_lLb1ELNS_22AmdBufferCoherenceEnumE0EiEENS3E_ILS3F_2ESC_S1M_Lb1ELS3H_0EiEENSF_IJiiiEEENSE_INSF_IJNSU_INSF_IJiiiiEEELb0EEENS_23Merge_v2_magic_divisionIS2L_EENSS_INSF_IJiEEEEES2P_EEENSF_IJS13_NS5_IJLi1ELi3EEEES2R_S17_EEENSF_IJNS5_IJLi1ELi2ELi3ELi4EEEES16_S18_S19_EEENS5_IJLi5ELi6ELi7EEEElEES22_NS2Z_IS31_S34_S34_LS35_0ES36_NS5_IJLi4ELi64ELi1EEEES38_SD_SD_RKS3X_KS22_S38_S3C_Li2ELi2ELi16ELi16ELi1ELi1ELb0ELb1ELi2EiEENS3E_ILS3F_1EKSD_lLb1ELS3H_0EiEENS3E_ILS3F_2ESD_S1M_Lb1ELS3H_0EiEES3K_NS_25StaticBufferTupleOfVectorILS3F_4EfLi16ELi4ELb1ELb0EEEEEvRKT1_RKT2_RT3_RKT4_RT5_RKT6_RKT7_RKT8_RT9_RKT10_RT11_RKT12_RT13_iENKUlT_E0_clISM_EEDaS56_ENKUlS56_E_clINSH_IiLi0EEEEEDaS56_ENKUlS56_E1_clIS5B_EEDaS56_EUlS56_E_EEvS56_EUlS56_E_EEvS56_@rel32@lo+4
	s_addc_u32 s5, s5, _ZNK2ck6detail7applierIiJLi0ELi1ELi2ELi3ELi4ELi5ELi6ELi7ELi8ELi9ELi10ELi11ELi12ELi13ELi14ELi15EEEclIZNKS_11static_fordINS_8SequenceIJLi4ELi4EEEENS5_IJLi0ELi1EEEEEclIZZZZNKS_31BlockwiseGemmXdlops_pipeline_v2ILNS_26BlockGemmPipelineSchedulerE1ELi256ENS_9f8_fnuz_tENS_7pk_i4_tESC_fNS_16TensorDescriptorINS_5TupleIJNS_5EmbedINSF_IJNS_17integral_constantIiLi8EEENSH_IiLi128EEENSH_IiLi16EEEEEENSF_IJSK_SJ_NSH_IiLi1EEEEEELb0EEENS_3XorINSF_IJSJ_SI_EEELb1EEENS_11PassThroughISK_EENS_7UnMergeINSF_IJSI_SM_EEELb0EEENSS_ISJ_EEST_NSS_ISI_EENS_21Merge_v3_division_modINSF_IJSJ_SM_EEEEEST_EEENSF_IJNS5_IJLi0EEEENS5_IJLi2ELi1EEEENS5_IJLi3EEEENS5_IJLi5EEEENS5_IJLi4EEEENS5_IJLi6EEEENS5_IJLi7EEEENS5_IJLi9ELi8EEEENS5_IJLi10EEEEEEENSF_IJNS5_IJLi1ELi2ELi3EEEENS5_IJLi4ELi5EEEES18_NS5_IJLi7ELi8EEEENS5_IJLi9EEEES1B_NS5_IJLi11EEEENS5_IJLi12EEEENS5_IJLi13EEEEEEENS5_IJLi11ELi12ELi13EEEENSH_IlLl16384EEEEENSE_INSF_IJNSG_INSF_IJSK_NSH_IiLi64EEESK_EEENSF_IJSK_NSH_IiLi256EEESM_EEELb0EEENSP_INSF_IJS1O_SK_EEELb1EEEST_NSU_INSF_IJSI_NSH_IiLi2EEEEEELb0EEENSS_IS1O_EEST_SY_NSZ_INSF_IJS1O_S1V_EEEEEST_EEES1C_S1K_S1L_S1M_EENSE_INSF_IJSO_SR_ST_SW_SX_ST_SY_S11_ST_NSZ_INSF_IJSI_SK_EEEEENSU_INSF_IJNSH_IiLi4EEES1V_SK_EEELb0EEEEEENSF_IJS13_S14_S15_S16_S17_S18_S19_S1A_S1B_NS5_IJLi11ELi13EEEES1I_EEENSF_IJS1D_S1E_S18_S1F_S1G_S1B_S1H_S1I_S1J_NS5_IJLi14EEEENS5_IJLi15ELi16ELi17EEEEEEENS5_IJLi15ELi16ELi17ELi14EEEES1M_EENSE_INSF_IJS1S_S1U_ST_S1X_S1Y_ST_SY_S20_ST_S24_S27_EEES2A_S2D_S2E_S1M_EELi16ELi16ELi128ELi128ELi128ELi16ELi16ELi4ELi4ELi16ELb0EE3RunILb1ELNS_10TailNumberE2ENSE_INSF_IJNSG_INSF_IJiiEEENSF_IJiSM_EEELb0EEENSU_IS2L_Lb0EEENSS_IiEEEEENSF_IJS13_NS5_IJLi2EEEENS5_IJLi1EEEEEEENSF_IJNS5_IJLi1ELi2EEEENS5_IJLi3ELi4EEEES16_EEENS5_IJLi3ELi5ELi4EEEElEES1N_NS_35ThreadGroupTensorSliceTransfer_v4r1INS_15ThisThreadBlockILi256EEENS_16tensor_operation12element_wise11PassThroughES34_LNS_25InMemoryDataOperationEnumE0ENS5_IJLi8ELi128ELi16EEEENS5_IJLi8ELi32ELi1EEEENS5_IJLi1ELi0ELi2EEEESC_SC_RKS2Y_KS1N_S38_NS5_IJLi0ELi1ELi2EEEELi2ELi2ELi16ELi16ELi1ELi1ELb0ELb1ELi2EiEENS_13DynamicBufferILNS_16AddressSpaceEnumE1EKSC_lLb1ELNS_22AmdBufferCoherenceEnumE0EiEENS3E_ILS3F_2ESC_S1M_Lb1ELS3H_0EiEENSF_IJiiiEEENSE_INSF_IJNSU_INSF_IJiiiiEEELb0EEENS_23Merge_v2_magic_divisionIS2L_EENSS_INSF_IJiEEEEES2P_EEENSF_IJS13_NS5_IJLi1ELi3EEEES2R_S17_EEENSF_IJNS5_IJLi1ELi2ELi3ELi4EEEES16_S18_S19_EEENS5_IJLi5ELi6ELi7EEEElEES22_NS2Z_IS31_S34_S34_LS35_0ES36_NS5_IJLi4ELi64ELi1EEEES38_SD_SD_RKS3X_KS22_S38_S3C_Li2ELi2ELi16ELi16ELi1ELi1ELb0ELb1ELi2EiEENS3E_ILS3F_1EKSD_lLb1ELS3H_0EiEENS3E_ILS3F_2ESD_S1M_Lb1ELS3H_0EiEES3K_NS_25StaticBufferTupleOfVectorILS3F_4EfLi16ELi4ELb1ELb0EEEEEvRKT1_RKT2_RT3_RKT4_RT5_RKT6_RKT7_RKT8_RT9_RKT10_RT11_RKT12_RT13_iENKUlT_E0_clISM_EEDaS56_ENKUlS56_E_clINSH_IiLi0EEEEEDaS56_ENKUlS56_E1_clIS5B_EEDaS56_EUlS56_E_EEvS56_EUlS56_E_EEvS56_@rel32@hi+12
	s_swappc_b64 s[30:31], s[4:5]
	v_mov_b32_e32 v0, s45
	v_mov_b32_e32 v1, s46
	buffer_store_dword v99, off, s[0:3], 0 offset:4
	buffer_store_dword v100, off, s[0:3], 0
	buffer_store_dword v101, off, s[0:3], 0 offset:12
	buffer_store_dword v102, off, s[0:3], 0 offset:8
	;; [unrolled: 1-line block ×8, first 2 shown]
	s_getpc_b64 s[4:5]
	s_add_u32 s4, s4, _ZNK2ck6detail7applierIiJLi0ELi1ELi2ELi3ELi4ELi5ELi6ELi7ELi8ELi9ELi10ELi11ELi12ELi13ELi14ELi15EEEclIZNKS_11static_fordINS_8SequenceIJLi4ELi4EEEENS5_IJLi0ELi1EEEEEclIZZZZNKS_31BlockwiseGemmXdlops_pipeline_v2ILNS_26BlockGemmPipelineSchedulerE1ELi256ENS_9f8_fnuz_tENS_7pk_i4_tESC_fNS_16TensorDescriptorINS_5TupleIJNS_5EmbedINSF_IJNS_17integral_constantIiLi8EEENSH_IiLi128EEENSH_IiLi16EEEEEENSF_IJSK_SJ_NSH_IiLi1EEEEEELb0EEENS_3XorINSF_IJSJ_SI_EEELb1EEENS_11PassThroughISK_EENS_7UnMergeINSF_IJSI_SM_EEELb0EEENSS_ISJ_EEST_NSS_ISI_EENS_21Merge_v3_division_modINSF_IJSJ_SM_EEEEEST_EEENSF_IJNS5_IJLi0EEEENS5_IJLi2ELi1EEEENS5_IJLi3EEEENS5_IJLi5EEEENS5_IJLi4EEEENS5_IJLi6EEEENS5_IJLi7EEEENS5_IJLi9ELi8EEEENS5_IJLi10EEEEEEENSF_IJNS5_IJLi1ELi2ELi3EEEENS5_IJLi4ELi5EEEES18_NS5_IJLi7ELi8EEEENS5_IJLi9EEEES1B_NS5_IJLi11EEEENS5_IJLi12EEEENS5_IJLi13EEEEEEENS5_IJLi11ELi12ELi13EEEENSH_IlLl16384EEEEENSE_INSF_IJNSG_INSF_IJSK_NSH_IiLi64EEESK_EEENSF_IJSK_NSH_IiLi256EEESM_EEELb0EEENSP_INSF_IJS1O_SK_EEELb1EEEST_NSU_INSF_IJSI_NSH_IiLi2EEEEEELb0EEENSS_IS1O_EEST_SY_NSZ_INSF_IJS1O_S1V_EEEEEST_EEES1C_S1K_S1L_S1M_EENSE_INSF_IJSO_SR_ST_SW_SX_ST_SY_S11_ST_NSZ_INSF_IJSI_SK_EEEEENSU_INSF_IJNSH_IiLi4EEES1V_SK_EEELb0EEEEEENSF_IJS13_S14_S15_S16_S17_S18_S19_S1A_S1B_NS5_IJLi11ELi13EEEES1I_EEENSF_IJS1D_S1E_S18_S1F_S1G_S1B_S1H_S1I_S1J_NS5_IJLi14EEEENS5_IJLi15ELi16ELi17EEEEEEENS5_IJLi15ELi16ELi17ELi14EEEES1M_EENSE_INSF_IJS1S_S1U_ST_S1X_S1Y_ST_SY_S20_ST_S24_S27_EEES2A_S2D_S2E_S1M_EELi16ELi16ELi128ELi128ELi128ELi16ELi16ELi4ELi4ELi16ELb0EE3RunILb1ELNS_10TailNumberE2ENSE_INSF_IJNSG_INSF_IJiiEEENSF_IJiSM_EEELb0EEENSU_IS2L_Lb0EEENSS_IiEEEEENSF_IJS13_NS5_IJLi2EEEENS5_IJLi1EEEEEEENSF_IJNS5_IJLi1ELi2EEEENS5_IJLi3ELi4EEEES16_EEENS5_IJLi3ELi5ELi4EEEElEES1N_NS_35ThreadGroupTensorSliceTransfer_v4r1INS_15ThisThreadBlockILi256EEENS_16tensor_operation12element_wise11PassThroughES34_LNS_25InMemoryDataOperationEnumE0ENS5_IJLi8ELi128ELi16EEEENS5_IJLi8ELi32ELi1EEEENS5_IJLi1ELi0ELi2EEEESC_SC_RKS2Y_KS1N_S38_NS5_IJLi0ELi1ELi2EEEELi2ELi2ELi16ELi16ELi1ELi1ELb0ELb1ELi2EiEENS_13DynamicBufferILNS_16AddressSpaceEnumE1EKSC_lLb1ELNS_22AmdBufferCoherenceEnumE0EiEENS3E_ILS3F_2ESC_S1M_Lb1ELS3H_0EiEENSF_IJiiiEEENSE_INSF_IJNSU_INSF_IJiiiiEEELb0EEENS_23Merge_v2_magic_divisionIS2L_EENSS_INSF_IJiEEEEES2P_EEENSF_IJS13_NS5_IJLi1ELi3EEEES2R_S17_EEENSF_IJNS5_IJLi1ELi2ELi3ELi4EEEES16_S18_S19_EEENS5_IJLi5ELi6ELi7EEEElEES22_NS2Z_IS31_S34_S34_LS35_0ES36_NS5_IJLi4ELi64ELi1EEEES38_SD_SD_RKS3X_KS22_S38_S3C_Li2ELi2ELi16ELi16ELi1ELi1ELb0ELb1ELi2EiEENS3E_ILS3F_1EKSD_lLb1ELS3H_0EiEENS3E_ILS3F_2ESD_S1M_Lb1ELS3H_0EiEES3K_NS_25StaticBufferTupleOfVectorILS3F_4EfLi16ELi4ELb1ELb0EEEEEvRKT1_RKT2_RT3_RKT4_RT5_RKT6_RKT7_RKT8_RT9_RKT10_RT11_RKT12_RT13_iENKUlT_E0_clISM_EEDaS56_ENKUlS56_E_clINSH_IiLi0EEEEEDaS56_ENKUlS56_E1_clISK_EEDaS56_EUlS56_E_EEvS56_EUlS56_E_EEvS56_@rel32@lo+4
	s_addc_u32 s5, s5, _ZNK2ck6detail7applierIiJLi0ELi1ELi2ELi3ELi4ELi5ELi6ELi7ELi8ELi9ELi10ELi11ELi12ELi13ELi14ELi15EEEclIZNKS_11static_fordINS_8SequenceIJLi4ELi4EEEENS5_IJLi0ELi1EEEEEclIZZZZNKS_31BlockwiseGemmXdlops_pipeline_v2ILNS_26BlockGemmPipelineSchedulerE1ELi256ENS_9f8_fnuz_tENS_7pk_i4_tESC_fNS_16TensorDescriptorINS_5TupleIJNS_5EmbedINSF_IJNS_17integral_constantIiLi8EEENSH_IiLi128EEENSH_IiLi16EEEEEENSF_IJSK_SJ_NSH_IiLi1EEEEEELb0EEENS_3XorINSF_IJSJ_SI_EEELb1EEENS_11PassThroughISK_EENS_7UnMergeINSF_IJSI_SM_EEELb0EEENSS_ISJ_EEST_NSS_ISI_EENS_21Merge_v3_division_modINSF_IJSJ_SM_EEEEEST_EEENSF_IJNS5_IJLi0EEEENS5_IJLi2ELi1EEEENS5_IJLi3EEEENS5_IJLi5EEEENS5_IJLi4EEEENS5_IJLi6EEEENS5_IJLi7EEEENS5_IJLi9ELi8EEEENS5_IJLi10EEEEEEENSF_IJNS5_IJLi1ELi2ELi3EEEENS5_IJLi4ELi5EEEES18_NS5_IJLi7ELi8EEEENS5_IJLi9EEEES1B_NS5_IJLi11EEEENS5_IJLi12EEEENS5_IJLi13EEEEEEENS5_IJLi11ELi12ELi13EEEENSH_IlLl16384EEEEENSE_INSF_IJNSG_INSF_IJSK_NSH_IiLi64EEESK_EEENSF_IJSK_NSH_IiLi256EEESM_EEELb0EEENSP_INSF_IJS1O_SK_EEELb1EEEST_NSU_INSF_IJSI_NSH_IiLi2EEEEEELb0EEENSS_IS1O_EEST_SY_NSZ_INSF_IJS1O_S1V_EEEEEST_EEES1C_S1K_S1L_S1M_EENSE_INSF_IJSO_SR_ST_SW_SX_ST_SY_S11_ST_NSZ_INSF_IJSI_SK_EEEEENSU_INSF_IJNSH_IiLi4EEES1V_SK_EEELb0EEEEEENSF_IJS13_S14_S15_S16_S17_S18_S19_S1A_S1B_NS5_IJLi11ELi13EEEES1I_EEENSF_IJS1D_S1E_S18_S1F_S1G_S1B_S1H_S1I_S1J_NS5_IJLi14EEEENS5_IJLi15ELi16ELi17EEEEEEENS5_IJLi15ELi16ELi17ELi14EEEES1M_EENSE_INSF_IJS1S_S1U_ST_S1X_S1Y_ST_SY_S20_ST_S24_S27_EEES2A_S2D_S2E_S1M_EELi16ELi16ELi128ELi128ELi128ELi16ELi16ELi4ELi4ELi16ELb0EE3RunILb1ELNS_10TailNumberE2ENSE_INSF_IJNSG_INSF_IJiiEEENSF_IJiSM_EEELb0EEENSU_IS2L_Lb0EEENSS_IiEEEEENSF_IJS13_NS5_IJLi2EEEENS5_IJLi1EEEEEEENSF_IJNS5_IJLi1ELi2EEEENS5_IJLi3ELi4EEEES16_EEENS5_IJLi3ELi5ELi4EEEElEES1N_NS_35ThreadGroupTensorSliceTransfer_v4r1INS_15ThisThreadBlockILi256EEENS_16tensor_operation12element_wise11PassThroughES34_LNS_25InMemoryDataOperationEnumE0ENS5_IJLi8ELi128ELi16EEEENS5_IJLi8ELi32ELi1EEEENS5_IJLi1ELi0ELi2EEEESC_SC_RKS2Y_KS1N_S38_NS5_IJLi0ELi1ELi2EEEELi2ELi2ELi16ELi16ELi1ELi1ELb0ELb1ELi2EiEENS_13DynamicBufferILNS_16AddressSpaceEnumE1EKSC_lLb1ELNS_22AmdBufferCoherenceEnumE0EiEENS3E_ILS3F_2ESC_S1M_Lb1ELS3H_0EiEENSF_IJiiiEEENSE_INSF_IJNSU_INSF_IJiiiiEEELb0EEENS_23Merge_v2_magic_divisionIS2L_EENSS_INSF_IJiEEEEES2P_EEENSF_IJS13_NS5_IJLi1ELi3EEEES2R_S17_EEENSF_IJNS5_IJLi1ELi2ELi3ELi4EEEES16_S18_S19_EEENS5_IJLi5ELi6ELi7EEEElEES22_NS2Z_IS31_S34_S34_LS35_0ES36_NS5_IJLi4ELi64ELi1EEEES38_SD_SD_RKS3X_KS22_S38_S3C_Li2ELi2ELi16ELi16ELi1ELi1ELb0ELb1ELi2EiEENS3E_ILS3F_1EKSD_lLb1ELS3H_0EiEENS3E_ILS3F_2ESD_S1M_Lb1ELS3H_0EiEES3K_NS_25StaticBufferTupleOfVectorILS3F_4EfLi16ELi4ELb1ELb0EEEEEvRKT1_RKT2_RT3_RKT4_RT5_RKT6_RKT7_RKT8_RT9_RKT10_RT11_RKT12_RT13_iENKUlT_E0_clISM_EEDaS56_ENKUlS56_E_clINSH_IiLi0EEEEEDaS56_ENKUlS56_E1_clISK_EEDaS56_EUlS56_E_EEvS56_EUlS56_E_EEvS56_@rel32@hi+12
	s_swappc_b64 s[30:31], s[4:5]
	; sched_barrier mask(0x00000000)
	s_setprio 0
	; sched_barrier mask(0x00000000)
	v_add_u32_e32 v0, -16, v20
	v_add_u32_e32 v1, -16, v21
	v_sub_u32_e32 v4, v111, v111
	v_add_u32_e32 v2, -16, v22
	v_lshrrev_b32_e32 v3, 31, v56
	buffer_load_dwordx4 v[20:23], v57, s[24:27], 0 offen
	buffer_load_dwordx4 v[24:27], v0, s[24:27], 0 offen
	;; [unrolled: 1-line block ×4, first 2 shown]
	v_mad_u64_u32 v[0:1], s[4:5], v4, s44, v[56:57]
	v_add_u32_e32 v2, v56, v3
	v_mul_lo_u32 v1, v4, s44
	v_add_u32_e32 v3, 16, v0
	v_add_u32_e32 v0, 0x90, v0
	v_ashrrev_i32_e32 v2, 1, v2
	v_lshrrev_b32_e32 v4, 31, v3
	v_add3_u32 v1, v1, v0, -16
	v_lshrrev_b32_e32 v5, 31, v0
	buffer_load_dwordx2 v[62:63], v2, s[36:39], 0 offen
	v_add_u32_e32 v2, v3, v4
	v_lshrrev_b32_e32 v3, 31, v1
	v_add_u32_e32 v0, v0, v5
	v_ashrrev_i32_e32 v2, 1, v2
	v_add_u32_e32 v3, v1, v3
	v_ashrrev_i32_e32 v0, 1, v0
	v_ashrrev_i32_e32 v3, 1, v3
	buffer_load_dwordx2 v[56:57], v2, s[36:39], 0 offen
	buffer_load_dwordx2 v[58:59], v0, s[36:39], 0 offen
	;; [unrolled: 1-line block ×3, first 2 shown]
	v_add_u32_e32 v0, v112, v95
	v_add3_u32 v2, v113, v77, v78
	v_and_b32_e32 v3, 0xff000000, v71
	v_and_b32_e32 v4, 0xff0000, v71
	v_lshrrev_b32_e32 v7, 31, v114
	v_add_u32_e32 v8, v114, v79
	v_and_b32_e32 v9, 0xff000000, v69
	v_and_b32_e32 v10, 0xff0000, v69
	;; [unrolled: 1-line block ×8, first 2 shown]
	v_add_u32_e64 v69, 4, s23
	ds_write_b128 v0, v[48:51] offset:128
	v_add_u32_e32 v49, v0, v76
	v_add3_u32 v0, v0, v77, v78
	v_add3_u32 v48, v2, v94, v95
	v_or_b32_e32 v2, v4, v3
	v_add_u32_e32 v3, v114, v7
	v_or_b32_e32 v4, v10, v9
	v_lshrrev_b32_e32 v7, 31, v8
	v_add_u32_e32 v9, v8, v81
	v_or_b32_e32 v10, v14, v13
	v_sub_u32_e32 v14, v69, v111
	ds_write_b128 v49, v[40:43] offset:256
	ds_write_b128 v0, v[44:47] offset:128
	v_add_u32_e32 v0, v0, v94
	v_or3_b32 v71, v2, v5, v6
	v_ashrrev_i32_e32 v2, 1, v3
	v_or3_b32 v69, v4, v11, v12
	v_add_u32_e32 v3, v8, v7
	v_lshrrev_b32_e32 v4, 31, v9
	v_add_u32_e32 v5, v9, v84
	v_and_b32_e32 v15, 0xff00, v67
	v_and_b32_e32 v16, 0xff, v67
	;; [unrolled: 1-line block ×4, first 2 shown]
	ds_write_b128 v0, v[36:39] offset:128
	ds_write_b64 v2, v[70:71] offset:16384
	v_ashrrev_i32_e32 v0, 1, v3
	v_add_u32_e32 v2, v9, v4
	v_lshrrev_b32_e32 v3, 31, v5
	v_and_b32_e32 v109, 0xff00, v65
	v_and_b32_e32 v65, 0xff, v65
	v_add_u32_e32 v92, 16, v92
	s_add_i32 s23, s23, 2
	s_addk_i32 s19, 0xff00
	s_addk_i32 s48, 0x100
	v_or_b32_e32 v13, v67, v17
	v_or3_b32 v67, v10, v15, v16
	v_mul_lo_u32 v6, v14, s44
	ds_write_b64 v0, v[68:69] offset:16384
	v_ashrrev_i32_e32 v0, 1, v2
	v_add_u32_e32 v2, v5, v3
	v_add_u32_e32 v97, 2, v97
	;; [unrolled: 1-line block ×3, first 2 shown]
	v_lshrrev_b32_e32 v110, 3, v92
	s_cmp_lt_i32 s23, s47
	v_or3_b32 v65, v13, v109, v65
	v_add_u32_e32 v36, v5, v96
	v_add3_u32 v109, v6, v1, s18
	ds_write_b64 v0, v[66:67] offset:16384
	v_ashrrev_i32_e32 v0, 1, v2
	ds_write_b64 v0, v[64:65] offset:16384
	s_cbranch_scc1 .LBB17_12
; %bb.13:
	s_waitcnt lgkmcnt(0)
	s_barrier
	ds_read_b128 v[0:3], v75
	ds_read_b128 v[4:7], v91 offset:8192
	ds_read_b128 v[8:11], v93
	s_lshl_b64 s[4:5], s[34:35], 1
	s_add_u32 s24, s28, s4
	s_waitcnt lgkmcnt(2)
	buffer_store_dword v0, off, s[0:3], 0 offset:44
	buffer_store_dword v1, off, s[0:3], 0 offset:48
	;; [unrolled: 1-line block ×4, first 2 shown]
	ds_read_b128 v[0:3], v55 offset:4096
	s_waitcnt lgkmcnt(1)
	buffer_store_dword v8, off, s[0:3], 0 offset:60
	buffer_store_dword v9, off, s[0:3], 0 offset:64
	;; [unrolled: 1-line block ×4, first 2 shown]
	ds_read_b128 v[8:11], v53 offset:4096
	s_waitcnt lgkmcnt(1)
	buffer_store_dword v0, off, s[0:3], 0 offset:76
	buffer_store_dword v1, off, s[0:3], 0 offset:80
	;; [unrolled: 1-line block ×4, first 2 shown]
	s_waitcnt lgkmcnt(0)
	buffer_store_dword v8, off, s[0:3], 0 offset:92
	buffer_store_dword v9, off, s[0:3], 0 offset:96
	;; [unrolled: 1-line block ×5, first 2 shown]
	ds_read_b128 v[0:3], v90 offset:8192
	buffer_store_dword v5, off, s[0:3], 0 offset:112
	buffer_store_dword v6, off, s[0:3], 0 offset:116
	;; [unrolled: 1-line block ×3, first 2 shown]
	ds_read_b128 v[4:7], v91 offset:12288
	s_waitcnt lgkmcnt(1)
	buffer_store_dword v0, off, s[0:3], 0 offset:124
	buffer_store_dword v1, off, s[0:3], 0 offset:128
	;; [unrolled: 1-line block ×4, first 2 shown]
	s_waitcnt lgkmcnt(0)
	buffer_store_dword v4, off, s[0:3], 0 offset:140
	ds_read_b128 v[0:3], v90 offset:12288
	buffer_store_dword v5, off, s[0:3], 0 offset:144
	buffer_store_dword v6, off, s[0:3], 0 offset:148
	;; [unrolled: 1-line block ×3, first 2 shown]
	ds_read_b64 v[4:5], v89 offset:16384
	s_waitcnt lgkmcnt(1)
	buffer_store_dword v0, off, s[0:3], 0 offset:156
	buffer_store_dword v1, off, s[0:3], 0 offset:160
	buffer_store_dword v2, off, s[0:3], 0 offset:164
	buffer_store_dword v3, off, s[0:3], 0 offset:168
	s_waitcnt lgkmcnt(0)
	;;#ASMSTART
	v_cvt_off_f32_i4 v0, v4
v_cvt_off_f32_i4 v1, v4, src0_sel:BYTE_2
v_cvt_pk_fp8_f32 v3, v0, v1
v_cvt_off_f32_i4 v0, v4, src0_sel:BYTE_1
v_cvt_off_f32_i4 v1, v4, src0_sel:BYTE_3
v_cvt_pk_fp8_f32 v6, v0, v1
v_lshrrev_b32 v2, 4, v4
v_cvt_off_f32_i4 v0, v2
v_cvt_off_f32_i4 v1, v2, src0_sel:BYTE_2
v_cvt_pk_fp8_f32 v3, v0, v1, op_sel:[0, 0, 1]
v_cvt_off_f32_i4 v0, v2, src0_sel:BYTE_1
v_cvt_off_f32_i4 v1, v2, src0_sel:BYTE_3
v_cvt_pk_fp8_f32 v6, v0, v1, op_sel:[0, 0, 1]

	;;#ASMEND
	;;#ASMSTART
	v_cvt_off_f32_i4 v0, v5
v_cvt_off_f32_i4 v1, v5, src0_sel:BYTE_2
v_cvt_pk_fp8_f32 v4, v0, v1
v_cvt_off_f32_i4 v0, v5, src0_sel:BYTE_1
v_cvt_off_f32_i4 v1, v5, src0_sel:BYTE_3
v_cvt_pk_fp8_f32 v7, v0, v1
v_lshrrev_b32 v2, 4, v5
v_cvt_off_f32_i4 v0, v2
v_cvt_off_f32_i4 v1, v2, src0_sel:BYTE_2
v_cvt_pk_fp8_f32 v4, v0, v1, op_sel:[0, 0, 1]
v_cvt_off_f32_i4 v0, v2, src0_sel:BYTE_1
v_cvt_off_f32_i4 v1, v2, src0_sel:BYTE_3
v_cvt_pk_fp8_f32 v7, v0, v1, op_sel:[0, 0, 1]

	;;#ASMEND
	ds_read_b64 v[0:1], v87 offset:16384
	buffer_store_dword v3, off, s[0:3], 0 offset:172
	buffer_store_dword v6, off, s[0:3], 0 offset:176
	buffer_store_dword v4, off, s[0:3], 0 offset:180
	buffer_store_dword v7, off, s[0:3], 0 offset:184
	s_waitcnt lgkmcnt(0)
	;;#ASMSTART
	v_cvt_off_f32_i4 v2, v0
v_cvt_off_f32_i4 v3, v0, src0_sel:BYTE_2
v_cvt_pk_fp8_f32 v5, v2, v3
v_cvt_off_f32_i4 v2, v0, src0_sel:BYTE_1
v_cvt_off_f32_i4 v3, v0, src0_sel:BYTE_3
v_cvt_pk_fp8_f32 v6, v2, v3
v_lshrrev_b32 v4, 4, v0
v_cvt_off_f32_i4 v2, v4
v_cvt_off_f32_i4 v3, v4, src0_sel:BYTE_2
v_cvt_pk_fp8_f32 v5, v2, v3, op_sel:[0, 0, 1]
v_cvt_off_f32_i4 v2, v4, src0_sel:BYTE_1
v_cvt_off_f32_i4 v3, v4, src0_sel:BYTE_3
v_cvt_pk_fp8_f32 v6, v2, v3, op_sel:[0, 0, 1]

	;;#ASMEND
	;;#ASMSTART
	v_cvt_off_f32_i4 v0, v1
v_cvt_off_f32_i4 v2, v1, src0_sel:BYTE_2
v_cvt_pk_fp8_f32 v4, v0, v2
v_cvt_off_f32_i4 v0, v1, src0_sel:BYTE_1
v_cvt_off_f32_i4 v2, v1, src0_sel:BYTE_3
v_cvt_pk_fp8_f32 v7, v0, v2
v_lshrrev_b32 v3, 4, v1
v_cvt_off_f32_i4 v0, v3
v_cvt_off_f32_i4 v2, v3, src0_sel:BYTE_2
v_cvt_pk_fp8_f32 v4, v0, v2, op_sel:[0, 0, 1]
v_cvt_off_f32_i4 v0, v3, src0_sel:BYTE_1
v_cvt_off_f32_i4 v2, v3, src0_sel:BYTE_3
v_cvt_pk_fp8_f32 v7, v0, v2, op_sel:[0, 0, 1]

	;;#ASMEND
	ds_read_b64 v[0:1], v88 offset:16384
	;; [unrolled: 38-line block ×7, first 2 shown]
	s_mul_i32 s43, s43, s21
	s_mul_hi_u32 s23, s42, s21
	buffer_store_dword v5, off, s[0:3], 0 offset:268
	buffer_store_dword v6, off, s[0:3], 0 offset:272
	;; [unrolled: 1-line block ×4, first 2 shown]
	s_waitcnt lgkmcnt(0)
	;;#ASMSTART
	v_cvt_off_f32_i4 v2, v0
v_cvt_off_f32_i4 v3, v0, src0_sel:BYTE_2
v_cvt_pk_fp8_f32 v5, v2, v3
v_cvt_off_f32_i4 v2, v0, src0_sel:BYTE_1
v_cvt_off_f32_i4 v3, v0, src0_sel:BYTE_3
v_cvt_pk_fp8_f32 v6, v2, v3
v_lshrrev_b32 v4, 4, v0
v_cvt_off_f32_i4 v2, v4
v_cvt_off_f32_i4 v3, v4, src0_sel:BYTE_2
v_cvt_pk_fp8_f32 v5, v2, v3, op_sel:[0, 0, 1]
v_cvt_off_f32_i4 v2, v4, src0_sel:BYTE_1
v_cvt_off_f32_i4 v3, v4, src0_sel:BYTE_3
v_cvt_pk_fp8_f32 v6, v2, v3, op_sel:[0, 0, 1]

	;;#ASMEND
	s_addc_u32 s25, s29, s5
	s_add_i32 s23, s23, s43
	s_mov_b64 s[18:19], src_private_base
	;;#ASMSTART
	v_cvt_off_f32_i4 v0, v1
v_cvt_off_f32_i4 v2, v1, src0_sel:BYTE_2
v_cvt_pk_fp8_f32 v4, v0, v2
v_cvt_off_f32_i4 v0, v1, src0_sel:BYTE_1
v_cvt_off_f32_i4 v2, v1, src0_sel:BYTE_3
v_cvt_pk_fp8_f32 v7, v0, v2
v_lshrrev_b32 v3, 4, v1
v_cvt_off_f32_i4 v0, v3
v_cvt_off_f32_i4 v2, v3, src0_sel:BYTE_2
v_cvt_pk_fp8_f32 v4, v0, v2, op_sel:[0, 0, 1]
v_cvt_off_f32_i4 v0, v3, src0_sel:BYTE_1
v_cvt_off_f32_i4 v2, v3, src0_sel:BYTE_3
v_cvt_pk_fp8_f32 v7, v0, v2, op_sel:[0, 0, 1]

	;;#ASMEND
	buffer_store_dword v5, off, s[0:3], 0 offset:284
	buffer_store_dword v6, off, s[0:3], 0 offset:288
	;; [unrolled: 1-line block ×4, first 2 shown]
	; sched_barrier mask(0x00000000)
	s_barrier
	; sched_barrier mask(0x00000000)
	s_waitcnt vmcnt(62)
	v_mov_b32_e32 v20, s19
	v_mov_b32_e32 v21, 40
	;; [unrolled: 1-line block ×11, first 2 shown]
	buffer_store_dword v20, off, s[0:3], 0 offset:4
	buffer_store_dword v21, off, s[0:3], 0
	buffer_store_dword v22, off, s[0:3], 0 offset:12
	buffer_store_dword v23, off, s[0:3], 0 offset:8
	;; [unrolled: 1-line block ×8, first 2 shown]
	s_getpc_b64 s[4:5]
	s_add_u32 s4, s4, _ZNK2ck6detail7applierIiJLi0ELi1ELi2ELi3ELi4ELi5ELi6ELi7ELi8ELi9ELi10ELi11ELi12ELi13ELi14ELi15EEEclIZNKS_11static_fordINS_8SequenceIJLi4ELi4EEEENS5_IJLi0ELi1EEEEEclIZZZNKS_31BlockwiseGemmXdlops_pipeline_v2ILNS_26BlockGemmPipelineSchedulerE1ELi256ENS_9f8_fnuz_tENS_7pk_i4_tESC_fNS_16TensorDescriptorINS_5TupleIJNS_5EmbedINSF_IJNS_17integral_constantIiLi8EEENSH_IiLi128EEENSH_IiLi16EEEEEENSF_IJSK_SJ_NSH_IiLi1EEEEEELb0EEENS_3XorINSF_IJSJ_SI_EEELb1EEENS_11PassThroughISK_EENS_7UnMergeINSF_IJSI_SM_EEELb0EEENSS_ISJ_EEST_NSS_ISI_EENS_21Merge_v3_division_modINSF_IJSJ_SM_EEEEEST_EEENSF_IJNS5_IJLi0EEEENS5_IJLi2ELi1EEEENS5_IJLi3EEEENS5_IJLi5EEEENS5_IJLi4EEEENS5_IJLi6EEEENS5_IJLi7EEEENS5_IJLi9ELi8EEEENS5_IJLi10EEEEEEENSF_IJNS5_IJLi1ELi2ELi3EEEENS5_IJLi4ELi5EEEES18_NS5_IJLi7ELi8EEEENS5_IJLi9EEEES1B_NS5_IJLi11EEEENS5_IJLi12EEEENS5_IJLi13EEEEEEENS5_IJLi11ELi12ELi13EEEENSH_IlLl16384EEEEENSE_INSF_IJNSG_INSF_IJSK_NSH_IiLi64EEESK_EEENSF_IJSK_NSH_IiLi256EEESM_EEELb0EEENSP_INSF_IJS1O_SK_EEELb1EEEST_NSU_INSF_IJSI_NSH_IiLi2EEEEEELb0EEENSS_IS1O_EEST_SY_NSZ_INSF_IJS1O_S1V_EEEEEST_EEES1C_S1K_S1L_S1M_EENSE_INSF_IJSO_SR_ST_SW_SX_ST_SY_S11_ST_NSZ_INSF_IJSI_SK_EEEEENSU_INSF_IJNSH_IiLi4EEES1V_SK_EEELb0EEEEEENSF_IJS13_S14_S15_S16_S17_S18_S19_S1A_S1B_NS5_IJLi11ELi13EEEES1I_EEENSF_IJS1D_S1E_S18_S1F_S1G_S1B_S1H_S1I_S1J_NS5_IJLi14EEEENS5_IJLi15ELi16ELi17EEEEEEENS5_IJLi15ELi16ELi17ELi14EEEES1M_EENSE_INSF_IJS1S_S1U_ST_S1X_S1Y_ST_SY_S20_ST_S24_S27_EEES2A_S2D_S2E_S1M_EELi16ELi16ELi128ELi128ELi128ELi16ELi16ELi4ELi4ELi16ELb0EE3RunILb1ELNS_10TailNumberE2ENSE_INSF_IJNSG_INSF_IJiiEEENSF_IJiSM_EEELb0EEENSU_IS2L_Lb0EEENSS_IiEEEEENSF_IJS13_NS5_IJLi2EEEENS5_IJLi1EEEEEEENSF_IJNS5_IJLi1ELi2EEEENS5_IJLi3ELi4EEEES16_EEENS5_IJLi3ELi5ELi4EEEElEES1N_NS_35ThreadGroupTensorSliceTransfer_v4r1INS_15ThisThreadBlockILi256EEENS_16tensor_operation12element_wise11PassThroughES34_LNS_25InMemoryDataOperationEnumE0ENS5_IJLi8ELi128ELi16EEEENS5_IJLi8ELi32ELi1EEEENS5_IJLi1ELi0ELi2EEEESC_SC_RKS2Y_KS1N_S38_NS5_IJLi0ELi1ELi2EEEELi2ELi2ELi16ELi16ELi1ELi1ELb0ELb1ELi2EiEENS_13DynamicBufferILNS_16AddressSpaceEnumE1EKSC_lLb1ELNS_22AmdBufferCoherenceEnumE0EiEENS3E_ILS3F_2ESC_S1M_Lb1ELS3H_0EiEENSF_IJiiiEEENSE_INSF_IJNSU_INSF_IJiiiiEEELb0EEENS_23Merge_v2_magic_divisionIS2L_EENSS_INSF_IJiEEEEES2P_EEENSF_IJS13_NS5_IJLi1ELi3EEEES2R_S17_EEENSF_IJNS5_IJLi1ELi2ELi3ELi4EEEES16_S18_S19_EEENS5_IJLi5ELi6ELi7EEEElEES22_NS2Z_IS31_S34_S34_LS35_0ES36_NS5_IJLi4ELi64ELi1EEEES38_SD_SD_RKS3X_KS22_S38_S3C_Li2ELi2ELi16ELi16ELi1ELi1ELb0ELb1ELi2EiEENS3E_ILS3F_1EKSD_lLb1ELS3H_0EiEENS3E_ILS3F_2ESD_S1M_Lb1ELS3H_0EiEES3K_NS_25StaticBufferTupleOfVectorILS3F_4EfLi16ELi4ELb1ELb0EEEEEvRKT1_RKT2_RT3_RKT4_RT5_RKT6_RKT7_RKT8_RT9_RKT10_RT11_RKT12_RT13_iENKUlT_E2_clINSH_IiLi0EEEEEDaS56_ENKUlS56_E1_clIS59_EEDaS56_EUlS56_E_EEvS56_EUlS56_E_EEvS56_@rel32@lo+4
	s_addc_u32 s5, s5, _ZNK2ck6detail7applierIiJLi0ELi1ELi2ELi3ELi4ELi5ELi6ELi7ELi8ELi9ELi10ELi11ELi12ELi13ELi14ELi15EEEclIZNKS_11static_fordINS_8SequenceIJLi4ELi4EEEENS5_IJLi0ELi1EEEEEclIZZZNKS_31BlockwiseGemmXdlops_pipeline_v2ILNS_26BlockGemmPipelineSchedulerE1ELi256ENS_9f8_fnuz_tENS_7pk_i4_tESC_fNS_16TensorDescriptorINS_5TupleIJNS_5EmbedINSF_IJNS_17integral_constantIiLi8EEENSH_IiLi128EEENSH_IiLi16EEEEEENSF_IJSK_SJ_NSH_IiLi1EEEEEELb0EEENS_3XorINSF_IJSJ_SI_EEELb1EEENS_11PassThroughISK_EENS_7UnMergeINSF_IJSI_SM_EEELb0EEENSS_ISJ_EEST_NSS_ISI_EENS_21Merge_v3_division_modINSF_IJSJ_SM_EEEEEST_EEENSF_IJNS5_IJLi0EEEENS5_IJLi2ELi1EEEENS5_IJLi3EEEENS5_IJLi5EEEENS5_IJLi4EEEENS5_IJLi6EEEENS5_IJLi7EEEENS5_IJLi9ELi8EEEENS5_IJLi10EEEEEEENSF_IJNS5_IJLi1ELi2ELi3EEEENS5_IJLi4ELi5EEEES18_NS5_IJLi7ELi8EEEENS5_IJLi9EEEES1B_NS5_IJLi11EEEENS5_IJLi12EEEENS5_IJLi13EEEEEEENS5_IJLi11ELi12ELi13EEEENSH_IlLl16384EEEEENSE_INSF_IJNSG_INSF_IJSK_NSH_IiLi64EEESK_EEENSF_IJSK_NSH_IiLi256EEESM_EEELb0EEENSP_INSF_IJS1O_SK_EEELb1EEEST_NSU_INSF_IJSI_NSH_IiLi2EEEEEELb0EEENSS_IS1O_EEST_SY_NSZ_INSF_IJS1O_S1V_EEEEEST_EEES1C_S1K_S1L_S1M_EENSE_INSF_IJSO_SR_ST_SW_SX_ST_SY_S11_ST_NSZ_INSF_IJSI_SK_EEEEENSU_INSF_IJNSH_IiLi4EEES1V_SK_EEELb0EEEEEENSF_IJS13_S14_S15_S16_S17_S18_S19_S1A_S1B_NS5_IJLi11ELi13EEEES1I_EEENSF_IJS1D_S1E_S18_S1F_S1G_S1B_S1H_S1I_S1J_NS5_IJLi14EEEENS5_IJLi15ELi16ELi17EEEEEEENS5_IJLi15ELi16ELi17ELi14EEEES1M_EENSE_INSF_IJS1S_S1U_ST_S1X_S1Y_ST_SY_S20_ST_S24_S27_EEES2A_S2D_S2E_S1M_EELi16ELi16ELi128ELi128ELi128ELi16ELi16ELi4ELi4ELi16ELb0EE3RunILb1ELNS_10TailNumberE2ENSE_INSF_IJNSG_INSF_IJiiEEENSF_IJiSM_EEELb0EEENSU_IS2L_Lb0EEENSS_IiEEEEENSF_IJS13_NS5_IJLi2EEEENS5_IJLi1EEEEEEENSF_IJNS5_IJLi1ELi2EEEENS5_IJLi3ELi4EEEES16_EEENS5_IJLi3ELi5ELi4EEEElEES1N_NS_35ThreadGroupTensorSliceTransfer_v4r1INS_15ThisThreadBlockILi256EEENS_16tensor_operation12element_wise11PassThroughES34_LNS_25InMemoryDataOperationEnumE0ENS5_IJLi8ELi128ELi16EEEENS5_IJLi8ELi32ELi1EEEENS5_IJLi1ELi0ELi2EEEESC_SC_RKS2Y_KS1N_S38_NS5_IJLi0ELi1ELi2EEEELi2ELi2ELi16ELi16ELi1ELi1ELb0ELb1ELi2EiEENS_13DynamicBufferILNS_16AddressSpaceEnumE1EKSC_lLb1ELNS_22AmdBufferCoherenceEnumE0EiEENS3E_ILS3F_2ESC_S1M_Lb1ELS3H_0EiEENSF_IJiiiEEENSE_INSF_IJNSU_INSF_IJiiiiEEELb0EEENS_23Merge_v2_magic_divisionIS2L_EENSS_INSF_IJiEEEEES2P_EEENSF_IJS13_NS5_IJLi1ELi3EEEES2R_S17_EEENSF_IJNS5_IJLi1ELi2ELi3ELi4EEEES16_S18_S19_EEENS5_IJLi5ELi6ELi7EEEElEES22_NS2Z_IS31_S34_S34_LS35_0ES36_NS5_IJLi4ELi64ELi1EEEES38_SD_SD_RKS3X_KS22_S38_S3C_Li2ELi2ELi16ELi16ELi1ELi1ELb0ELb1ELi2EiEENS3E_ILS3F_1EKSD_lLb1ELS3H_0EiEENS3E_ILS3F_2ESD_S1M_Lb1ELS3H_0EiEES3K_NS_25StaticBufferTupleOfVectorILS3F_4EfLi16ELi4ELb1ELb0EEEEEvRKT1_RKT2_RT3_RKT4_RT5_RKT6_RKT7_RKT8_RT9_RKT10_RT11_RKT12_RT13_iENKUlT_E2_clINSH_IiLi0EEEEEDaS56_ENKUlS56_E1_clIS59_EEDaS56_EUlS56_E_EEvS56_EUlS56_E_EEvS56_@rel32@hi+12
	s_swappc_b64 s[30:31], s[4:5]
	v_mov_b32_e32 v0, 0
	v_mov_b32_e32 v1, s19
	buffer_store_dword v20, off, s[0:3], 0 offset:4
	buffer_store_dword v21, off, s[0:3], 0
	buffer_store_dword v22, off, s[0:3], 0 offset:12
	buffer_store_dword v23, off, s[0:3], 0 offset:8
	;; [unrolled: 1-line block ×8, first 2 shown]
	s_getpc_b64 s[4:5]
	s_add_u32 s4, s4, _ZNK2ck6detail7applierIiJLi0ELi1ELi2ELi3ELi4ELi5ELi6ELi7ELi8ELi9ELi10ELi11ELi12ELi13ELi14ELi15EEEclIZNKS_11static_fordINS_8SequenceIJLi4ELi4EEEENS5_IJLi0ELi1EEEEEclIZZZNKS_31BlockwiseGemmXdlops_pipeline_v2ILNS_26BlockGemmPipelineSchedulerE1ELi256ENS_9f8_fnuz_tENS_7pk_i4_tESC_fNS_16TensorDescriptorINS_5TupleIJNS_5EmbedINSF_IJNS_17integral_constantIiLi8EEENSH_IiLi128EEENSH_IiLi16EEEEEENSF_IJSK_SJ_NSH_IiLi1EEEEEELb0EEENS_3XorINSF_IJSJ_SI_EEELb1EEENS_11PassThroughISK_EENS_7UnMergeINSF_IJSI_SM_EEELb0EEENSS_ISJ_EEST_NSS_ISI_EENS_21Merge_v3_division_modINSF_IJSJ_SM_EEEEEST_EEENSF_IJNS5_IJLi0EEEENS5_IJLi2ELi1EEEENS5_IJLi3EEEENS5_IJLi5EEEENS5_IJLi4EEEENS5_IJLi6EEEENS5_IJLi7EEEENS5_IJLi9ELi8EEEENS5_IJLi10EEEEEEENSF_IJNS5_IJLi1ELi2ELi3EEEENS5_IJLi4ELi5EEEES18_NS5_IJLi7ELi8EEEENS5_IJLi9EEEES1B_NS5_IJLi11EEEENS5_IJLi12EEEENS5_IJLi13EEEEEEENS5_IJLi11ELi12ELi13EEEENSH_IlLl16384EEEEENSE_INSF_IJNSG_INSF_IJSK_NSH_IiLi64EEESK_EEENSF_IJSK_NSH_IiLi256EEESM_EEELb0EEENSP_INSF_IJS1O_SK_EEELb1EEEST_NSU_INSF_IJSI_NSH_IiLi2EEEEEELb0EEENSS_IS1O_EEST_SY_NSZ_INSF_IJS1O_S1V_EEEEEST_EEES1C_S1K_S1L_S1M_EENSE_INSF_IJSO_SR_ST_SW_SX_ST_SY_S11_ST_NSZ_INSF_IJSI_SK_EEEEENSU_INSF_IJNSH_IiLi4EEES1V_SK_EEELb0EEEEEENSF_IJS13_S14_S15_S16_S17_S18_S19_S1A_S1B_NS5_IJLi11ELi13EEEES1I_EEENSF_IJS1D_S1E_S18_S1F_S1G_S1B_S1H_S1I_S1J_NS5_IJLi14EEEENS5_IJLi15ELi16ELi17EEEEEEENS5_IJLi15ELi16ELi17ELi14EEEES1M_EENSE_INSF_IJS1S_S1U_ST_S1X_S1Y_ST_SY_S20_ST_S24_S27_EEES2A_S2D_S2E_S1M_EELi16ELi16ELi128ELi128ELi128ELi16ELi16ELi4ELi4ELi16ELb0EE3RunILb1ELNS_10TailNumberE2ENSE_INSF_IJNSG_INSF_IJiiEEENSF_IJiSM_EEELb0EEENSU_IS2L_Lb0EEENSS_IiEEEEENSF_IJS13_NS5_IJLi2EEEENS5_IJLi1EEEEEEENSF_IJNS5_IJLi1ELi2EEEENS5_IJLi3ELi4EEEES16_EEENS5_IJLi3ELi5ELi4EEEElEES1N_NS_35ThreadGroupTensorSliceTransfer_v4r1INS_15ThisThreadBlockILi256EEENS_16tensor_operation12element_wise11PassThroughES34_LNS_25InMemoryDataOperationEnumE0ENS5_IJLi8ELi128ELi16EEEENS5_IJLi8ELi32ELi1EEEENS5_IJLi1ELi0ELi2EEEESC_SC_RKS2Y_KS1N_S38_NS5_IJLi0ELi1ELi2EEEELi2ELi2ELi16ELi16ELi1ELi1ELb0ELb1ELi2EiEENS_13DynamicBufferILNS_16AddressSpaceEnumE1EKSC_lLb1ELNS_22AmdBufferCoherenceEnumE0EiEENS3E_ILS3F_2ESC_S1M_Lb1ELS3H_0EiEENSF_IJiiiEEENSE_INSF_IJNSU_INSF_IJiiiiEEELb0EEENS_23Merge_v2_magic_divisionIS2L_EENSS_INSF_IJiEEEEES2P_EEENSF_IJS13_NS5_IJLi1ELi3EEEES2R_S17_EEENSF_IJNS5_IJLi1ELi2ELi3ELi4EEEES16_S18_S19_EEENS5_IJLi5ELi6ELi7EEEElEES22_NS2Z_IS31_S34_S34_LS35_0ES36_NS5_IJLi4ELi64ELi1EEEES38_SD_SD_RKS3X_KS22_S38_S3C_Li2ELi2ELi16ELi16ELi1ELi1ELb0ELb1ELi2EiEENS3E_ILS3F_1EKSD_lLb1ELS3H_0EiEENS3E_ILS3F_2ESD_S1M_Lb1ELS3H_0EiEES3K_NS_25StaticBufferTupleOfVectorILS3F_4EfLi16ELi4ELb1ELb0EEEEEvRKT1_RKT2_RT3_RKT4_RT5_RKT6_RKT7_RKT8_RT9_RKT10_RT11_RKT12_RT13_iENKUlT_E2_clINSH_IiLi0EEEEEDaS56_ENKUlS56_E1_clISK_EEDaS56_EUlS56_E_EEvS56_EUlS56_E_EEvS56_@rel32@lo+4
	s_addc_u32 s5, s5, _ZNK2ck6detail7applierIiJLi0ELi1ELi2ELi3ELi4ELi5ELi6ELi7ELi8ELi9ELi10ELi11ELi12ELi13ELi14ELi15EEEclIZNKS_11static_fordINS_8SequenceIJLi4ELi4EEEENS5_IJLi0ELi1EEEEEclIZZZNKS_31BlockwiseGemmXdlops_pipeline_v2ILNS_26BlockGemmPipelineSchedulerE1ELi256ENS_9f8_fnuz_tENS_7pk_i4_tESC_fNS_16TensorDescriptorINS_5TupleIJNS_5EmbedINSF_IJNS_17integral_constantIiLi8EEENSH_IiLi128EEENSH_IiLi16EEEEEENSF_IJSK_SJ_NSH_IiLi1EEEEEELb0EEENS_3XorINSF_IJSJ_SI_EEELb1EEENS_11PassThroughISK_EENS_7UnMergeINSF_IJSI_SM_EEELb0EEENSS_ISJ_EEST_NSS_ISI_EENS_21Merge_v3_division_modINSF_IJSJ_SM_EEEEEST_EEENSF_IJNS5_IJLi0EEEENS5_IJLi2ELi1EEEENS5_IJLi3EEEENS5_IJLi5EEEENS5_IJLi4EEEENS5_IJLi6EEEENS5_IJLi7EEEENS5_IJLi9ELi8EEEENS5_IJLi10EEEEEEENSF_IJNS5_IJLi1ELi2ELi3EEEENS5_IJLi4ELi5EEEES18_NS5_IJLi7ELi8EEEENS5_IJLi9EEEES1B_NS5_IJLi11EEEENS5_IJLi12EEEENS5_IJLi13EEEEEEENS5_IJLi11ELi12ELi13EEEENSH_IlLl16384EEEEENSE_INSF_IJNSG_INSF_IJSK_NSH_IiLi64EEESK_EEENSF_IJSK_NSH_IiLi256EEESM_EEELb0EEENSP_INSF_IJS1O_SK_EEELb1EEEST_NSU_INSF_IJSI_NSH_IiLi2EEEEEELb0EEENSS_IS1O_EEST_SY_NSZ_INSF_IJS1O_S1V_EEEEEST_EEES1C_S1K_S1L_S1M_EENSE_INSF_IJSO_SR_ST_SW_SX_ST_SY_S11_ST_NSZ_INSF_IJSI_SK_EEEEENSU_INSF_IJNSH_IiLi4EEES1V_SK_EEELb0EEEEEENSF_IJS13_S14_S15_S16_S17_S18_S19_S1A_S1B_NS5_IJLi11ELi13EEEES1I_EEENSF_IJS1D_S1E_S18_S1F_S1G_S1B_S1H_S1I_S1J_NS5_IJLi14EEEENS5_IJLi15ELi16ELi17EEEEEEENS5_IJLi15ELi16ELi17ELi14EEEES1M_EENSE_INSF_IJS1S_S1U_ST_S1X_S1Y_ST_SY_S20_ST_S24_S27_EEES2A_S2D_S2E_S1M_EELi16ELi16ELi128ELi128ELi128ELi16ELi16ELi4ELi4ELi16ELb0EE3RunILb1ELNS_10TailNumberE2ENSE_INSF_IJNSG_INSF_IJiiEEENSF_IJiSM_EEELb0EEENSU_IS2L_Lb0EEENSS_IiEEEEENSF_IJS13_NS5_IJLi2EEEENS5_IJLi1EEEEEEENSF_IJNS5_IJLi1ELi2EEEENS5_IJLi3ELi4EEEES16_EEENS5_IJLi3ELi5ELi4EEEElEES1N_NS_35ThreadGroupTensorSliceTransfer_v4r1INS_15ThisThreadBlockILi256EEENS_16tensor_operation12element_wise11PassThroughES34_LNS_25InMemoryDataOperationEnumE0ENS5_IJLi8ELi128ELi16EEEENS5_IJLi8ELi32ELi1EEEENS5_IJLi1ELi0ELi2EEEESC_SC_RKS2Y_KS1N_S38_NS5_IJLi0ELi1ELi2EEEELi2ELi2ELi16ELi16ELi1ELi1ELb0ELb1ELi2EiEENS_13DynamicBufferILNS_16AddressSpaceEnumE1EKSC_lLb1ELNS_22AmdBufferCoherenceEnumE0EiEENS3E_ILS3F_2ESC_S1M_Lb1ELS3H_0EiEENSF_IJiiiEEENSE_INSF_IJNSU_INSF_IJiiiiEEELb0EEENS_23Merge_v2_magic_divisionIS2L_EENSS_INSF_IJiEEEEES2P_EEENSF_IJS13_NS5_IJLi1ELi3EEEES2R_S17_EEENSF_IJNS5_IJLi1ELi2ELi3ELi4EEEES16_S18_S19_EEENS5_IJLi5ELi6ELi7EEEElEES22_NS2Z_IS31_S34_S34_LS35_0ES36_NS5_IJLi4ELi64ELi1EEEES38_SD_SD_RKS3X_KS22_S38_S3C_Li2ELi2ELi16ELi16ELi1ELi1ELb0ELb1ELi2EiEENS3E_ILS3F_1EKSD_lLb1ELS3H_0EiEENS3E_ILS3F_2ESD_S1M_Lb1ELS3H_0EiEES3K_NS_25StaticBufferTupleOfVectorILS3F_4EfLi16ELi4ELb1ELb0EEEEEvRKT1_RKT2_RT3_RKT4_RT5_RKT6_RKT7_RKT8_RT9_RKT10_RT11_RKT12_RT13_iENKUlT_E2_clINSH_IiLi0EEEEEDaS56_ENKUlS56_E1_clISK_EEDaS56_EUlS56_E_EEvS56_EUlS56_E_EEvS56_@rel32@hi+12
	s_swappc_b64 s[30:31], s[4:5]
	; sched_barrier mask(0x00000000)
	s_setprio 0
	; sched_barrier mask(0x00000000)
	s_waitcnt lgkmcnt(0)
	s_barrier
	buffer_load_dword v1, off, s[0:3], 0 offset:304
	buffer_load_dword v4, off, s[0:3], 0 offset:308
	;; [unrolled: 1-line block ×4, first 2 shown]
	v_and_b32_e32 v0, 15, v18
	v_lshlrev_b32_e32 v2, 2, v18
	v_lshlrev_b32_e32 v3, 3, v18
	s_movk_i32 s4, 0x180
	v_and_b32_e32 v9, 0x200, v2
	v_and_or_b32 v0, v3, s4, v0
	v_and_b32_e32 v2, 28, v2
	v_lshl_or_b32 v7, s11, 7, v19
	s_add_i32 s5, s17, s23
	v_or3_b32 v9, v0, v9, v72
	v_or_b32_e32 v0, s14, v2
	s_lshl_b32 s26, s5, 1
	v_lshlrev_b32_e32 v10, 1, v2
	v_cmp_gt_i32_e64 s[10:11], s16, v7
	v_cmp_gt_i32_e32 vcc, s17, v0
	v_bfrev_b32_e32 v8, 1
	s_mov_b32 s27, 0x20000
	v_or_b32_e32 v11, 32, v0
	s_lshl_b32 s14, s21, 5
	v_mov_b32_e32 v12, 0x7fffff80
	v_or_b32_e32 v13, 64, v7
	v_mov_b32_e32 v14, 0x80000080
	s_waitcnt vmcnt(3)
	v_mad_u64_u32 v[2:3], s[4:5], v7, s21, v[0:1]
	v_cvt_f16_f32_e32 v1, v1
	s_waitcnt vmcnt(2)
	v_cvt_f16_f32_e32 v4, v4
	s_waitcnt vmcnt(1)
	v_cvt_f16_f32_e32 v5, v5
	v_lshlrev_b32_e32 v3, 1, v9
	v_lshl_or_b32 v9, v19, 6, v10
	s_waitcnt vmcnt(0)
	v_cvt_f16_f32_e32 v6, v6
	ds_write_b16 v3, v1
	ds_write_b16 v3, v4 offset:64
	ds_write_b16 v3, v5 offset:128
	;; [unrolled: 1-line block ×3, first 2 shown]
	s_waitcnt lgkmcnt(0)
	s_barrier
	ds_read_b64 v[4:5], v9
	s_and_b64 s[4:5], s[10:11], vcc
	v_lshlrev_b32_e32 v1, 1, v2
	v_cndmask_b32_e64 v6, v8, 0, s[4:5]
	v_add_u32_e32 v6, v6, v1
	s_waitcnt lgkmcnt(0)
	buffer_store_dwordx2 v[4:5], v6, s[24:27], 0 offen
	s_waitcnt lgkmcnt(0)
	s_barrier
	buffer_load_dword v4, off, s[0:3], 0 offset:320
	buffer_load_dword v5, off, s[0:3], 0 offset:324
	;; [unrolled: 1-line block ×4, first 2 shown]
	v_cmp_gt_i32_e64 s[4:5], s17, v11
	s_and_b64 s[6:7], s[10:11], s[4:5]
	v_or_b32_e32 v11, 64, v0
	s_waitcnt vmcnt(3)
	v_cvt_f16_f32_e32 v4, v4
	s_waitcnt vmcnt(2)
	v_cvt_f16_f32_e32 v5, v5
	;; [unrolled: 2-line block ×4, first 2 shown]
	ds_write_b16 v3, v4
	ds_write_b16 v3, v5 offset:64
	ds_write_b16 v3, v6 offset:128
	;; [unrolled: 1-line block ×3, first 2 shown]
	s_waitcnt lgkmcnt(0)
	s_barrier
	ds_read_b64 v[4:5], v9
	v_cndmask_b32_e64 v6, v8, 0, s[6:7]
	v_add_u32_e32 v6, v1, v6
	v_cmp_gt_i32_e64 s[6:7], s17, v11
	s_and_b64 s[8:9], s[10:11], s[6:7]
	s_waitcnt lgkmcnt(0)
	buffer_store_dwordx2 v[4:5], v6, s[24:27], 0 offen offset:64
	s_waitcnt lgkmcnt(0)
	s_barrier
	buffer_load_dword v4, off, s[0:3], 0 offset:336
	buffer_load_dword v5, off, s[0:3], 0 offset:340
	;; [unrolled: 1-line block ×4, first 2 shown]
	v_add_u32_e32 v11, 0x60, v2
	v_add_u32_e32 v2, s14, v2
	s_waitcnt vmcnt(3)
	v_cvt_f16_f32_e32 v4, v4
	s_waitcnt vmcnt(2)
	v_cvt_f16_f32_e32 v5, v5
	;; [unrolled: 2-line block ×4, first 2 shown]
	ds_write_b16 v3, v4
	ds_write_b16 v3, v5 offset:64
	ds_write_b16 v3, v6 offset:128
	;; [unrolled: 1-line block ×3, first 2 shown]
	s_waitcnt lgkmcnt(0)
	s_barrier
	ds_read_b64 v[4:5], v9
	v_cndmask_b32_e64 v6, v8, 0, s[8:9]
	v_add_u32_e32 v1, v1, v6
	v_or_b32_e32 v10, 0x60, v0
	v_cmp_gt_i32_e64 s[8:9], s17, v10
	s_waitcnt lgkmcnt(0)
	buffer_store_dwordx2 v[4:5], v1, s[24:27], 0 offen offset:128
	s_waitcnt lgkmcnt(0)
	s_barrier
	buffer_load_dword v1, off, s[0:3], 0 offset:352
	buffer_load_dword v4, off, s[0:3], 0 offset:356
	;; [unrolled: 1-line block ×4, first 2 shown]
	s_and_b64 s[10:11], s[10:11], s[8:9]
	v_mov_b32_e32 v10, 0x7fffffc0
	s_waitcnt vmcnt(3)
	v_cvt_f16_f32_e32 v0, v1
	s_waitcnt vmcnt(2)
	v_cvt_f16_f32_e32 v1, v4
	;; [unrolled: 2-line block ×4, first 2 shown]
	ds_write_b16 v3, v0
	ds_write_b16 v3, v1 offset:64
	ds_write_b16 v3, v4 offset:128
	;; [unrolled: 1-line block ×3, first 2 shown]
	s_waitcnt lgkmcnt(0)
	s_barrier
	ds_read_b64 v[0:1], v9
	v_cndmask_b32_e64 v4, v8, 0, s[10:11]
	v_lshl_add_u32 v4, v11, 1, v4
	v_or_b32_e32 v6, 32, v7
	v_cmp_gt_i32_e64 s[10:11], s16, v6
	s_waitcnt lgkmcnt(0)
	buffer_store_dwordx2 v[0:1], v4, s[24:27], 0 offen
	s_waitcnt lgkmcnt(0)
	s_barrier
	buffer_load_dword v0, off, s[0:3], 0 offset:416
	buffer_load_dword v1, off, s[0:3], 0 offset:420
	;; [unrolled: 1-line block ×4, first 2 shown]
	s_and_b64 s[12:13], s[10:11], s[8:9]
	v_or_b32_e32 v7, 0x60, v7
	s_waitcnt vmcnt(3)
	v_cvt_f16_f32_e32 v0, v0
	s_waitcnt vmcnt(2)
	v_cvt_f16_f32_e32 v1, v1
	;; [unrolled: 2-line block ×4, first 2 shown]
	ds_write_b16 v3, v0
	ds_write_b16 v3, v1 offset:64
	ds_write_b16 v3, v4 offset:128
	;; [unrolled: 1-line block ×3, first 2 shown]
	s_waitcnt lgkmcnt(0)
	s_barrier
	ds_read_b64 v[0:1], v9
	v_add_lshl_u32 v4, v11, s14, 1
	v_cndmask_b32_e64 v5, v8, 0, s[12:13]
	v_add_u32_e32 v5, v4, v5
	s_and_b64 s[12:13], s[10:11], s[6:7]
	s_waitcnt lgkmcnt(0)
	buffer_store_dwordx2 v[0:1], v5, s[24:27], 0 offen
	s_waitcnt lgkmcnt(0)
	s_barrier
	buffer_load_dword v0, off, s[0:3], 0 offset:400
	buffer_load_dword v1, off, s[0:3], 0 offset:404
	;; [unrolled: 1-line block ×4, first 2 shown]
	s_waitcnt vmcnt(3)
	v_cvt_f16_f32_e32 v0, v0
	s_waitcnt vmcnt(2)
	v_cvt_f16_f32_e32 v1, v1
	s_waitcnt vmcnt(1)
	v_cvt_f16_f32_e32 v5, v5
	s_waitcnt vmcnt(0)
	v_cvt_f16_f32_e32 v6, v6
	ds_write_b16 v3, v0
	ds_write_b16 v3, v1 offset:64
	ds_write_b16 v3, v5 offset:128
	;; [unrolled: 1-line block ×3, first 2 shown]
	s_waitcnt lgkmcnt(0)
	s_barrier
	ds_read_b64 v[0:1], v9
	v_not_b32_e32 v5, 63
	v_cndmask_b32_e64 v6, v10, v5, s[12:13]
	v_add_u32_e32 v6, v4, v6
	s_and_b64 s[12:13], s[10:11], s[4:5]
	s_waitcnt lgkmcnt(0)
	buffer_store_dwordx2 v[0:1], v6, s[24:27], 0 offen
	s_waitcnt lgkmcnt(0)
	s_barrier
	buffer_load_dword v0, off, s[0:3], 0 offset:384
	buffer_load_dword v1, off, s[0:3], 0 offset:388
	;; [unrolled: 1-line block ×4, first 2 shown]
	s_and_b64 s[10:11], vcc, s[10:11]
	s_waitcnt vmcnt(3)
	v_cvt_f16_f32_e32 v0, v0
	s_waitcnt vmcnt(2)
	v_cvt_f16_f32_e32 v1, v1
	;; [unrolled: 2-line block ×4, first 2 shown]
	ds_write_b16 v3, v0
	ds_write_b16 v3, v1 offset:64
	ds_write_b16 v3, v6 offset:128
	;; [unrolled: 1-line block ×3, first 2 shown]
	s_waitcnt lgkmcnt(0)
	s_barrier
	ds_read_b64 v[0:1], v9
	v_mov_b32_e32 v6, 0xffffff80
	v_cndmask_b32_e64 v11, v12, v6, s[12:13]
	v_add_u32_e32 v4, v4, v11
	s_waitcnt lgkmcnt(0)
	buffer_store_dwordx2 v[0:1], v4, s[24:27], 0 offen
	s_waitcnt lgkmcnt(0)
	s_barrier
	buffer_load_dword v0, off, s[0:3], 0 offset:368
	buffer_load_dword v1, off, s[0:3], 0 offset:372
	;; [unrolled: 1-line block ×4, first 2 shown]
	s_waitcnt vmcnt(3)
	v_cvt_f16_f32_e32 v0, v0
	s_waitcnt vmcnt(2)
	v_cvt_f16_f32_e32 v1, v1
	;; [unrolled: 2-line block ×4, first 2 shown]
	ds_write_b16 v3, v0
	ds_write_b16 v3, v1 offset:64
	ds_write_b16 v3, v4 offset:128
	ds_write_b16 v3, v11 offset:192
	s_waitcnt lgkmcnt(0)
	s_barrier
	ds_read_b64 v[0:1], v9
	v_cndmask_b32_e64 v4, v8, 0, s[10:11]
	v_lshl_add_u32 v4, v2, 1, v4
	v_cmp_gt_i32_e64 s[10:11], s16, v13
	s_and_b64 s[12:13], vcc, s[10:11]
	s_waitcnt lgkmcnt(0)
	buffer_store_dwordx2 v[0:1], v4, s[24:27], 0 offen
	s_waitcnt lgkmcnt(0)
	s_barrier
	buffer_load_dword v0, off, s[0:3], 0 offset:432
	buffer_load_dword v1, off, s[0:3], 0 offset:436
	;; [unrolled: 1-line block ×4, first 2 shown]
	v_add_u32_e32 v2, s14, v2
	s_waitcnt vmcnt(3)
	v_cvt_f16_f32_e32 v0, v0
	s_waitcnt vmcnt(2)
	v_cvt_f16_f32_e32 v1, v1
	;; [unrolled: 2-line block ×4, first 2 shown]
	ds_write_b16 v3, v0
	ds_write_b16 v3, v1 offset:64
	ds_write_b16 v3, v4 offset:128
	;; [unrolled: 1-line block ×3, first 2 shown]
	s_waitcnt lgkmcnt(0)
	s_barrier
	ds_read_b64 v[0:1], v9
	v_cndmask_b32_e64 v4, v8, 0, s[12:13]
	v_lshlrev_b32_e32 v11, 1, v2
	v_add_u32_e32 v4, v11, v4
	s_and_b64 s[12:13], s[10:11], s[4:5]
	s_waitcnt lgkmcnt(0)
	buffer_store_dwordx2 v[0:1], v4, s[24:27], 0 offen
	s_waitcnt lgkmcnt(0)
	s_barrier
	buffer_load_dword v0, off, s[0:3], 0 offset:448
	buffer_load_dword v1, off, s[0:3], 0 offset:452
	;; [unrolled: 1-line block ×4, first 2 shown]
	s_waitcnt vmcnt(3)
	v_cvt_f16_f32_e32 v0, v0
	s_waitcnt vmcnt(2)
	v_cvt_f16_f32_e32 v1, v1
	;; [unrolled: 2-line block ×4, first 2 shown]
	ds_write_b16 v3, v0
	ds_write_b16 v3, v1 offset:64
	ds_write_b16 v3, v4 offset:128
	;; [unrolled: 1-line block ×3, first 2 shown]
	s_waitcnt lgkmcnt(0)
	s_barrier
	ds_read_b64 v[0:1], v9
	v_mov_b32_e32 v4, 0x80000040
	v_cndmask_b32_e64 v4, v4, 64, s[12:13]
	v_add_u32_e32 v4, v11, v4
	s_and_b64 s[12:13], s[10:11], s[6:7]
	s_waitcnt lgkmcnt(0)
	buffer_store_dwordx2 v[0:1], v4, s[24:27], 0 offen
	s_waitcnt lgkmcnt(0)
	s_barrier
	buffer_load_dword v0, off, s[0:3], 0 offset:464
	buffer_load_dword v1, off, s[0:3], 0 offset:468
	;; [unrolled: 1-line block ×4, first 2 shown]
	s_and_b64 s[10:11], s[10:11], s[8:9]
	s_waitcnt vmcnt(3)
	v_cvt_f16_f32_e32 v0, v0
	s_waitcnt vmcnt(2)
	v_cvt_f16_f32_e32 v1, v1
	;; [unrolled: 2-line block ×4, first 2 shown]
	ds_write_b16 v3, v0
	ds_write_b16 v3, v1 offset:64
	ds_write_b16 v3, v4 offset:128
	;; [unrolled: 1-line block ×3, first 2 shown]
	s_waitcnt lgkmcnt(0)
	s_barrier
	ds_read_b64 v[0:1], v9
	v_mov_b32_e32 v4, 0x80
	v_cndmask_b32_e64 v4, v14, v4, s[12:13]
	v_add_u32_e32 v4, v11, v4
	s_waitcnt lgkmcnt(0)
	buffer_store_dwordx2 v[0:1], v4, s[24:27], 0 offen
	s_waitcnt lgkmcnt(0)
	s_barrier
	buffer_load_dword v0, off, s[0:3], 0 offset:480
	buffer_load_dword v1, off, s[0:3], 0 offset:484
	;; [unrolled: 1-line block ×4, first 2 shown]
	s_waitcnt vmcnt(3)
	v_cvt_f16_f32_e32 v0, v0
	s_waitcnt vmcnt(2)
	v_cvt_f16_f32_e32 v1, v1
	;; [unrolled: 2-line block ×4, first 2 shown]
	ds_write_b16 v3, v0
	ds_write_b16 v3, v1 offset:64
	ds_write_b16 v3, v4 offset:128
	ds_write_b16 v3, v11 offset:192
	s_waitcnt lgkmcnt(0)
	s_barrier
	ds_read_b64 v[0:1], v9
	v_cndmask_b32_e64 v4, v8, 0, s[10:11]
	v_add_u32_e32 v11, 0x60, v2
	v_lshl_add_u32 v4, v11, 1, v4
	v_cmp_gt_i32_e64 s[10:11], s16, v7
	s_waitcnt lgkmcnt(0)
	buffer_store_dwordx2 v[0:1], v4, s[24:27], 0 offen
	s_waitcnt lgkmcnt(0)
	s_barrier
	buffer_load_dword v0, off, s[0:3], 0 offset:544
	buffer_load_dword v1, off, s[0:3], 0 offset:548
	;; [unrolled: 1-line block ×4, first 2 shown]
	s_and_b64 s[8:9], s[10:11], s[8:9]
	s_and_b64 s[6:7], s[10:11], s[6:7]
	s_and_b64 s[4:5], s[10:11], s[4:5]
	v_add_u32_e32 v2, s14, v2
	s_waitcnt vmcnt(3)
	v_cvt_f16_f32_e32 v0, v0
	s_waitcnt vmcnt(2)
	v_cvt_f16_f32_e32 v1, v1
	;; [unrolled: 2-line block ×4, first 2 shown]
	ds_write_b16 v3, v0
	ds_write_b16 v3, v1 offset:64
	ds_write_b16 v3, v4 offset:128
	;; [unrolled: 1-line block ×3, first 2 shown]
	s_waitcnt lgkmcnt(0)
	s_barrier
	ds_read_b64 v[0:1], v9
	v_cndmask_b32_e64 v4, v8, 0, s[8:9]
	v_add_lshl_u32 v7, v11, s14, 1
	v_add_u32_e32 v4, v7, v4
	s_waitcnt lgkmcnt(0)
	buffer_store_dwordx2 v[0:1], v4, s[24:27], 0 offen
	s_waitcnt lgkmcnt(0)
	s_barrier
	buffer_load_dword v0, off, s[0:3], 0 offset:528
	buffer_load_dword v1, off, s[0:3], 0 offset:532
	;; [unrolled: 1-line block ×4, first 2 shown]
	s_waitcnt vmcnt(3)
	v_cvt_f16_f32_e32 v0, v0
	s_waitcnt vmcnt(2)
	v_cvt_f16_f32_e32 v1, v1
	;; [unrolled: 2-line block ×4, first 2 shown]
	ds_write_b16 v3, v0
	ds_write_b16 v3, v1 offset:64
	ds_write_b16 v3, v4 offset:128
	;; [unrolled: 1-line block ×3, first 2 shown]
	s_waitcnt lgkmcnt(0)
	s_barrier
	ds_read_b64 v[0:1], v9
	v_cndmask_b32_e64 v4, v10, v5, s[6:7]
	v_add_u32_e32 v4, v7, v4
	s_waitcnt lgkmcnt(0)
	buffer_store_dwordx2 v[0:1], v4, s[24:27], 0 offen
	s_waitcnt lgkmcnt(0)
	s_barrier
	buffer_load_dword v0, off, s[0:3], 0 offset:512
	buffer_load_dword v1, off, s[0:3], 0 offset:516
	;; [unrolled: 1-line block ×4, first 2 shown]
	s_waitcnt vmcnt(3)
	v_cvt_f16_f32_e32 v0, v0
	s_waitcnt vmcnt(2)
	v_cvt_f16_f32_e32 v1, v1
	;; [unrolled: 2-line block ×4, first 2 shown]
	ds_write_b16 v3, v0
	ds_write_b16 v3, v1 offset:64
	ds_write_b16 v3, v4 offset:128
	ds_write_b16 v3, v5 offset:192
	s_waitcnt lgkmcnt(0)
	s_barrier
	ds_read_b64 v[0:1], v9
	v_cndmask_b32_e64 v4, v12, v6, s[4:5]
	v_add_u32_e32 v4, v7, v4
	s_and_b64 s[4:5], vcc, s[10:11]
	s_waitcnt lgkmcnt(0)
	buffer_store_dwordx2 v[0:1], v4, s[24:27], 0 offen
	s_waitcnt lgkmcnt(0)
	s_barrier
	buffer_load_dword v0, off, s[0:3], 0 offset:496
	buffer_load_dword v1, off, s[0:3], 0 offset:500
	;; [unrolled: 1-line block ×4, first 2 shown]
	s_waitcnt vmcnt(3)
	v_cvt_f16_f32_e32 v0, v0
	s_waitcnt vmcnt(2)
	v_cvt_f16_f32_e32 v1, v1
	;; [unrolled: 2-line block ×4, first 2 shown]
	ds_write_b16 v3, v0
	ds_write_b16 v3, v1 offset:64
	ds_write_b16 v3, v4 offset:128
	;; [unrolled: 1-line block ×3, first 2 shown]
	s_waitcnt lgkmcnt(0)
	s_barrier
	ds_read_b64 v[0:1], v9
	v_cndmask_b32_e64 v3, v8, 0, s[4:5]
	v_lshl_add_u32 v2, v2, 1, v3
	s_waitcnt lgkmcnt(0)
	buffer_store_dwordx2 v[0:1], v2, s[24:27], 0 offen
	s_endpgm
	.section	.rodata,"a",@progbits
	.p2align	6, 0x0
	.amdhsa_kernel _ZN2ck27kernel_gemm_xdl_cshuffle_v3INS_28GridwiseGemm_xdl_cshuffle_v3INS_13tensor_layout4gemm8RowMajorENS3_11ColumnMajorES4_NS_9f8_fnuz_tENS_7pk_i4_tEfDF16_DF16_NS_16tensor_operation12element_wise11PassThroughESA_SA_LNS8_6device18GemmSpecializationE0ELi256ELi128ELi128ELi128ELi16ELi16ELi16ELi16ELi4ELi4ENS_8SequenceIJLi8ELi32ELi1EEEENSD_IJLi1ELi0ELi2EEEESF_Li2ELi16ELi16ELb0ELi0ENSD_IJLi4ELi64ELi1EEEESF_SF_Li2ELi16ELi16ELb0ELi0ELi1ELi1ENSD_IJLi1ELi32ELi1ELi8EEEELi4ELNS_26BlockGemmPipelineSchedulerE1ELNS_24BlockGemmPipelineVersionE1ES6_S6_Lb0ELb1ELb0ELi0ELb0EEELb1ELNS_25InMemoryDataOperationEnumE0ELi2ELNS_10TailNumberE2EEEvNT_8ArgumentE
		.amdhsa_group_segment_fixed_size 24576
		.amdhsa_private_segment_fixed_size 576
		.amdhsa_kernarg_size 112
		.amdhsa_user_sgpr_count 8
		.amdhsa_user_sgpr_private_segment_buffer 1
		.amdhsa_user_sgpr_dispatch_ptr 0
		.amdhsa_user_sgpr_queue_ptr 0
		.amdhsa_user_sgpr_kernarg_segment_ptr 1
		.amdhsa_user_sgpr_dispatch_id 0
		.amdhsa_user_sgpr_flat_scratch_init 1
		.amdhsa_user_sgpr_kernarg_preload_length 0
		.amdhsa_user_sgpr_kernarg_preload_offset 0
		.amdhsa_user_sgpr_private_segment_size 0
		.amdhsa_uses_dynamic_stack 0
		.amdhsa_system_sgpr_private_segment_wavefront_offset 1
		.amdhsa_system_sgpr_workgroup_id_x 1
		.amdhsa_system_sgpr_workgroup_id_y 0
		.amdhsa_system_sgpr_workgroup_id_z 1
		.amdhsa_system_sgpr_workgroup_info 0
		.amdhsa_system_vgpr_workitem_id 0
		.amdhsa_next_free_vgpr 120
		.amdhsa_next_free_sgpr 49
		.amdhsa_accum_offset 116
		.amdhsa_reserve_vcc 1
		.amdhsa_reserve_flat_scratch 1
		.amdhsa_float_round_mode_32 0
		.amdhsa_float_round_mode_16_64 0
		.amdhsa_float_denorm_mode_32 3
		.amdhsa_float_denorm_mode_16_64 3
		.amdhsa_dx10_clamp 1
		.amdhsa_ieee_mode 1
		.amdhsa_fp16_overflow 0
		.amdhsa_tg_split 0
		.amdhsa_exception_fp_ieee_invalid_op 0
		.amdhsa_exception_fp_denorm_src 0
		.amdhsa_exception_fp_ieee_div_zero 0
		.amdhsa_exception_fp_ieee_overflow 0
		.amdhsa_exception_fp_ieee_underflow 0
		.amdhsa_exception_fp_ieee_inexact 0
		.amdhsa_exception_int_div_zero 0
	.end_amdhsa_kernel
	.section	.text._ZN2ck27kernel_gemm_xdl_cshuffle_v3INS_28GridwiseGemm_xdl_cshuffle_v3INS_13tensor_layout4gemm8RowMajorENS3_11ColumnMajorES4_NS_9f8_fnuz_tENS_7pk_i4_tEfDF16_DF16_NS_16tensor_operation12element_wise11PassThroughESA_SA_LNS8_6device18GemmSpecializationE0ELi256ELi128ELi128ELi128ELi16ELi16ELi16ELi16ELi4ELi4ENS_8SequenceIJLi8ELi32ELi1EEEENSD_IJLi1ELi0ELi2EEEESF_Li2ELi16ELi16ELb0ELi0ENSD_IJLi4ELi64ELi1EEEESF_SF_Li2ELi16ELi16ELb0ELi0ELi1ELi1ENSD_IJLi1ELi32ELi1ELi8EEEELi4ELNS_26BlockGemmPipelineSchedulerE1ELNS_24BlockGemmPipelineVersionE1ES6_S6_Lb0ELb1ELb0ELi0ELb0EEELb1ELNS_25InMemoryDataOperationEnumE0ELi2ELNS_10TailNumberE2EEEvNT_8ArgumentE,"axG",@progbits,_ZN2ck27kernel_gemm_xdl_cshuffle_v3INS_28GridwiseGemm_xdl_cshuffle_v3INS_13tensor_layout4gemm8RowMajorENS3_11ColumnMajorES4_NS_9f8_fnuz_tENS_7pk_i4_tEfDF16_DF16_NS_16tensor_operation12element_wise11PassThroughESA_SA_LNS8_6device18GemmSpecializationE0ELi256ELi128ELi128ELi128ELi16ELi16ELi16ELi16ELi4ELi4ENS_8SequenceIJLi8ELi32ELi1EEEENSD_IJLi1ELi0ELi2EEEESF_Li2ELi16ELi16ELb0ELi0ENSD_IJLi4ELi64ELi1EEEESF_SF_Li2ELi16ELi16ELb0ELi0ELi1ELi1ENSD_IJLi1ELi32ELi1ELi8EEEELi4ELNS_26BlockGemmPipelineSchedulerE1ELNS_24BlockGemmPipelineVersionE1ES6_S6_Lb0ELb1ELb0ELi0ELb0EEELb1ELNS_25InMemoryDataOperationEnumE0ELi2ELNS_10TailNumberE2EEEvNT_8ArgumentE,comdat
.Lfunc_end17:
	.size	_ZN2ck27kernel_gemm_xdl_cshuffle_v3INS_28GridwiseGemm_xdl_cshuffle_v3INS_13tensor_layout4gemm8RowMajorENS3_11ColumnMajorES4_NS_9f8_fnuz_tENS_7pk_i4_tEfDF16_DF16_NS_16tensor_operation12element_wise11PassThroughESA_SA_LNS8_6device18GemmSpecializationE0ELi256ELi128ELi128ELi128ELi16ELi16ELi16ELi16ELi4ELi4ENS_8SequenceIJLi8ELi32ELi1EEEENSD_IJLi1ELi0ELi2EEEESF_Li2ELi16ELi16ELb0ELi0ENSD_IJLi4ELi64ELi1EEEESF_SF_Li2ELi16ELi16ELb0ELi0ELi1ELi1ENSD_IJLi1ELi32ELi1ELi8EEEELi4ELNS_26BlockGemmPipelineSchedulerE1ELNS_24BlockGemmPipelineVersionE1ES6_S6_Lb0ELb1ELb0ELi0ELb0EEELb1ELNS_25InMemoryDataOperationEnumE0ELi2ELNS_10TailNumberE2EEEvNT_8ArgumentE, .Lfunc_end17-_ZN2ck27kernel_gemm_xdl_cshuffle_v3INS_28GridwiseGemm_xdl_cshuffle_v3INS_13tensor_layout4gemm8RowMajorENS3_11ColumnMajorES4_NS_9f8_fnuz_tENS_7pk_i4_tEfDF16_DF16_NS_16tensor_operation12element_wise11PassThroughESA_SA_LNS8_6device18GemmSpecializationE0ELi256ELi128ELi128ELi128ELi16ELi16ELi16ELi16ELi4ELi4ENS_8SequenceIJLi8ELi32ELi1EEEENSD_IJLi1ELi0ELi2EEEESF_Li2ELi16ELi16ELb0ELi0ENSD_IJLi4ELi64ELi1EEEESF_SF_Li2ELi16ELi16ELb0ELi0ELi1ELi1ENSD_IJLi1ELi32ELi1ELi8EEEELi4ELNS_26BlockGemmPipelineSchedulerE1ELNS_24BlockGemmPipelineVersionE1ES6_S6_Lb0ELb1ELb0ELi0ELb0EEELb1ELNS_25InMemoryDataOperationEnumE0ELi2ELNS_10TailNumberE2EEEvNT_8ArgumentE
                                        ; -- End function
	.section	.AMDGPU.csdata,"",@progbits
; Kernel info:
; codeLenInByte = 15712
; NumSgprs: 55
; NumVgprs: 115
; NumAgprs: 4
; TotalNumVgprs: 120
; ScratchSize: 576
; MemoryBound: 0
; FloatMode: 240
; IeeeMode: 1
; LDSByteSize: 24576 bytes/workgroup (compile time only)
; SGPRBlocks: 6
; VGPRBlocks: 14
; NumSGPRsForWavesPerEU: 55
; NumVGPRsForWavesPerEU: 120
; AccumOffset: 116
; Occupancy: 2
; WaveLimiterHint : 1
; COMPUTE_PGM_RSRC2:SCRATCH_EN: 1
; COMPUTE_PGM_RSRC2:USER_SGPR: 8
; COMPUTE_PGM_RSRC2:TRAP_HANDLER: 0
; COMPUTE_PGM_RSRC2:TGID_X_EN: 1
; COMPUTE_PGM_RSRC2:TGID_Y_EN: 0
; COMPUTE_PGM_RSRC2:TGID_Z_EN: 1
; COMPUTE_PGM_RSRC2:TIDIG_COMP_CNT: 0
; COMPUTE_PGM_RSRC3_GFX90A:ACCUM_OFFSET: 28
; COMPUTE_PGM_RSRC3_GFX90A:TG_SPLIT: 0
	.section	.text._ZN2ck27kernel_gemm_xdl_cshuffle_v3INS_28GridwiseGemm_xdl_cshuffle_v3INS_13tensor_layout4gemm8RowMajorENS3_11ColumnMajorES4_NS_9f8_fnuz_tENS_7pk_i4_tEfDF16_DF16_NS_16tensor_operation12element_wise11PassThroughESA_SA_LNS8_6device18GemmSpecializationE0ELi256ELi128ELi128ELi128ELi16ELi16ELi16ELi16ELi4ELi4ENS_8SequenceIJLi8ELi32ELi1EEEENSD_IJLi1ELi0ELi2EEEESF_Li2ELi16ELi16ELb0ELi0ENSD_IJLi4ELi64ELi1EEEESF_SF_Li2ELi16ELi16ELb0ELi0ELi1ELi1ENSD_IJLi1ELi32ELi1ELi8EEEELi4ELNS_26BlockGemmPipelineSchedulerE1ELNS_24BlockGemmPipelineVersionE1ES6_S6_Lb0ELb1ELb0ELi0ELb0EEELb1ELNS_25InMemoryDataOperationEnumE0ELi2ELNS_10TailNumberE10EEEvNT_8ArgumentE,"axG",@progbits,_ZN2ck27kernel_gemm_xdl_cshuffle_v3INS_28GridwiseGemm_xdl_cshuffle_v3INS_13tensor_layout4gemm8RowMajorENS3_11ColumnMajorES4_NS_9f8_fnuz_tENS_7pk_i4_tEfDF16_DF16_NS_16tensor_operation12element_wise11PassThroughESA_SA_LNS8_6device18GemmSpecializationE0ELi256ELi128ELi128ELi128ELi16ELi16ELi16ELi16ELi4ELi4ENS_8SequenceIJLi8ELi32ELi1EEEENSD_IJLi1ELi0ELi2EEEESF_Li2ELi16ELi16ELb0ELi0ENSD_IJLi4ELi64ELi1EEEESF_SF_Li2ELi16ELi16ELb0ELi0ELi1ELi1ENSD_IJLi1ELi32ELi1ELi8EEEELi4ELNS_26BlockGemmPipelineSchedulerE1ELNS_24BlockGemmPipelineVersionE1ES6_S6_Lb0ELb1ELb0ELi0ELb0EEELb1ELNS_25InMemoryDataOperationEnumE0ELi2ELNS_10TailNumberE10EEEvNT_8ArgumentE,comdat
	.protected	_ZN2ck27kernel_gemm_xdl_cshuffle_v3INS_28GridwiseGemm_xdl_cshuffle_v3INS_13tensor_layout4gemm8RowMajorENS3_11ColumnMajorES4_NS_9f8_fnuz_tENS_7pk_i4_tEfDF16_DF16_NS_16tensor_operation12element_wise11PassThroughESA_SA_LNS8_6device18GemmSpecializationE0ELi256ELi128ELi128ELi128ELi16ELi16ELi16ELi16ELi4ELi4ENS_8SequenceIJLi8ELi32ELi1EEEENSD_IJLi1ELi0ELi2EEEESF_Li2ELi16ELi16ELb0ELi0ENSD_IJLi4ELi64ELi1EEEESF_SF_Li2ELi16ELi16ELb0ELi0ELi1ELi1ENSD_IJLi1ELi32ELi1ELi8EEEELi4ELNS_26BlockGemmPipelineSchedulerE1ELNS_24BlockGemmPipelineVersionE1ES6_S6_Lb0ELb1ELb0ELi0ELb0EEELb1ELNS_25InMemoryDataOperationEnumE0ELi2ELNS_10TailNumberE10EEEvNT_8ArgumentE ; -- Begin function _ZN2ck27kernel_gemm_xdl_cshuffle_v3INS_28GridwiseGemm_xdl_cshuffle_v3INS_13tensor_layout4gemm8RowMajorENS3_11ColumnMajorES4_NS_9f8_fnuz_tENS_7pk_i4_tEfDF16_DF16_NS_16tensor_operation12element_wise11PassThroughESA_SA_LNS8_6device18GemmSpecializationE0ELi256ELi128ELi128ELi128ELi16ELi16ELi16ELi16ELi4ELi4ENS_8SequenceIJLi8ELi32ELi1EEEENSD_IJLi1ELi0ELi2EEEESF_Li2ELi16ELi16ELb0ELi0ENSD_IJLi4ELi64ELi1EEEESF_SF_Li2ELi16ELi16ELb0ELi0ELi1ELi1ENSD_IJLi1ELi32ELi1ELi8EEEELi4ELNS_26BlockGemmPipelineSchedulerE1ELNS_24BlockGemmPipelineVersionE1ES6_S6_Lb0ELb1ELb0ELi0ELb0EEELb1ELNS_25InMemoryDataOperationEnumE0ELi2ELNS_10TailNumberE10EEEvNT_8ArgumentE
	.globl	_ZN2ck27kernel_gemm_xdl_cshuffle_v3INS_28GridwiseGemm_xdl_cshuffle_v3INS_13tensor_layout4gemm8RowMajorENS3_11ColumnMajorES4_NS_9f8_fnuz_tENS_7pk_i4_tEfDF16_DF16_NS_16tensor_operation12element_wise11PassThroughESA_SA_LNS8_6device18GemmSpecializationE0ELi256ELi128ELi128ELi128ELi16ELi16ELi16ELi16ELi4ELi4ENS_8SequenceIJLi8ELi32ELi1EEEENSD_IJLi1ELi0ELi2EEEESF_Li2ELi16ELi16ELb0ELi0ENSD_IJLi4ELi64ELi1EEEESF_SF_Li2ELi16ELi16ELb0ELi0ELi1ELi1ENSD_IJLi1ELi32ELi1ELi8EEEELi4ELNS_26BlockGemmPipelineSchedulerE1ELNS_24BlockGemmPipelineVersionE1ES6_S6_Lb0ELb1ELb0ELi0ELb0EEELb1ELNS_25InMemoryDataOperationEnumE0ELi2ELNS_10TailNumberE10EEEvNT_8ArgumentE
	.p2align	8
	.type	_ZN2ck27kernel_gemm_xdl_cshuffle_v3INS_28GridwiseGemm_xdl_cshuffle_v3INS_13tensor_layout4gemm8RowMajorENS3_11ColumnMajorES4_NS_9f8_fnuz_tENS_7pk_i4_tEfDF16_DF16_NS_16tensor_operation12element_wise11PassThroughESA_SA_LNS8_6device18GemmSpecializationE0ELi256ELi128ELi128ELi128ELi16ELi16ELi16ELi16ELi4ELi4ENS_8SequenceIJLi8ELi32ELi1EEEENSD_IJLi1ELi0ELi2EEEESF_Li2ELi16ELi16ELb0ELi0ENSD_IJLi4ELi64ELi1EEEESF_SF_Li2ELi16ELi16ELb0ELi0ELi1ELi1ENSD_IJLi1ELi32ELi1ELi8EEEELi4ELNS_26BlockGemmPipelineSchedulerE1ELNS_24BlockGemmPipelineVersionE1ES6_S6_Lb0ELb1ELb0ELi0ELb0EEELb1ELNS_25InMemoryDataOperationEnumE0ELi2ELNS_10TailNumberE10EEEvNT_8ArgumentE,@function
_ZN2ck27kernel_gemm_xdl_cshuffle_v3INS_28GridwiseGemm_xdl_cshuffle_v3INS_13tensor_layout4gemm8RowMajorENS3_11ColumnMajorES4_NS_9f8_fnuz_tENS_7pk_i4_tEfDF16_DF16_NS_16tensor_operation12element_wise11PassThroughESA_SA_LNS8_6device18GemmSpecializationE0ELi256ELi128ELi128ELi128ELi16ELi16ELi16ELi16ELi4ELi4ENS_8SequenceIJLi8ELi32ELi1EEEENSD_IJLi1ELi0ELi2EEEESF_Li2ELi16ELi16ELb0ELi0ENSD_IJLi4ELi64ELi1EEEESF_SF_Li2ELi16ELi16ELb0ELi0ELi1ELi1ENSD_IJLi1ELi32ELi1ELi8EEEELi4ELNS_26BlockGemmPipelineSchedulerE1ELNS_24BlockGemmPipelineVersionE1ES6_S6_Lb0ELb1ELb0ELi0ELb0EEELb1ELNS_25InMemoryDataOperationEnumE0ELi2ELNS_10TailNumberE10EEEvNT_8ArgumentE: ; @_ZN2ck27kernel_gemm_xdl_cshuffle_v3INS_28GridwiseGemm_xdl_cshuffle_v3INS_13tensor_layout4gemm8RowMajorENS3_11ColumnMajorES4_NS_9f8_fnuz_tENS_7pk_i4_tEfDF16_DF16_NS_16tensor_operation12element_wise11PassThroughESA_SA_LNS8_6device18GemmSpecializationE0ELi256ELi128ELi128ELi128ELi16ELi16ELi16ELi16ELi4ELi4ENS_8SequenceIJLi8ELi32ELi1EEEENSD_IJLi1ELi0ELi2EEEESF_Li2ELi16ELi16ELb0ELi0ENSD_IJLi4ELi64ELi1EEEESF_SF_Li2ELi16ELi16ELb0ELi0ELi1ELi1ENSD_IJLi1ELi32ELi1ELi8EEEELi4ELNS_26BlockGemmPipelineSchedulerE1ELNS_24BlockGemmPipelineVersionE1ES6_S6_Lb0ELb1ELb0ELi0ELb0EEELb1ELNS_25InMemoryDataOperationEnumE0ELi2ELNS_10TailNumberE10EEEvNT_8ArgumentE
; %bb.0:
	s_add_u32 flat_scratch_lo, s6, s10
	s_addc_u32 flat_scratch_hi, s7, 0
	s_add_u32 s0, s0, s10
	s_load_dwordx8 s[16:23], s[4:5], 0x10
	s_load_dword s10, s[4:5], 0x68
	s_load_dwordx2 s[28:29], s[4:5], 0x60
	s_load_dwordx4 s[12:15], s[4:5], 0x50
	s_addc_u32 s1, s1, 0
	s_waitcnt lgkmcnt(0)
	s_cmp_gt_i32 s22, 1
	s_cselect_b64 s[6:7], -1, 0
	s_bitcmp1_b32 s10, 0
	s_cselect_b64 s[10:11], -1, 0
	s_and_b64 s[6:7], s[6:7], s[10:11]
	v_mov_b32_e32 v18, v0
	s_andn2_b64 vcc, exec, s[6:7]
	s_mov_b64 s[34:35], 0
	s_mov_b32 s32, 0x9000
	s_cbranch_vccnz .LBB18_2
; %bb.1:
	s_mul_i32 s6, s16, s9
	s_mul_i32 s34, s6, s17
	s_ashr_i32 s35, s34, 31
.LBB18_2:
	s_load_dword s7, s[4:5], 0x34
	s_load_dword s6, s[4:5], 0x3c
	s_add_i32 s4, s16, -1
	s_cmpk_lt_u32 s4, 0x80
	s_mov_b32 s23, 0
	s_cbranch_scc1 .LBB18_6
; %bb.3:
	s_add_i32 s4, s17, -1
	s_cmpk_lt_u32 s4, 0x80
	s_mov_b32 s4, 0
	s_cbranch_scc1 .LBB18_10
; %bb.4:
	s_add_i32 s4, s16, 0x7f
	s_ashr_i32 s5, s4, 31
	s_lshr_b32 s5, s5, 25
	s_add_i32 s4, s4, s5
	s_ashr_i32 s11, s4, 7
	s_add_i32 s4, s17, 0x7f
	s_ashr_i32 s5, s4, 31
	s_lshr_b32 s5, s5, 25
	s_add_i32 s4, s4, s5
	s_ashr_i32 s10, s4, 7
	s_mul_i32 s4, s10, s11
	s_add_i32 s5, s4, 7
	s_ashr_i32 s24, s5, 31
	s_lshr_b32 s24, s24, 29
	s_add_i32 s5, s5, s24
	s_ashr_i32 s24, s5, 3
	s_and_b32 s5, s5, -8
	s_sub_i32 s25, s4, s5
	s_ashr_i32 s4, s8, 31
	s_lshr_b32 s4, s4, 29
	s_add_i32 s27, s8, s4
	s_and_b32 s4, s27, -8
	s_add_i32 s25, s25, 8
	s_sub_i32 s26, s8, s4
	s_cmp_gt_i32 s26, s25
	s_cbranch_scc1 .LBB18_7
; %bb.5:
	s_mul_i32 s8, s24, s26
	s_ashr_i32 s4, s27, 3
	s_cbranch_execz .LBB18_8
	s_branch .LBB18_9
.LBB18_6:
	s_mov_b32 s11, 0
	s_branch .LBB18_11
.LBB18_7:
                                        ; implicit-def: $sgpr8
	s_ashr_i32 s4, s27, 3
.LBB18_8:
	s_add_i32 s5, s24, -1
	s_mul_i32 s5, s5, s26
	s_add_i32 s8, s25, s5
.LBB18_9:
	s_abs_i32 s5, s10
	v_cvt_f32_u32_e32 v0, s5
	s_sub_i32 s25, 0, s5
	s_add_i32 s4, s8, s4
	s_abs_i32 s24, s4
	v_rcp_iflag_f32_e32 v0, v0
	s_xor_b32 s8, s4, s10
	s_ashr_i32 s8, s8, 31
	v_mul_f32_e32 v0, 0x4f7ffffe, v0
	v_cvt_u32_f32_e32 v0, v0
	v_readfirstlane_b32 s26, v0
	s_mul_i32 s25, s25, s26
	s_mul_hi_u32 s25, s26, s25
	s_add_i32 s26, s26, s25
	s_mul_hi_u32 s25, s24, s26
	s_mul_i32 s26, s25, s5
	s_sub_i32 s24, s24, s26
	s_add_i32 s27, s25, 1
	s_sub_i32 s26, s24, s5
	s_cmp_ge_u32 s24, s5
	s_cselect_b32 s25, s27, s25
	s_cselect_b32 s24, s26, s24
	s_add_i32 s26, s25, 1
	s_cmp_ge_u32 s24, s5
	s_cselect_b32 s5, s26, s25
	s_xor_b32 s5, s5, s8
	s_lshr_b32 s24, s11, 30
	s_sub_i32 s5, s5, s8
	s_add_i32 s24, s11, s24
	s_mul_i32 s8, s5, s10
	s_sub_i32 s4, s4, s8
	s_and_b32 s8, s24, -4
	s_sub_i32 s11, s11, s8
	s_cmp_ge_i32 s5, s8
	s_cselect_b32 s8, s11, 4
	s_abs_i32 s24, s8
	v_cvt_f32_u32_e32 v0, s24
	s_ashr_i32 s11, s5, 31
	s_lshr_b32 s11, s11, 30
	s_add_i32 s11, s5, s11
	v_rcp_iflag_f32_e32 v0, v0
	s_and_b32 s11, s11, -4
	s_sub_i32 s11, s5, s11
	s_sub_i32 s26, 0, s24
	v_mul_f32_e32 v0, 0x4f7ffffe, v0
	v_cvt_u32_f32_e32 v0, v0
	s_mul_i32 s10, s11, s10
	s_add_i32 s10, s10, s4
	s_abs_i32 s25, s10
	v_readfirstlane_b32 s27, v0
	s_mul_i32 s26, s26, s27
	s_mul_hi_u32 s26, s27, s26
	s_add_i32 s27, s27, s26
	s_mul_hi_u32 s26, s25, s27
	s_mul_i32 s27, s26, s24
	s_xor_b32 s4, s10, s8
	s_sub_i32 s25, s25, s27
	s_ashr_i32 s4, s4, 31
	s_add_i32 s27, s26, 1
	s_sub_i32 s30, s25, s24
	s_cmp_ge_u32 s25, s24
	s_cselect_b32 s26, s27, s26
	s_cselect_b32 s25, s30, s25
	s_add_i32 s27, s26, 1
	s_cmp_ge_u32 s25, s24
	s_cselect_b32 s24, s27, s26
	s_xor_b32 s24, s24, s4
	s_sub_i32 s4, s24, s4
	s_mul_i32 s8, s4, s8
	s_sub_i32 s8, s10, s8
	s_add_i32 s8, s8, s5
	s_sub_i32 s8, s8, s11
.LBB18_10:
	s_mov_b32 s11, s8
	s_mov_b32 s8, s4
.LBB18_11:
	s_waitcnt lgkmcnt(0)
	s_mul_i32 s4, s7, s9
	s_mul_i32 s5, s4, s17
	s_lshr_b32 s5, s5, 1
	s_ashr_i32 s10, s4, 31
	s_add_u32 s24, s12, s4
	s_addc_u32 s25, s13, s10
	s_add_u32 s36, s14, s5
	s_addc_u32 s37, s15, 0
	s_add_u32 s42, 0, 0
	s_addc_u32 s43, s16, -1
	s_ashr_i32 s4, s20, 31
	s_lshr_b32 s4, s4, 25
	s_add_i32 s10, s22, -1
	s_add_i32 s4, s20, s4
	s_mul_i32 s12, s10, s7
	s_ashr_i32 s4, s4, 7
	s_lshl_b32 s44, s17, 7
	s_sub_i32 s12, s18, s12
	s_cmp_lt_u32 s9, s10
	v_lshrrev_b32_e32 v3, 1, v18
	s_cselect_b32 s7, s7, s12
	s_lshl_b32 s9, s11, 7
	v_and_b32_e32 v37, 7, v18
	v_and_b32_e32 v5, 0x7c, v3
	;; [unrolled: 1-line block ×3, first 2 shown]
	v_add_u32_e32 v1, s9, v5
	v_xor_b32_e32 v4, v32, v37
	v_lshlrev_b32_e32 v5, 7, v5
	s_mov_b64 s[14:15], src_private_base
	v_lshl_or_b32 v33, v4, 4, v5
	v_lshlrev_b32_e32 v5, 1, v18
	s_lshl_b32 s14, s8, 7
	v_and_b32_e32 v38, 6, v5
	v_and_b32_e32 v6, 0x7e, v3
	v_add_u32_e32 v6, s14, v6
	v_lshlrev_b32_e32 v7, 4, v38
	v_lshl_or_b32 v24, v6, 7, v7
	v_lshrrev_b32_e32 v6, 2, v18
	v_lshlrev_b32_e32 v34, 1, v38
	v_bfe_u32 v35, v18, 2, 4
	v_xor_b32_e32 v36, v34, v35
	v_lshlrev_b32_e32 v7, 8, v6
	v_lshl_or_b32 v39, v36, 4, v7
	v_and_b32_e32 v7, 63, v18
	v_and_b32_e32 v8, 48, v18
	v_sub_u32_e32 v7, v7, v8
	v_and_b32_e32 v72, 16, v6
	v_add_u32_e32 v44, v72, v7
	v_lshrrev_b16_e32 v6, 7, v44
	v_lshrrev_b32_e32 v19, 3, v18
	v_and_b32_e32 v6, 1, v6
	v_and_b32_e32 v8, 0x60, v5
	;; [unrolled: 1-line block ×3, first 2 shown]
	v_add_u16_e32 v6, v44, v6
	v_mov_b32_e32 v45, 1
	v_mov_b32_e32 v50, 11
	v_add_u32_e32 v40, v7, v5
	v_ashrrev_i16_sdwa v46, v45, sext(v6) dst_sel:DWORD dst_unused:UNUSED_PAD src0_sel:DWORD src1_sel:BYTE_0
	v_and_b32_e32 v7, 0xfe, v6
	v_lshrrev_b16_sdwa v6, v50, sext(v6) dst_sel:DWORD dst_unused:UNUSED_PAD src0_sel:DWORD src1_sel:BYTE_0
	v_and_b32_e32 v6, 15, v6
	v_add_u16_e32 v6, v46, v6
	s_mul_i32 s5, s43, s19
	v_lshlrev_b32_e32 v0, 4, v37
	v_mul_lo_u32 v2, v1, s19
	v_and_b32_e32 v6, 0xf0, v6
	v_mov_b32_e32 v48, 0
	v_add_u32_e32 v74, v2, v0
	v_sub_u16_e32 v7, v44, v7
	v_lshrrev_b32_e32 v47, 3, v8
	v_sub_u16_e32 v51, v46, v6
	v_mov_b32_e32 v6, 8
	buffer_store_dword v48, off, s[0:3], 0 offset:556
	buffer_store_dword v48, off, s[0:3], 0 offset:552
	;; [unrolled: 1-line block ×128, first 2 shown]
	s_add_i32 s26, s7, s5
	s_mov_b32 s27, 0x20000
	v_lshrrev_b32_e32 v41, 4, v8
	v_add_u32_sdwa v49, v47, sext(v7) dst_sel:DWORD dst_unused:UNUSED_PAD src0_sel:DWORD src1_sel:BYTE_0
	v_lshlrev_b32_sdwa v58, v6, sext(v46) dst_sel:DWORD dst_unused:UNUSED_PAD src0_sel:DWORD src1_sel:WORD_0
	v_add_u32_e32 v14, s19, v74
	buffer_load_dwordx4 v[6:9], v74, s[24:27], 0 offen
	buffer_load_dwordx4 v[10:13], v14, s[24:27], 0 offen
	v_add_u32_e32 v25, s19, v14
	v_add_u32_e32 v52, s19, v25
	buffer_load_dwordx4 v[14:17], v25, s[24:27], 0 offen
	buffer_load_dwordx4 v[20:23], v52, s[24:27], 0 offen
	v_or_b32_e32 v25, 1, v38
	v_sub_u32_e32 v26, v25, v38
	v_lshlrev_b32_e32 v54, 4, v26
	v_ashrrev_i32_e32 v53, 1, v24
	v_add_u32_e32 v24, v24, v54
	v_sub_u32_e32 v25, v38, v25
	s_mul_i32 s4, s17, s4
	v_ashrrev_i32_e32 v55, 1, v24
	v_add_u32_e32 v24, 0x80, v24
	v_lshlrev_b32_e32 v61, 4, v25
	s_lshl_b32 s38, s4, 6
	s_mov_b32 s39, s27
	v_add_u32_e32 v62, v24, v61
	v_ashrrev_i32_e32 v60, 1, v24
	v_ashrrev_i32_e32 v63, 1, v62
	buffer_load_dwordx2 v[24:25], v53, s[36:39], 0 offen
	buffer_load_dwordx2 v[26:27], v55, s[36:39], 0 offen
	;; [unrolled: 1-line block ×4, first 2 shown]
	s_nop 0
	buffer_store_dword v48, off, s[0:3], 0 offset:308
	buffer_store_dword v48, off, s[0:3], 0 offset:304
	;; [unrolled: 1-line block ×64, first 2 shown]
	s_movk_i32 s5, 0xff00
	s_mul_i32 s4, s19, -3
	s_addk_i32 s4, 0x80
	v_add_u32_e32 v52, s4, v52
	s_add_i32 s4, s44, 0xffffff80
	v_add_u32_e32 v53, s4, v62
	v_lshrrev_b16_e32 v5, 13, v40
	v_add_u16_e32 v5, v40, v5
	v_and_b32_e32 v5, -8, v5
	v_sub_u16_e32 v42, v40, v5
	v_xor_b32_sdwa v43, v41, sext(v42) dst_sel:DWORD dst_unused:UNUSED_PAD src0_sel:DWORD src1_sel:WORD_0
	v_lshlrev_b32_e32 v5, 7, v40
	v_lshl_add_u32 v73, v43, 4, v5
	v_xor_b32_sdwa v56, v49, sext(v51) dst_sel:DWORD dst_unused:UNUSED_PAD src0_sel:DWORD src1_sel:BYTE_0
	v_lshlrev_b32_e32 v57, 4, v56
	v_add_u32_e32 v59, v57, v58
	v_or_b32_e32 v3, 3, v3
	v_xor_b32_e32 v3, v3, v18
	v_and_b32_e32 v3, 7, v3
	s_ashr_i32 s8, s6, 31
	s_lshr_b32 s8, s8, 29
	s_add_i32 s6, s6, s8
	s_movk_i32 s20, 0x130
	s_ashr_i32 s47, s6, 3
	s_mov_b32 s22, 44
	s_movk_i32 s33, 0xac
	s_mov_b32 s6, 41
	s_mov_b32 s8, 40
	v_mov_b32_e32 v75, 2
	s_mov_b32 s40, s15
	s_mov_b32 s41, s15
	s_movk_i32 s18, 0xff80
	v_or_b32_e32 v96, 16, v38
	s_mov_b32 s45, 0
	s_mov_b32 s46, s15
	s_add_i32 s47, s47, -2
	v_mov_b32_e32 v99, 2
	v_add3_u32 v100, v2, s19, v0
	s_movk_i32 s48, 0x190
	v_mov_b32_e32 v101, s15
	v_mov_b32_e32 v102, s8
	;; [unrolled: 1-line block ×11, first 2 shown]
	s_waitcnt vmcnt(62)
	ds_write_b128 v33, v[6:9]
	v_or_b32_e32 v6, 1, v32
	v_xor_b32_e32 v6, v6, v37
	v_or_b32_e32 v8, 2, v32
	v_sub_u32_e32 v7, v6, v4
	v_xor_b32_e32 v8, v8, v37
	v_lshlrev_b32_e32 v77, 4, v7
	v_sub_u32_e32 v6, v8, v6
	v_add_u32_e32 v94, 0x80, v77
	v_lshlrev_b32_e32 v78, 4, v6
	v_add_u32_e32 v7, v94, v33
	v_add_u32_e32 v95, 0x80, v78
	ds_write_b128 v7, v[10:13]
	v_add_u32_e32 v6, v95, v7
	v_or_b32_e32 v7, 3, v32
	v_xor_b32_e32 v7, v7, v37
	v_sub_u32_e32 v9, v7, v8
	v_lshlrev_b32_e32 v9, 4, v9
	v_sub_u32_e32 v7, v4, v7
	ds_write_b128 v6, v[14:17]
	v_add_u32_e32 v6, v9, v6
	v_lshlrev_b32_e32 v7, 4, v7
	ds_write_b128 v6, v[20:23] offset:128
	v_add3_u32 v48, v6, v7, s5
	v_and_b32_e32 v6, 0xff000000, v25
	v_and_b32_e32 v7, 0xff0000, v25
	v_or_b32_e32 v6, v7, v6
	v_and_b32_e32 v7, 0xff00, v25
	v_and_b32_e32 v9, 0xff, v25
	v_or3_b32 v25, v6, v7, v9
	v_lshrrev_b32_e32 v6, 1, v39
	ds_write_b64 v6, v[24:25] offset:16384
	v_or_b32_e32 v6, 1, v34
	v_xor_b32_e32 v6, v6, v35
	v_sub_u32_e32 v7, v6, v36
	v_lshlrev_b32_e32 v81, 4, v7
	v_and_b32_e32 v9, 0xff000000, v31
	v_and_b32_e32 v10, 0xff0000, v31
	v_add_u32_e32 v7, v81, v39
	v_or_b32_e32 v9, v10, v9
	v_and_b32_e32 v10, 0xff00, v31
	v_and_b32_e32 v11, 0xff, v31
	v_or3_b32 v31, v9, v10, v11
	v_ashrrev_i32_e32 v9, 1, v7
	ds_write_b64 v9, v[30:31] offset:16384
	v_or_b32_e32 v9, 3, v34
	v_xor_b32_e32 v9, v9, v35
	v_sub_u32_e32 v6, v9, v6
	v_lshlrev_b32_e32 v82, 4, v6
	v_add_u32_e32 v6, v7, v82
	v_and_b32_e32 v7, 0xff000000, v29
	v_and_b32_e32 v10, 0xff0000, v29
	v_or_b32_e32 v7, v7, v10
	v_and_b32_e32 v10, 0xff00, v29
	v_and_b32_e32 v11, 0xff, v29
	v_or3_b32 v29, v7, v10, v11
	v_ashrrev_i32_e32 v7, 1, v6
	ds_write_b64 v7, v[28:29] offset:16384
	v_or_b32_e32 v7, 2, v34
	v_xor_b32_e32 v7, v7, v35
	v_sub_u32_e32 v10, v7, v9
	v_lshlrev_b32_e32 v83, 4, v10
	v_and_b32_e32 v11, 0xff000000, v27
	v_and_b32_e32 v12, 0xff0000, v27
	v_add_u32_e32 v10, v6, v83
	v_or_b32_e32 v11, v11, v12
	v_and_b32_e32 v12, 0xff00, v27
	v_and_b32_e32 v13, 0xff, v27
	v_or3_b32 v27, v11, v12, v13
	v_ashrrev_i32_e32 v10, 1, v10
	v_sub_u32_e32 v9, v36, v9
	ds_write_b64 v10, v[26:27] offset:16384
	v_sub_u32_e32 v7, v36, v7
	v_lshl_add_u32 v36, v9, 4, v6
	v_add_u32_e32 v6, s19, v52
	buffer_load_dwordx4 v[32:35], v52, s[24:27], 0 offen
	buffer_load_dwordx4 v[24:27], v6, s[24:27], 0 offen
	v_add_u32_e32 v6, s19, v6
	v_add_u32_e32 v9, s19, v6
	buffer_load_dwordx4 v[28:31], v6, s[24:27], 0 offen
	buffer_load_dwordx4 v[20:23], v9, s[24:27], 0 offen
	v_add_u32_e32 v9, v53, v54
	v_lshrrev_b32_e32 v10, 31, v9
	v_add_u32_e32 v10, v9, v10
	v_add_u32_e32 v9, 0x80, v9
	v_lshrrev_b32_e32 v11, 31, v9
	v_add_u32_e32 v11, v9, v11
	v_add_u32_e32 v9, v9, v61
	v_lshrrev_b32_e32 v12, 31, v9
	v_ashrrev_i32_e32 v6, 1, v53
	v_add_u32_e32 v12, v9, v12
	v_ashrrev_i32_e32 v10, 1, v10
	v_ashrrev_i32_e32 v11, 1, v11
	;; [unrolled: 1-line block ×3, first 2 shown]
	buffer_load_dwordx2 v[62:63], v6, s[36:39], 0 offen
	buffer_load_dwordx2 v[52:53], v10, s[36:39], 0 offen
	;; [unrolled: 1-line block ×4, first 2 shown]
	v_add_u16_e32 v10, 32, v40
	v_ashrrev_i16_e32 v11, 15, v10
	v_xor_b32_e32 v12, v41, v37
	v_or_b32_e32 v6, 1, v41
	v_lshrrev_b16_e32 v11, 13, v11
	v_sub_u32_e32 v12, v12, v43
	v_add_u16_e32 v11, v10, v11
	v_lshl_add_u32 v90, v12, 4, v73
	v_xor_b32_e32 v12, v6, v37
	v_and_b32_e32 v11, -8, v11
	v_sub_u32_e32 v12, v12, v43
	v_sub_u16_e32 v10, v10, v11
	v_lshlrev_b32_e32 v12, 4, v12
	v_add_u32_e32 v111, s4, v9
	v_xor_b32_sdwa v9, v6, sext(v42) dst_sel:DWORD dst_unused:UNUSED_PAD src0_sel:DWORD src1_sel:WORD_0
	v_xor_b32_sdwa v11, v41, sext(v10) dst_sel:DWORD dst_unused:UNUSED_PAD src0_sel:DWORD src1_sel:WORD_0
	;; [unrolled: 1-line block ×3, first 2 shown]
	v_add_u32_e32 v89, v73, v12
	v_add_u16_e32 v12, v57, v58
	v_sub_u32_e32 v6, v6, v41
	v_ashrrev_i16_e32 v12, 1, v12
	v_lshlrev_b32_e32 v6, 1, v6
	v_bfe_i32 v88, v12, 0, 16
	v_add_u32_e32 v12, v49, v6
	v_xor_b32_sdwa v12, v12, sext(v51) dst_sel:DWORD dst_unused:UNUSED_PAD src0_sel:DWORD src1_sel:BYTE_0
	v_lshl_add_u32 v12, v12, 4, v58
	v_ashrrev_i32_e32 v86, 1, v12
	v_add_u16_e32 v12, 32, v44
	v_lshrrev_b16_e32 v13, 7, v12
	v_and_b32_e32 v13, 1, v13
	v_add_u16_e32 v13, v12, v13
	v_ashrrev_i16_sdwa v14, v45, sext(v13) dst_sel:DWORD dst_unused:UNUSED_PAD src0_sel:DWORD src1_sel:BYTE_0
	v_and_b32_e32 v16, 0xfe, v13
	v_lshrrev_b16_sdwa v13, v50, sext(v13) dst_sel:DWORD dst_unused:UNUSED_PAD src0_sel:DWORD src1_sel:BYTE_0
	v_and_b32_e32 v13, 15, v13
	v_add_u16_e32 v13, v14, v13
	v_sub_u16_e32 v12, v12, v16
	v_and_b32_e32 v13, 0xf0, v13
	v_add_u32_sdwa v12, v47, sext(v12) dst_sel:DWORD dst_unused:UNUSED_PAD src0_sel:DWORD src1_sel:BYTE_0
	v_sub_u16_e32 v13, v14, v13
	v_sub_u16_e32 v15, v14, v46
	v_xor_b32_sdwa v14, v12, sext(v13) dst_sel:DWORD dst_unused:UNUSED_PAD src0_sel:DWORD src1_sel:BYTE_0
	v_add_u32_e32 v12, v12, v6
	v_bfe_i32 v15, v15, 0, 16
	v_xor_b32_sdwa v12, v12, sext(v13) dst_sel:DWORD dst_unused:UNUSED_PAD src0_sel:DWORD src1_sel:BYTE_0
	v_sub_u32_e32 v14, v14, v56
	v_lshl_add_u32 v15, v15, 8, v59
	v_sub_u32_e32 v12, v12, v56
	v_lshl_add_u32 v14, v14, 4, v15
	v_lshl_add_u32 v12, v12, 4, v15
	v_ashrrev_i32_e32 v87, 1, v14
	v_ashrrev_i32_e32 v85, 1, v12
	v_add_u32_e32 v12, 64, v44
	v_and_or_b32 v14, v18, 1, v47
	v_lshrrev_b32_e32 v13, 1, v12
	v_bfe_u32 v12, v12, 1, 4
	v_add_u32_e32 v6, v6, v14
	v_sub_u32_sdwa v13, v13, sext(v46) dst_sel:DWORD dst_unused:UNUSED_PAD src0_sel:DWORD src1_sel:WORD_0
	v_xor_b32_e32 v15, v12, v14
	v_xor_b32_e32 v12, v6, v12
	v_lshl_add_u32 v13, v13, 8, v59
	v_sub_u32_e32 v12, v12, v56
	v_lshl_add_u32 v12, v12, 4, v13
	v_sub_u32_e32 v15, v15, v56
	v_ashrrev_i32_e32 v80, 1, v12
	v_add_u32_e32 v12, 0x60, v44
	v_lshl_add_u32 v15, v15, 4, v13
	v_lshrrev_b32_e32 v13, 1, v12
	v_bfe_u32 v12, v12, 1, 4
	v_sub_u32_sdwa v13, v13, sext(v46) dst_sel:DWORD dst_unused:UNUSED_PAD src0_sel:DWORD src1_sel:WORD_0
	v_xor_b32_e32 v6, v6, v12
	v_lshl_add_u32 v13, v13, 8, v59
	v_sub_u32_e32 v6, v6, v56
	v_lshl_add_u32 v6, v6, 4, v13
	v_ashrrev_i32_e32 v76, 1, v6
	v_sub_u32_e32 v6, v3, v8
	v_sub_u32_e32 v3, v4, v3
	v_mov_b32_e32 v4, 0xfffffe80
	v_xor_b32_e32 v14, v12, v14
	v_lshl_add_u32 v93, v3, 4, v4
	v_add_u32_e32 v3, 3, v1
	v_sub_u32_e32 v11, v11, v43
	v_sub_u32_e32 v10, v10, v43
	;; [unrolled: 1-line block ×3, first 2 shown]
	v_mad_u64_u32 v[56:57], s[4:5], s19, v3, v[0:1]
	v_add_u32_e32 v1, 2, v1
	v_lshlrev_b32_e32 v9, 4, v9
	v_lshlrev_b32_e32 v11, 4, v11
	;; [unrolled: 1-line block ×3, first 2 shown]
	v_lshl_add_u32 v14, v14, 4, v13
	v_lshlrev_b32_e32 v92, 4, v6
	v_mad_u64_u32 v[58:59], s[4:5], s19, v1, v[0:1]
	v_ashrrev_i32_e32 v84, 1, v15
	v_ashrrev_i32_e32 v79, 1, v14
	v_add_u32_e32 v97, 0x80, v92
	v_lshlrev_b32_e32 v98, 4, v7
	s_movk_i32 s19, 0xfef0
	v_add_u32_e32 v91, v9, v5
	v_add_u32_e32 v59, v73, v11
	;; [unrolled: 1-line block ×3, first 2 shown]
.LBB18_12:                              ; =>This Inner Loop Header: Depth=1
	s_waitcnt lgkmcnt(0)
	s_barrier
	ds_read_b128 v[0:3], v73
	ds_read_b128 v[4:7], v90 offset:8192
	ds_read_b128 v[8:11], v91
	v_add_u32_e32 v113, s48, v74
	v_lshlrev_b32_e32 v64, 7, v99
	s_waitcnt lgkmcnt(2)
	buffer_store_dword v0, off, s[0:3], 0 offset:44
	buffer_store_dword v1, off, s[0:3], 0 offset:48
	;; [unrolled: 1-line block ×4, first 2 shown]
	ds_read_b128 v[0:3], v59 offset:4096
	s_waitcnt lgkmcnt(1)
	buffer_store_dword v8, off, s[0:3], 0 offset:60
	buffer_store_dword v9, off, s[0:3], 0 offset:64
	;; [unrolled: 1-line block ×4, first 2 shown]
	ds_read_b128 v[8:11], v57 offset:4096
	s_waitcnt lgkmcnt(1)
	buffer_store_dword v0, off, s[0:3], 0 offset:76
	buffer_store_dword v1, off, s[0:3], 0 offset:80
	;; [unrolled: 1-line block ×4, first 2 shown]
	s_waitcnt lgkmcnt(0)
	buffer_store_dword v8, off, s[0:3], 0 offset:92
	buffer_store_dword v9, off, s[0:3], 0 offset:96
	;; [unrolled: 1-line block ×5, first 2 shown]
	ds_read_b128 v[0:3], v89 offset:8192
	buffer_store_dword v5, off, s[0:3], 0 offset:112
	buffer_store_dword v6, off, s[0:3], 0 offset:116
	;; [unrolled: 1-line block ×3, first 2 shown]
	ds_read_b128 v[4:7], v90 offset:12288
	s_waitcnt lgkmcnt(1)
	buffer_store_dword v0, off, s[0:3], 0 offset:124
	buffer_store_dword v1, off, s[0:3], 0 offset:128
	;; [unrolled: 1-line block ×4, first 2 shown]
	s_waitcnt lgkmcnt(0)
	buffer_store_dword v4, off, s[0:3], 0 offset:140
	ds_read_b128 v[0:3], v89 offset:12288
	buffer_store_dword v5, off, s[0:3], 0 offset:144
	buffer_store_dword v6, off, s[0:3], 0 offset:148
	;; [unrolled: 1-line block ×3, first 2 shown]
	ds_read_b64 v[4:5], v88 offset:16384
	s_waitcnt lgkmcnt(1)
	buffer_store_dword v0, off, s[0:3], 0 offset:156
	buffer_store_dword v1, off, s[0:3], 0 offset:160
	buffer_store_dword v2, off, s[0:3], 0 offset:164
	buffer_store_dword v3, off, s[0:3], 0 offset:168
	s_waitcnt lgkmcnt(0)
	;;#ASMSTART
	v_cvt_off_f32_i4 v0, v4
v_cvt_off_f32_i4 v1, v4, src0_sel:BYTE_2
v_cvt_pk_fp8_f32 v3, v0, v1
v_cvt_off_f32_i4 v0, v4, src0_sel:BYTE_1
v_cvt_off_f32_i4 v1, v4, src0_sel:BYTE_3
v_cvt_pk_fp8_f32 v6, v0, v1
v_lshrrev_b32 v2, 4, v4
v_cvt_off_f32_i4 v0, v2
v_cvt_off_f32_i4 v1, v2, src0_sel:BYTE_2
v_cvt_pk_fp8_f32 v3, v0, v1, op_sel:[0, 0, 1]
v_cvt_off_f32_i4 v0, v2, src0_sel:BYTE_1
v_cvt_off_f32_i4 v1, v2, src0_sel:BYTE_3
v_cvt_pk_fp8_f32 v6, v0, v1, op_sel:[0, 0, 1]

	;;#ASMEND
	;;#ASMSTART
	v_cvt_off_f32_i4 v0, v5
v_cvt_off_f32_i4 v1, v5, src0_sel:BYTE_2
v_cvt_pk_fp8_f32 v4, v0, v1
v_cvt_off_f32_i4 v0, v5, src0_sel:BYTE_1
v_cvt_off_f32_i4 v1, v5, src0_sel:BYTE_3
v_cvt_pk_fp8_f32 v7, v0, v1
v_lshrrev_b32 v2, 4, v5
v_cvt_off_f32_i4 v0, v2
v_cvt_off_f32_i4 v1, v2, src0_sel:BYTE_2
v_cvt_pk_fp8_f32 v4, v0, v1, op_sel:[0, 0, 1]
v_cvt_off_f32_i4 v0, v2, src0_sel:BYTE_1
v_cvt_off_f32_i4 v1, v2, src0_sel:BYTE_3
v_cvt_pk_fp8_f32 v7, v0, v1, op_sel:[0, 0, 1]

	;;#ASMEND
	ds_read_b64 v[0:1], v86 offset:16384
	buffer_store_dword v3, off, s[0:3], 0 offset:172
	buffer_store_dword v6, off, s[0:3], 0 offset:176
	buffer_store_dword v4, off, s[0:3], 0 offset:180
	buffer_store_dword v7, off, s[0:3], 0 offset:184
	s_waitcnt lgkmcnt(0)
	;;#ASMSTART
	v_cvt_off_f32_i4 v2, v0
v_cvt_off_f32_i4 v3, v0, src0_sel:BYTE_2
v_cvt_pk_fp8_f32 v5, v2, v3
v_cvt_off_f32_i4 v2, v0, src0_sel:BYTE_1
v_cvt_off_f32_i4 v3, v0, src0_sel:BYTE_3
v_cvt_pk_fp8_f32 v6, v2, v3
v_lshrrev_b32 v4, 4, v0
v_cvt_off_f32_i4 v2, v4
v_cvt_off_f32_i4 v3, v4, src0_sel:BYTE_2
v_cvt_pk_fp8_f32 v5, v2, v3, op_sel:[0, 0, 1]
v_cvt_off_f32_i4 v2, v4, src0_sel:BYTE_1
v_cvt_off_f32_i4 v3, v4, src0_sel:BYTE_3
v_cvt_pk_fp8_f32 v6, v2, v3, op_sel:[0, 0, 1]

	;;#ASMEND
	;;#ASMSTART
	v_cvt_off_f32_i4 v0, v1
v_cvt_off_f32_i4 v2, v1, src0_sel:BYTE_2
v_cvt_pk_fp8_f32 v4, v0, v2
v_cvt_off_f32_i4 v0, v1, src0_sel:BYTE_1
v_cvt_off_f32_i4 v2, v1, src0_sel:BYTE_3
v_cvt_pk_fp8_f32 v7, v0, v2
v_lshrrev_b32 v3, 4, v1
v_cvt_off_f32_i4 v0, v3
v_cvt_off_f32_i4 v2, v3, src0_sel:BYTE_2
v_cvt_pk_fp8_f32 v4, v0, v2, op_sel:[0, 0, 1]
v_cvt_off_f32_i4 v0, v3, src0_sel:BYTE_1
v_cvt_off_f32_i4 v2, v3, src0_sel:BYTE_3
v_cvt_pk_fp8_f32 v7, v0, v2, op_sel:[0, 0, 1]

	;;#ASMEND
	ds_read_b64 v[0:1], v87 offset:16384
	;; [unrolled: 38-line block ×7, first 2 shown]
	buffer_store_dword v5, off, s[0:3], 0 offset:268
	buffer_store_dword v6, off, s[0:3], 0 offset:272
	;; [unrolled: 1-line block ×4, first 2 shown]
	s_waitcnt lgkmcnt(0)
	;;#ASMSTART
	v_cvt_off_f32_i4 v2, v0
v_cvt_off_f32_i4 v3, v0, src0_sel:BYTE_2
v_cvt_pk_fp8_f32 v5, v2, v3
v_cvt_off_f32_i4 v2, v0, src0_sel:BYTE_1
v_cvt_off_f32_i4 v3, v0, src0_sel:BYTE_3
v_cvt_pk_fp8_f32 v6, v2, v3
v_lshrrev_b32 v4, 4, v0
v_cvt_off_f32_i4 v2, v4
v_cvt_off_f32_i4 v3, v4, src0_sel:BYTE_2
v_cvt_pk_fp8_f32 v5, v2, v3, op_sel:[0, 0, 1]
v_cvt_off_f32_i4 v2, v4, src0_sel:BYTE_1
v_cvt_off_f32_i4 v3, v4, src0_sel:BYTE_3
v_cvt_pk_fp8_f32 v6, v2, v3, op_sel:[0, 0, 1]

	;;#ASMEND
	v_add_u32_e32 v37, 0xffffff70, v113
	;;#ASMSTART
	v_cvt_off_f32_i4 v0, v1
v_cvt_off_f32_i4 v2, v1, src0_sel:BYTE_2
v_cvt_pk_fp8_f32 v4, v0, v2
v_cvt_off_f32_i4 v0, v1, src0_sel:BYTE_1
v_cvt_off_f32_i4 v2, v1, src0_sel:BYTE_3
v_cvt_pk_fp8_f32 v7, v0, v2
v_lshrrev_b32 v3, 4, v1
v_cvt_off_f32_i4 v0, v3
v_cvt_off_f32_i4 v2, v3, src0_sel:BYTE_2
v_cvt_pk_fp8_f32 v4, v0, v2, op_sel:[0, 0, 1]
v_cvt_off_f32_i4 v0, v3, src0_sel:BYTE_1
v_cvt_off_f32_i4 v2, v3, src0_sel:BYTE_3
v_cvt_pk_fp8_f32 v7, v0, v2, op_sel:[0, 0, 1]

	;;#ASMEND
	buffer_store_dword v5, off, s[0:3], 0 offset:284
	buffer_store_dword v6, off, s[0:3], 0 offset:288
	;; [unrolled: 1-line block ×4, first 2 shown]
	; sched_barrier mask(0x00000000)
	s_barrier
	; sched_barrier mask(0x00000000)
	v_mov_b32_e32 v0, s45
	v_mov_b32_e32 v1, s46
	buffer_store_dword v101, off, s[0:3], 0 offset:4
	buffer_store_dword v102, off, s[0:3], 0
	buffer_store_dword v103, off, s[0:3], 0 offset:12
	buffer_store_dword v104, off, s[0:3], 0 offset:8
	;; [unrolled: 1-line block ×8, first 2 shown]
	s_getpc_b64 s[4:5]
	s_add_u32 s4, s4, _ZNK2ck6detail7applierIiJLi0ELi1ELi2ELi3ELi4ELi5ELi6ELi7ELi8ELi9ELi10ELi11ELi12ELi13ELi14ELi15EEEclIZNKS_11static_fordINS_8SequenceIJLi4ELi4EEEENS5_IJLi0ELi1EEEEEclIZZZZNKS_31BlockwiseGemmXdlops_pipeline_v2ILNS_26BlockGemmPipelineSchedulerE1ELi256ENS_9f8_fnuz_tENS_7pk_i4_tESC_fNS_16TensorDescriptorINS_5TupleIJNS_5EmbedINSF_IJNS_17integral_constantIiLi8EEENSH_IiLi128EEENSH_IiLi16EEEEEENSF_IJSK_SJ_NSH_IiLi1EEEEEELb0EEENS_3XorINSF_IJSJ_SI_EEELb1EEENS_11PassThroughISK_EENS_7UnMergeINSF_IJSI_SM_EEELb0EEENSS_ISJ_EEST_NSS_ISI_EENS_21Merge_v3_division_modINSF_IJSJ_SM_EEEEEST_EEENSF_IJNS5_IJLi0EEEENS5_IJLi2ELi1EEEENS5_IJLi3EEEENS5_IJLi5EEEENS5_IJLi4EEEENS5_IJLi6EEEENS5_IJLi7EEEENS5_IJLi9ELi8EEEENS5_IJLi10EEEEEEENSF_IJNS5_IJLi1ELi2ELi3EEEENS5_IJLi4ELi5EEEES18_NS5_IJLi7ELi8EEEENS5_IJLi9EEEES1B_NS5_IJLi11EEEENS5_IJLi12EEEENS5_IJLi13EEEEEEENS5_IJLi11ELi12ELi13EEEENSH_IlLl16384EEEEENSE_INSF_IJNSG_INSF_IJSK_NSH_IiLi64EEESK_EEENSF_IJSK_NSH_IiLi256EEESM_EEELb0EEENSP_INSF_IJS1O_SK_EEELb1EEEST_NSU_INSF_IJSI_NSH_IiLi2EEEEEELb0EEENSS_IS1O_EEST_SY_NSZ_INSF_IJS1O_S1V_EEEEEST_EEES1C_S1K_S1L_S1M_EENSE_INSF_IJSO_SR_ST_SW_SX_ST_SY_S11_ST_NSZ_INSF_IJSI_SK_EEEEENSU_INSF_IJNSH_IiLi4EEES1V_SK_EEELb0EEEEEENSF_IJS13_S14_S15_S16_S17_S18_S19_S1A_S1B_NS5_IJLi11ELi13EEEES1I_EEENSF_IJS1D_S1E_S18_S1F_S1G_S1B_S1H_S1I_S1J_NS5_IJLi14EEEENS5_IJLi15ELi16ELi17EEEEEEENS5_IJLi15ELi16ELi17ELi14EEEES1M_EENSE_INSF_IJS1S_S1U_ST_S1X_S1Y_ST_SY_S20_ST_S24_S27_EEES2A_S2D_S2E_S1M_EELi16ELi16ELi128ELi128ELi128ELi16ELi16ELi4ELi4ELi16ELb0EE3RunILb1ELNS_10TailNumberE10ENSE_INSF_IJNSG_INSF_IJiiEEENSF_IJiSM_EEELb0EEENSU_IS2L_Lb0EEENSS_IiEEEEENSF_IJS13_NS5_IJLi2EEEENS5_IJLi1EEEEEEENSF_IJNS5_IJLi1ELi2EEEENS5_IJLi3ELi4EEEES16_EEENS5_IJLi3ELi5ELi4EEEElEES1N_NS_35ThreadGroupTensorSliceTransfer_v4r1INS_15ThisThreadBlockILi256EEENS_16tensor_operation12element_wise11PassThroughES34_LNS_25InMemoryDataOperationEnumE0ENS5_IJLi8ELi128ELi16EEEENS5_IJLi8ELi32ELi1EEEENS5_IJLi1ELi0ELi2EEEESC_SC_RKS2Y_KS1N_S38_NS5_IJLi0ELi1ELi2EEEELi2ELi2ELi16ELi16ELi1ELi1ELb0ELb1ELi2EiEENS_13DynamicBufferILNS_16AddressSpaceEnumE1EKSC_lLb1ELNS_22AmdBufferCoherenceEnumE0EiEENS3E_ILS3F_2ESC_S1M_Lb1ELS3H_0EiEENSF_IJiiiEEENSE_INSF_IJNSU_INSF_IJiiiiEEELb0EEENS_23Merge_v2_magic_divisionIS2L_EENSS_INSF_IJiEEEEES2P_EEENSF_IJS13_NS5_IJLi1ELi3EEEES2R_S17_EEENSF_IJNS5_IJLi1ELi2ELi3ELi4EEEES16_S18_S19_EEENS5_IJLi5ELi6ELi7EEEElEES22_NS2Z_IS31_S34_S34_LS35_0ES36_NS5_IJLi4ELi64ELi1EEEES38_SD_SD_RKS3X_KS22_S38_S3C_Li2ELi2ELi16ELi16ELi1ELi1ELb0ELb1ELi2EiEENS3E_ILS3F_1EKSD_lLb1ELS3H_0EiEENS3E_ILS3F_2ESD_S1M_Lb1ELS3H_0EiEES3K_NS_25StaticBufferTupleOfVectorILS3F_4EfLi16ELi4ELb1ELb0EEEEEvRKT1_RKT2_RT3_RKT4_RT5_RKT6_RKT7_RKT8_RT9_RKT10_RT11_RKT12_RT13_iENKUlT_E0_clINSH_IiLi0EEEEEDaS56_ENKUlS56_E_clIS59_EEDaS56_ENKUlS56_E1_clIS59_EEDaS56_EUlS56_E_EEvS56_EUlS56_E_EEvS56_@rel32@lo+4
	s_addc_u32 s5, s5, _ZNK2ck6detail7applierIiJLi0ELi1ELi2ELi3ELi4ELi5ELi6ELi7ELi8ELi9ELi10ELi11ELi12ELi13ELi14ELi15EEEclIZNKS_11static_fordINS_8SequenceIJLi4ELi4EEEENS5_IJLi0ELi1EEEEEclIZZZZNKS_31BlockwiseGemmXdlops_pipeline_v2ILNS_26BlockGemmPipelineSchedulerE1ELi256ENS_9f8_fnuz_tENS_7pk_i4_tESC_fNS_16TensorDescriptorINS_5TupleIJNS_5EmbedINSF_IJNS_17integral_constantIiLi8EEENSH_IiLi128EEENSH_IiLi16EEEEEENSF_IJSK_SJ_NSH_IiLi1EEEEEELb0EEENS_3XorINSF_IJSJ_SI_EEELb1EEENS_11PassThroughISK_EENS_7UnMergeINSF_IJSI_SM_EEELb0EEENSS_ISJ_EEST_NSS_ISI_EENS_21Merge_v3_division_modINSF_IJSJ_SM_EEEEEST_EEENSF_IJNS5_IJLi0EEEENS5_IJLi2ELi1EEEENS5_IJLi3EEEENS5_IJLi5EEEENS5_IJLi4EEEENS5_IJLi6EEEENS5_IJLi7EEEENS5_IJLi9ELi8EEEENS5_IJLi10EEEEEEENSF_IJNS5_IJLi1ELi2ELi3EEEENS5_IJLi4ELi5EEEES18_NS5_IJLi7ELi8EEEENS5_IJLi9EEEES1B_NS5_IJLi11EEEENS5_IJLi12EEEENS5_IJLi13EEEEEEENS5_IJLi11ELi12ELi13EEEENSH_IlLl16384EEEEENSE_INSF_IJNSG_INSF_IJSK_NSH_IiLi64EEESK_EEENSF_IJSK_NSH_IiLi256EEESM_EEELb0EEENSP_INSF_IJS1O_SK_EEELb1EEEST_NSU_INSF_IJSI_NSH_IiLi2EEEEEELb0EEENSS_IS1O_EEST_SY_NSZ_INSF_IJS1O_S1V_EEEEEST_EEES1C_S1K_S1L_S1M_EENSE_INSF_IJSO_SR_ST_SW_SX_ST_SY_S11_ST_NSZ_INSF_IJSI_SK_EEEEENSU_INSF_IJNSH_IiLi4EEES1V_SK_EEELb0EEEEEENSF_IJS13_S14_S15_S16_S17_S18_S19_S1A_S1B_NS5_IJLi11ELi13EEEES1I_EEENSF_IJS1D_S1E_S18_S1F_S1G_S1B_S1H_S1I_S1J_NS5_IJLi14EEEENS5_IJLi15ELi16ELi17EEEEEEENS5_IJLi15ELi16ELi17ELi14EEEES1M_EENSE_INSF_IJS1S_S1U_ST_S1X_S1Y_ST_SY_S20_ST_S24_S27_EEES2A_S2D_S2E_S1M_EELi16ELi16ELi128ELi128ELi128ELi16ELi16ELi4ELi4ELi16ELb0EE3RunILb1ELNS_10TailNumberE10ENSE_INSF_IJNSG_INSF_IJiiEEENSF_IJiSM_EEELb0EEENSU_IS2L_Lb0EEENSS_IiEEEEENSF_IJS13_NS5_IJLi2EEEENS5_IJLi1EEEEEEENSF_IJNS5_IJLi1ELi2EEEENS5_IJLi3ELi4EEEES16_EEENS5_IJLi3ELi5ELi4EEEElEES1N_NS_35ThreadGroupTensorSliceTransfer_v4r1INS_15ThisThreadBlockILi256EEENS_16tensor_operation12element_wise11PassThroughES34_LNS_25InMemoryDataOperationEnumE0ENS5_IJLi8ELi128ELi16EEEENS5_IJLi8ELi32ELi1EEEENS5_IJLi1ELi0ELi2EEEESC_SC_RKS2Y_KS1N_S38_NS5_IJLi0ELi1ELi2EEEELi2ELi2ELi16ELi16ELi1ELi1ELb0ELb1ELi2EiEENS_13DynamicBufferILNS_16AddressSpaceEnumE1EKSC_lLb1ELNS_22AmdBufferCoherenceEnumE0EiEENS3E_ILS3F_2ESC_S1M_Lb1ELS3H_0EiEENSF_IJiiiEEENSE_INSF_IJNSU_INSF_IJiiiiEEELb0EEENS_23Merge_v2_magic_divisionIS2L_EENSS_INSF_IJiEEEEES2P_EEENSF_IJS13_NS5_IJLi1ELi3EEEES2R_S17_EEENSF_IJNS5_IJLi1ELi2ELi3ELi4EEEES16_S18_S19_EEENS5_IJLi5ELi6ELi7EEEElEES22_NS2Z_IS31_S34_S34_LS35_0ES36_NS5_IJLi4ELi64ELi1EEEES38_SD_SD_RKS3X_KS22_S38_S3C_Li2ELi2ELi16ELi16ELi1ELi1ELb0ELb1ELi2EiEENS3E_ILS3F_1EKSD_lLb1ELS3H_0EiEENS3E_ILS3F_2ESD_S1M_Lb1ELS3H_0EiEES3K_NS_25StaticBufferTupleOfVectorILS3F_4EfLi16ELi4ELb1ELb0EEEEEvRKT1_RKT2_RT3_RKT4_RT5_RKT6_RKT7_RKT8_RT9_RKT10_RT11_RKT12_RT13_iENKUlT_E0_clINSH_IiLi0EEEEEDaS56_ENKUlS56_E_clIS59_EEDaS56_ENKUlS56_E1_clIS59_EEDaS56_EUlS56_E_EEvS56_EUlS56_E_EEvS56_@rel32@hi+12
	s_swappc_b64 s[30:31], s[4:5]
	v_mov_b32_e32 v0, s45
	v_mov_b32_e32 v1, s46
	buffer_store_dword v101, off, s[0:3], 0 offset:4
	buffer_store_dword v102, off, s[0:3], 0
	buffer_store_dword v103, off, s[0:3], 0 offset:12
	buffer_store_dword v104, off, s[0:3], 0 offset:8
	;; [unrolled: 1-line block ×8, first 2 shown]
	s_getpc_b64 s[4:5]
	s_add_u32 s4, s4, _ZNK2ck6detail7applierIiJLi0ELi1ELi2ELi3ELi4ELi5ELi6ELi7ELi8ELi9ELi10ELi11ELi12ELi13ELi14ELi15EEEclIZNKS_11static_fordINS_8SequenceIJLi4ELi4EEEENS5_IJLi0ELi1EEEEEclIZZZZNKS_31BlockwiseGemmXdlops_pipeline_v2ILNS_26BlockGemmPipelineSchedulerE1ELi256ENS_9f8_fnuz_tENS_7pk_i4_tESC_fNS_16TensorDescriptorINS_5TupleIJNS_5EmbedINSF_IJNS_17integral_constantIiLi8EEENSH_IiLi128EEENSH_IiLi16EEEEEENSF_IJSK_SJ_NSH_IiLi1EEEEEELb0EEENS_3XorINSF_IJSJ_SI_EEELb1EEENS_11PassThroughISK_EENS_7UnMergeINSF_IJSI_SM_EEELb0EEENSS_ISJ_EEST_NSS_ISI_EENS_21Merge_v3_division_modINSF_IJSJ_SM_EEEEEST_EEENSF_IJNS5_IJLi0EEEENS5_IJLi2ELi1EEEENS5_IJLi3EEEENS5_IJLi5EEEENS5_IJLi4EEEENS5_IJLi6EEEENS5_IJLi7EEEENS5_IJLi9ELi8EEEENS5_IJLi10EEEEEEENSF_IJNS5_IJLi1ELi2ELi3EEEENS5_IJLi4ELi5EEEES18_NS5_IJLi7ELi8EEEENS5_IJLi9EEEES1B_NS5_IJLi11EEEENS5_IJLi12EEEENS5_IJLi13EEEEEEENS5_IJLi11ELi12ELi13EEEENSH_IlLl16384EEEEENSE_INSF_IJNSG_INSF_IJSK_NSH_IiLi64EEESK_EEENSF_IJSK_NSH_IiLi256EEESM_EEELb0EEENSP_INSF_IJS1O_SK_EEELb1EEEST_NSU_INSF_IJSI_NSH_IiLi2EEEEEELb0EEENSS_IS1O_EEST_SY_NSZ_INSF_IJS1O_S1V_EEEEEST_EEES1C_S1K_S1L_S1M_EENSE_INSF_IJSO_SR_ST_SW_SX_ST_SY_S11_ST_NSZ_INSF_IJSI_SK_EEEEENSU_INSF_IJNSH_IiLi4EEES1V_SK_EEELb0EEEEEENSF_IJS13_S14_S15_S16_S17_S18_S19_S1A_S1B_NS5_IJLi11ELi13EEEES1I_EEENSF_IJS1D_S1E_S18_S1F_S1G_S1B_S1H_S1I_S1J_NS5_IJLi14EEEENS5_IJLi15ELi16ELi17EEEEEEENS5_IJLi15ELi16ELi17ELi14EEEES1M_EENSE_INSF_IJS1S_S1U_ST_S1X_S1Y_ST_SY_S20_ST_S24_S27_EEES2A_S2D_S2E_S1M_EELi16ELi16ELi128ELi128ELi128ELi16ELi16ELi4ELi4ELi16ELb0EE3RunILb1ELNS_10TailNumberE10ENSE_INSF_IJNSG_INSF_IJiiEEENSF_IJiSM_EEELb0EEENSU_IS2L_Lb0EEENSS_IiEEEEENSF_IJS13_NS5_IJLi2EEEENS5_IJLi1EEEEEEENSF_IJNS5_IJLi1ELi2EEEENS5_IJLi3ELi4EEEES16_EEENS5_IJLi3ELi5ELi4EEEElEES1N_NS_35ThreadGroupTensorSliceTransfer_v4r1INS_15ThisThreadBlockILi256EEENS_16tensor_operation12element_wise11PassThroughES34_LNS_25InMemoryDataOperationEnumE0ENS5_IJLi8ELi128ELi16EEEENS5_IJLi8ELi32ELi1EEEENS5_IJLi1ELi0ELi2EEEESC_SC_RKS2Y_KS1N_S38_NS5_IJLi0ELi1ELi2EEEELi2ELi2ELi16ELi16ELi1ELi1ELb0ELb1ELi2EiEENS_13DynamicBufferILNS_16AddressSpaceEnumE1EKSC_lLb1ELNS_22AmdBufferCoherenceEnumE0EiEENS3E_ILS3F_2ESC_S1M_Lb1ELS3H_0EiEENSF_IJiiiEEENSE_INSF_IJNSU_INSF_IJiiiiEEELb0EEENS_23Merge_v2_magic_divisionIS2L_EENSS_INSF_IJiEEEEES2P_EEENSF_IJS13_NS5_IJLi1ELi3EEEES2R_S17_EEENSF_IJNS5_IJLi1ELi2ELi3ELi4EEEES16_S18_S19_EEENS5_IJLi5ELi6ELi7EEEElEES22_NS2Z_IS31_S34_S34_LS35_0ES36_NS5_IJLi4ELi64ELi1EEEES38_SD_SD_RKS3X_KS22_S38_S3C_Li2ELi2ELi16ELi16ELi1ELi1ELb0ELb1ELi2EiEENS3E_ILS3F_1EKSD_lLb1ELS3H_0EiEENS3E_ILS3F_2ESD_S1M_Lb1ELS3H_0EiEES3K_NS_25StaticBufferTupleOfVectorILS3F_4EfLi16ELi4ELb1ELb0EEEEEvRKT1_RKT2_RT3_RKT4_RT5_RKT6_RKT7_RKT8_RT9_RKT10_RT11_RKT12_RT13_iENKUlT_E0_clINSH_IiLi0EEEEEDaS56_ENKUlS56_E_clIS59_EEDaS56_ENKUlS56_E1_clISK_EEDaS56_EUlS56_E_EEvS56_EUlS56_E_EEvS56_@rel32@lo+4
	s_addc_u32 s5, s5, _ZNK2ck6detail7applierIiJLi0ELi1ELi2ELi3ELi4ELi5ELi6ELi7ELi8ELi9ELi10ELi11ELi12ELi13ELi14ELi15EEEclIZNKS_11static_fordINS_8SequenceIJLi4ELi4EEEENS5_IJLi0ELi1EEEEEclIZZZZNKS_31BlockwiseGemmXdlops_pipeline_v2ILNS_26BlockGemmPipelineSchedulerE1ELi256ENS_9f8_fnuz_tENS_7pk_i4_tESC_fNS_16TensorDescriptorINS_5TupleIJNS_5EmbedINSF_IJNS_17integral_constantIiLi8EEENSH_IiLi128EEENSH_IiLi16EEEEEENSF_IJSK_SJ_NSH_IiLi1EEEEEELb0EEENS_3XorINSF_IJSJ_SI_EEELb1EEENS_11PassThroughISK_EENS_7UnMergeINSF_IJSI_SM_EEELb0EEENSS_ISJ_EEST_NSS_ISI_EENS_21Merge_v3_division_modINSF_IJSJ_SM_EEEEEST_EEENSF_IJNS5_IJLi0EEEENS5_IJLi2ELi1EEEENS5_IJLi3EEEENS5_IJLi5EEEENS5_IJLi4EEEENS5_IJLi6EEEENS5_IJLi7EEEENS5_IJLi9ELi8EEEENS5_IJLi10EEEEEEENSF_IJNS5_IJLi1ELi2ELi3EEEENS5_IJLi4ELi5EEEES18_NS5_IJLi7ELi8EEEENS5_IJLi9EEEES1B_NS5_IJLi11EEEENS5_IJLi12EEEENS5_IJLi13EEEEEEENS5_IJLi11ELi12ELi13EEEENSH_IlLl16384EEEEENSE_INSF_IJNSG_INSF_IJSK_NSH_IiLi64EEESK_EEENSF_IJSK_NSH_IiLi256EEESM_EEELb0EEENSP_INSF_IJS1O_SK_EEELb1EEEST_NSU_INSF_IJSI_NSH_IiLi2EEEEEELb0EEENSS_IS1O_EEST_SY_NSZ_INSF_IJS1O_S1V_EEEEEST_EEES1C_S1K_S1L_S1M_EENSE_INSF_IJSO_SR_ST_SW_SX_ST_SY_S11_ST_NSZ_INSF_IJSI_SK_EEEEENSU_INSF_IJNSH_IiLi4EEES1V_SK_EEELb0EEEEEENSF_IJS13_S14_S15_S16_S17_S18_S19_S1A_S1B_NS5_IJLi11ELi13EEEES1I_EEENSF_IJS1D_S1E_S18_S1F_S1G_S1B_S1H_S1I_S1J_NS5_IJLi14EEEENS5_IJLi15ELi16ELi17EEEEEEENS5_IJLi15ELi16ELi17ELi14EEEES1M_EENSE_INSF_IJS1S_S1U_ST_S1X_S1Y_ST_SY_S20_ST_S24_S27_EEES2A_S2D_S2E_S1M_EELi16ELi16ELi128ELi128ELi128ELi16ELi16ELi4ELi4ELi16ELb0EE3RunILb1ELNS_10TailNumberE10ENSE_INSF_IJNSG_INSF_IJiiEEENSF_IJiSM_EEELb0EEENSU_IS2L_Lb0EEENSS_IiEEEEENSF_IJS13_NS5_IJLi2EEEENS5_IJLi1EEEEEEENSF_IJNS5_IJLi1ELi2EEEENS5_IJLi3ELi4EEEES16_EEENS5_IJLi3ELi5ELi4EEEElEES1N_NS_35ThreadGroupTensorSliceTransfer_v4r1INS_15ThisThreadBlockILi256EEENS_16tensor_operation12element_wise11PassThroughES34_LNS_25InMemoryDataOperationEnumE0ENS5_IJLi8ELi128ELi16EEEENS5_IJLi8ELi32ELi1EEEENS5_IJLi1ELi0ELi2EEEESC_SC_RKS2Y_KS1N_S38_NS5_IJLi0ELi1ELi2EEEELi2ELi2ELi16ELi16ELi1ELi1ELb0ELb1ELi2EiEENS_13DynamicBufferILNS_16AddressSpaceEnumE1EKSC_lLb1ELNS_22AmdBufferCoherenceEnumE0EiEENS3E_ILS3F_2ESC_S1M_Lb1ELS3H_0EiEENSF_IJiiiEEENSE_INSF_IJNSU_INSF_IJiiiiEEELb0EEENS_23Merge_v2_magic_divisionIS2L_EENSS_INSF_IJiEEEEES2P_EEENSF_IJS13_NS5_IJLi1ELi3EEEES2R_S17_EEENSF_IJNS5_IJLi1ELi2ELi3ELi4EEEES16_S18_S19_EEENS5_IJLi5ELi6ELi7EEEElEES22_NS2Z_IS31_S34_S34_LS35_0ES36_NS5_IJLi4ELi64ELi1EEEES38_SD_SD_RKS3X_KS22_S38_S3C_Li2ELi2ELi16ELi16ELi1ELi1ELb0ELb1ELi2EiEENS3E_ILS3F_1EKSD_lLb1ELS3H_0EiEENS3E_ILS3F_2ESD_S1M_Lb1ELS3H_0EiEES3K_NS_25StaticBufferTupleOfVectorILS3F_4EfLi16ELi4ELb1ELb0EEEEEvRKT1_RKT2_RT3_RKT4_RT5_RKT6_RKT7_RKT8_RT9_RKT10_RT11_RKT12_RT13_iENKUlT_E0_clINSH_IiLi0EEEEEDaS56_ENKUlS56_E_clIS59_EEDaS56_ENKUlS56_E1_clISK_EEDaS56_EUlS56_E_EEvS56_EUlS56_E_EEvS56_@rel32@hi+12
	s_swappc_b64 s[30:31], s[4:5]
	; sched_barrier mask(0x00000000)
	s_setprio 0
	; sched_barrier mask(0x00000000)
	v_add_u32_e32 v0, v48, v77
	ds_write_b128 v48, v[32:35]
	ds_write_b128 v0, v[24:27] offset:128
	v_add3_u32 v1, v48, v94, v95
	v_add_u32_e32 v0, v0, v95
	ds_write_b128 v0, v[28:31] offset:128
	v_add_u32_e32 v114, v0, v97
	v_add3_u32 v115, v1, v97, v93
	v_and_b32_e32 v0, 0xff000000, v63
	v_and_b32_e32 v1, 0xff0000, v63
	v_or_b32_e32 v0, v1, v0
	v_and_b32_e32 v1, 0xff00, v63
	v_and_b32_e32 v2, 0xff, v63
	v_or3_b32 v63, v0, v1, v2
	v_lshrrev_b32_e32 v0, 31, v36
	v_add_u32_e32 v0, v36, v0
	v_ashrrev_i32_e32 v0, 1, v0
	v_and_b32_e32 v1, 0xff000000, v61
	v_and_b32_e32 v2, 0xff0000, v61
	ds_write_b128 v114, v[20:23] offset:128
	ds_write_b64 v0, v[62:63] offset:16384
	v_add_u32_e32 v0, v36, v81
	v_or_b32_e32 v1, v2, v1
	v_and_b32_e32 v2, 0xff00, v61
	v_and_b32_e32 v3, 0xff, v61
	v_or3_b32 v61, v1, v2, v3
	v_lshrrev_b32_e32 v1, 31, v0
	v_add_u32_e32 v1, v0, v1
	v_ashrrev_i32_e32 v1, 1, v1
	ds_write_b64 v1, v[60:61] offset:16384
	v_and_b32_e32 v1, 0xff000000, v55
	v_and_b32_e32 v2, 0xff0000, v55
	v_add_u32_e32 v0, v0, v82
	v_or_b32_e32 v1, v2, v1
	v_and_b32_e32 v2, 0xff00, v55
	v_and_b32_e32 v3, 0xff, v55
	v_or3_b32 v55, v1, v2, v3
	v_lshrrev_b32_e32 v1, 31, v0
	v_add_u32_e32 v1, v0, v1
	v_ashrrev_i32_e32 v1, 1, v1
	ds_write_b64 v1, v[54:55] offset:16384
	v_and_b32_e32 v1, 0xff000000, v53
	v_and_b32_e32 v2, 0xff0000, v53
	v_add_u32_e32 v0, v0, v83
	v_or_b32_e32 v1, v2, v1
	v_and_b32_e32 v2, 0xff00, v53
	v_and_b32_e32 v3, 0xff, v53
	v_or3_b32 v53, v1, v2, v3
	v_lshrrev_b32_e32 v1, 31, v0
	v_add_u32_e32 v1, v0, v1
	v_ashrrev_i32_e32 v1, 1, v1
	v_add_u32_e32 v20, s48, v100
	ds_write_b64 v1, v[52:53] offset:16384
	v_add_u32_e32 v116, v0, v98
	v_add_u32_e32 v0, 0xffffff70, v20
	;; [unrolled: 1-line block ×4, first 2 shown]
	buffer_load_dwordx4 v[48:51], v37, s[24:27], 0 offen
	buffer_load_dwordx4 v[40:43], v0, s[24:27], 0 offen
	v_add_u32_e32 v0, 0xffffff70, v21
	v_add_u32_e32 v1, 0xffffff70, v22
	v_add_u32_e64 v4, 2, s23
	buffer_load_dwordx4 v[44:47], v0, s[24:27], 0 offen
	buffer_load_dwordx4 v[36:39], v1, s[24:27], 0 offen
	v_sub_u32_e32 v1, v4, v112
	v_mul_lo_u32 v5, v1, s44
	v_sub_u32_e32 v1, v75, v112
	v_add_u32_e32 v2, s48, v111
	v_mul_lo_u32 v1, s44, v1
	v_sub_u32_e32 v3, v2, v64
	v_add3_u32 v3, v3, v1, s18
	v_add_u32_e32 v1, v2, v1
	v_sub_u32_e32 v1, v1, v64
	v_lshrrev_b32_e32 v2, 31, v1
	v_lshrrev_b32_e32 v0, 31, v111
	;; [unrolled: 1-line block ×3, first 2 shown]
	v_add_u32_e32 v2, v1, v2
	v_add3_u32 v1, s19, v64, v1
	v_add_u32_e32 v0, v111, v0
	v_add_u32_e32 v3, v3, v6
	v_lshrrev_b32_e32 v6, 31, v1
	v_ashrrev_i32_e32 v0, 1, v0
	v_add_u32_e32 v1, v1, v6
	v_ashrrev_i32_e32 v3, 1, v3
	v_ashrrev_i32_e32 v2, 1, v2
	;; [unrolled: 1-line block ×3, first 2 shown]
	buffer_load_dwordx2 v[70:71], v0, s[36:39], 0 offen
	buffer_load_dwordx2 v[64:65], v3, s[36:39], 0 offen
	;; [unrolled: 1-line block ×4, first 2 shown]
	s_waitcnt lgkmcnt(0)
	s_barrier
	ds_read_b128 v[0:3], v73
	v_add_u32_e32 v53, -16, v113
	v_add_u32_e64 v113, 3, s23
	v_sub_u32_e32 v4, v113, v4
	v_mul_lo_u32 v4, v4, s44
	ds_read_b128 v[8:11], v91
	v_add3_u32 v52, v5, v111, v4
	ds_read_b128 v[4:7], v90 offset:8192
	s_waitcnt lgkmcnt(2)
	buffer_store_dword v0, off, s[0:3], 0 offset:44
	buffer_store_dword v1, off, s[0:3], 0 offset:48
	buffer_store_dword v2, off, s[0:3], 0 offset:52
	buffer_store_dword v3, off, s[0:3], 0 offset:56
	ds_read_b128 v[0:3], v59 offset:4096
	s_waitcnt lgkmcnt(2)
	buffer_store_dword v8, off, s[0:3], 0 offset:60
	buffer_store_dword v9, off, s[0:3], 0 offset:64
	buffer_store_dword v10, off, s[0:3], 0 offset:68
	buffer_store_dword v11, off, s[0:3], 0 offset:72
	;; [unrolled: 6-line block ×3, first 2 shown]
	s_waitcnt lgkmcnt(0)
	buffer_store_dword v8, off, s[0:3], 0 offset:92
	buffer_store_dword v9, off, s[0:3], 0 offset:96
	;; [unrolled: 1-line block ×5, first 2 shown]
	ds_read_b128 v[0:3], v89 offset:8192
	buffer_store_dword v5, off, s[0:3], 0 offset:112
	buffer_store_dword v6, off, s[0:3], 0 offset:116
	;; [unrolled: 1-line block ×3, first 2 shown]
	ds_read_b128 v[4:7], v90 offset:12288
	s_waitcnt lgkmcnt(1)
	buffer_store_dword v0, off, s[0:3], 0 offset:124
	buffer_store_dword v1, off, s[0:3], 0 offset:128
	buffer_store_dword v2, off, s[0:3], 0 offset:132
	buffer_store_dword v3, off, s[0:3], 0 offset:136
	s_waitcnt lgkmcnt(0)
	buffer_store_dword v4, off, s[0:3], 0 offset:140
	ds_read_b128 v[0:3], v89 offset:12288
	buffer_store_dword v5, off, s[0:3], 0 offset:144
	buffer_store_dword v6, off, s[0:3], 0 offset:148
	;; [unrolled: 1-line block ×3, first 2 shown]
	ds_read_b64 v[4:5], v88 offset:16384
	s_waitcnt lgkmcnt(1)
	buffer_store_dword v0, off, s[0:3], 0 offset:156
	buffer_store_dword v1, off, s[0:3], 0 offset:160
	buffer_store_dword v2, off, s[0:3], 0 offset:164
	buffer_store_dword v3, off, s[0:3], 0 offset:168
	s_waitcnt lgkmcnt(0)
	;;#ASMSTART
	v_cvt_off_f32_i4 v0, v4
v_cvt_off_f32_i4 v1, v4, src0_sel:BYTE_2
v_cvt_pk_fp8_f32 v3, v0, v1
v_cvt_off_f32_i4 v0, v4, src0_sel:BYTE_1
v_cvt_off_f32_i4 v1, v4, src0_sel:BYTE_3
v_cvt_pk_fp8_f32 v6, v0, v1
v_lshrrev_b32 v2, 4, v4
v_cvt_off_f32_i4 v0, v2
v_cvt_off_f32_i4 v1, v2, src0_sel:BYTE_2
v_cvt_pk_fp8_f32 v3, v0, v1, op_sel:[0, 0, 1]
v_cvt_off_f32_i4 v0, v2, src0_sel:BYTE_1
v_cvt_off_f32_i4 v1, v2, src0_sel:BYTE_3
v_cvt_pk_fp8_f32 v6, v0, v1, op_sel:[0, 0, 1]

	;;#ASMEND
	;;#ASMSTART
	v_cvt_off_f32_i4 v0, v5
v_cvt_off_f32_i4 v1, v5, src0_sel:BYTE_2
v_cvt_pk_fp8_f32 v4, v0, v1
v_cvt_off_f32_i4 v0, v5, src0_sel:BYTE_1
v_cvt_off_f32_i4 v1, v5, src0_sel:BYTE_3
v_cvt_pk_fp8_f32 v7, v0, v1
v_lshrrev_b32 v2, 4, v5
v_cvt_off_f32_i4 v0, v2
v_cvt_off_f32_i4 v1, v2, src0_sel:BYTE_2
v_cvt_pk_fp8_f32 v4, v0, v1, op_sel:[0, 0, 1]
v_cvt_off_f32_i4 v0, v2, src0_sel:BYTE_1
v_cvt_off_f32_i4 v1, v2, src0_sel:BYTE_3
v_cvt_pk_fp8_f32 v7, v0, v1, op_sel:[0, 0, 1]

	;;#ASMEND
	ds_read_b64 v[0:1], v86 offset:16384
	buffer_store_dword v3, off, s[0:3], 0 offset:172
	buffer_store_dword v6, off, s[0:3], 0 offset:176
	buffer_store_dword v4, off, s[0:3], 0 offset:180
	buffer_store_dword v7, off, s[0:3], 0 offset:184
	s_waitcnt lgkmcnt(0)
	;;#ASMSTART
	v_cvt_off_f32_i4 v2, v0
v_cvt_off_f32_i4 v3, v0, src0_sel:BYTE_2
v_cvt_pk_fp8_f32 v5, v2, v3
v_cvt_off_f32_i4 v2, v0, src0_sel:BYTE_1
v_cvt_off_f32_i4 v3, v0, src0_sel:BYTE_3
v_cvt_pk_fp8_f32 v6, v2, v3
v_lshrrev_b32 v4, 4, v0
v_cvt_off_f32_i4 v2, v4
v_cvt_off_f32_i4 v3, v4, src0_sel:BYTE_2
v_cvt_pk_fp8_f32 v5, v2, v3, op_sel:[0, 0, 1]
v_cvt_off_f32_i4 v2, v4, src0_sel:BYTE_1
v_cvt_off_f32_i4 v3, v4, src0_sel:BYTE_3
v_cvt_pk_fp8_f32 v6, v2, v3, op_sel:[0, 0, 1]

	;;#ASMEND
	;;#ASMSTART
	v_cvt_off_f32_i4 v0, v1
v_cvt_off_f32_i4 v2, v1, src0_sel:BYTE_2
v_cvt_pk_fp8_f32 v4, v0, v2
v_cvt_off_f32_i4 v0, v1, src0_sel:BYTE_1
v_cvt_off_f32_i4 v2, v1, src0_sel:BYTE_3
v_cvt_pk_fp8_f32 v7, v0, v2
v_lshrrev_b32 v3, 4, v1
v_cvt_off_f32_i4 v0, v3
v_cvt_off_f32_i4 v2, v3, src0_sel:BYTE_2
v_cvt_pk_fp8_f32 v4, v0, v2, op_sel:[0, 0, 1]
v_cvt_off_f32_i4 v0, v3, src0_sel:BYTE_1
v_cvt_off_f32_i4 v2, v3, src0_sel:BYTE_3
v_cvt_pk_fp8_f32 v7, v0, v2, op_sel:[0, 0, 1]

	;;#ASMEND
	ds_read_b64 v[0:1], v87 offset:16384
	;; [unrolled: 38-line block ×7, first 2 shown]
	buffer_store_dword v5, off, s[0:3], 0 offset:268
	buffer_store_dword v6, off, s[0:3], 0 offset:272
	;; [unrolled: 1-line block ×4, first 2 shown]
	s_waitcnt lgkmcnt(0)
	;;#ASMSTART
	v_cvt_off_f32_i4 v2, v0
v_cvt_off_f32_i4 v3, v0, src0_sel:BYTE_2
v_cvt_pk_fp8_f32 v5, v2, v3
v_cvt_off_f32_i4 v2, v0, src0_sel:BYTE_1
v_cvt_off_f32_i4 v3, v0, src0_sel:BYTE_3
v_cvt_pk_fp8_f32 v6, v2, v3
v_lshrrev_b32 v4, 4, v0
v_cvt_off_f32_i4 v2, v4
v_cvt_off_f32_i4 v3, v4, src0_sel:BYTE_2
v_cvt_pk_fp8_f32 v5, v2, v3, op_sel:[0, 0, 1]
v_cvt_off_f32_i4 v2, v4, src0_sel:BYTE_1
v_cvt_off_f32_i4 v3, v4, src0_sel:BYTE_3
v_cvt_pk_fp8_f32 v6, v2, v3, op_sel:[0, 0, 1]

	;;#ASMEND
	;;#ASMSTART
	v_cvt_off_f32_i4 v0, v1
v_cvt_off_f32_i4 v2, v1, src0_sel:BYTE_2
v_cvt_pk_fp8_f32 v4, v0, v2
v_cvt_off_f32_i4 v0, v1, src0_sel:BYTE_1
v_cvt_off_f32_i4 v2, v1, src0_sel:BYTE_3
v_cvt_pk_fp8_f32 v7, v0, v2
v_lshrrev_b32 v3, 4, v1
v_cvt_off_f32_i4 v0, v3
v_cvt_off_f32_i4 v2, v3, src0_sel:BYTE_2
v_cvt_pk_fp8_f32 v4, v0, v2, op_sel:[0, 0, 1]
v_cvt_off_f32_i4 v0, v3, src0_sel:BYTE_1
v_cvt_off_f32_i4 v2, v3, src0_sel:BYTE_3
v_cvt_pk_fp8_f32 v7, v0, v2, op_sel:[0, 0, 1]

	;;#ASMEND
	buffer_store_dword v5, off, s[0:3], 0 offset:284
	buffer_store_dword v6, off, s[0:3], 0 offset:288
	;; [unrolled: 1-line block ×4, first 2 shown]
	; sched_barrier mask(0x00000000)
	s_barrier
	; sched_barrier mask(0x00000000)
	v_mov_b32_e32 v0, s45
	v_mov_b32_e32 v1, s46
	buffer_store_dword v101, off, s[0:3], 0 offset:4
	buffer_store_dword v102, off, s[0:3], 0
	buffer_store_dword v103, off, s[0:3], 0 offset:12
	buffer_store_dword v104, off, s[0:3], 0 offset:8
	buffer_store_dword v105, off, s[0:3], 0 offset:20
	buffer_store_dword v106, off, s[0:3], 0 offset:16
	buffer_store_dword v107, off, s[0:3], 0 offset:28
	buffer_store_dword v108, off, s[0:3], 0 offset:24
	buffer_store_dword v109, off, s[0:3], 0 offset:36
	buffer_store_dword v110, off, s[0:3], 0 offset:32
	s_getpc_b64 s[4:5]
	s_add_u32 s4, s4, _ZNK2ck6detail7applierIiJLi0ELi1ELi2ELi3ELi4ELi5ELi6ELi7ELi8ELi9ELi10ELi11ELi12ELi13ELi14ELi15EEEclIZNKS_11static_fordINS_8SequenceIJLi4ELi4EEEENS5_IJLi0ELi1EEEEEclIZZZZNKS_31BlockwiseGemmXdlops_pipeline_v2ILNS_26BlockGemmPipelineSchedulerE1ELi256ENS_9f8_fnuz_tENS_7pk_i4_tESC_fNS_16TensorDescriptorINS_5TupleIJNS_5EmbedINSF_IJNS_17integral_constantIiLi8EEENSH_IiLi128EEENSH_IiLi16EEEEEENSF_IJSK_SJ_NSH_IiLi1EEEEEELb0EEENS_3XorINSF_IJSJ_SI_EEELb1EEENS_11PassThroughISK_EENS_7UnMergeINSF_IJSI_SM_EEELb0EEENSS_ISJ_EEST_NSS_ISI_EENS_21Merge_v3_division_modINSF_IJSJ_SM_EEEEEST_EEENSF_IJNS5_IJLi0EEEENS5_IJLi2ELi1EEEENS5_IJLi3EEEENS5_IJLi5EEEENS5_IJLi4EEEENS5_IJLi6EEEENS5_IJLi7EEEENS5_IJLi9ELi8EEEENS5_IJLi10EEEEEEENSF_IJNS5_IJLi1ELi2ELi3EEEENS5_IJLi4ELi5EEEES18_NS5_IJLi7ELi8EEEENS5_IJLi9EEEES1B_NS5_IJLi11EEEENS5_IJLi12EEEENS5_IJLi13EEEEEEENS5_IJLi11ELi12ELi13EEEENSH_IlLl16384EEEEENSE_INSF_IJNSG_INSF_IJSK_NSH_IiLi64EEESK_EEENSF_IJSK_NSH_IiLi256EEESM_EEELb0EEENSP_INSF_IJS1O_SK_EEELb1EEEST_NSU_INSF_IJSI_NSH_IiLi2EEEEEELb0EEENSS_IS1O_EEST_SY_NSZ_INSF_IJS1O_S1V_EEEEEST_EEES1C_S1K_S1L_S1M_EENSE_INSF_IJSO_SR_ST_SW_SX_ST_SY_S11_ST_NSZ_INSF_IJSI_SK_EEEEENSU_INSF_IJNSH_IiLi4EEES1V_SK_EEELb0EEEEEENSF_IJS13_S14_S15_S16_S17_S18_S19_S1A_S1B_NS5_IJLi11ELi13EEEES1I_EEENSF_IJS1D_S1E_S18_S1F_S1G_S1B_S1H_S1I_S1J_NS5_IJLi14EEEENS5_IJLi15ELi16ELi17EEEEEEENS5_IJLi15ELi16ELi17ELi14EEEES1M_EENSE_INSF_IJS1S_S1U_ST_S1X_S1Y_ST_SY_S20_ST_S24_S27_EEES2A_S2D_S2E_S1M_EELi16ELi16ELi128ELi128ELi128ELi16ELi16ELi4ELi4ELi16ELb0EE3RunILb1ELNS_10TailNumberE10ENSE_INSF_IJNSG_INSF_IJiiEEENSF_IJiSM_EEELb0EEENSU_IS2L_Lb0EEENSS_IiEEEEENSF_IJS13_NS5_IJLi2EEEENS5_IJLi1EEEEEEENSF_IJNS5_IJLi1ELi2EEEENS5_IJLi3ELi4EEEES16_EEENS5_IJLi3ELi5ELi4EEEElEES1N_NS_35ThreadGroupTensorSliceTransfer_v4r1INS_15ThisThreadBlockILi256EEENS_16tensor_operation12element_wise11PassThroughES34_LNS_25InMemoryDataOperationEnumE0ENS5_IJLi8ELi128ELi16EEEENS5_IJLi8ELi32ELi1EEEENS5_IJLi1ELi0ELi2EEEESC_SC_RKS2Y_KS1N_S38_NS5_IJLi0ELi1ELi2EEEELi2ELi2ELi16ELi16ELi1ELi1ELb0ELb1ELi2EiEENS_13DynamicBufferILNS_16AddressSpaceEnumE1EKSC_lLb1ELNS_22AmdBufferCoherenceEnumE0EiEENS3E_ILS3F_2ESC_S1M_Lb1ELS3H_0EiEENSF_IJiiiEEENSE_INSF_IJNSU_INSF_IJiiiiEEELb0EEENS_23Merge_v2_magic_divisionIS2L_EENSS_INSF_IJiEEEEES2P_EEENSF_IJS13_NS5_IJLi1ELi3EEEES2R_S17_EEENSF_IJNS5_IJLi1ELi2ELi3ELi4EEEES16_S18_S19_EEENS5_IJLi5ELi6ELi7EEEElEES22_NS2Z_IS31_S34_S34_LS35_0ES36_NS5_IJLi4ELi64ELi1EEEES38_SD_SD_RKS3X_KS22_S38_S3C_Li2ELi2ELi16ELi16ELi1ELi1ELb0ELb1ELi2EiEENS3E_ILS3F_1EKSD_lLb1ELS3H_0EiEENS3E_ILS3F_2ESD_S1M_Lb1ELS3H_0EiEES3K_NS_25StaticBufferTupleOfVectorILS3F_4EfLi16ELi4ELb1ELb0EEEEEvRKT1_RKT2_RT3_RKT4_RT5_RKT6_RKT7_RKT8_RT9_RKT10_RT11_RKT12_RT13_iENKUlT_E0_clISM_EEDaS56_ENKUlS56_E_clINSH_IiLi0EEEEEDaS56_ENKUlS56_E1_clIS5B_EEDaS56_EUlS56_E_EEvS56_EUlS56_E_EEvS56_@rel32@lo+4
	s_addc_u32 s5, s5, _ZNK2ck6detail7applierIiJLi0ELi1ELi2ELi3ELi4ELi5ELi6ELi7ELi8ELi9ELi10ELi11ELi12ELi13ELi14ELi15EEEclIZNKS_11static_fordINS_8SequenceIJLi4ELi4EEEENS5_IJLi0ELi1EEEEEclIZZZZNKS_31BlockwiseGemmXdlops_pipeline_v2ILNS_26BlockGemmPipelineSchedulerE1ELi256ENS_9f8_fnuz_tENS_7pk_i4_tESC_fNS_16TensorDescriptorINS_5TupleIJNS_5EmbedINSF_IJNS_17integral_constantIiLi8EEENSH_IiLi128EEENSH_IiLi16EEEEEENSF_IJSK_SJ_NSH_IiLi1EEEEEELb0EEENS_3XorINSF_IJSJ_SI_EEELb1EEENS_11PassThroughISK_EENS_7UnMergeINSF_IJSI_SM_EEELb0EEENSS_ISJ_EEST_NSS_ISI_EENS_21Merge_v3_division_modINSF_IJSJ_SM_EEEEEST_EEENSF_IJNS5_IJLi0EEEENS5_IJLi2ELi1EEEENS5_IJLi3EEEENS5_IJLi5EEEENS5_IJLi4EEEENS5_IJLi6EEEENS5_IJLi7EEEENS5_IJLi9ELi8EEEENS5_IJLi10EEEEEEENSF_IJNS5_IJLi1ELi2ELi3EEEENS5_IJLi4ELi5EEEES18_NS5_IJLi7ELi8EEEENS5_IJLi9EEEES1B_NS5_IJLi11EEEENS5_IJLi12EEEENS5_IJLi13EEEEEEENS5_IJLi11ELi12ELi13EEEENSH_IlLl16384EEEEENSE_INSF_IJNSG_INSF_IJSK_NSH_IiLi64EEESK_EEENSF_IJSK_NSH_IiLi256EEESM_EEELb0EEENSP_INSF_IJS1O_SK_EEELb1EEEST_NSU_INSF_IJSI_NSH_IiLi2EEEEEELb0EEENSS_IS1O_EEST_SY_NSZ_INSF_IJS1O_S1V_EEEEEST_EEES1C_S1K_S1L_S1M_EENSE_INSF_IJSO_SR_ST_SW_SX_ST_SY_S11_ST_NSZ_INSF_IJSI_SK_EEEEENSU_INSF_IJNSH_IiLi4EEES1V_SK_EEELb0EEEEEENSF_IJS13_S14_S15_S16_S17_S18_S19_S1A_S1B_NS5_IJLi11ELi13EEEES1I_EEENSF_IJS1D_S1E_S18_S1F_S1G_S1B_S1H_S1I_S1J_NS5_IJLi14EEEENS5_IJLi15ELi16ELi17EEEEEEENS5_IJLi15ELi16ELi17ELi14EEEES1M_EENSE_INSF_IJS1S_S1U_ST_S1X_S1Y_ST_SY_S20_ST_S24_S27_EEES2A_S2D_S2E_S1M_EELi16ELi16ELi128ELi128ELi128ELi16ELi16ELi4ELi4ELi16ELb0EE3RunILb1ELNS_10TailNumberE10ENSE_INSF_IJNSG_INSF_IJiiEEENSF_IJiSM_EEELb0EEENSU_IS2L_Lb0EEENSS_IiEEEEENSF_IJS13_NS5_IJLi2EEEENS5_IJLi1EEEEEEENSF_IJNS5_IJLi1ELi2EEEENS5_IJLi3ELi4EEEES16_EEENS5_IJLi3ELi5ELi4EEEElEES1N_NS_35ThreadGroupTensorSliceTransfer_v4r1INS_15ThisThreadBlockILi256EEENS_16tensor_operation12element_wise11PassThroughES34_LNS_25InMemoryDataOperationEnumE0ENS5_IJLi8ELi128ELi16EEEENS5_IJLi8ELi32ELi1EEEENS5_IJLi1ELi0ELi2EEEESC_SC_RKS2Y_KS1N_S38_NS5_IJLi0ELi1ELi2EEEELi2ELi2ELi16ELi16ELi1ELi1ELb0ELb1ELi2EiEENS_13DynamicBufferILNS_16AddressSpaceEnumE1EKSC_lLb1ELNS_22AmdBufferCoherenceEnumE0EiEENS3E_ILS3F_2ESC_S1M_Lb1ELS3H_0EiEENSF_IJiiiEEENSE_INSF_IJNSU_INSF_IJiiiiEEELb0EEENS_23Merge_v2_magic_divisionIS2L_EENSS_INSF_IJiEEEEES2P_EEENSF_IJS13_NS5_IJLi1ELi3EEEES2R_S17_EEENSF_IJNS5_IJLi1ELi2ELi3ELi4EEEES16_S18_S19_EEENS5_IJLi5ELi6ELi7EEEElEES22_NS2Z_IS31_S34_S34_LS35_0ES36_NS5_IJLi4ELi64ELi1EEEES38_SD_SD_RKS3X_KS22_S38_S3C_Li2ELi2ELi16ELi16ELi1ELi1ELb0ELb1ELi2EiEENS3E_ILS3F_1EKSD_lLb1ELS3H_0EiEENS3E_ILS3F_2ESD_S1M_Lb1ELS3H_0EiEES3K_NS_25StaticBufferTupleOfVectorILS3F_4EfLi16ELi4ELb1ELb0EEEEEvRKT1_RKT2_RT3_RKT4_RT5_RKT6_RKT7_RKT8_RT9_RKT10_RT11_RKT12_RT13_iENKUlT_E0_clISM_EEDaS56_ENKUlS56_E_clINSH_IiLi0EEEEEDaS56_ENKUlS56_E1_clIS5B_EEDaS56_EUlS56_E_EEvS56_EUlS56_E_EEvS56_@rel32@hi+12
	s_swappc_b64 s[30:31], s[4:5]
	v_mov_b32_e32 v0, s45
	v_mov_b32_e32 v1, s46
	buffer_store_dword v101, off, s[0:3], 0 offset:4
	buffer_store_dword v102, off, s[0:3], 0
	buffer_store_dword v103, off, s[0:3], 0 offset:12
	buffer_store_dword v104, off, s[0:3], 0 offset:8
	;; [unrolled: 1-line block ×8, first 2 shown]
	s_getpc_b64 s[4:5]
	s_add_u32 s4, s4, _ZNK2ck6detail7applierIiJLi0ELi1ELi2ELi3ELi4ELi5ELi6ELi7ELi8ELi9ELi10ELi11ELi12ELi13ELi14ELi15EEEclIZNKS_11static_fordINS_8SequenceIJLi4ELi4EEEENS5_IJLi0ELi1EEEEEclIZZZZNKS_31BlockwiseGemmXdlops_pipeline_v2ILNS_26BlockGemmPipelineSchedulerE1ELi256ENS_9f8_fnuz_tENS_7pk_i4_tESC_fNS_16TensorDescriptorINS_5TupleIJNS_5EmbedINSF_IJNS_17integral_constantIiLi8EEENSH_IiLi128EEENSH_IiLi16EEEEEENSF_IJSK_SJ_NSH_IiLi1EEEEEELb0EEENS_3XorINSF_IJSJ_SI_EEELb1EEENS_11PassThroughISK_EENS_7UnMergeINSF_IJSI_SM_EEELb0EEENSS_ISJ_EEST_NSS_ISI_EENS_21Merge_v3_division_modINSF_IJSJ_SM_EEEEEST_EEENSF_IJNS5_IJLi0EEEENS5_IJLi2ELi1EEEENS5_IJLi3EEEENS5_IJLi5EEEENS5_IJLi4EEEENS5_IJLi6EEEENS5_IJLi7EEEENS5_IJLi9ELi8EEEENS5_IJLi10EEEEEEENSF_IJNS5_IJLi1ELi2ELi3EEEENS5_IJLi4ELi5EEEES18_NS5_IJLi7ELi8EEEENS5_IJLi9EEEES1B_NS5_IJLi11EEEENS5_IJLi12EEEENS5_IJLi13EEEEEEENS5_IJLi11ELi12ELi13EEEENSH_IlLl16384EEEEENSE_INSF_IJNSG_INSF_IJSK_NSH_IiLi64EEESK_EEENSF_IJSK_NSH_IiLi256EEESM_EEELb0EEENSP_INSF_IJS1O_SK_EEELb1EEEST_NSU_INSF_IJSI_NSH_IiLi2EEEEEELb0EEENSS_IS1O_EEST_SY_NSZ_INSF_IJS1O_S1V_EEEEEST_EEES1C_S1K_S1L_S1M_EENSE_INSF_IJSO_SR_ST_SW_SX_ST_SY_S11_ST_NSZ_INSF_IJSI_SK_EEEEENSU_INSF_IJNSH_IiLi4EEES1V_SK_EEELb0EEEEEENSF_IJS13_S14_S15_S16_S17_S18_S19_S1A_S1B_NS5_IJLi11ELi13EEEES1I_EEENSF_IJS1D_S1E_S18_S1F_S1G_S1B_S1H_S1I_S1J_NS5_IJLi14EEEENS5_IJLi15ELi16ELi17EEEEEEENS5_IJLi15ELi16ELi17ELi14EEEES1M_EENSE_INSF_IJS1S_S1U_ST_S1X_S1Y_ST_SY_S20_ST_S24_S27_EEES2A_S2D_S2E_S1M_EELi16ELi16ELi128ELi128ELi128ELi16ELi16ELi4ELi4ELi16ELb0EE3RunILb1ELNS_10TailNumberE10ENSE_INSF_IJNSG_INSF_IJiiEEENSF_IJiSM_EEELb0EEENSU_IS2L_Lb0EEENSS_IiEEEEENSF_IJS13_NS5_IJLi2EEEENS5_IJLi1EEEEEEENSF_IJNS5_IJLi1ELi2EEEENS5_IJLi3ELi4EEEES16_EEENS5_IJLi3ELi5ELi4EEEElEES1N_NS_35ThreadGroupTensorSliceTransfer_v4r1INS_15ThisThreadBlockILi256EEENS_16tensor_operation12element_wise11PassThroughES34_LNS_25InMemoryDataOperationEnumE0ENS5_IJLi8ELi128ELi16EEEENS5_IJLi8ELi32ELi1EEEENS5_IJLi1ELi0ELi2EEEESC_SC_RKS2Y_KS1N_S38_NS5_IJLi0ELi1ELi2EEEELi2ELi2ELi16ELi16ELi1ELi1ELb0ELb1ELi2EiEENS_13DynamicBufferILNS_16AddressSpaceEnumE1EKSC_lLb1ELNS_22AmdBufferCoherenceEnumE0EiEENS3E_ILS3F_2ESC_S1M_Lb1ELS3H_0EiEENSF_IJiiiEEENSE_INSF_IJNSU_INSF_IJiiiiEEELb0EEENS_23Merge_v2_magic_divisionIS2L_EENSS_INSF_IJiEEEEES2P_EEENSF_IJS13_NS5_IJLi1ELi3EEEES2R_S17_EEENSF_IJNS5_IJLi1ELi2ELi3ELi4EEEES16_S18_S19_EEENS5_IJLi5ELi6ELi7EEEElEES22_NS2Z_IS31_S34_S34_LS35_0ES36_NS5_IJLi4ELi64ELi1EEEES38_SD_SD_RKS3X_KS22_S38_S3C_Li2ELi2ELi16ELi16ELi1ELi1ELb0ELb1ELi2EiEENS3E_ILS3F_1EKSD_lLb1ELS3H_0EiEENS3E_ILS3F_2ESD_S1M_Lb1ELS3H_0EiEES3K_NS_25StaticBufferTupleOfVectorILS3F_4EfLi16ELi4ELb1ELb0EEEEEvRKT1_RKT2_RT3_RKT4_RT5_RKT6_RKT7_RKT8_RT9_RKT10_RT11_RKT12_RT13_iENKUlT_E0_clISM_EEDaS56_ENKUlS56_E_clINSH_IiLi0EEEEEDaS56_ENKUlS56_E1_clISK_EEDaS56_EUlS56_E_EEvS56_EUlS56_E_EEvS56_@rel32@lo+4
	s_addc_u32 s5, s5, _ZNK2ck6detail7applierIiJLi0ELi1ELi2ELi3ELi4ELi5ELi6ELi7ELi8ELi9ELi10ELi11ELi12ELi13ELi14ELi15EEEclIZNKS_11static_fordINS_8SequenceIJLi4ELi4EEEENS5_IJLi0ELi1EEEEEclIZZZZNKS_31BlockwiseGemmXdlops_pipeline_v2ILNS_26BlockGemmPipelineSchedulerE1ELi256ENS_9f8_fnuz_tENS_7pk_i4_tESC_fNS_16TensorDescriptorINS_5TupleIJNS_5EmbedINSF_IJNS_17integral_constantIiLi8EEENSH_IiLi128EEENSH_IiLi16EEEEEENSF_IJSK_SJ_NSH_IiLi1EEEEEELb0EEENS_3XorINSF_IJSJ_SI_EEELb1EEENS_11PassThroughISK_EENS_7UnMergeINSF_IJSI_SM_EEELb0EEENSS_ISJ_EEST_NSS_ISI_EENS_21Merge_v3_division_modINSF_IJSJ_SM_EEEEEST_EEENSF_IJNS5_IJLi0EEEENS5_IJLi2ELi1EEEENS5_IJLi3EEEENS5_IJLi5EEEENS5_IJLi4EEEENS5_IJLi6EEEENS5_IJLi7EEEENS5_IJLi9ELi8EEEENS5_IJLi10EEEEEEENSF_IJNS5_IJLi1ELi2ELi3EEEENS5_IJLi4ELi5EEEES18_NS5_IJLi7ELi8EEEENS5_IJLi9EEEES1B_NS5_IJLi11EEEENS5_IJLi12EEEENS5_IJLi13EEEEEEENS5_IJLi11ELi12ELi13EEEENSH_IlLl16384EEEEENSE_INSF_IJNSG_INSF_IJSK_NSH_IiLi64EEESK_EEENSF_IJSK_NSH_IiLi256EEESM_EEELb0EEENSP_INSF_IJS1O_SK_EEELb1EEEST_NSU_INSF_IJSI_NSH_IiLi2EEEEEELb0EEENSS_IS1O_EEST_SY_NSZ_INSF_IJS1O_S1V_EEEEEST_EEES1C_S1K_S1L_S1M_EENSE_INSF_IJSO_SR_ST_SW_SX_ST_SY_S11_ST_NSZ_INSF_IJSI_SK_EEEEENSU_INSF_IJNSH_IiLi4EEES1V_SK_EEELb0EEEEEENSF_IJS13_S14_S15_S16_S17_S18_S19_S1A_S1B_NS5_IJLi11ELi13EEEES1I_EEENSF_IJS1D_S1E_S18_S1F_S1G_S1B_S1H_S1I_S1J_NS5_IJLi14EEEENS5_IJLi15ELi16ELi17EEEEEEENS5_IJLi15ELi16ELi17ELi14EEEES1M_EENSE_INSF_IJS1S_S1U_ST_S1X_S1Y_ST_SY_S20_ST_S24_S27_EEES2A_S2D_S2E_S1M_EELi16ELi16ELi128ELi128ELi128ELi16ELi16ELi4ELi4ELi16ELb0EE3RunILb1ELNS_10TailNumberE10ENSE_INSF_IJNSG_INSF_IJiiEEENSF_IJiSM_EEELb0EEENSU_IS2L_Lb0EEENSS_IiEEEEENSF_IJS13_NS5_IJLi2EEEENS5_IJLi1EEEEEEENSF_IJNS5_IJLi1ELi2EEEENS5_IJLi3ELi4EEEES16_EEENS5_IJLi3ELi5ELi4EEEElEES1N_NS_35ThreadGroupTensorSliceTransfer_v4r1INS_15ThisThreadBlockILi256EEENS_16tensor_operation12element_wise11PassThroughES34_LNS_25InMemoryDataOperationEnumE0ENS5_IJLi8ELi128ELi16EEEENS5_IJLi8ELi32ELi1EEEENS5_IJLi1ELi0ELi2EEEESC_SC_RKS2Y_KS1N_S38_NS5_IJLi0ELi1ELi2EEEELi2ELi2ELi16ELi16ELi1ELi1ELb0ELb1ELi2EiEENS_13DynamicBufferILNS_16AddressSpaceEnumE1EKSC_lLb1ELNS_22AmdBufferCoherenceEnumE0EiEENS3E_ILS3F_2ESC_S1M_Lb1ELS3H_0EiEENSF_IJiiiEEENSE_INSF_IJNSU_INSF_IJiiiiEEELb0EEENS_23Merge_v2_magic_divisionIS2L_EENSS_INSF_IJiEEEEES2P_EEENSF_IJS13_NS5_IJLi1ELi3EEEES2R_S17_EEENSF_IJNS5_IJLi1ELi2ELi3ELi4EEEES16_S18_S19_EEENS5_IJLi5ELi6ELi7EEEElEES22_NS2Z_IS31_S34_S34_LS35_0ES36_NS5_IJLi4ELi64ELi1EEEES38_SD_SD_RKS3X_KS22_S38_S3C_Li2ELi2ELi16ELi16ELi1ELi1ELb0ELb1ELi2EiEENS3E_ILS3F_1EKSD_lLb1ELS3H_0EiEENS3E_ILS3F_2ESD_S1M_Lb1ELS3H_0EiEES3K_NS_25StaticBufferTupleOfVectorILS3F_4EfLi16ELi4ELb1ELb0EEEEEvRKT1_RKT2_RT3_RKT4_RT5_RKT6_RKT7_RKT8_RT9_RKT10_RT11_RKT12_RT13_iENKUlT_E0_clISM_EEDaS56_ENKUlS56_E_clINSH_IiLi0EEEEEDaS56_ENKUlS56_E1_clISK_EEDaS56_EUlS56_E_EEvS56_EUlS56_E_EEvS56_@rel32@hi+12
	s_swappc_b64 s[30:31], s[4:5]
	; sched_barrier mask(0x00000000)
	s_setprio 0
	; sched_barrier mask(0x00000000)
	v_add_u32_e32 v0, -16, v20
	v_add_u32_e32 v1, -16, v21
	v_sub_u32_e32 v4, v113, v113
	v_add_u32_e32 v2, -16, v22
	v_lshrrev_b32_e32 v3, 31, v52
	buffer_load_dwordx4 v[32:35], v53, s[24:27], 0 offen
	buffer_load_dwordx4 v[24:27], v0, s[24:27], 0 offen
	;; [unrolled: 1-line block ×4, first 2 shown]
	v_mad_u64_u32 v[0:1], s[4:5], v4, s44, v[52:53]
	v_add_u32_e32 v2, v52, v3
	v_mul_lo_u32 v1, v4, s44
	v_add_u32_e32 v3, 16, v0
	v_add_u32_e32 v0, 0x90, v0
	v_ashrrev_i32_e32 v2, 1, v2
	v_lshrrev_b32_e32 v4, 31, v3
	v_add3_u32 v1, v1, v0, -16
	v_lshrrev_b32_e32 v5, 31, v0
	buffer_load_dwordx2 v[62:63], v2, s[36:39], 0 offen
	v_add_u32_e32 v2, v3, v4
	v_lshrrev_b32_e32 v3, 31, v1
	v_add_u32_e32 v0, v0, v5
	v_ashrrev_i32_e32 v2, 1, v2
	v_add_u32_e32 v3, v1, v3
	v_ashrrev_i32_e32 v0, 1, v0
	v_ashrrev_i32_e32 v3, 1, v3
	buffer_load_dwordx2 v[52:53], v2, s[36:39], 0 offen
	buffer_load_dwordx2 v[54:55], v0, s[36:39], 0 offen
	;; [unrolled: 1-line block ×3, first 2 shown]
	v_add_u32_e32 v0, v114, v93
	v_add3_u32 v2, v115, v94, v95
	v_and_b32_e32 v3, 0xff000000, v71
	v_and_b32_e32 v4, 0xff0000, v71
	v_lshrrev_b32_e32 v7, 31, v116
	v_add_u32_e32 v8, v116, v81
	v_and_b32_e32 v9, 0xff000000, v69
	v_and_b32_e32 v10, 0xff0000, v69
	;; [unrolled: 1-line block ×8, first 2 shown]
	v_add_u32_e64 v69, 4, s23
	ds_write_b128 v0, v[48:51] offset:128
	v_add_u32_e32 v49, v0, v77
	v_add3_u32 v0, v0, v94, v95
	v_add3_u32 v48, v2, v97, v93
	v_or_b32_e32 v2, v4, v3
	v_add_u32_e32 v3, v116, v7
	v_or_b32_e32 v4, v10, v9
	v_lshrrev_b32_e32 v7, 31, v8
	v_add_u32_e32 v9, v8, v82
	v_or_b32_e32 v10, v14, v13
	v_sub_u32_e32 v14, v69, v113
	ds_write_b128 v49, v[40:43] offset:256
	ds_write_b128 v0, v[44:47] offset:128
	v_add_u32_e32 v40, v0, v97
	v_or3_b32 v71, v2, v5, v6
	v_ashrrev_i32_e32 v0, 1, v3
	v_or3_b32 v69, v4, v11, v12
	v_add_u32_e32 v2, v8, v7
	v_lshrrev_b32_e32 v3, 31, v9
	v_add_u32_e32 v4, v9, v83
	v_and_b32_e32 v15, 0xff00, v67
	v_and_b32_e32 v16, 0xff, v67
	;; [unrolled: 1-line block ×4, first 2 shown]
	ds_write_b128 v40, v[36:39] offset:128
	ds_write_b64 v0, v[70:71] offset:16384
	v_ashrrev_i32_e32 v0, 1, v2
	v_add_u32_e32 v2, v9, v3
	v_lshrrev_b32_e32 v3, 31, v4
	v_and_b32_e32 v111, 0xff00, v65
	v_and_b32_e32 v65, 0xff, v65
	v_add_u32_e32 v96, 16, v96
	s_add_i32 s23, s23, 2
	s_addk_i32 s19, 0xff00
	s_addk_i32 s48, 0x100
	v_or_b32_e32 v13, v67, v17
	v_or3_b32 v67, v10, v15, v16
	v_mul_lo_u32 v5, v14, s44
	ds_write_b64 v0, v[68:69] offset:16384
	v_ashrrev_i32_e32 v0, 1, v2
	v_add_u32_e32 v2, v4, v3
	v_add_u32_e32 v99, 2, v99
	;; [unrolled: 1-line block ×3, first 2 shown]
	v_lshrrev_b32_e32 v112, 3, v96
	s_cmp_lt_i32 s23, s47
	v_or3_b32 v65, v13, v111, v65
	v_add_u32_e32 v36, v4, v98
	v_add3_u32 v111, v5, v1, s18
	ds_write_b64 v0, v[66:67] offset:16384
	v_ashrrev_i32_e32 v0, 1, v2
	ds_write_b64 v0, v[64:65] offset:16384
	s_cbranch_scc1 .LBB18_12
; %bb.13:
	s_waitcnt lgkmcnt(0)
	s_barrier
	ds_read_b128 v[0:3], v73
	ds_read_b128 v[4:7], v90 offset:8192
	ds_read_b128 v[8:11], v91
	s_lshl_b64 s[4:5], s[34:35], 1
	s_add_u32 s24, s28, s4
	s_waitcnt lgkmcnt(2)
	buffer_store_dword v0, off, s[0:3], 0 offset:44
	buffer_store_dword v1, off, s[0:3], 0 offset:48
	;; [unrolled: 1-line block ×4, first 2 shown]
	ds_read_b128 v[0:3], v59 offset:4096
	s_waitcnt lgkmcnt(1)
	buffer_store_dword v8, off, s[0:3], 0 offset:60
	buffer_store_dword v9, off, s[0:3], 0 offset:64
	;; [unrolled: 1-line block ×4, first 2 shown]
	ds_read_b128 v[8:11], v57 offset:4096
	s_waitcnt lgkmcnt(1)
	buffer_store_dword v0, off, s[0:3], 0 offset:76
	buffer_store_dword v1, off, s[0:3], 0 offset:80
	;; [unrolled: 1-line block ×4, first 2 shown]
	s_waitcnt lgkmcnt(0)
	buffer_store_dword v8, off, s[0:3], 0 offset:92
	buffer_store_dword v9, off, s[0:3], 0 offset:96
	;; [unrolled: 1-line block ×5, first 2 shown]
	ds_read_b128 v[0:3], v89 offset:8192
	buffer_store_dword v5, off, s[0:3], 0 offset:112
	buffer_store_dword v6, off, s[0:3], 0 offset:116
	buffer_store_dword v7, off, s[0:3], 0 offset:120
	ds_read_b128 v[4:7], v90 offset:12288
	s_waitcnt lgkmcnt(1)
	buffer_store_dword v0, off, s[0:3], 0 offset:124
	buffer_store_dword v1, off, s[0:3], 0 offset:128
	;; [unrolled: 1-line block ×4, first 2 shown]
	s_waitcnt lgkmcnt(0)
	buffer_store_dword v4, off, s[0:3], 0 offset:140
	ds_read_b128 v[0:3], v89 offset:12288
	buffer_store_dword v5, off, s[0:3], 0 offset:144
	buffer_store_dword v6, off, s[0:3], 0 offset:148
	buffer_store_dword v7, off, s[0:3], 0 offset:152
	ds_read_b64 v[4:5], v88 offset:16384
	s_waitcnt lgkmcnt(1)
	buffer_store_dword v0, off, s[0:3], 0 offset:156
	buffer_store_dword v1, off, s[0:3], 0 offset:160
	buffer_store_dword v2, off, s[0:3], 0 offset:164
	buffer_store_dword v3, off, s[0:3], 0 offset:168
	s_waitcnt lgkmcnt(0)
	;;#ASMSTART
	v_cvt_off_f32_i4 v0, v4
v_cvt_off_f32_i4 v1, v4, src0_sel:BYTE_2
v_cvt_pk_fp8_f32 v3, v0, v1
v_cvt_off_f32_i4 v0, v4, src0_sel:BYTE_1
v_cvt_off_f32_i4 v1, v4, src0_sel:BYTE_3
v_cvt_pk_fp8_f32 v6, v0, v1
v_lshrrev_b32 v2, 4, v4
v_cvt_off_f32_i4 v0, v2
v_cvt_off_f32_i4 v1, v2, src0_sel:BYTE_2
v_cvt_pk_fp8_f32 v3, v0, v1, op_sel:[0, 0, 1]
v_cvt_off_f32_i4 v0, v2, src0_sel:BYTE_1
v_cvt_off_f32_i4 v1, v2, src0_sel:BYTE_3
v_cvt_pk_fp8_f32 v6, v0, v1, op_sel:[0, 0, 1]

	;;#ASMEND
	;;#ASMSTART
	v_cvt_off_f32_i4 v0, v5
v_cvt_off_f32_i4 v1, v5, src0_sel:BYTE_2
v_cvt_pk_fp8_f32 v4, v0, v1
v_cvt_off_f32_i4 v0, v5, src0_sel:BYTE_1
v_cvt_off_f32_i4 v1, v5, src0_sel:BYTE_3
v_cvt_pk_fp8_f32 v7, v0, v1
v_lshrrev_b32 v2, 4, v5
v_cvt_off_f32_i4 v0, v2
v_cvt_off_f32_i4 v1, v2, src0_sel:BYTE_2
v_cvt_pk_fp8_f32 v4, v0, v1, op_sel:[0, 0, 1]
v_cvt_off_f32_i4 v0, v2, src0_sel:BYTE_1
v_cvt_off_f32_i4 v1, v2, src0_sel:BYTE_3
v_cvt_pk_fp8_f32 v7, v0, v1, op_sel:[0, 0, 1]

	;;#ASMEND
	ds_read_b64 v[0:1], v86 offset:16384
	buffer_store_dword v3, off, s[0:3], 0 offset:172
	buffer_store_dword v6, off, s[0:3], 0 offset:176
	buffer_store_dword v4, off, s[0:3], 0 offset:180
	buffer_store_dword v7, off, s[0:3], 0 offset:184
	s_waitcnt lgkmcnt(0)
	;;#ASMSTART
	v_cvt_off_f32_i4 v2, v0
v_cvt_off_f32_i4 v3, v0, src0_sel:BYTE_2
v_cvt_pk_fp8_f32 v5, v2, v3
v_cvt_off_f32_i4 v2, v0, src0_sel:BYTE_1
v_cvt_off_f32_i4 v3, v0, src0_sel:BYTE_3
v_cvt_pk_fp8_f32 v6, v2, v3
v_lshrrev_b32 v4, 4, v0
v_cvt_off_f32_i4 v2, v4
v_cvt_off_f32_i4 v3, v4, src0_sel:BYTE_2
v_cvt_pk_fp8_f32 v5, v2, v3, op_sel:[0, 0, 1]
v_cvt_off_f32_i4 v2, v4, src0_sel:BYTE_1
v_cvt_off_f32_i4 v3, v4, src0_sel:BYTE_3
v_cvt_pk_fp8_f32 v6, v2, v3, op_sel:[0, 0, 1]

	;;#ASMEND
	;;#ASMSTART
	v_cvt_off_f32_i4 v0, v1
v_cvt_off_f32_i4 v2, v1, src0_sel:BYTE_2
v_cvt_pk_fp8_f32 v4, v0, v2
v_cvt_off_f32_i4 v0, v1, src0_sel:BYTE_1
v_cvt_off_f32_i4 v2, v1, src0_sel:BYTE_3
v_cvt_pk_fp8_f32 v7, v0, v2
v_lshrrev_b32 v3, 4, v1
v_cvt_off_f32_i4 v0, v3
v_cvt_off_f32_i4 v2, v3, src0_sel:BYTE_2
v_cvt_pk_fp8_f32 v4, v0, v2, op_sel:[0, 0, 1]
v_cvt_off_f32_i4 v0, v3, src0_sel:BYTE_1
v_cvt_off_f32_i4 v2, v3, src0_sel:BYTE_3
v_cvt_pk_fp8_f32 v7, v0, v2, op_sel:[0, 0, 1]

	;;#ASMEND
	ds_read_b64 v[0:1], v87 offset:16384
	buffer_store_dword v5, off, s[0:3], 0 offset:188
	buffer_store_dword v6, off, s[0:3], 0 offset:192
	buffer_store_dword v4, off, s[0:3], 0 offset:196
	buffer_store_dword v7, off, s[0:3], 0 offset:200
	s_waitcnt lgkmcnt(0)
	;;#ASMSTART
	v_cvt_off_f32_i4 v2, v0
v_cvt_off_f32_i4 v3, v0, src0_sel:BYTE_2
v_cvt_pk_fp8_f32 v5, v2, v3
v_cvt_off_f32_i4 v2, v0, src0_sel:BYTE_1
v_cvt_off_f32_i4 v3, v0, src0_sel:BYTE_3
v_cvt_pk_fp8_f32 v6, v2, v3
v_lshrrev_b32 v4, 4, v0
v_cvt_off_f32_i4 v2, v4
v_cvt_off_f32_i4 v3, v4, src0_sel:BYTE_2
v_cvt_pk_fp8_f32 v5, v2, v3, op_sel:[0, 0, 1]
v_cvt_off_f32_i4 v2, v4, src0_sel:BYTE_1
v_cvt_off_f32_i4 v3, v4, src0_sel:BYTE_3
v_cvt_pk_fp8_f32 v6, v2, v3, op_sel:[0, 0, 1]

	;;#ASMEND
	;;#ASMSTART
	v_cvt_off_f32_i4 v0, v1
v_cvt_off_f32_i4 v2, v1, src0_sel:BYTE_2
v_cvt_pk_fp8_f32 v4, v0, v2
v_cvt_off_f32_i4 v0, v1, src0_sel:BYTE_1
v_cvt_off_f32_i4 v2, v1, src0_sel:BYTE_3
v_cvt_pk_fp8_f32 v7, v0, v2
v_lshrrev_b32 v3, 4, v1
v_cvt_off_f32_i4 v0, v3
v_cvt_off_f32_i4 v2, v3, src0_sel:BYTE_2
v_cvt_pk_fp8_f32 v4, v0, v2, op_sel:[0, 0, 1]
v_cvt_off_f32_i4 v0, v3, src0_sel:BYTE_1
v_cvt_off_f32_i4 v2, v3, src0_sel:BYTE_3
v_cvt_pk_fp8_f32 v7, v0, v2, op_sel:[0, 0, 1]

	;;#ASMEND
	ds_read_b64 v[0:1], v85 offset:16384
	buffer_store_dword v5, off, s[0:3], 0 offset:204
	buffer_store_dword v6, off, s[0:3], 0 offset:208
	buffer_store_dword v4, off, s[0:3], 0 offset:212
	buffer_store_dword v7, off, s[0:3], 0 offset:216
	s_waitcnt lgkmcnt(0)
	;;#ASMSTART
	v_cvt_off_f32_i4 v2, v0
v_cvt_off_f32_i4 v3, v0, src0_sel:BYTE_2
v_cvt_pk_fp8_f32 v5, v2, v3
v_cvt_off_f32_i4 v2, v0, src0_sel:BYTE_1
v_cvt_off_f32_i4 v3, v0, src0_sel:BYTE_3
v_cvt_pk_fp8_f32 v6, v2, v3
v_lshrrev_b32 v4, 4, v0
v_cvt_off_f32_i4 v2, v4
v_cvt_off_f32_i4 v3, v4, src0_sel:BYTE_2
v_cvt_pk_fp8_f32 v5, v2, v3, op_sel:[0, 0, 1]
v_cvt_off_f32_i4 v2, v4, src0_sel:BYTE_1
v_cvt_off_f32_i4 v3, v4, src0_sel:BYTE_3
v_cvt_pk_fp8_f32 v6, v2, v3, op_sel:[0, 0, 1]

	;;#ASMEND
	;;#ASMSTART
	v_cvt_off_f32_i4 v0, v1
v_cvt_off_f32_i4 v2, v1, src0_sel:BYTE_2
v_cvt_pk_fp8_f32 v4, v0, v2
v_cvt_off_f32_i4 v0, v1, src0_sel:BYTE_1
v_cvt_off_f32_i4 v2, v1, src0_sel:BYTE_3
v_cvt_pk_fp8_f32 v7, v0, v2
v_lshrrev_b32 v3, 4, v1
v_cvt_off_f32_i4 v0, v3
v_cvt_off_f32_i4 v2, v3, src0_sel:BYTE_2
v_cvt_pk_fp8_f32 v4, v0, v2, op_sel:[0, 0, 1]
v_cvt_off_f32_i4 v0, v3, src0_sel:BYTE_1
v_cvt_off_f32_i4 v2, v3, src0_sel:BYTE_3
v_cvt_pk_fp8_f32 v7, v0, v2, op_sel:[0, 0, 1]

	;;#ASMEND
	ds_read_b64 v[0:1], v84 offset:16384
	buffer_store_dword v5, off, s[0:3], 0 offset:220
	buffer_store_dword v6, off, s[0:3], 0 offset:224
	buffer_store_dword v4, off, s[0:3], 0 offset:228
	buffer_store_dword v7, off, s[0:3], 0 offset:232
	s_waitcnt lgkmcnt(0)
	;;#ASMSTART
	v_cvt_off_f32_i4 v2, v0
v_cvt_off_f32_i4 v3, v0, src0_sel:BYTE_2
v_cvt_pk_fp8_f32 v5, v2, v3
v_cvt_off_f32_i4 v2, v0, src0_sel:BYTE_1
v_cvt_off_f32_i4 v3, v0, src0_sel:BYTE_3
v_cvt_pk_fp8_f32 v6, v2, v3
v_lshrrev_b32 v4, 4, v0
v_cvt_off_f32_i4 v2, v4
v_cvt_off_f32_i4 v3, v4, src0_sel:BYTE_2
v_cvt_pk_fp8_f32 v5, v2, v3, op_sel:[0, 0, 1]
v_cvt_off_f32_i4 v2, v4, src0_sel:BYTE_1
v_cvt_off_f32_i4 v3, v4, src0_sel:BYTE_3
v_cvt_pk_fp8_f32 v6, v2, v3, op_sel:[0, 0, 1]

	;;#ASMEND
	;;#ASMSTART
	v_cvt_off_f32_i4 v0, v1
v_cvt_off_f32_i4 v2, v1, src0_sel:BYTE_2
v_cvt_pk_fp8_f32 v4, v0, v2
v_cvt_off_f32_i4 v0, v1, src0_sel:BYTE_1
v_cvt_off_f32_i4 v2, v1, src0_sel:BYTE_3
v_cvt_pk_fp8_f32 v7, v0, v2
v_lshrrev_b32 v3, 4, v1
v_cvt_off_f32_i4 v0, v3
v_cvt_off_f32_i4 v2, v3, src0_sel:BYTE_2
v_cvt_pk_fp8_f32 v4, v0, v2, op_sel:[0, 0, 1]
v_cvt_off_f32_i4 v0, v3, src0_sel:BYTE_1
v_cvt_off_f32_i4 v2, v3, src0_sel:BYTE_3
v_cvt_pk_fp8_f32 v7, v0, v2, op_sel:[0, 0, 1]

	;;#ASMEND
	ds_read_b64 v[0:1], v80 offset:16384
	buffer_store_dword v5, off, s[0:3], 0 offset:236
	buffer_store_dword v6, off, s[0:3], 0 offset:240
	buffer_store_dword v4, off, s[0:3], 0 offset:244
	buffer_store_dword v7, off, s[0:3], 0 offset:248
	s_waitcnt lgkmcnt(0)
	;;#ASMSTART
	v_cvt_off_f32_i4 v2, v0
v_cvt_off_f32_i4 v3, v0, src0_sel:BYTE_2
v_cvt_pk_fp8_f32 v5, v2, v3
v_cvt_off_f32_i4 v2, v0, src0_sel:BYTE_1
v_cvt_off_f32_i4 v3, v0, src0_sel:BYTE_3
v_cvt_pk_fp8_f32 v6, v2, v3
v_lshrrev_b32 v4, 4, v0
v_cvt_off_f32_i4 v2, v4
v_cvt_off_f32_i4 v3, v4, src0_sel:BYTE_2
v_cvt_pk_fp8_f32 v5, v2, v3, op_sel:[0, 0, 1]
v_cvt_off_f32_i4 v2, v4, src0_sel:BYTE_1
v_cvt_off_f32_i4 v3, v4, src0_sel:BYTE_3
v_cvt_pk_fp8_f32 v6, v2, v3, op_sel:[0, 0, 1]

	;;#ASMEND
	;;#ASMSTART
	v_cvt_off_f32_i4 v0, v1
v_cvt_off_f32_i4 v2, v1, src0_sel:BYTE_2
v_cvt_pk_fp8_f32 v4, v0, v2
v_cvt_off_f32_i4 v0, v1, src0_sel:BYTE_1
v_cvt_off_f32_i4 v2, v1, src0_sel:BYTE_3
v_cvt_pk_fp8_f32 v7, v0, v2
v_lshrrev_b32 v3, 4, v1
v_cvt_off_f32_i4 v0, v3
v_cvt_off_f32_i4 v2, v3, src0_sel:BYTE_2
v_cvt_pk_fp8_f32 v4, v0, v2, op_sel:[0, 0, 1]
v_cvt_off_f32_i4 v0, v3, src0_sel:BYTE_1
v_cvt_off_f32_i4 v2, v3, src0_sel:BYTE_3
v_cvt_pk_fp8_f32 v7, v0, v2, op_sel:[0, 0, 1]

	;;#ASMEND
	ds_read_b64 v[0:1], v79 offset:16384
	buffer_store_dword v5, off, s[0:3], 0 offset:252
	buffer_store_dword v6, off, s[0:3], 0 offset:256
	buffer_store_dword v4, off, s[0:3], 0 offset:260
	buffer_store_dword v7, off, s[0:3], 0 offset:264
	s_waitcnt lgkmcnt(0)
	;;#ASMSTART
	v_cvt_off_f32_i4 v2, v0
v_cvt_off_f32_i4 v3, v0, src0_sel:BYTE_2
v_cvt_pk_fp8_f32 v5, v2, v3
v_cvt_off_f32_i4 v2, v0, src0_sel:BYTE_1
v_cvt_off_f32_i4 v3, v0, src0_sel:BYTE_3
v_cvt_pk_fp8_f32 v6, v2, v3
v_lshrrev_b32 v4, 4, v0
v_cvt_off_f32_i4 v2, v4
v_cvt_off_f32_i4 v3, v4, src0_sel:BYTE_2
v_cvt_pk_fp8_f32 v5, v2, v3, op_sel:[0, 0, 1]
v_cvt_off_f32_i4 v2, v4, src0_sel:BYTE_1
v_cvt_off_f32_i4 v3, v4, src0_sel:BYTE_3
v_cvt_pk_fp8_f32 v6, v2, v3, op_sel:[0, 0, 1]

	;;#ASMEND
	;;#ASMSTART
	v_cvt_off_f32_i4 v0, v1
v_cvt_off_f32_i4 v2, v1, src0_sel:BYTE_2
v_cvt_pk_fp8_f32 v4, v0, v2
v_cvt_off_f32_i4 v0, v1, src0_sel:BYTE_1
v_cvt_off_f32_i4 v2, v1, src0_sel:BYTE_3
v_cvt_pk_fp8_f32 v7, v0, v2
v_lshrrev_b32 v3, 4, v1
v_cvt_off_f32_i4 v0, v3
v_cvt_off_f32_i4 v2, v3, src0_sel:BYTE_2
v_cvt_pk_fp8_f32 v4, v0, v2, op_sel:[0, 0, 1]
v_cvt_off_f32_i4 v0, v3, src0_sel:BYTE_1
v_cvt_off_f32_i4 v2, v3, src0_sel:BYTE_3
v_cvt_pk_fp8_f32 v7, v0, v2, op_sel:[0, 0, 1]

	;;#ASMEND
	ds_read_b64 v[0:1], v76 offset:16384
	s_mul_i32 s43, s43, s21
	s_mul_hi_u32 s23, s42, s21
	buffer_store_dword v5, off, s[0:3], 0 offset:268
	buffer_store_dword v6, off, s[0:3], 0 offset:272
	;; [unrolled: 1-line block ×4, first 2 shown]
	s_waitcnt lgkmcnt(0)
	;;#ASMSTART
	v_cvt_off_f32_i4 v2, v0
v_cvt_off_f32_i4 v3, v0, src0_sel:BYTE_2
v_cvt_pk_fp8_f32 v5, v2, v3
v_cvt_off_f32_i4 v2, v0, src0_sel:BYTE_1
v_cvt_off_f32_i4 v3, v0, src0_sel:BYTE_3
v_cvt_pk_fp8_f32 v6, v2, v3
v_lshrrev_b32 v4, 4, v0
v_cvt_off_f32_i4 v2, v4
v_cvt_off_f32_i4 v3, v4, src0_sel:BYTE_2
v_cvt_pk_fp8_f32 v5, v2, v3, op_sel:[0, 0, 1]
v_cvt_off_f32_i4 v2, v4, src0_sel:BYTE_1
v_cvt_off_f32_i4 v3, v4, src0_sel:BYTE_3
v_cvt_pk_fp8_f32 v6, v2, v3, op_sel:[0, 0, 1]

	;;#ASMEND
	s_waitcnt vmcnt(62)
	v_lshrrev_b32_e32 v37, 24, v63
	v_lshrrev_b32_e32 v38, 24, v53
	s_waitcnt vmcnt(61)
	v_lshrrev_b32_e32 v39, 24, v55
	s_waitcnt vmcnt(60)
	v_lshrrev_b32_e32 v41, 24, v61
	s_addc_u32 s25, s29, s5
	s_add_i32 s23, s23, s43
	s_mov_b64 s[18:19], src_private_base
	;;#ASMSTART
	v_cvt_off_f32_i4 v0, v1
v_cvt_off_f32_i4 v2, v1, src0_sel:BYTE_2
v_cvt_pk_fp8_f32 v4, v0, v2
v_cvt_off_f32_i4 v0, v1, src0_sel:BYTE_1
v_cvt_off_f32_i4 v2, v1, src0_sel:BYTE_3
v_cvt_pk_fp8_f32 v7, v0, v2
v_lshrrev_b32 v3, 4, v1
v_cvt_off_f32_i4 v0, v3
v_cvt_off_f32_i4 v2, v3, src0_sel:BYTE_2
v_cvt_pk_fp8_f32 v4, v0, v2, op_sel:[0, 0, 1]
v_cvt_off_f32_i4 v0, v3, src0_sel:BYTE_1
v_cvt_off_f32_i4 v2, v3, src0_sel:BYTE_3
v_cvt_pk_fp8_f32 v7, v0, v2, op_sel:[0, 0, 1]

	;;#ASMEND
	buffer_store_dword v5, off, s[0:3], 0 offset:284
	buffer_store_dword v6, off, s[0:3], 0 offset:288
	;; [unrolled: 1-line block ×4, first 2 shown]
	; sched_barrier mask(0x00000000)
	s_barrier
	; sched_barrier mask(0x00000000)
	v_mov_b32_e32 v42, s19
	v_mov_b32_e32 v43, 40
	;; [unrolled: 1-line block ×11, first 2 shown]
	buffer_store_dword v42, off, s[0:3], 0 offset:4
	buffer_store_dword v43, off, s[0:3], 0
	buffer_store_dword v44, off, s[0:3], 0 offset:12
	buffer_store_dword v45, off, s[0:3], 0 offset:8
	;; [unrolled: 1-line block ×8, first 2 shown]
	s_getpc_b64 s[4:5]
	s_add_u32 s4, s4, _ZNK2ck6detail7applierIiJLi0ELi1ELi2ELi3ELi4ELi5ELi6ELi7ELi8ELi9ELi10ELi11ELi12ELi13ELi14ELi15EEEclIZNKS_11static_fordINS_8SequenceIJLi4ELi4EEEENS5_IJLi0ELi1EEEEEclIZZZZZNKS_31BlockwiseGemmXdlops_pipeline_v2ILNS_26BlockGemmPipelineSchedulerE1ELi256ENS_9f8_fnuz_tENS_7pk_i4_tESC_fNS_16TensorDescriptorINS_5TupleIJNS_5EmbedINSF_IJNS_17integral_constantIiLi8EEENSH_IiLi128EEENSH_IiLi16EEEEEENSF_IJSK_SJ_NSH_IiLi1EEEEEELb0EEENS_3XorINSF_IJSJ_SI_EEELb1EEENS_11PassThroughISK_EENS_7UnMergeINSF_IJSI_SM_EEELb0EEENSS_ISJ_EEST_NSS_ISI_EENS_21Merge_v3_division_modINSF_IJSJ_SM_EEEEEST_EEENSF_IJNS5_IJLi0EEEENS5_IJLi2ELi1EEEENS5_IJLi3EEEENS5_IJLi5EEEENS5_IJLi4EEEENS5_IJLi6EEEENS5_IJLi7EEEENS5_IJLi9ELi8EEEENS5_IJLi10EEEEEEENSF_IJNS5_IJLi1ELi2ELi3EEEENS5_IJLi4ELi5EEEES18_NS5_IJLi7ELi8EEEENS5_IJLi9EEEES1B_NS5_IJLi11EEEENS5_IJLi12EEEENS5_IJLi13EEEEEEENS5_IJLi11ELi12ELi13EEEENSH_IlLl16384EEEEENSE_INSF_IJNSG_INSF_IJSK_NSH_IiLi64EEESK_EEENSF_IJSK_NSH_IiLi256EEESM_EEELb0EEENSP_INSF_IJS1O_SK_EEELb1EEEST_NSU_INSF_IJSI_NSH_IiLi2EEEEEELb0EEENSS_IS1O_EEST_SY_NSZ_INSF_IJS1O_S1V_EEEEEST_EEES1C_S1K_S1L_S1M_EENSE_INSF_IJSO_SR_ST_SW_SX_ST_SY_S11_ST_NSZ_INSF_IJSI_SK_EEEEENSU_INSF_IJNSH_IiLi4EEES1V_SK_EEELb0EEEEEENSF_IJS13_S14_S15_S16_S17_S18_S19_S1A_S1B_NS5_IJLi11ELi13EEEES1I_EEENSF_IJS1D_S1E_S18_S1F_S1G_S1B_S1H_S1I_S1J_NS5_IJLi14EEEENS5_IJLi15ELi16ELi17EEEEEEENS5_IJLi15ELi16ELi17ELi14EEEES1M_EENSE_INSF_IJS1S_S1U_ST_S1X_S1Y_ST_SY_S20_ST_S24_S27_EEES2A_S2D_S2E_S1M_EELi16ELi16ELi128ELi128ELi128ELi16ELi16ELi4ELi4ELi16ELb0EE3RunILb1ELNS_10TailNumberE10ENSE_INSF_IJNSG_INSF_IJiiEEENSF_IJiSM_EEELb0EEENSU_IS2L_Lb0EEENSS_IiEEEEENSF_IJS13_NS5_IJLi2EEEENS5_IJLi1EEEEEEENSF_IJNS5_IJLi1ELi2EEEENS5_IJLi3ELi4EEEES16_EEENS5_IJLi3ELi5ELi4EEEElEES1N_NS_35ThreadGroupTensorSliceTransfer_v4r1INS_15ThisThreadBlockILi256EEENS_16tensor_operation12element_wise11PassThroughES34_LNS_25InMemoryDataOperationEnumE0ENS5_IJLi8ELi128ELi16EEEENS5_IJLi8ELi32ELi1EEEENS5_IJLi1ELi0ELi2EEEESC_SC_RKS2Y_KS1N_S38_NS5_IJLi0ELi1ELi2EEEELi2ELi2ELi16ELi16ELi1ELi1ELb0ELb1ELi2EiEENS_13DynamicBufferILNS_16AddressSpaceEnumE1EKSC_lLb1ELNS_22AmdBufferCoherenceEnumE0EiEENS3E_ILS3F_2ESC_S1M_Lb1ELS3H_0EiEENSF_IJiiiEEENSE_INSF_IJNSU_INSF_IJiiiiEEELb0EEENS_23Merge_v2_magic_divisionIS2L_EENSS_INSF_IJiEEEEES2P_EEENSF_IJS13_NS5_IJLi1ELi3EEEES2R_S17_EEENSF_IJNS5_IJLi1ELi2ELi3ELi4EEEES16_S18_S19_EEENS5_IJLi5ELi6ELi7EEEElEES22_NS2Z_IS31_S34_S34_LS35_0ES36_NS5_IJLi4ELi64ELi1EEEES38_SD_SD_RKS3X_KS22_S38_S3C_Li2ELi2ELi16ELi16ELi1ELi1ELb0ELb1ELi2EiEENS3E_ILS3F_1EKSD_lLb1ELS3H_0EiEENS3E_ILS3F_2ESD_S1M_Lb1ELS3H_0EiEES3K_NS_25StaticBufferTupleOfVectorILS3F_4EfLi16ELi4ELb1ELb0EEEEEvRKT1_RKT2_RT3_RKT4_RT5_RKT6_RKT7_RKT8_RT9_RKT10_RT11_RKT12_RT13_iENKUlT_E1_clIS1V_EEDaS56_ENKUlS56_E_clISM_EEDaS56_ENKUlS56_E_clINSH_IiLi0EEEEEDaS56_ENKUlS56_E1_clIS5D_EEDaS56_EUlS56_E_EEvS56_EUlS56_E_EEvS56_@rel32@lo+4
	s_addc_u32 s5, s5, _ZNK2ck6detail7applierIiJLi0ELi1ELi2ELi3ELi4ELi5ELi6ELi7ELi8ELi9ELi10ELi11ELi12ELi13ELi14ELi15EEEclIZNKS_11static_fordINS_8SequenceIJLi4ELi4EEEENS5_IJLi0ELi1EEEEEclIZZZZZNKS_31BlockwiseGemmXdlops_pipeline_v2ILNS_26BlockGemmPipelineSchedulerE1ELi256ENS_9f8_fnuz_tENS_7pk_i4_tESC_fNS_16TensorDescriptorINS_5TupleIJNS_5EmbedINSF_IJNS_17integral_constantIiLi8EEENSH_IiLi128EEENSH_IiLi16EEEEEENSF_IJSK_SJ_NSH_IiLi1EEEEEELb0EEENS_3XorINSF_IJSJ_SI_EEELb1EEENS_11PassThroughISK_EENS_7UnMergeINSF_IJSI_SM_EEELb0EEENSS_ISJ_EEST_NSS_ISI_EENS_21Merge_v3_division_modINSF_IJSJ_SM_EEEEEST_EEENSF_IJNS5_IJLi0EEEENS5_IJLi2ELi1EEEENS5_IJLi3EEEENS5_IJLi5EEEENS5_IJLi4EEEENS5_IJLi6EEEENS5_IJLi7EEEENS5_IJLi9ELi8EEEENS5_IJLi10EEEEEEENSF_IJNS5_IJLi1ELi2ELi3EEEENS5_IJLi4ELi5EEEES18_NS5_IJLi7ELi8EEEENS5_IJLi9EEEES1B_NS5_IJLi11EEEENS5_IJLi12EEEENS5_IJLi13EEEEEEENS5_IJLi11ELi12ELi13EEEENSH_IlLl16384EEEEENSE_INSF_IJNSG_INSF_IJSK_NSH_IiLi64EEESK_EEENSF_IJSK_NSH_IiLi256EEESM_EEELb0EEENSP_INSF_IJS1O_SK_EEELb1EEEST_NSU_INSF_IJSI_NSH_IiLi2EEEEEELb0EEENSS_IS1O_EEST_SY_NSZ_INSF_IJS1O_S1V_EEEEEST_EEES1C_S1K_S1L_S1M_EENSE_INSF_IJSO_SR_ST_SW_SX_ST_SY_S11_ST_NSZ_INSF_IJSI_SK_EEEEENSU_INSF_IJNSH_IiLi4EEES1V_SK_EEELb0EEEEEENSF_IJS13_S14_S15_S16_S17_S18_S19_S1A_S1B_NS5_IJLi11ELi13EEEES1I_EEENSF_IJS1D_S1E_S18_S1F_S1G_S1B_S1H_S1I_S1J_NS5_IJLi14EEEENS5_IJLi15ELi16ELi17EEEEEEENS5_IJLi15ELi16ELi17ELi14EEEES1M_EENSE_INSF_IJS1S_S1U_ST_S1X_S1Y_ST_SY_S20_ST_S24_S27_EEES2A_S2D_S2E_S1M_EELi16ELi16ELi128ELi128ELi128ELi16ELi16ELi4ELi4ELi16ELb0EE3RunILb1ELNS_10TailNumberE10ENSE_INSF_IJNSG_INSF_IJiiEEENSF_IJiSM_EEELb0EEENSU_IS2L_Lb0EEENSS_IiEEEEENSF_IJS13_NS5_IJLi2EEEENS5_IJLi1EEEEEEENSF_IJNS5_IJLi1ELi2EEEENS5_IJLi3ELi4EEEES16_EEENS5_IJLi3ELi5ELi4EEEElEES1N_NS_35ThreadGroupTensorSliceTransfer_v4r1INS_15ThisThreadBlockILi256EEENS_16tensor_operation12element_wise11PassThroughES34_LNS_25InMemoryDataOperationEnumE0ENS5_IJLi8ELi128ELi16EEEENS5_IJLi8ELi32ELi1EEEENS5_IJLi1ELi0ELi2EEEESC_SC_RKS2Y_KS1N_S38_NS5_IJLi0ELi1ELi2EEEELi2ELi2ELi16ELi16ELi1ELi1ELb0ELb1ELi2EiEENS_13DynamicBufferILNS_16AddressSpaceEnumE1EKSC_lLb1ELNS_22AmdBufferCoherenceEnumE0EiEENS3E_ILS3F_2ESC_S1M_Lb1ELS3H_0EiEENSF_IJiiiEEENSE_INSF_IJNSU_INSF_IJiiiiEEELb0EEENS_23Merge_v2_magic_divisionIS2L_EENSS_INSF_IJiEEEEES2P_EEENSF_IJS13_NS5_IJLi1ELi3EEEES2R_S17_EEENSF_IJNS5_IJLi1ELi2ELi3ELi4EEEES16_S18_S19_EEENS5_IJLi5ELi6ELi7EEEElEES22_NS2Z_IS31_S34_S34_LS35_0ES36_NS5_IJLi4ELi64ELi1EEEES38_SD_SD_RKS3X_KS22_S38_S3C_Li2ELi2ELi16ELi16ELi1ELi1ELb0ELb1ELi2EiEENS3E_ILS3F_1EKSD_lLb1ELS3H_0EiEENS3E_ILS3F_2ESD_S1M_Lb1ELS3H_0EiEES3K_NS_25StaticBufferTupleOfVectorILS3F_4EfLi16ELi4ELb1ELb0EEEEEvRKT1_RKT2_RT3_RKT4_RT5_RKT6_RKT7_RKT8_RT9_RKT10_RT11_RKT12_RT13_iENKUlT_E1_clIS1V_EEDaS56_ENKUlS56_E_clISM_EEDaS56_ENKUlS56_E_clINSH_IiLi0EEEEEDaS56_ENKUlS56_E1_clIS5D_EEDaS56_EUlS56_E_EEvS56_EUlS56_E_EEvS56_@rel32@hi+12
	s_swappc_b64 s[30:31], s[4:5]
	v_mov_b32_e32 v0, 0
	v_mov_b32_e32 v1, s19
	buffer_store_dword v42, off, s[0:3], 0 offset:4
	buffer_store_dword v43, off, s[0:3], 0
	buffer_store_dword v44, off, s[0:3], 0 offset:12
	buffer_store_dword v45, off, s[0:3], 0 offset:8
	;; [unrolled: 1-line block ×8, first 2 shown]
	s_getpc_b64 s[4:5]
	s_add_u32 s4, s4, _ZNK2ck6detail7applierIiJLi0ELi1ELi2ELi3ELi4ELi5ELi6ELi7ELi8ELi9ELi10ELi11ELi12ELi13ELi14ELi15EEEclIZNKS_11static_fordINS_8SequenceIJLi4ELi4EEEENS5_IJLi0ELi1EEEEEclIZZZZZNKS_31BlockwiseGemmXdlops_pipeline_v2ILNS_26BlockGemmPipelineSchedulerE1ELi256ENS_9f8_fnuz_tENS_7pk_i4_tESC_fNS_16TensorDescriptorINS_5TupleIJNS_5EmbedINSF_IJNS_17integral_constantIiLi8EEENSH_IiLi128EEENSH_IiLi16EEEEEENSF_IJSK_SJ_NSH_IiLi1EEEEEELb0EEENS_3XorINSF_IJSJ_SI_EEELb1EEENS_11PassThroughISK_EENS_7UnMergeINSF_IJSI_SM_EEELb0EEENSS_ISJ_EEST_NSS_ISI_EENS_21Merge_v3_division_modINSF_IJSJ_SM_EEEEEST_EEENSF_IJNS5_IJLi0EEEENS5_IJLi2ELi1EEEENS5_IJLi3EEEENS5_IJLi5EEEENS5_IJLi4EEEENS5_IJLi6EEEENS5_IJLi7EEEENS5_IJLi9ELi8EEEENS5_IJLi10EEEEEEENSF_IJNS5_IJLi1ELi2ELi3EEEENS5_IJLi4ELi5EEEES18_NS5_IJLi7ELi8EEEENS5_IJLi9EEEES1B_NS5_IJLi11EEEENS5_IJLi12EEEENS5_IJLi13EEEEEEENS5_IJLi11ELi12ELi13EEEENSH_IlLl16384EEEEENSE_INSF_IJNSG_INSF_IJSK_NSH_IiLi64EEESK_EEENSF_IJSK_NSH_IiLi256EEESM_EEELb0EEENSP_INSF_IJS1O_SK_EEELb1EEEST_NSU_INSF_IJSI_NSH_IiLi2EEEEEELb0EEENSS_IS1O_EEST_SY_NSZ_INSF_IJS1O_S1V_EEEEEST_EEES1C_S1K_S1L_S1M_EENSE_INSF_IJSO_SR_ST_SW_SX_ST_SY_S11_ST_NSZ_INSF_IJSI_SK_EEEEENSU_INSF_IJNSH_IiLi4EEES1V_SK_EEELb0EEEEEENSF_IJS13_S14_S15_S16_S17_S18_S19_S1A_S1B_NS5_IJLi11ELi13EEEES1I_EEENSF_IJS1D_S1E_S18_S1F_S1G_S1B_S1H_S1I_S1J_NS5_IJLi14EEEENS5_IJLi15ELi16ELi17EEEEEEENS5_IJLi15ELi16ELi17ELi14EEEES1M_EENSE_INSF_IJS1S_S1U_ST_S1X_S1Y_ST_SY_S20_ST_S24_S27_EEES2A_S2D_S2E_S1M_EELi16ELi16ELi128ELi128ELi128ELi16ELi16ELi4ELi4ELi16ELb0EE3RunILb1ELNS_10TailNumberE10ENSE_INSF_IJNSG_INSF_IJiiEEENSF_IJiSM_EEELb0EEENSU_IS2L_Lb0EEENSS_IiEEEEENSF_IJS13_NS5_IJLi2EEEENS5_IJLi1EEEEEEENSF_IJNS5_IJLi1ELi2EEEENS5_IJLi3ELi4EEEES16_EEENS5_IJLi3ELi5ELi4EEEElEES1N_NS_35ThreadGroupTensorSliceTransfer_v4r1INS_15ThisThreadBlockILi256EEENS_16tensor_operation12element_wise11PassThroughES34_LNS_25InMemoryDataOperationEnumE0ENS5_IJLi8ELi128ELi16EEEENS5_IJLi8ELi32ELi1EEEENS5_IJLi1ELi0ELi2EEEESC_SC_RKS2Y_KS1N_S38_NS5_IJLi0ELi1ELi2EEEELi2ELi2ELi16ELi16ELi1ELi1ELb0ELb1ELi2EiEENS_13DynamicBufferILNS_16AddressSpaceEnumE1EKSC_lLb1ELNS_22AmdBufferCoherenceEnumE0EiEENS3E_ILS3F_2ESC_S1M_Lb1ELS3H_0EiEENSF_IJiiiEEENSE_INSF_IJNSU_INSF_IJiiiiEEELb0EEENS_23Merge_v2_magic_divisionIS2L_EENSS_INSF_IJiEEEEES2P_EEENSF_IJS13_NS5_IJLi1ELi3EEEES2R_S17_EEENSF_IJNS5_IJLi1ELi2ELi3ELi4EEEES16_S18_S19_EEENS5_IJLi5ELi6ELi7EEEElEES22_NS2Z_IS31_S34_S34_LS35_0ES36_NS5_IJLi4ELi64ELi1EEEES38_SD_SD_RKS3X_KS22_S38_S3C_Li2ELi2ELi16ELi16ELi1ELi1ELb0ELb1ELi2EiEENS3E_ILS3F_1EKSD_lLb1ELS3H_0EiEENS3E_ILS3F_2ESD_S1M_Lb1ELS3H_0EiEES3K_NS_25StaticBufferTupleOfVectorILS3F_4EfLi16ELi4ELb1ELb0EEEEEvRKT1_RKT2_RT3_RKT4_RT5_RKT6_RKT7_RKT8_RT9_RKT10_RT11_RKT12_RT13_iENKUlT_E1_clIS1V_EEDaS56_ENKUlS56_E_clISM_EEDaS56_ENKUlS56_E_clINSH_IiLi0EEEEEDaS56_ENKUlS56_E1_clISK_EEDaS56_EUlS56_E_EEvS56_EUlS56_E_EEvS56_@rel32@lo+4
	s_addc_u32 s5, s5, _ZNK2ck6detail7applierIiJLi0ELi1ELi2ELi3ELi4ELi5ELi6ELi7ELi8ELi9ELi10ELi11ELi12ELi13ELi14ELi15EEEclIZNKS_11static_fordINS_8SequenceIJLi4ELi4EEEENS5_IJLi0ELi1EEEEEclIZZZZZNKS_31BlockwiseGemmXdlops_pipeline_v2ILNS_26BlockGemmPipelineSchedulerE1ELi256ENS_9f8_fnuz_tENS_7pk_i4_tESC_fNS_16TensorDescriptorINS_5TupleIJNS_5EmbedINSF_IJNS_17integral_constantIiLi8EEENSH_IiLi128EEENSH_IiLi16EEEEEENSF_IJSK_SJ_NSH_IiLi1EEEEEELb0EEENS_3XorINSF_IJSJ_SI_EEELb1EEENS_11PassThroughISK_EENS_7UnMergeINSF_IJSI_SM_EEELb0EEENSS_ISJ_EEST_NSS_ISI_EENS_21Merge_v3_division_modINSF_IJSJ_SM_EEEEEST_EEENSF_IJNS5_IJLi0EEEENS5_IJLi2ELi1EEEENS5_IJLi3EEEENS5_IJLi5EEEENS5_IJLi4EEEENS5_IJLi6EEEENS5_IJLi7EEEENS5_IJLi9ELi8EEEENS5_IJLi10EEEEEEENSF_IJNS5_IJLi1ELi2ELi3EEEENS5_IJLi4ELi5EEEES18_NS5_IJLi7ELi8EEEENS5_IJLi9EEEES1B_NS5_IJLi11EEEENS5_IJLi12EEEENS5_IJLi13EEEEEEENS5_IJLi11ELi12ELi13EEEENSH_IlLl16384EEEEENSE_INSF_IJNSG_INSF_IJSK_NSH_IiLi64EEESK_EEENSF_IJSK_NSH_IiLi256EEESM_EEELb0EEENSP_INSF_IJS1O_SK_EEELb1EEEST_NSU_INSF_IJSI_NSH_IiLi2EEEEEELb0EEENSS_IS1O_EEST_SY_NSZ_INSF_IJS1O_S1V_EEEEEST_EEES1C_S1K_S1L_S1M_EENSE_INSF_IJSO_SR_ST_SW_SX_ST_SY_S11_ST_NSZ_INSF_IJSI_SK_EEEEENSU_INSF_IJNSH_IiLi4EEES1V_SK_EEELb0EEEEEENSF_IJS13_S14_S15_S16_S17_S18_S19_S1A_S1B_NS5_IJLi11ELi13EEEES1I_EEENSF_IJS1D_S1E_S18_S1F_S1G_S1B_S1H_S1I_S1J_NS5_IJLi14EEEENS5_IJLi15ELi16ELi17EEEEEEENS5_IJLi15ELi16ELi17ELi14EEEES1M_EENSE_INSF_IJS1S_S1U_ST_S1X_S1Y_ST_SY_S20_ST_S24_S27_EEES2A_S2D_S2E_S1M_EELi16ELi16ELi128ELi128ELi128ELi16ELi16ELi4ELi4ELi16ELb0EE3RunILb1ELNS_10TailNumberE10ENSE_INSF_IJNSG_INSF_IJiiEEENSF_IJiSM_EEELb0EEENSU_IS2L_Lb0EEENSS_IiEEEEENSF_IJS13_NS5_IJLi2EEEENS5_IJLi1EEEEEEENSF_IJNS5_IJLi1ELi2EEEENS5_IJLi3ELi4EEEES16_EEENS5_IJLi3ELi5ELi4EEEElEES1N_NS_35ThreadGroupTensorSliceTransfer_v4r1INS_15ThisThreadBlockILi256EEENS_16tensor_operation12element_wise11PassThroughES34_LNS_25InMemoryDataOperationEnumE0ENS5_IJLi8ELi128ELi16EEEENS5_IJLi8ELi32ELi1EEEENS5_IJLi1ELi0ELi2EEEESC_SC_RKS2Y_KS1N_S38_NS5_IJLi0ELi1ELi2EEEELi2ELi2ELi16ELi16ELi1ELi1ELb0ELb1ELi2EiEENS_13DynamicBufferILNS_16AddressSpaceEnumE1EKSC_lLb1ELNS_22AmdBufferCoherenceEnumE0EiEENS3E_ILS3F_2ESC_S1M_Lb1ELS3H_0EiEENSF_IJiiiEEENSE_INSF_IJNSU_INSF_IJiiiiEEELb0EEENS_23Merge_v2_magic_divisionIS2L_EENSS_INSF_IJiEEEEES2P_EEENSF_IJS13_NS5_IJLi1ELi3EEEES2R_S17_EEENSF_IJNS5_IJLi1ELi2ELi3ELi4EEEES16_S18_S19_EEENS5_IJLi5ELi6ELi7EEEElEES22_NS2Z_IS31_S34_S34_LS35_0ES36_NS5_IJLi4ELi64ELi1EEEES38_SD_SD_RKS3X_KS22_S38_S3C_Li2ELi2ELi16ELi16ELi1ELi1ELb0ELb1ELi2EiEENS3E_ILS3F_1EKSD_lLb1ELS3H_0EiEENS3E_ILS3F_2ESD_S1M_Lb1ELS3H_0EiEES3K_NS_25StaticBufferTupleOfVectorILS3F_4EfLi16ELi4ELb1ELb0EEEEEvRKT1_RKT2_RT3_RKT4_RT5_RKT6_RKT7_RKT8_RT9_RKT10_RT11_RKT12_RT13_iENKUlT_E1_clIS1V_EEDaS56_ENKUlS56_E_clISM_EEDaS56_ENKUlS56_E_clINSH_IiLi0EEEEEDaS56_ENKUlS56_E1_clISK_EEDaS56_EUlS56_E_EEvS56_EUlS56_E_EEvS56_@rel32@hi+12
	s_swappc_b64 s[30:31], s[4:5]
	; sched_barrier mask(0x00000000)
	s_setprio 0
	; sched_barrier mask(0x00000000)
	v_add_u32_e32 v0, v40, v93
	s_movk_i32 s4, 0x80
	ds_write_b128 v0, v[32:35] offset:128
	v_add3_u32 v0, v0, s4, v77
	ds_write_b128 v0, v[24:27] offset:128
	v_add3_u32 v0, v0, s4, v78
	;; [unrolled: 2-line block ×3, first 2 shown]
	ds_write_b128 v0, v[20:23] offset:128
	v_lshlrev_b32_e32 v0, 24, v37
	v_and_b32_e32 v1, 0xff0000, v63
	v_or_b32_e32 v0, v1, v0
	v_and_b32_e32 v1, 0xff00, v63
	v_and_b32_e32 v2, 0xff, v63
	v_or3_b32 v63, v0, v1, v2
	v_lshrrev_b32_e32 v0, 31, v36
	v_add_u32_e32 v0, v36, v0
	v_ashrrev_i32_e32 v0, 1, v0
	v_lshlrev_b32_e32 v1, 24, v41
	v_and_b32_e32 v2, 0xff0000, v61
	ds_write_b64 v0, v[62:63] offset:16384
	v_add_u32_e32 v0, v36, v81
	v_or_b32_e32 v1, v2, v1
	v_and_b32_e32 v2, 0xff00, v61
	v_and_b32_e32 v3, 0xff, v61
	v_or3_b32 v61, v1, v2, v3
	v_lshrrev_b32_e32 v1, 31, v0
	v_add_u32_e32 v1, v0, v1
	v_ashrrev_i32_e32 v1, 1, v1
	ds_write_b64 v1, v[60:61] offset:16384
	v_lshlrev_b32_e32 v1, 24, v39
	v_and_b32_e32 v2, 0xff0000, v55
	v_add_u32_e32 v0, v0, v82
	v_or_b32_e32 v1, v2, v1
	v_and_b32_e32 v2, 0xff00, v55
	v_and_b32_e32 v3, 0xff, v55
	v_or3_b32 v55, v1, v2, v3
	v_lshrrev_b32_e32 v1, 31, v0
	v_add_u32_e32 v1, v0, v1
	v_ashrrev_i32_e32 v1, 1, v1
	ds_write_b64 v1, v[54:55] offset:16384
	v_lshlrev_b32_e32 v1, 24, v38
	v_and_b32_e32 v2, 0xff0000, v53
	v_add_u32_e32 v0, v0, v83
	v_or_b32_e32 v1, v2, v1
	v_and_b32_e32 v2, 0xff00, v53
	v_and_b32_e32 v3, 0xff, v53
	v_or3_b32 v53, v1, v2, v3
	v_lshrrev_b32_e32 v1, 31, v0
	v_add_u32_e32 v0, v0, v1
	v_ashrrev_i32_e32 v0, 1, v0
	ds_write_b64 v0, v[52:53] offset:16384
	s_waitcnt lgkmcnt(0)
	s_barrier
	ds_read_b128 v[0:3], v73
	ds_read_b128 v[4:7], v90 offset:8192
	ds_read_b128 v[8:11], v91
	s_waitcnt lgkmcnt(2)
	buffer_store_dword v0, off, s[0:3], 0 offset:44
	buffer_store_dword v1, off, s[0:3], 0 offset:48
	;; [unrolled: 1-line block ×4, first 2 shown]
	ds_read_b128 v[0:3], v59 offset:4096
	s_waitcnt lgkmcnt(1)
	buffer_store_dword v8, off, s[0:3], 0 offset:60
	buffer_store_dword v9, off, s[0:3], 0 offset:64
	;; [unrolled: 1-line block ×4, first 2 shown]
	ds_read_b128 v[8:11], v57 offset:4096
	s_waitcnt lgkmcnt(1)
	buffer_store_dword v0, off, s[0:3], 0 offset:76
	buffer_store_dword v1, off, s[0:3], 0 offset:80
	;; [unrolled: 1-line block ×4, first 2 shown]
	s_waitcnt lgkmcnt(0)
	buffer_store_dword v8, off, s[0:3], 0 offset:92
	buffer_store_dword v9, off, s[0:3], 0 offset:96
	;; [unrolled: 1-line block ×5, first 2 shown]
	ds_read_b128 v[0:3], v89 offset:8192
	buffer_store_dword v5, off, s[0:3], 0 offset:112
	buffer_store_dword v6, off, s[0:3], 0 offset:116
	;; [unrolled: 1-line block ×3, first 2 shown]
	ds_read_b128 v[4:7], v90 offset:12288
	s_waitcnt lgkmcnt(1)
	buffer_store_dword v0, off, s[0:3], 0 offset:124
	buffer_store_dword v1, off, s[0:3], 0 offset:128
	;; [unrolled: 1-line block ×4, first 2 shown]
	s_waitcnt lgkmcnt(0)
	buffer_store_dword v4, off, s[0:3], 0 offset:140
	ds_read_b128 v[0:3], v89 offset:12288
	buffer_store_dword v5, off, s[0:3], 0 offset:144
	buffer_store_dword v6, off, s[0:3], 0 offset:148
	;; [unrolled: 1-line block ×3, first 2 shown]
	ds_read_b64 v[4:5], v88 offset:16384
	s_waitcnt lgkmcnt(1)
	buffer_store_dword v0, off, s[0:3], 0 offset:156
	buffer_store_dword v1, off, s[0:3], 0 offset:160
	buffer_store_dword v2, off, s[0:3], 0 offset:164
	buffer_store_dword v3, off, s[0:3], 0 offset:168
	s_waitcnt lgkmcnt(0)
	;;#ASMSTART
	v_cvt_off_f32_i4 v0, v4
v_cvt_off_f32_i4 v1, v4, src0_sel:BYTE_2
v_cvt_pk_fp8_f32 v3, v0, v1
v_cvt_off_f32_i4 v0, v4, src0_sel:BYTE_1
v_cvt_off_f32_i4 v1, v4, src0_sel:BYTE_3
v_cvt_pk_fp8_f32 v6, v0, v1
v_lshrrev_b32 v2, 4, v4
v_cvt_off_f32_i4 v0, v2
v_cvt_off_f32_i4 v1, v2, src0_sel:BYTE_2
v_cvt_pk_fp8_f32 v3, v0, v1, op_sel:[0, 0, 1]
v_cvt_off_f32_i4 v0, v2, src0_sel:BYTE_1
v_cvt_off_f32_i4 v1, v2, src0_sel:BYTE_3
v_cvt_pk_fp8_f32 v6, v0, v1, op_sel:[0, 0, 1]

	;;#ASMEND
	;;#ASMSTART
	v_cvt_off_f32_i4 v0, v5
v_cvt_off_f32_i4 v1, v5, src0_sel:BYTE_2
v_cvt_pk_fp8_f32 v4, v0, v1
v_cvt_off_f32_i4 v0, v5, src0_sel:BYTE_1
v_cvt_off_f32_i4 v1, v5, src0_sel:BYTE_3
v_cvt_pk_fp8_f32 v7, v0, v1
v_lshrrev_b32 v2, 4, v5
v_cvt_off_f32_i4 v0, v2
v_cvt_off_f32_i4 v1, v2, src0_sel:BYTE_2
v_cvt_pk_fp8_f32 v4, v0, v1, op_sel:[0, 0, 1]
v_cvt_off_f32_i4 v0, v2, src0_sel:BYTE_1
v_cvt_off_f32_i4 v1, v2, src0_sel:BYTE_3
v_cvt_pk_fp8_f32 v7, v0, v1, op_sel:[0, 0, 1]

	;;#ASMEND
	ds_read_b64 v[0:1], v86 offset:16384
	buffer_store_dword v3, off, s[0:3], 0 offset:172
	buffer_store_dword v6, off, s[0:3], 0 offset:176
	buffer_store_dword v4, off, s[0:3], 0 offset:180
	buffer_store_dword v7, off, s[0:3], 0 offset:184
	s_waitcnt lgkmcnt(0)
	;;#ASMSTART
	v_cvt_off_f32_i4 v2, v0
v_cvt_off_f32_i4 v3, v0, src0_sel:BYTE_2
v_cvt_pk_fp8_f32 v5, v2, v3
v_cvt_off_f32_i4 v2, v0, src0_sel:BYTE_1
v_cvt_off_f32_i4 v3, v0, src0_sel:BYTE_3
v_cvt_pk_fp8_f32 v6, v2, v3
v_lshrrev_b32 v4, 4, v0
v_cvt_off_f32_i4 v2, v4
v_cvt_off_f32_i4 v3, v4, src0_sel:BYTE_2
v_cvt_pk_fp8_f32 v5, v2, v3, op_sel:[0, 0, 1]
v_cvt_off_f32_i4 v2, v4, src0_sel:BYTE_1
v_cvt_off_f32_i4 v3, v4, src0_sel:BYTE_3
v_cvt_pk_fp8_f32 v6, v2, v3, op_sel:[0, 0, 1]

	;;#ASMEND
	;;#ASMSTART
	v_cvt_off_f32_i4 v0, v1
v_cvt_off_f32_i4 v2, v1, src0_sel:BYTE_2
v_cvt_pk_fp8_f32 v4, v0, v2
v_cvt_off_f32_i4 v0, v1, src0_sel:BYTE_1
v_cvt_off_f32_i4 v2, v1, src0_sel:BYTE_3
v_cvt_pk_fp8_f32 v7, v0, v2
v_lshrrev_b32 v3, 4, v1
v_cvt_off_f32_i4 v0, v3
v_cvt_off_f32_i4 v2, v3, src0_sel:BYTE_2
v_cvt_pk_fp8_f32 v4, v0, v2, op_sel:[0, 0, 1]
v_cvt_off_f32_i4 v0, v3, src0_sel:BYTE_1
v_cvt_off_f32_i4 v2, v3, src0_sel:BYTE_3
v_cvt_pk_fp8_f32 v7, v0, v2, op_sel:[0, 0, 1]

	;;#ASMEND
	ds_read_b64 v[0:1], v87 offset:16384
	;; [unrolled: 38-line block ×7, first 2 shown]
	buffer_store_dword v5, off, s[0:3], 0 offset:268
	buffer_store_dword v6, off, s[0:3], 0 offset:272
	;; [unrolled: 1-line block ×4, first 2 shown]
	s_waitcnt lgkmcnt(0)
	;;#ASMSTART
	v_cvt_off_f32_i4 v2, v0
v_cvt_off_f32_i4 v3, v0, src0_sel:BYTE_2
v_cvt_pk_fp8_f32 v5, v2, v3
v_cvt_off_f32_i4 v2, v0, src0_sel:BYTE_1
v_cvt_off_f32_i4 v3, v0, src0_sel:BYTE_3
v_cvt_pk_fp8_f32 v6, v2, v3
v_lshrrev_b32 v4, 4, v0
v_cvt_off_f32_i4 v2, v4
v_cvt_off_f32_i4 v3, v4, src0_sel:BYTE_2
v_cvt_pk_fp8_f32 v5, v2, v3, op_sel:[0, 0, 1]
v_cvt_off_f32_i4 v2, v4, src0_sel:BYTE_1
v_cvt_off_f32_i4 v3, v4, src0_sel:BYTE_3
v_cvt_pk_fp8_f32 v6, v2, v3, op_sel:[0, 0, 1]

	;;#ASMEND
	;;#ASMSTART
	v_cvt_off_f32_i4 v0, v1
v_cvt_off_f32_i4 v2, v1, src0_sel:BYTE_2
v_cvt_pk_fp8_f32 v4, v0, v2
v_cvt_off_f32_i4 v0, v1, src0_sel:BYTE_1
v_cvt_off_f32_i4 v2, v1, src0_sel:BYTE_3
v_cvt_pk_fp8_f32 v7, v0, v2
v_lshrrev_b32 v3, 4, v1
v_cvt_off_f32_i4 v0, v3
v_cvt_off_f32_i4 v2, v3, src0_sel:BYTE_2
v_cvt_pk_fp8_f32 v4, v0, v2, op_sel:[0, 0, 1]
v_cvt_off_f32_i4 v0, v3, src0_sel:BYTE_1
v_cvt_off_f32_i4 v2, v3, src0_sel:BYTE_3
v_cvt_pk_fp8_f32 v7, v0, v2, op_sel:[0, 0, 1]

	;;#ASMEND
	buffer_store_dword v5, off, s[0:3], 0 offset:284
	buffer_store_dword v6, off, s[0:3], 0 offset:288
	buffer_store_dword v4, off, s[0:3], 0 offset:292
	buffer_store_dword v7, off, s[0:3], 0 offset:296
	; sched_barrier mask(0x00000000)
	s_barrier
	; sched_barrier mask(0x00000000)
	v_mov_b32_e32 v0, 0
	v_mov_b32_e32 v1, s19
	buffer_store_dword v42, off, s[0:3], 0 offset:4
	buffer_store_dword v43, off, s[0:3], 0
	buffer_store_dword v44, off, s[0:3], 0 offset:12
	buffer_store_dword v45, off, s[0:3], 0 offset:8
	;; [unrolled: 1-line block ×8, first 2 shown]
	s_getpc_b64 s[4:5]
	s_add_u32 s4, s4, _ZNK2ck6detail7applierIiJLi0ELi1ELi2ELi3ELi4ELi5ELi6ELi7ELi8ELi9ELi10ELi11ELi12ELi13ELi14ELi15EEEclIZNKS_11static_fordINS_8SequenceIJLi4ELi4EEEENS5_IJLi0ELi1EEEEEclIZZZZNKS_31BlockwiseGemmXdlops_pipeline_v2ILNS_26BlockGemmPipelineSchedulerE1ELi256ENS_9f8_fnuz_tENS_7pk_i4_tESC_fNS_16TensorDescriptorINS_5TupleIJNS_5EmbedINSF_IJNS_17integral_constantIiLi8EEENSH_IiLi128EEENSH_IiLi16EEEEEENSF_IJSK_SJ_NSH_IiLi1EEEEEELb0EEENS_3XorINSF_IJSJ_SI_EEELb1EEENS_11PassThroughISK_EENS_7UnMergeINSF_IJSI_SM_EEELb0EEENSS_ISJ_EEST_NSS_ISI_EENS_21Merge_v3_division_modINSF_IJSJ_SM_EEEEEST_EEENSF_IJNS5_IJLi0EEEENS5_IJLi2ELi1EEEENS5_IJLi3EEEENS5_IJLi5EEEENS5_IJLi4EEEENS5_IJLi6EEEENS5_IJLi7EEEENS5_IJLi9ELi8EEEENS5_IJLi10EEEEEEENSF_IJNS5_IJLi1ELi2ELi3EEEENS5_IJLi4ELi5EEEES18_NS5_IJLi7ELi8EEEENS5_IJLi9EEEES1B_NS5_IJLi11EEEENS5_IJLi12EEEENS5_IJLi13EEEEEEENS5_IJLi11ELi12ELi13EEEENSH_IlLl16384EEEEENSE_INSF_IJNSG_INSF_IJSK_NSH_IiLi64EEESK_EEENSF_IJSK_NSH_IiLi256EEESM_EEELb0EEENSP_INSF_IJS1O_SK_EEELb1EEEST_NSU_INSF_IJSI_NSH_IiLi2EEEEEELb0EEENSS_IS1O_EEST_SY_NSZ_INSF_IJS1O_S1V_EEEEEST_EEES1C_S1K_S1L_S1M_EENSE_INSF_IJSO_SR_ST_SW_SX_ST_SY_S11_ST_NSZ_INSF_IJSI_SK_EEEEENSU_INSF_IJNSH_IiLi4EEES1V_SK_EEELb0EEEEEENSF_IJS13_S14_S15_S16_S17_S18_S19_S1A_S1B_NS5_IJLi11ELi13EEEES1I_EEENSF_IJS1D_S1E_S18_S1F_S1G_S1B_S1H_S1I_S1J_NS5_IJLi14EEEENS5_IJLi15ELi16ELi17EEEEEEENS5_IJLi15ELi16ELi17ELi14EEEES1M_EENSE_INSF_IJS1S_S1U_ST_S1X_S1Y_ST_SY_S20_ST_S24_S27_EEES2A_S2D_S2E_S1M_EELi16ELi16ELi128ELi128ELi128ELi16ELi16ELi4ELi4ELi16ELb0EE3RunILb1ELNS_10TailNumberE10ENSE_INSF_IJNSG_INSF_IJiiEEENSF_IJiSM_EEELb0EEENSU_IS2L_Lb0EEENSS_IiEEEEENSF_IJS13_NS5_IJLi2EEEENS5_IJLi1EEEEEEENSF_IJNS5_IJLi1ELi2EEEENS5_IJLi3ELi4EEEES16_EEENS5_IJLi3ELi5ELi4EEEElEES1N_NS_35ThreadGroupTensorSliceTransfer_v4r1INS_15ThisThreadBlockILi256EEENS_16tensor_operation12element_wise11PassThroughES34_LNS_25InMemoryDataOperationEnumE0ENS5_IJLi8ELi128ELi16EEEENS5_IJLi8ELi32ELi1EEEENS5_IJLi1ELi0ELi2EEEESC_SC_RKS2Y_KS1N_S38_NS5_IJLi0ELi1ELi2EEEELi2ELi2ELi16ELi16ELi1ELi1ELb0ELb1ELi2EiEENS_13DynamicBufferILNS_16AddressSpaceEnumE1EKSC_lLb1ELNS_22AmdBufferCoherenceEnumE0EiEENS3E_ILS3F_2ESC_S1M_Lb1ELS3H_0EiEENSF_IJiiiEEENSE_INSF_IJNSU_INSF_IJiiiiEEELb0EEENS_23Merge_v2_magic_divisionIS2L_EENSS_INSF_IJiEEEEES2P_EEENSF_IJS13_NS5_IJLi1ELi3EEEES2R_S17_EEENSF_IJNS5_IJLi1ELi2ELi3ELi4EEEES16_S18_S19_EEENS5_IJLi5ELi6ELi7EEEElEES22_NS2Z_IS31_S34_S34_LS35_0ES36_NS5_IJLi4ELi64ELi1EEEES38_SD_SD_RKS3X_KS22_S38_S3C_Li2ELi2ELi16ELi16ELi1ELi1ELb0ELb1ELi2EiEENS3E_ILS3F_1EKSD_lLb1ELS3H_0EiEENS3E_ILS3F_2ESD_S1M_Lb1ELS3H_0EiEES3K_NS_25StaticBufferTupleOfVectorILS3F_4EfLi16ELi4ELb1ELb0EEEEEvRKT1_RKT2_RT3_RKT4_RT5_RKT6_RKT7_RKT8_RT9_RKT10_RT11_RKT12_RT13_iENKUlT_E1_clIS1V_EEDaS56_ENKUlS56_E0_clINSH_IiLi0EEEEEDaS56_ENKUlS56_E1_clIS5B_EEDaS56_EUlS56_E_EEvS56_EUlS56_E_EEvS56_@rel32@lo+4
	s_addc_u32 s5, s5, _ZNK2ck6detail7applierIiJLi0ELi1ELi2ELi3ELi4ELi5ELi6ELi7ELi8ELi9ELi10ELi11ELi12ELi13ELi14ELi15EEEclIZNKS_11static_fordINS_8SequenceIJLi4ELi4EEEENS5_IJLi0ELi1EEEEEclIZZZZNKS_31BlockwiseGemmXdlops_pipeline_v2ILNS_26BlockGemmPipelineSchedulerE1ELi256ENS_9f8_fnuz_tENS_7pk_i4_tESC_fNS_16TensorDescriptorINS_5TupleIJNS_5EmbedINSF_IJNS_17integral_constantIiLi8EEENSH_IiLi128EEENSH_IiLi16EEEEEENSF_IJSK_SJ_NSH_IiLi1EEEEEELb0EEENS_3XorINSF_IJSJ_SI_EEELb1EEENS_11PassThroughISK_EENS_7UnMergeINSF_IJSI_SM_EEELb0EEENSS_ISJ_EEST_NSS_ISI_EENS_21Merge_v3_division_modINSF_IJSJ_SM_EEEEEST_EEENSF_IJNS5_IJLi0EEEENS5_IJLi2ELi1EEEENS5_IJLi3EEEENS5_IJLi5EEEENS5_IJLi4EEEENS5_IJLi6EEEENS5_IJLi7EEEENS5_IJLi9ELi8EEEENS5_IJLi10EEEEEEENSF_IJNS5_IJLi1ELi2ELi3EEEENS5_IJLi4ELi5EEEES18_NS5_IJLi7ELi8EEEENS5_IJLi9EEEES1B_NS5_IJLi11EEEENS5_IJLi12EEEENS5_IJLi13EEEEEEENS5_IJLi11ELi12ELi13EEEENSH_IlLl16384EEEEENSE_INSF_IJNSG_INSF_IJSK_NSH_IiLi64EEESK_EEENSF_IJSK_NSH_IiLi256EEESM_EEELb0EEENSP_INSF_IJS1O_SK_EEELb1EEEST_NSU_INSF_IJSI_NSH_IiLi2EEEEEELb0EEENSS_IS1O_EEST_SY_NSZ_INSF_IJS1O_S1V_EEEEEST_EEES1C_S1K_S1L_S1M_EENSE_INSF_IJSO_SR_ST_SW_SX_ST_SY_S11_ST_NSZ_INSF_IJSI_SK_EEEEENSU_INSF_IJNSH_IiLi4EEES1V_SK_EEELb0EEEEEENSF_IJS13_S14_S15_S16_S17_S18_S19_S1A_S1B_NS5_IJLi11ELi13EEEES1I_EEENSF_IJS1D_S1E_S18_S1F_S1G_S1B_S1H_S1I_S1J_NS5_IJLi14EEEENS5_IJLi15ELi16ELi17EEEEEEENS5_IJLi15ELi16ELi17ELi14EEEES1M_EENSE_INSF_IJS1S_S1U_ST_S1X_S1Y_ST_SY_S20_ST_S24_S27_EEES2A_S2D_S2E_S1M_EELi16ELi16ELi128ELi128ELi128ELi16ELi16ELi4ELi4ELi16ELb0EE3RunILb1ELNS_10TailNumberE10ENSE_INSF_IJNSG_INSF_IJiiEEENSF_IJiSM_EEELb0EEENSU_IS2L_Lb0EEENSS_IiEEEEENSF_IJS13_NS5_IJLi2EEEENS5_IJLi1EEEEEEENSF_IJNS5_IJLi1ELi2EEEENS5_IJLi3ELi4EEEES16_EEENS5_IJLi3ELi5ELi4EEEElEES1N_NS_35ThreadGroupTensorSliceTransfer_v4r1INS_15ThisThreadBlockILi256EEENS_16tensor_operation12element_wise11PassThroughES34_LNS_25InMemoryDataOperationEnumE0ENS5_IJLi8ELi128ELi16EEEENS5_IJLi8ELi32ELi1EEEENS5_IJLi1ELi0ELi2EEEESC_SC_RKS2Y_KS1N_S38_NS5_IJLi0ELi1ELi2EEEELi2ELi2ELi16ELi16ELi1ELi1ELb0ELb1ELi2EiEENS_13DynamicBufferILNS_16AddressSpaceEnumE1EKSC_lLb1ELNS_22AmdBufferCoherenceEnumE0EiEENS3E_ILS3F_2ESC_S1M_Lb1ELS3H_0EiEENSF_IJiiiEEENSE_INSF_IJNSU_INSF_IJiiiiEEELb0EEENS_23Merge_v2_magic_divisionIS2L_EENSS_INSF_IJiEEEEES2P_EEENSF_IJS13_NS5_IJLi1ELi3EEEES2R_S17_EEENSF_IJNS5_IJLi1ELi2ELi3ELi4EEEES16_S18_S19_EEENS5_IJLi5ELi6ELi7EEEElEES22_NS2Z_IS31_S34_S34_LS35_0ES36_NS5_IJLi4ELi64ELi1EEEES38_SD_SD_RKS3X_KS22_S38_S3C_Li2ELi2ELi16ELi16ELi1ELi1ELb0ELb1ELi2EiEENS3E_ILS3F_1EKSD_lLb1ELS3H_0EiEENS3E_ILS3F_2ESD_S1M_Lb1ELS3H_0EiEES3K_NS_25StaticBufferTupleOfVectorILS3F_4EfLi16ELi4ELb1ELb0EEEEEvRKT1_RKT2_RT3_RKT4_RT5_RKT6_RKT7_RKT8_RT9_RKT10_RT11_RKT12_RT13_iENKUlT_E1_clIS1V_EEDaS56_ENKUlS56_E0_clINSH_IiLi0EEEEEDaS56_ENKUlS56_E1_clIS5B_EEDaS56_EUlS56_E_EEvS56_EUlS56_E_EEvS56_@rel32@hi+12
	s_swappc_b64 s[30:31], s[4:5]
	v_mov_b32_e32 v0, 0
	v_mov_b32_e32 v1, s19
	buffer_store_dword v42, off, s[0:3], 0 offset:4
	buffer_store_dword v43, off, s[0:3], 0
	buffer_store_dword v44, off, s[0:3], 0 offset:12
	buffer_store_dword v45, off, s[0:3], 0 offset:8
	buffer_store_dword v46, off, s[0:3], 0 offset:20
	buffer_store_dword v47, off, s[0:3], 0 offset:16
	buffer_store_dword v42, off, s[0:3], 0 offset:28
	buffer_store_dword v48, off, s[0:3], 0 offset:24
	buffer_store_dword v49, off, s[0:3], 0 offset:36
	buffer_store_dword v50, off, s[0:3], 0 offset:32
	s_getpc_b64 s[4:5]
	s_add_u32 s4, s4, _ZNK2ck6detail7applierIiJLi0ELi1ELi2ELi3ELi4ELi5ELi6ELi7ELi8ELi9ELi10ELi11ELi12ELi13ELi14ELi15EEEclIZNKS_11static_fordINS_8SequenceIJLi4ELi4EEEENS5_IJLi0ELi1EEEEEclIZZZZNKS_31BlockwiseGemmXdlops_pipeline_v2ILNS_26BlockGemmPipelineSchedulerE1ELi256ENS_9f8_fnuz_tENS_7pk_i4_tESC_fNS_16TensorDescriptorINS_5TupleIJNS_5EmbedINSF_IJNS_17integral_constantIiLi8EEENSH_IiLi128EEENSH_IiLi16EEEEEENSF_IJSK_SJ_NSH_IiLi1EEEEEELb0EEENS_3XorINSF_IJSJ_SI_EEELb1EEENS_11PassThroughISK_EENS_7UnMergeINSF_IJSI_SM_EEELb0EEENSS_ISJ_EEST_NSS_ISI_EENS_21Merge_v3_division_modINSF_IJSJ_SM_EEEEEST_EEENSF_IJNS5_IJLi0EEEENS5_IJLi2ELi1EEEENS5_IJLi3EEEENS5_IJLi5EEEENS5_IJLi4EEEENS5_IJLi6EEEENS5_IJLi7EEEENS5_IJLi9ELi8EEEENS5_IJLi10EEEEEEENSF_IJNS5_IJLi1ELi2ELi3EEEENS5_IJLi4ELi5EEEES18_NS5_IJLi7ELi8EEEENS5_IJLi9EEEES1B_NS5_IJLi11EEEENS5_IJLi12EEEENS5_IJLi13EEEEEEENS5_IJLi11ELi12ELi13EEEENSH_IlLl16384EEEEENSE_INSF_IJNSG_INSF_IJSK_NSH_IiLi64EEESK_EEENSF_IJSK_NSH_IiLi256EEESM_EEELb0EEENSP_INSF_IJS1O_SK_EEELb1EEEST_NSU_INSF_IJSI_NSH_IiLi2EEEEEELb0EEENSS_IS1O_EEST_SY_NSZ_INSF_IJS1O_S1V_EEEEEST_EEES1C_S1K_S1L_S1M_EENSE_INSF_IJSO_SR_ST_SW_SX_ST_SY_S11_ST_NSZ_INSF_IJSI_SK_EEEEENSU_INSF_IJNSH_IiLi4EEES1V_SK_EEELb0EEEEEENSF_IJS13_S14_S15_S16_S17_S18_S19_S1A_S1B_NS5_IJLi11ELi13EEEES1I_EEENSF_IJS1D_S1E_S18_S1F_S1G_S1B_S1H_S1I_S1J_NS5_IJLi14EEEENS5_IJLi15ELi16ELi17EEEEEEENS5_IJLi15ELi16ELi17ELi14EEEES1M_EENSE_INSF_IJS1S_S1U_ST_S1X_S1Y_ST_SY_S20_ST_S24_S27_EEES2A_S2D_S2E_S1M_EELi16ELi16ELi128ELi128ELi128ELi16ELi16ELi4ELi4ELi16ELb0EE3RunILb1ELNS_10TailNumberE10ENSE_INSF_IJNSG_INSF_IJiiEEENSF_IJiSM_EEELb0EEENSU_IS2L_Lb0EEENSS_IiEEEEENSF_IJS13_NS5_IJLi2EEEENS5_IJLi1EEEEEEENSF_IJNS5_IJLi1ELi2EEEENS5_IJLi3ELi4EEEES16_EEENS5_IJLi3ELi5ELi4EEEElEES1N_NS_35ThreadGroupTensorSliceTransfer_v4r1INS_15ThisThreadBlockILi256EEENS_16tensor_operation12element_wise11PassThroughES34_LNS_25InMemoryDataOperationEnumE0ENS5_IJLi8ELi128ELi16EEEENS5_IJLi8ELi32ELi1EEEENS5_IJLi1ELi0ELi2EEEESC_SC_RKS2Y_KS1N_S38_NS5_IJLi0ELi1ELi2EEEELi2ELi2ELi16ELi16ELi1ELi1ELb0ELb1ELi2EiEENS_13DynamicBufferILNS_16AddressSpaceEnumE1EKSC_lLb1ELNS_22AmdBufferCoherenceEnumE0EiEENS3E_ILS3F_2ESC_S1M_Lb1ELS3H_0EiEENSF_IJiiiEEENSE_INSF_IJNSU_INSF_IJiiiiEEELb0EEENS_23Merge_v2_magic_divisionIS2L_EENSS_INSF_IJiEEEEES2P_EEENSF_IJS13_NS5_IJLi1ELi3EEEES2R_S17_EEENSF_IJNS5_IJLi1ELi2ELi3ELi4EEEES16_S18_S19_EEENS5_IJLi5ELi6ELi7EEEElEES22_NS2Z_IS31_S34_S34_LS35_0ES36_NS5_IJLi4ELi64ELi1EEEES38_SD_SD_RKS3X_KS22_S38_S3C_Li2ELi2ELi16ELi16ELi1ELi1ELb0ELb1ELi2EiEENS3E_ILS3F_1EKSD_lLb1ELS3H_0EiEENS3E_ILS3F_2ESD_S1M_Lb1ELS3H_0EiEES3K_NS_25StaticBufferTupleOfVectorILS3F_4EfLi16ELi4ELb1ELb0EEEEEvRKT1_RKT2_RT3_RKT4_RT5_RKT6_RKT7_RKT8_RT9_RKT10_RT11_RKT12_RT13_iENKUlT_E1_clIS1V_EEDaS56_ENKUlS56_E0_clINSH_IiLi0EEEEEDaS56_ENKUlS56_E1_clISK_EEDaS56_EUlS56_E_EEvS56_EUlS56_E_EEvS56_@rel32@lo+4
	s_addc_u32 s5, s5, _ZNK2ck6detail7applierIiJLi0ELi1ELi2ELi3ELi4ELi5ELi6ELi7ELi8ELi9ELi10ELi11ELi12ELi13ELi14ELi15EEEclIZNKS_11static_fordINS_8SequenceIJLi4ELi4EEEENS5_IJLi0ELi1EEEEEclIZZZZNKS_31BlockwiseGemmXdlops_pipeline_v2ILNS_26BlockGemmPipelineSchedulerE1ELi256ENS_9f8_fnuz_tENS_7pk_i4_tESC_fNS_16TensorDescriptorINS_5TupleIJNS_5EmbedINSF_IJNS_17integral_constantIiLi8EEENSH_IiLi128EEENSH_IiLi16EEEEEENSF_IJSK_SJ_NSH_IiLi1EEEEEELb0EEENS_3XorINSF_IJSJ_SI_EEELb1EEENS_11PassThroughISK_EENS_7UnMergeINSF_IJSI_SM_EEELb0EEENSS_ISJ_EEST_NSS_ISI_EENS_21Merge_v3_division_modINSF_IJSJ_SM_EEEEEST_EEENSF_IJNS5_IJLi0EEEENS5_IJLi2ELi1EEEENS5_IJLi3EEEENS5_IJLi5EEEENS5_IJLi4EEEENS5_IJLi6EEEENS5_IJLi7EEEENS5_IJLi9ELi8EEEENS5_IJLi10EEEEEEENSF_IJNS5_IJLi1ELi2ELi3EEEENS5_IJLi4ELi5EEEES18_NS5_IJLi7ELi8EEEENS5_IJLi9EEEES1B_NS5_IJLi11EEEENS5_IJLi12EEEENS5_IJLi13EEEEEEENS5_IJLi11ELi12ELi13EEEENSH_IlLl16384EEEEENSE_INSF_IJNSG_INSF_IJSK_NSH_IiLi64EEESK_EEENSF_IJSK_NSH_IiLi256EEESM_EEELb0EEENSP_INSF_IJS1O_SK_EEELb1EEEST_NSU_INSF_IJSI_NSH_IiLi2EEEEEELb0EEENSS_IS1O_EEST_SY_NSZ_INSF_IJS1O_S1V_EEEEEST_EEES1C_S1K_S1L_S1M_EENSE_INSF_IJSO_SR_ST_SW_SX_ST_SY_S11_ST_NSZ_INSF_IJSI_SK_EEEEENSU_INSF_IJNSH_IiLi4EEES1V_SK_EEELb0EEEEEENSF_IJS13_S14_S15_S16_S17_S18_S19_S1A_S1B_NS5_IJLi11ELi13EEEES1I_EEENSF_IJS1D_S1E_S18_S1F_S1G_S1B_S1H_S1I_S1J_NS5_IJLi14EEEENS5_IJLi15ELi16ELi17EEEEEEENS5_IJLi15ELi16ELi17ELi14EEEES1M_EENSE_INSF_IJS1S_S1U_ST_S1X_S1Y_ST_SY_S20_ST_S24_S27_EEES2A_S2D_S2E_S1M_EELi16ELi16ELi128ELi128ELi128ELi16ELi16ELi4ELi4ELi16ELb0EE3RunILb1ELNS_10TailNumberE10ENSE_INSF_IJNSG_INSF_IJiiEEENSF_IJiSM_EEELb0EEENSU_IS2L_Lb0EEENSS_IiEEEEENSF_IJS13_NS5_IJLi2EEEENS5_IJLi1EEEEEEENSF_IJNS5_IJLi1ELi2EEEENS5_IJLi3ELi4EEEES16_EEENS5_IJLi3ELi5ELi4EEEElEES1N_NS_35ThreadGroupTensorSliceTransfer_v4r1INS_15ThisThreadBlockILi256EEENS_16tensor_operation12element_wise11PassThroughES34_LNS_25InMemoryDataOperationEnumE0ENS5_IJLi8ELi128ELi16EEEENS5_IJLi8ELi32ELi1EEEENS5_IJLi1ELi0ELi2EEEESC_SC_RKS2Y_KS1N_S38_NS5_IJLi0ELi1ELi2EEEELi2ELi2ELi16ELi16ELi1ELi1ELb0ELb1ELi2EiEENS_13DynamicBufferILNS_16AddressSpaceEnumE1EKSC_lLb1ELNS_22AmdBufferCoherenceEnumE0EiEENS3E_ILS3F_2ESC_S1M_Lb1ELS3H_0EiEENSF_IJiiiEEENSE_INSF_IJNSU_INSF_IJiiiiEEELb0EEENS_23Merge_v2_magic_divisionIS2L_EENSS_INSF_IJiEEEEES2P_EEENSF_IJS13_NS5_IJLi1ELi3EEEES2R_S17_EEENSF_IJNS5_IJLi1ELi2ELi3ELi4EEEES16_S18_S19_EEENS5_IJLi5ELi6ELi7EEEElEES22_NS2Z_IS31_S34_S34_LS35_0ES36_NS5_IJLi4ELi64ELi1EEEES38_SD_SD_RKS3X_KS22_S38_S3C_Li2ELi2ELi16ELi16ELi1ELi1ELb0ELb1ELi2EiEENS3E_ILS3F_1EKSD_lLb1ELS3H_0EiEENS3E_ILS3F_2ESD_S1M_Lb1ELS3H_0EiEES3K_NS_25StaticBufferTupleOfVectorILS3F_4EfLi16ELi4ELb1ELb0EEEEEvRKT1_RKT2_RT3_RKT4_RT5_RKT6_RKT7_RKT8_RT9_RKT10_RT11_RKT12_RT13_iENKUlT_E1_clIS1V_EEDaS56_ENKUlS56_E0_clINSH_IiLi0EEEEEDaS56_ENKUlS56_E1_clISK_EEDaS56_EUlS56_E_EEvS56_EUlS56_E_EEvS56_@rel32@hi+12
	s_swappc_b64 s[30:31], s[4:5]
	; sched_barrier mask(0x00000000)
	s_setprio 0
	; sched_barrier mask(0x00000000)
	s_waitcnt lgkmcnt(0)
	s_barrier
	buffer_load_dword v1, off, s[0:3], 0 offset:304
	buffer_load_dword v4, off, s[0:3], 0 offset:308
	;; [unrolled: 1-line block ×4, first 2 shown]
	v_and_b32_e32 v0, 15, v18
	v_lshlrev_b32_e32 v2, 2, v18
	v_lshlrev_b32_e32 v3, 3, v18
	s_movk_i32 s4, 0x180
	v_and_b32_e32 v9, 0x200, v2
	v_and_or_b32 v0, v3, s4, v0
	v_and_b32_e32 v2, 28, v2
	v_lshl_or_b32 v7, s11, 7, v19
	s_add_i32 s5, s17, s23
	v_or3_b32 v9, v0, v9, v72
	v_or_b32_e32 v0, s14, v2
	s_lshl_b32 s26, s5, 1
	v_lshlrev_b32_e32 v10, 1, v2
	v_cmp_gt_i32_e64 s[10:11], s16, v7
	v_cmp_gt_i32_e32 vcc, s17, v0
	v_bfrev_b32_e32 v8, 1
	s_mov_b32 s27, 0x20000
	v_or_b32_e32 v11, 32, v0
	s_lshl_b32 s14, s21, 5
	v_mov_b32_e32 v12, 0x7fffff80
	v_or_b32_e32 v13, 64, v7
	v_mov_b32_e32 v14, 0x80000080
	s_waitcnt vmcnt(3)
	v_mad_u64_u32 v[2:3], s[4:5], v7, s21, v[0:1]
	v_cvt_f16_f32_e32 v1, v1
	s_waitcnt vmcnt(2)
	v_cvt_f16_f32_e32 v4, v4
	s_waitcnt vmcnt(1)
	v_cvt_f16_f32_e32 v5, v5
	v_lshlrev_b32_e32 v3, 1, v9
	v_lshl_or_b32 v9, v19, 6, v10
	s_waitcnt vmcnt(0)
	v_cvt_f16_f32_e32 v6, v6
	ds_write_b16 v3, v1
	ds_write_b16 v3, v4 offset:64
	ds_write_b16 v3, v5 offset:128
	ds_write_b16 v3, v6 offset:192
	s_waitcnt lgkmcnt(0)
	s_barrier
	ds_read_b64 v[4:5], v9
	s_and_b64 s[4:5], s[10:11], vcc
	v_lshlrev_b32_e32 v1, 1, v2
	v_cndmask_b32_e64 v6, v8, 0, s[4:5]
	v_add_u32_e32 v6, v6, v1
	s_waitcnt lgkmcnt(0)
	buffer_store_dwordx2 v[4:5], v6, s[24:27], 0 offen
	s_waitcnt lgkmcnt(0)
	s_barrier
	buffer_load_dword v4, off, s[0:3], 0 offset:320
	buffer_load_dword v5, off, s[0:3], 0 offset:324
	;; [unrolled: 1-line block ×4, first 2 shown]
	v_cmp_gt_i32_e64 s[4:5], s17, v11
	s_and_b64 s[6:7], s[10:11], s[4:5]
	v_or_b32_e32 v11, 64, v0
	s_waitcnt vmcnt(3)
	v_cvt_f16_f32_e32 v4, v4
	s_waitcnt vmcnt(2)
	v_cvt_f16_f32_e32 v5, v5
	;; [unrolled: 2-line block ×4, first 2 shown]
	ds_write_b16 v3, v4
	ds_write_b16 v3, v5 offset:64
	ds_write_b16 v3, v6 offset:128
	;; [unrolled: 1-line block ×3, first 2 shown]
	s_waitcnt lgkmcnt(0)
	s_barrier
	ds_read_b64 v[4:5], v9
	v_cndmask_b32_e64 v6, v8, 0, s[6:7]
	v_add_u32_e32 v6, v1, v6
	v_cmp_gt_i32_e64 s[6:7], s17, v11
	s_and_b64 s[8:9], s[10:11], s[6:7]
	s_waitcnt lgkmcnt(0)
	buffer_store_dwordx2 v[4:5], v6, s[24:27], 0 offen offset:64
	s_waitcnt lgkmcnt(0)
	s_barrier
	buffer_load_dword v4, off, s[0:3], 0 offset:336
	buffer_load_dword v5, off, s[0:3], 0 offset:340
	;; [unrolled: 1-line block ×4, first 2 shown]
	v_add_u32_e32 v11, 0x60, v2
	v_add_u32_e32 v2, s14, v2
	s_waitcnt vmcnt(3)
	v_cvt_f16_f32_e32 v4, v4
	s_waitcnt vmcnt(2)
	v_cvt_f16_f32_e32 v5, v5
	;; [unrolled: 2-line block ×4, first 2 shown]
	ds_write_b16 v3, v4
	ds_write_b16 v3, v5 offset:64
	ds_write_b16 v3, v6 offset:128
	ds_write_b16 v3, v10 offset:192
	s_waitcnt lgkmcnt(0)
	s_barrier
	ds_read_b64 v[4:5], v9
	v_cndmask_b32_e64 v6, v8, 0, s[8:9]
	v_add_u32_e32 v1, v1, v6
	v_or_b32_e32 v10, 0x60, v0
	v_cmp_gt_i32_e64 s[8:9], s17, v10
	s_waitcnt lgkmcnt(0)
	buffer_store_dwordx2 v[4:5], v1, s[24:27], 0 offen offset:128
	s_waitcnt lgkmcnt(0)
	s_barrier
	buffer_load_dword v1, off, s[0:3], 0 offset:352
	buffer_load_dword v4, off, s[0:3], 0 offset:356
	buffer_load_dword v5, off, s[0:3], 0 offset:360
	buffer_load_dword v6, off, s[0:3], 0 offset:364
	s_and_b64 s[10:11], s[10:11], s[8:9]
	v_mov_b32_e32 v10, 0x7fffffc0
	s_waitcnt vmcnt(3)
	v_cvt_f16_f32_e32 v0, v1
	s_waitcnt vmcnt(2)
	v_cvt_f16_f32_e32 v1, v4
	;; [unrolled: 2-line block ×4, first 2 shown]
	ds_write_b16 v3, v0
	ds_write_b16 v3, v1 offset:64
	ds_write_b16 v3, v4 offset:128
	;; [unrolled: 1-line block ×3, first 2 shown]
	s_waitcnt lgkmcnt(0)
	s_barrier
	ds_read_b64 v[0:1], v9
	v_cndmask_b32_e64 v4, v8, 0, s[10:11]
	v_lshl_add_u32 v4, v11, 1, v4
	v_or_b32_e32 v6, 32, v7
	v_cmp_gt_i32_e64 s[10:11], s16, v6
	s_waitcnt lgkmcnt(0)
	buffer_store_dwordx2 v[0:1], v4, s[24:27], 0 offen
	s_waitcnt lgkmcnt(0)
	s_barrier
	buffer_load_dword v0, off, s[0:3], 0 offset:416
	buffer_load_dword v1, off, s[0:3], 0 offset:420
	;; [unrolled: 1-line block ×4, first 2 shown]
	s_and_b64 s[12:13], s[10:11], s[8:9]
	v_or_b32_e32 v7, 0x60, v7
	s_waitcnt vmcnt(3)
	v_cvt_f16_f32_e32 v0, v0
	s_waitcnt vmcnt(2)
	v_cvt_f16_f32_e32 v1, v1
	;; [unrolled: 2-line block ×4, first 2 shown]
	ds_write_b16 v3, v0
	ds_write_b16 v3, v1 offset:64
	ds_write_b16 v3, v4 offset:128
	ds_write_b16 v3, v5 offset:192
	s_waitcnt lgkmcnt(0)
	s_barrier
	ds_read_b64 v[0:1], v9
	v_add_lshl_u32 v4, v11, s14, 1
	v_cndmask_b32_e64 v5, v8, 0, s[12:13]
	v_add_u32_e32 v5, v4, v5
	s_and_b64 s[12:13], s[10:11], s[6:7]
	s_waitcnt lgkmcnt(0)
	buffer_store_dwordx2 v[0:1], v5, s[24:27], 0 offen
	s_waitcnt lgkmcnt(0)
	s_barrier
	buffer_load_dword v0, off, s[0:3], 0 offset:400
	buffer_load_dword v1, off, s[0:3], 0 offset:404
	;; [unrolled: 1-line block ×4, first 2 shown]
	s_waitcnt vmcnt(3)
	v_cvt_f16_f32_e32 v0, v0
	s_waitcnt vmcnt(2)
	v_cvt_f16_f32_e32 v1, v1
	;; [unrolled: 2-line block ×4, first 2 shown]
	ds_write_b16 v3, v0
	ds_write_b16 v3, v1 offset:64
	ds_write_b16 v3, v5 offset:128
	ds_write_b16 v3, v6 offset:192
	s_waitcnt lgkmcnt(0)
	s_barrier
	ds_read_b64 v[0:1], v9
	v_not_b32_e32 v5, 63
	v_cndmask_b32_e64 v6, v10, v5, s[12:13]
	v_add_u32_e32 v6, v4, v6
	s_and_b64 s[12:13], s[10:11], s[4:5]
	s_waitcnt lgkmcnt(0)
	buffer_store_dwordx2 v[0:1], v6, s[24:27], 0 offen
	s_waitcnt lgkmcnt(0)
	s_barrier
	buffer_load_dword v0, off, s[0:3], 0 offset:384
	buffer_load_dword v1, off, s[0:3], 0 offset:388
	;; [unrolled: 1-line block ×4, first 2 shown]
	s_and_b64 s[10:11], vcc, s[10:11]
	s_waitcnt vmcnt(3)
	v_cvt_f16_f32_e32 v0, v0
	s_waitcnt vmcnt(2)
	v_cvt_f16_f32_e32 v1, v1
	;; [unrolled: 2-line block ×4, first 2 shown]
	ds_write_b16 v3, v0
	ds_write_b16 v3, v1 offset:64
	ds_write_b16 v3, v6 offset:128
	;; [unrolled: 1-line block ×3, first 2 shown]
	s_waitcnt lgkmcnt(0)
	s_barrier
	ds_read_b64 v[0:1], v9
	v_mov_b32_e32 v6, 0xffffff80
	v_cndmask_b32_e64 v11, v12, v6, s[12:13]
	v_add_u32_e32 v4, v4, v11
	s_waitcnt lgkmcnt(0)
	buffer_store_dwordx2 v[0:1], v4, s[24:27], 0 offen
	s_waitcnt lgkmcnt(0)
	s_barrier
	buffer_load_dword v0, off, s[0:3], 0 offset:368
	buffer_load_dword v1, off, s[0:3], 0 offset:372
	;; [unrolled: 1-line block ×4, first 2 shown]
	s_waitcnt vmcnt(3)
	v_cvt_f16_f32_e32 v0, v0
	s_waitcnt vmcnt(2)
	v_cvt_f16_f32_e32 v1, v1
	;; [unrolled: 2-line block ×4, first 2 shown]
	ds_write_b16 v3, v0
	ds_write_b16 v3, v1 offset:64
	ds_write_b16 v3, v4 offset:128
	;; [unrolled: 1-line block ×3, first 2 shown]
	s_waitcnt lgkmcnt(0)
	s_barrier
	ds_read_b64 v[0:1], v9
	v_cndmask_b32_e64 v4, v8, 0, s[10:11]
	v_lshl_add_u32 v4, v2, 1, v4
	v_cmp_gt_i32_e64 s[10:11], s16, v13
	s_and_b64 s[12:13], vcc, s[10:11]
	s_waitcnt lgkmcnt(0)
	buffer_store_dwordx2 v[0:1], v4, s[24:27], 0 offen
	s_waitcnt lgkmcnt(0)
	s_barrier
	buffer_load_dword v0, off, s[0:3], 0 offset:432
	buffer_load_dword v1, off, s[0:3], 0 offset:436
	;; [unrolled: 1-line block ×4, first 2 shown]
	v_add_u32_e32 v2, s14, v2
	s_waitcnt vmcnt(3)
	v_cvt_f16_f32_e32 v0, v0
	s_waitcnt vmcnt(2)
	v_cvt_f16_f32_e32 v1, v1
	;; [unrolled: 2-line block ×4, first 2 shown]
	ds_write_b16 v3, v0
	ds_write_b16 v3, v1 offset:64
	ds_write_b16 v3, v4 offset:128
	;; [unrolled: 1-line block ×3, first 2 shown]
	s_waitcnt lgkmcnt(0)
	s_barrier
	ds_read_b64 v[0:1], v9
	v_cndmask_b32_e64 v4, v8, 0, s[12:13]
	v_lshlrev_b32_e32 v11, 1, v2
	v_add_u32_e32 v4, v11, v4
	s_and_b64 s[12:13], s[10:11], s[4:5]
	s_waitcnt lgkmcnt(0)
	buffer_store_dwordx2 v[0:1], v4, s[24:27], 0 offen
	s_waitcnt lgkmcnt(0)
	s_barrier
	buffer_load_dword v0, off, s[0:3], 0 offset:448
	buffer_load_dword v1, off, s[0:3], 0 offset:452
	;; [unrolled: 1-line block ×4, first 2 shown]
	s_waitcnt vmcnt(3)
	v_cvt_f16_f32_e32 v0, v0
	s_waitcnt vmcnt(2)
	v_cvt_f16_f32_e32 v1, v1
	;; [unrolled: 2-line block ×4, first 2 shown]
	ds_write_b16 v3, v0
	ds_write_b16 v3, v1 offset:64
	ds_write_b16 v3, v4 offset:128
	;; [unrolled: 1-line block ×3, first 2 shown]
	s_waitcnt lgkmcnt(0)
	s_barrier
	ds_read_b64 v[0:1], v9
	v_mov_b32_e32 v4, 0x80000040
	v_cndmask_b32_e64 v4, v4, 64, s[12:13]
	v_add_u32_e32 v4, v11, v4
	s_and_b64 s[12:13], s[10:11], s[6:7]
	s_waitcnt lgkmcnt(0)
	buffer_store_dwordx2 v[0:1], v4, s[24:27], 0 offen
	s_waitcnt lgkmcnt(0)
	s_barrier
	buffer_load_dword v0, off, s[0:3], 0 offset:464
	buffer_load_dword v1, off, s[0:3], 0 offset:468
	;; [unrolled: 1-line block ×4, first 2 shown]
	s_and_b64 s[10:11], s[10:11], s[8:9]
	s_waitcnt vmcnt(3)
	v_cvt_f16_f32_e32 v0, v0
	s_waitcnt vmcnt(2)
	v_cvt_f16_f32_e32 v1, v1
	;; [unrolled: 2-line block ×4, first 2 shown]
	ds_write_b16 v3, v0
	ds_write_b16 v3, v1 offset:64
	ds_write_b16 v3, v4 offset:128
	;; [unrolled: 1-line block ×3, first 2 shown]
	s_waitcnt lgkmcnt(0)
	s_barrier
	ds_read_b64 v[0:1], v9
	v_mov_b32_e32 v4, 0x80
	v_cndmask_b32_e64 v4, v14, v4, s[12:13]
	v_add_u32_e32 v4, v11, v4
	s_waitcnt lgkmcnt(0)
	buffer_store_dwordx2 v[0:1], v4, s[24:27], 0 offen
	s_waitcnt lgkmcnt(0)
	s_barrier
	buffer_load_dword v0, off, s[0:3], 0 offset:480
	buffer_load_dword v1, off, s[0:3], 0 offset:484
	;; [unrolled: 1-line block ×4, first 2 shown]
	s_waitcnt vmcnt(3)
	v_cvt_f16_f32_e32 v0, v0
	s_waitcnt vmcnt(2)
	v_cvt_f16_f32_e32 v1, v1
	;; [unrolled: 2-line block ×4, first 2 shown]
	ds_write_b16 v3, v0
	ds_write_b16 v3, v1 offset:64
	ds_write_b16 v3, v4 offset:128
	;; [unrolled: 1-line block ×3, first 2 shown]
	s_waitcnt lgkmcnt(0)
	s_barrier
	ds_read_b64 v[0:1], v9
	v_cndmask_b32_e64 v4, v8, 0, s[10:11]
	v_add_u32_e32 v11, 0x60, v2
	v_lshl_add_u32 v4, v11, 1, v4
	v_cmp_gt_i32_e64 s[10:11], s16, v7
	s_waitcnt lgkmcnt(0)
	buffer_store_dwordx2 v[0:1], v4, s[24:27], 0 offen
	s_waitcnt lgkmcnt(0)
	s_barrier
	buffer_load_dword v0, off, s[0:3], 0 offset:544
	buffer_load_dword v1, off, s[0:3], 0 offset:548
	buffer_load_dword v4, off, s[0:3], 0 offset:552
	buffer_load_dword v13, off, s[0:3], 0 offset:556
	s_and_b64 s[8:9], s[10:11], s[8:9]
	s_and_b64 s[6:7], s[10:11], s[6:7]
	;; [unrolled: 1-line block ×3, first 2 shown]
	v_add_u32_e32 v2, s14, v2
	s_waitcnt vmcnt(3)
	v_cvt_f16_f32_e32 v0, v0
	s_waitcnt vmcnt(2)
	v_cvt_f16_f32_e32 v1, v1
	;; [unrolled: 2-line block ×4, first 2 shown]
	ds_write_b16 v3, v0
	ds_write_b16 v3, v1 offset:64
	ds_write_b16 v3, v4 offset:128
	;; [unrolled: 1-line block ×3, first 2 shown]
	s_waitcnt lgkmcnt(0)
	s_barrier
	ds_read_b64 v[0:1], v9
	v_cndmask_b32_e64 v4, v8, 0, s[8:9]
	v_add_lshl_u32 v7, v11, s14, 1
	v_add_u32_e32 v4, v7, v4
	s_waitcnt lgkmcnt(0)
	buffer_store_dwordx2 v[0:1], v4, s[24:27], 0 offen
	s_waitcnt lgkmcnt(0)
	s_barrier
	buffer_load_dword v0, off, s[0:3], 0 offset:528
	buffer_load_dword v1, off, s[0:3], 0 offset:532
	;; [unrolled: 1-line block ×4, first 2 shown]
	s_waitcnt vmcnt(3)
	v_cvt_f16_f32_e32 v0, v0
	s_waitcnt vmcnt(2)
	v_cvt_f16_f32_e32 v1, v1
	;; [unrolled: 2-line block ×4, first 2 shown]
	ds_write_b16 v3, v0
	ds_write_b16 v3, v1 offset:64
	ds_write_b16 v3, v4 offset:128
	;; [unrolled: 1-line block ×3, first 2 shown]
	s_waitcnt lgkmcnt(0)
	s_barrier
	ds_read_b64 v[0:1], v9
	v_cndmask_b32_e64 v4, v10, v5, s[6:7]
	v_add_u32_e32 v4, v7, v4
	s_waitcnt lgkmcnt(0)
	buffer_store_dwordx2 v[0:1], v4, s[24:27], 0 offen
	s_waitcnt lgkmcnt(0)
	s_barrier
	buffer_load_dword v0, off, s[0:3], 0 offset:512
	buffer_load_dword v1, off, s[0:3], 0 offset:516
	;; [unrolled: 1-line block ×4, first 2 shown]
	s_waitcnt vmcnt(3)
	v_cvt_f16_f32_e32 v0, v0
	s_waitcnt vmcnt(2)
	v_cvt_f16_f32_e32 v1, v1
	s_waitcnt vmcnt(1)
	v_cvt_f16_f32_e32 v4, v4
	s_waitcnt vmcnt(0)
	v_cvt_f16_f32_e32 v5, v5
	ds_write_b16 v3, v0
	ds_write_b16 v3, v1 offset:64
	ds_write_b16 v3, v4 offset:128
	;; [unrolled: 1-line block ×3, first 2 shown]
	s_waitcnt lgkmcnt(0)
	s_barrier
	ds_read_b64 v[0:1], v9
	v_cndmask_b32_e64 v4, v12, v6, s[4:5]
	v_add_u32_e32 v4, v7, v4
	s_and_b64 s[4:5], vcc, s[10:11]
	s_waitcnt lgkmcnt(0)
	buffer_store_dwordx2 v[0:1], v4, s[24:27], 0 offen
	s_waitcnt lgkmcnt(0)
	s_barrier
	buffer_load_dword v0, off, s[0:3], 0 offset:496
	buffer_load_dword v1, off, s[0:3], 0 offset:500
	;; [unrolled: 1-line block ×4, first 2 shown]
	s_waitcnt vmcnt(3)
	v_cvt_f16_f32_e32 v0, v0
	s_waitcnt vmcnt(2)
	v_cvt_f16_f32_e32 v1, v1
	;; [unrolled: 2-line block ×4, first 2 shown]
	ds_write_b16 v3, v0
	ds_write_b16 v3, v1 offset:64
	ds_write_b16 v3, v4 offset:128
	;; [unrolled: 1-line block ×3, first 2 shown]
	s_waitcnt lgkmcnt(0)
	s_barrier
	ds_read_b64 v[0:1], v9
	v_cndmask_b32_e64 v3, v8, 0, s[4:5]
	v_lshl_add_u32 v2, v2, 1, v3
	s_waitcnt lgkmcnt(0)
	buffer_store_dwordx2 v[0:1], v2, s[24:27], 0 offen
	s_endpgm
	.section	.rodata,"a",@progbits
	.p2align	6, 0x0
	.amdhsa_kernel _ZN2ck27kernel_gemm_xdl_cshuffle_v3INS_28GridwiseGemm_xdl_cshuffle_v3INS_13tensor_layout4gemm8RowMajorENS3_11ColumnMajorES4_NS_9f8_fnuz_tENS_7pk_i4_tEfDF16_DF16_NS_16tensor_operation12element_wise11PassThroughESA_SA_LNS8_6device18GemmSpecializationE0ELi256ELi128ELi128ELi128ELi16ELi16ELi16ELi16ELi4ELi4ENS_8SequenceIJLi8ELi32ELi1EEEENSD_IJLi1ELi0ELi2EEEESF_Li2ELi16ELi16ELb0ELi0ENSD_IJLi4ELi64ELi1EEEESF_SF_Li2ELi16ELi16ELb0ELi0ELi1ELi1ENSD_IJLi1ELi32ELi1ELi8EEEELi4ELNS_26BlockGemmPipelineSchedulerE1ELNS_24BlockGemmPipelineVersionE1ES6_S6_Lb0ELb1ELb0ELi0ELb0EEELb1ELNS_25InMemoryDataOperationEnumE0ELi2ELNS_10TailNumberE10EEEvNT_8ArgumentE
		.amdhsa_group_segment_fixed_size 24576
		.amdhsa_private_segment_fixed_size 576
		.amdhsa_kernarg_size 112
		.amdhsa_user_sgpr_count 8
		.amdhsa_user_sgpr_private_segment_buffer 1
		.amdhsa_user_sgpr_dispatch_ptr 0
		.amdhsa_user_sgpr_queue_ptr 0
		.amdhsa_user_sgpr_kernarg_segment_ptr 1
		.amdhsa_user_sgpr_dispatch_id 0
		.amdhsa_user_sgpr_flat_scratch_init 1
		.amdhsa_user_sgpr_kernarg_preload_length 0
		.amdhsa_user_sgpr_kernarg_preload_offset 0
		.amdhsa_user_sgpr_private_segment_size 0
		.amdhsa_uses_dynamic_stack 0
		.amdhsa_system_sgpr_private_segment_wavefront_offset 1
		.amdhsa_system_sgpr_workgroup_id_x 1
		.amdhsa_system_sgpr_workgroup_id_y 0
		.amdhsa_system_sgpr_workgroup_id_z 1
		.amdhsa_system_sgpr_workgroup_info 0
		.amdhsa_system_vgpr_workitem_id 0
		.amdhsa_next_free_vgpr 124
		.amdhsa_next_free_sgpr 49
		.amdhsa_accum_offset 120
		.amdhsa_reserve_vcc 1
		.amdhsa_reserve_flat_scratch 1
		.amdhsa_float_round_mode_32 0
		.amdhsa_float_round_mode_16_64 0
		.amdhsa_float_denorm_mode_32 3
		.amdhsa_float_denorm_mode_16_64 3
		.amdhsa_dx10_clamp 1
		.amdhsa_ieee_mode 1
		.amdhsa_fp16_overflow 0
		.amdhsa_tg_split 0
		.amdhsa_exception_fp_ieee_invalid_op 0
		.amdhsa_exception_fp_denorm_src 0
		.amdhsa_exception_fp_ieee_div_zero 0
		.amdhsa_exception_fp_ieee_overflow 0
		.amdhsa_exception_fp_ieee_underflow 0
		.amdhsa_exception_fp_ieee_inexact 0
		.amdhsa_exception_int_div_zero 0
	.end_amdhsa_kernel
	.section	.text._ZN2ck27kernel_gemm_xdl_cshuffle_v3INS_28GridwiseGemm_xdl_cshuffle_v3INS_13tensor_layout4gemm8RowMajorENS3_11ColumnMajorES4_NS_9f8_fnuz_tENS_7pk_i4_tEfDF16_DF16_NS_16tensor_operation12element_wise11PassThroughESA_SA_LNS8_6device18GemmSpecializationE0ELi256ELi128ELi128ELi128ELi16ELi16ELi16ELi16ELi4ELi4ENS_8SequenceIJLi8ELi32ELi1EEEENSD_IJLi1ELi0ELi2EEEESF_Li2ELi16ELi16ELb0ELi0ENSD_IJLi4ELi64ELi1EEEESF_SF_Li2ELi16ELi16ELb0ELi0ELi1ELi1ENSD_IJLi1ELi32ELi1ELi8EEEELi4ELNS_26BlockGemmPipelineSchedulerE1ELNS_24BlockGemmPipelineVersionE1ES6_S6_Lb0ELb1ELb0ELi0ELb0EEELb1ELNS_25InMemoryDataOperationEnumE0ELi2ELNS_10TailNumberE10EEEvNT_8ArgumentE,"axG",@progbits,_ZN2ck27kernel_gemm_xdl_cshuffle_v3INS_28GridwiseGemm_xdl_cshuffle_v3INS_13tensor_layout4gemm8RowMajorENS3_11ColumnMajorES4_NS_9f8_fnuz_tENS_7pk_i4_tEfDF16_DF16_NS_16tensor_operation12element_wise11PassThroughESA_SA_LNS8_6device18GemmSpecializationE0ELi256ELi128ELi128ELi128ELi16ELi16ELi16ELi16ELi4ELi4ENS_8SequenceIJLi8ELi32ELi1EEEENSD_IJLi1ELi0ELi2EEEESF_Li2ELi16ELi16ELb0ELi0ENSD_IJLi4ELi64ELi1EEEESF_SF_Li2ELi16ELi16ELb0ELi0ELi1ELi1ENSD_IJLi1ELi32ELi1ELi8EEEELi4ELNS_26BlockGemmPipelineSchedulerE1ELNS_24BlockGemmPipelineVersionE1ES6_S6_Lb0ELb1ELb0ELi0ELb0EEELb1ELNS_25InMemoryDataOperationEnumE0ELi2ELNS_10TailNumberE10EEEvNT_8ArgumentE,comdat
.Lfunc_end18:
	.size	_ZN2ck27kernel_gemm_xdl_cshuffle_v3INS_28GridwiseGemm_xdl_cshuffle_v3INS_13tensor_layout4gemm8RowMajorENS3_11ColumnMajorES4_NS_9f8_fnuz_tENS_7pk_i4_tEfDF16_DF16_NS_16tensor_operation12element_wise11PassThroughESA_SA_LNS8_6device18GemmSpecializationE0ELi256ELi128ELi128ELi128ELi16ELi16ELi16ELi16ELi4ELi4ENS_8SequenceIJLi8ELi32ELi1EEEENSD_IJLi1ELi0ELi2EEEESF_Li2ELi16ELi16ELb0ELi0ENSD_IJLi4ELi64ELi1EEEESF_SF_Li2ELi16ELi16ELb0ELi0ELi1ELi1ENSD_IJLi1ELi32ELi1ELi8EEEELi4ELNS_26BlockGemmPipelineSchedulerE1ELNS_24BlockGemmPipelineVersionE1ES6_S6_Lb0ELb1ELb0ELi0ELb0EEELb1ELNS_25InMemoryDataOperationEnumE0ELi2ELNS_10TailNumberE10EEEvNT_8ArgumentE, .Lfunc_end18-_ZN2ck27kernel_gemm_xdl_cshuffle_v3INS_28GridwiseGemm_xdl_cshuffle_v3INS_13tensor_layout4gemm8RowMajorENS3_11ColumnMajorES4_NS_9f8_fnuz_tENS_7pk_i4_tEfDF16_DF16_NS_16tensor_operation12element_wise11PassThroughESA_SA_LNS8_6device18GemmSpecializationE0ELi256ELi128ELi128ELi128ELi16ELi16ELi16ELi16ELi4ELi4ENS_8SequenceIJLi8ELi32ELi1EEEENSD_IJLi1ELi0ELi2EEEESF_Li2ELi16ELi16ELb0ELi0ENSD_IJLi4ELi64ELi1EEEESF_SF_Li2ELi16ELi16ELb0ELi0ELi1ELi1ENSD_IJLi1ELi32ELi1ELi8EEEELi4ELNS_26BlockGemmPipelineSchedulerE1ELNS_24BlockGemmPipelineVersionE1ES6_S6_Lb0ELb1ELb0ELi0ELb0EEELb1ELNS_25InMemoryDataOperationEnumE0ELi2ELNS_10TailNumberE10EEEvNT_8ArgumentE
                                        ; -- End function
	.section	.AMDGPU.csdata,"",@progbits
; Kernel info:
; codeLenInByte = 18656
; NumSgprs: 55
; NumVgprs: 117
; NumAgprs: 4
; TotalNumVgprs: 124
; ScratchSize: 576
; MemoryBound: 0
; FloatMode: 240
; IeeeMode: 1
; LDSByteSize: 24576 bytes/workgroup (compile time only)
; SGPRBlocks: 6
; VGPRBlocks: 15
; NumSGPRsForWavesPerEU: 55
; NumVGPRsForWavesPerEU: 124
; AccumOffset: 120
; Occupancy: 2
; WaveLimiterHint : 1
; COMPUTE_PGM_RSRC2:SCRATCH_EN: 1
; COMPUTE_PGM_RSRC2:USER_SGPR: 8
; COMPUTE_PGM_RSRC2:TRAP_HANDLER: 0
; COMPUTE_PGM_RSRC2:TGID_X_EN: 1
; COMPUTE_PGM_RSRC2:TGID_Y_EN: 0
; COMPUTE_PGM_RSRC2:TGID_Z_EN: 1
; COMPUTE_PGM_RSRC2:TIDIG_COMP_CNT: 0
; COMPUTE_PGM_RSRC3_GFX90A:ACCUM_OFFSET: 29
; COMPUTE_PGM_RSRC3_GFX90A:TG_SPLIT: 0
	.section	.text._ZN2ck27kernel_gemm_xdl_cshuffle_v3INS_28GridwiseGemm_xdl_cshuffle_v3INS_13tensor_layout4gemm8RowMajorENS3_11ColumnMajorES4_NS_9f8_fnuz_tENS_7pk_i4_tEfDF16_DF16_NS_16tensor_operation12element_wise11PassThroughESA_SA_LNS8_6device18GemmSpecializationE0ELi256ELi128ELi128ELi128ELi16ELi16ELi16ELi16ELi4ELi2ENS_8SequenceIJLi8ELi32ELi1EEEENSD_IJLi1ELi0ELi2EEEESF_Li2ELi16ELi16ELb0ELi0ENSD_IJLi4ELi64ELi1EEEESF_SF_Li2ELi16ELi16ELb0ELi0ELi1ELi1ENSD_IJLi1ELi32ELi1ELi8EEEELi4ELNS_26BlockGemmPipelineSchedulerE1ELNS_24BlockGemmPipelineVersionE1ES6_S6_Lb0ELb1ELb0ELi0ELb0EEELb1ELNS_25InMemoryDataOperationEnumE1ELi2ELNS_10TailNumberE2EEEvNT_8ArgumentE,"axG",@progbits,_ZN2ck27kernel_gemm_xdl_cshuffle_v3INS_28GridwiseGemm_xdl_cshuffle_v3INS_13tensor_layout4gemm8RowMajorENS3_11ColumnMajorES4_NS_9f8_fnuz_tENS_7pk_i4_tEfDF16_DF16_NS_16tensor_operation12element_wise11PassThroughESA_SA_LNS8_6device18GemmSpecializationE0ELi256ELi128ELi128ELi128ELi16ELi16ELi16ELi16ELi4ELi2ENS_8SequenceIJLi8ELi32ELi1EEEENSD_IJLi1ELi0ELi2EEEESF_Li2ELi16ELi16ELb0ELi0ENSD_IJLi4ELi64ELi1EEEESF_SF_Li2ELi16ELi16ELb0ELi0ELi1ELi1ENSD_IJLi1ELi32ELi1ELi8EEEELi4ELNS_26BlockGemmPipelineSchedulerE1ELNS_24BlockGemmPipelineVersionE1ES6_S6_Lb0ELb1ELb0ELi0ELb0EEELb1ELNS_25InMemoryDataOperationEnumE1ELi2ELNS_10TailNumberE2EEEvNT_8ArgumentE,comdat
	.protected	_ZN2ck27kernel_gemm_xdl_cshuffle_v3INS_28GridwiseGemm_xdl_cshuffle_v3INS_13tensor_layout4gemm8RowMajorENS3_11ColumnMajorES4_NS_9f8_fnuz_tENS_7pk_i4_tEfDF16_DF16_NS_16tensor_operation12element_wise11PassThroughESA_SA_LNS8_6device18GemmSpecializationE0ELi256ELi128ELi128ELi128ELi16ELi16ELi16ELi16ELi4ELi2ENS_8SequenceIJLi8ELi32ELi1EEEENSD_IJLi1ELi0ELi2EEEESF_Li2ELi16ELi16ELb0ELi0ENSD_IJLi4ELi64ELi1EEEESF_SF_Li2ELi16ELi16ELb0ELi0ELi1ELi1ENSD_IJLi1ELi32ELi1ELi8EEEELi4ELNS_26BlockGemmPipelineSchedulerE1ELNS_24BlockGemmPipelineVersionE1ES6_S6_Lb0ELb1ELb0ELi0ELb0EEELb1ELNS_25InMemoryDataOperationEnumE1ELi2ELNS_10TailNumberE2EEEvNT_8ArgumentE ; -- Begin function _ZN2ck27kernel_gemm_xdl_cshuffle_v3INS_28GridwiseGemm_xdl_cshuffle_v3INS_13tensor_layout4gemm8RowMajorENS3_11ColumnMajorES4_NS_9f8_fnuz_tENS_7pk_i4_tEfDF16_DF16_NS_16tensor_operation12element_wise11PassThroughESA_SA_LNS8_6device18GemmSpecializationE0ELi256ELi128ELi128ELi128ELi16ELi16ELi16ELi16ELi4ELi2ENS_8SequenceIJLi8ELi32ELi1EEEENSD_IJLi1ELi0ELi2EEEESF_Li2ELi16ELi16ELb0ELi0ENSD_IJLi4ELi64ELi1EEEESF_SF_Li2ELi16ELi16ELb0ELi0ELi1ELi1ENSD_IJLi1ELi32ELi1ELi8EEEELi4ELNS_26BlockGemmPipelineSchedulerE1ELNS_24BlockGemmPipelineVersionE1ES6_S6_Lb0ELb1ELb0ELi0ELb0EEELb1ELNS_25InMemoryDataOperationEnumE1ELi2ELNS_10TailNumberE2EEEvNT_8ArgumentE
	.globl	_ZN2ck27kernel_gemm_xdl_cshuffle_v3INS_28GridwiseGemm_xdl_cshuffle_v3INS_13tensor_layout4gemm8RowMajorENS3_11ColumnMajorES4_NS_9f8_fnuz_tENS_7pk_i4_tEfDF16_DF16_NS_16tensor_operation12element_wise11PassThroughESA_SA_LNS8_6device18GemmSpecializationE0ELi256ELi128ELi128ELi128ELi16ELi16ELi16ELi16ELi4ELi2ENS_8SequenceIJLi8ELi32ELi1EEEENSD_IJLi1ELi0ELi2EEEESF_Li2ELi16ELi16ELb0ELi0ENSD_IJLi4ELi64ELi1EEEESF_SF_Li2ELi16ELi16ELb0ELi0ELi1ELi1ENSD_IJLi1ELi32ELi1ELi8EEEELi4ELNS_26BlockGemmPipelineSchedulerE1ELNS_24BlockGemmPipelineVersionE1ES6_S6_Lb0ELb1ELb0ELi0ELb0EEELb1ELNS_25InMemoryDataOperationEnumE1ELi2ELNS_10TailNumberE2EEEvNT_8ArgumentE
	.p2align	8
	.type	_ZN2ck27kernel_gemm_xdl_cshuffle_v3INS_28GridwiseGemm_xdl_cshuffle_v3INS_13tensor_layout4gemm8RowMajorENS3_11ColumnMajorES4_NS_9f8_fnuz_tENS_7pk_i4_tEfDF16_DF16_NS_16tensor_operation12element_wise11PassThroughESA_SA_LNS8_6device18GemmSpecializationE0ELi256ELi128ELi128ELi128ELi16ELi16ELi16ELi16ELi4ELi2ENS_8SequenceIJLi8ELi32ELi1EEEENSD_IJLi1ELi0ELi2EEEESF_Li2ELi16ELi16ELb0ELi0ENSD_IJLi4ELi64ELi1EEEESF_SF_Li2ELi16ELi16ELb0ELi0ELi1ELi1ENSD_IJLi1ELi32ELi1ELi8EEEELi4ELNS_26BlockGemmPipelineSchedulerE1ELNS_24BlockGemmPipelineVersionE1ES6_S6_Lb0ELb1ELb0ELi0ELb0EEELb1ELNS_25InMemoryDataOperationEnumE1ELi2ELNS_10TailNumberE2EEEvNT_8ArgumentE,@function
_ZN2ck27kernel_gemm_xdl_cshuffle_v3INS_28GridwiseGemm_xdl_cshuffle_v3INS_13tensor_layout4gemm8RowMajorENS3_11ColumnMajorES4_NS_9f8_fnuz_tENS_7pk_i4_tEfDF16_DF16_NS_16tensor_operation12element_wise11PassThroughESA_SA_LNS8_6device18GemmSpecializationE0ELi256ELi128ELi128ELi128ELi16ELi16ELi16ELi16ELi4ELi2ENS_8SequenceIJLi8ELi32ELi1EEEENSD_IJLi1ELi0ELi2EEEESF_Li2ELi16ELi16ELb0ELi0ENSD_IJLi4ELi64ELi1EEEESF_SF_Li2ELi16ELi16ELb0ELi0ELi1ELi1ENSD_IJLi1ELi32ELi1ELi8EEEELi4ELNS_26BlockGemmPipelineSchedulerE1ELNS_24BlockGemmPipelineVersionE1ES6_S6_Lb0ELb1ELb0ELi0ELb0EEELb1ELNS_25InMemoryDataOperationEnumE1ELi2ELNS_10TailNumberE2EEEvNT_8ArgumentE: ; @_ZN2ck27kernel_gemm_xdl_cshuffle_v3INS_28GridwiseGemm_xdl_cshuffle_v3INS_13tensor_layout4gemm8RowMajorENS3_11ColumnMajorES4_NS_9f8_fnuz_tENS_7pk_i4_tEfDF16_DF16_NS_16tensor_operation12element_wise11PassThroughESA_SA_LNS8_6device18GemmSpecializationE0ELi256ELi128ELi128ELi128ELi16ELi16ELi16ELi16ELi4ELi2ENS_8SequenceIJLi8ELi32ELi1EEEENSD_IJLi1ELi0ELi2EEEESF_Li2ELi16ELi16ELb0ELi0ENSD_IJLi4ELi64ELi1EEEESF_SF_Li2ELi16ELi16ELb0ELi0ELi1ELi1ENSD_IJLi1ELi32ELi1ELi8EEEELi4ELNS_26BlockGemmPipelineSchedulerE1ELNS_24BlockGemmPipelineVersionE1ES6_S6_Lb0ELb1ELb0ELi0ELb0EEELb1ELNS_25InMemoryDataOperationEnumE1ELi2ELNS_10TailNumberE2EEEvNT_8ArgumentE
; %bb.0:
	s_endpgm
	.section	.rodata,"a",@progbits
	.p2align	6, 0x0
	.amdhsa_kernel _ZN2ck27kernel_gemm_xdl_cshuffle_v3INS_28GridwiseGemm_xdl_cshuffle_v3INS_13tensor_layout4gemm8RowMajorENS3_11ColumnMajorES4_NS_9f8_fnuz_tENS_7pk_i4_tEfDF16_DF16_NS_16tensor_operation12element_wise11PassThroughESA_SA_LNS8_6device18GemmSpecializationE0ELi256ELi128ELi128ELi128ELi16ELi16ELi16ELi16ELi4ELi2ENS_8SequenceIJLi8ELi32ELi1EEEENSD_IJLi1ELi0ELi2EEEESF_Li2ELi16ELi16ELb0ELi0ENSD_IJLi4ELi64ELi1EEEESF_SF_Li2ELi16ELi16ELb0ELi0ELi1ELi1ENSD_IJLi1ELi32ELi1ELi8EEEELi4ELNS_26BlockGemmPipelineSchedulerE1ELNS_24BlockGemmPipelineVersionE1ES6_S6_Lb0ELb1ELb0ELi0ELb0EEELb1ELNS_25InMemoryDataOperationEnumE1ELi2ELNS_10TailNumberE2EEEvNT_8ArgumentE
		.amdhsa_group_segment_fixed_size 0
		.amdhsa_private_segment_fixed_size 0
		.amdhsa_kernarg_size 112
		.amdhsa_user_sgpr_count 6
		.amdhsa_user_sgpr_private_segment_buffer 1
		.amdhsa_user_sgpr_dispatch_ptr 0
		.amdhsa_user_sgpr_queue_ptr 0
		.amdhsa_user_sgpr_kernarg_segment_ptr 1
		.amdhsa_user_sgpr_dispatch_id 0
		.amdhsa_user_sgpr_flat_scratch_init 0
		.amdhsa_user_sgpr_kernarg_preload_length 0
		.amdhsa_user_sgpr_kernarg_preload_offset 0
		.amdhsa_user_sgpr_private_segment_size 0
		.amdhsa_uses_dynamic_stack 0
		.amdhsa_system_sgpr_private_segment_wavefront_offset 0
		.amdhsa_system_sgpr_workgroup_id_x 1
		.amdhsa_system_sgpr_workgroup_id_y 0
		.amdhsa_system_sgpr_workgroup_id_z 0
		.amdhsa_system_sgpr_workgroup_info 0
		.amdhsa_system_vgpr_workitem_id 0
		.amdhsa_next_free_vgpr 1
		.amdhsa_next_free_sgpr 0
		.amdhsa_accum_offset 4
		.amdhsa_reserve_vcc 0
		.amdhsa_reserve_flat_scratch 0
		.amdhsa_float_round_mode_32 0
		.amdhsa_float_round_mode_16_64 0
		.amdhsa_float_denorm_mode_32 3
		.amdhsa_float_denorm_mode_16_64 3
		.amdhsa_dx10_clamp 1
		.amdhsa_ieee_mode 1
		.amdhsa_fp16_overflow 0
		.amdhsa_tg_split 0
		.amdhsa_exception_fp_ieee_invalid_op 0
		.amdhsa_exception_fp_denorm_src 0
		.amdhsa_exception_fp_ieee_div_zero 0
		.amdhsa_exception_fp_ieee_overflow 0
		.amdhsa_exception_fp_ieee_underflow 0
		.amdhsa_exception_fp_ieee_inexact 0
		.amdhsa_exception_int_div_zero 0
	.end_amdhsa_kernel
	.section	.text._ZN2ck27kernel_gemm_xdl_cshuffle_v3INS_28GridwiseGemm_xdl_cshuffle_v3INS_13tensor_layout4gemm8RowMajorENS3_11ColumnMajorES4_NS_9f8_fnuz_tENS_7pk_i4_tEfDF16_DF16_NS_16tensor_operation12element_wise11PassThroughESA_SA_LNS8_6device18GemmSpecializationE0ELi256ELi128ELi128ELi128ELi16ELi16ELi16ELi16ELi4ELi2ENS_8SequenceIJLi8ELi32ELi1EEEENSD_IJLi1ELi0ELi2EEEESF_Li2ELi16ELi16ELb0ELi0ENSD_IJLi4ELi64ELi1EEEESF_SF_Li2ELi16ELi16ELb0ELi0ELi1ELi1ENSD_IJLi1ELi32ELi1ELi8EEEELi4ELNS_26BlockGemmPipelineSchedulerE1ELNS_24BlockGemmPipelineVersionE1ES6_S6_Lb0ELb1ELb0ELi0ELb0EEELb1ELNS_25InMemoryDataOperationEnumE1ELi2ELNS_10TailNumberE2EEEvNT_8ArgumentE,"axG",@progbits,_ZN2ck27kernel_gemm_xdl_cshuffle_v3INS_28GridwiseGemm_xdl_cshuffle_v3INS_13tensor_layout4gemm8RowMajorENS3_11ColumnMajorES4_NS_9f8_fnuz_tENS_7pk_i4_tEfDF16_DF16_NS_16tensor_operation12element_wise11PassThroughESA_SA_LNS8_6device18GemmSpecializationE0ELi256ELi128ELi128ELi128ELi16ELi16ELi16ELi16ELi4ELi2ENS_8SequenceIJLi8ELi32ELi1EEEENSD_IJLi1ELi0ELi2EEEESF_Li2ELi16ELi16ELb0ELi0ENSD_IJLi4ELi64ELi1EEEESF_SF_Li2ELi16ELi16ELb0ELi0ELi1ELi1ENSD_IJLi1ELi32ELi1ELi8EEEELi4ELNS_26BlockGemmPipelineSchedulerE1ELNS_24BlockGemmPipelineVersionE1ES6_S6_Lb0ELb1ELb0ELi0ELb0EEELb1ELNS_25InMemoryDataOperationEnumE1ELi2ELNS_10TailNumberE2EEEvNT_8ArgumentE,comdat
.Lfunc_end19:
	.size	_ZN2ck27kernel_gemm_xdl_cshuffle_v3INS_28GridwiseGemm_xdl_cshuffle_v3INS_13tensor_layout4gemm8RowMajorENS3_11ColumnMajorES4_NS_9f8_fnuz_tENS_7pk_i4_tEfDF16_DF16_NS_16tensor_operation12element_wise11PassThroughESA_SA_LNS8_6device18GemmSpecializationE0ELi256ELi128ELi128ELi128ELi16ELi16ELi16ELi16ELi4ELi2ENS_8SequenceIJLi8ELi32ELi1EEEENSD_IJLi1ELi0ELi2EEEESF_Li2ELi16ELi16ELb0ELi0ENSD_IJLi4ELi64ELi1EEEESF_SF_Li2ELi16ELi16ELb0ELi0ELi1ELi1ENSD_IJLi1ELi32ELi1ELi8EEEELi4ELNS_26BlockGemmPipelineSchedulerE1ELNS_24BlockGemmPipelineVersionE1ES6_S6_Lb0ELb1ELb0ELi0ELb0EEELb1ELNS_25InMemoryDataOperationEnumE1ELi2ELNS_10TailNumberE2EEEvNT_8ArgumentE, .Lfunc_end19-_ZN2ck27kernel_gemm_xdl_cshuffle_v3INS_28GridwiseGemm_xdl_cshuffle_v3INS_13tensor_layout4gemm8RowMajorENS3_11ColumnMajorES4_NS_9f8_fnuz_tENS_7pk_i4_tEfDF16_DF16_NS_16tensor_operation12element_wise11PassThroughESA_SA_LNS8_6device18GemmSpecializationE0ELi256ELi128ELi128ELi128ELi16ELi16ELi16ELi16ELi4ELi2ENS_8SequenceIJLi8ELi32ELi1EEEENSD_IJLi1ELi0ELi2EEEESF_Li2ELi16ELi16ELb0ELi0ENSD_IJLi4ELi64ELi1EEEESF_SF_Li2ELi16ELi16ELb0ELi0ELi1ELi1ENSD_IJLi1ELi32ELi1ELi8EEEELi4ELNS_26BlockGemmPipelineSchedulerE1ELNS_24BlockGemmPipelineVersionE1ES6_S6_Lb0ELb1ELb0ELi0ELb0EEELb1ELNS_25InMemoryDataOperationEnumE1ELi2ELNS_10TailNumberE2EEEvNT_8ArgumentE
                                        ; -- End function
	.section	.AMDGPU.csdata,"",@progbits
; Kernel info:
; codeLenInByte = 4
; NumSgprs: 4
; NumVgprs: 0
; NumAgprs: 0
; TotalNumVgprs: 0
; ScratchSize: 0
; MemoryBound: 0
; FloatMode: 240
; IeeeMode: 1
; LDSByteSize: 0 bytes/workgroup (compile time only)
; SGPRBlocks: 0
; VGPRBlocks: 0
; NumSGPRsForWavesPerEU: 4
; NumVGPRsForWavesPerEU: 1
; AccumOffset: 4
; Occupancy: 8
; WaveLimiterHint : 0
; COMPUTE_PGM_RSRC2:SCRATCH_EN: 0
; COMPUTE_PGM_RSRC2:USER_SGPR: 6
; COMPUTE_PGM_RSRC2:TRAP_HANDLER: 0
; COMPUTE_PGM_RSRC2:TGID_X_EN: 1
; COMPUTE_PGM_RSRC2:TGID_Y_EN: 0
; COMPUTE_PGM_RSRC2:TGID_Z_EN: 0
; COMPUTE_PGM_RSRC2:TIDIG_COMP_CNT: 0
; COMPUTE_PGM_RSRC3_GFX90A:ACCUM_OFFSET: 0
; COMPUTE_PGM_RSRC3_GFX90A:TG_SPLIT: 0
	.section	.text._ZN2ck27kernel_gemm_xdl_cshuffle_v3INS_28GridwiseGemm_xdl_cshuffle_v3INS_13tensor_layout4gemm8RowMajorENS3_11ColumnMajorES4_NS_9f8_fnuz_tENS_7pk_i4_tEfDF16_DF16_NS_16tensor_operation12element_wise11PassThroughESA_SA_LNS8_6device18GemmSpecializationE0ELi256ELi128ELi128ELi128ELi16ELi16ELi16ELi16ELi4ELi2ENS_8SequenceIJLi8ELi32ELi1EEEENSD_IJLi1ELi0ELi2EEEESF_Li2ELi16ELi16ELb0ELi0ENSD_IJLi4ELi64ELi1EEEESF_SF_Li2ELi16ELi16ELb0ELi0ELi1ELi1ENSD_IJLi1ELi32ELi1ELi8EEEELi4ELNS_26BlockGemmPipelineSchedulerE1ELNS_24BlockGemmPipelineVersionE1ES6_S6_Lb0ELb1ELb0ELi0ELb0EEELb1ELNS_25InMemoryDataOperationEnumE1ELi2ELNS_10TailNumberE10EEEvNT_8ArgumentE,"axG",@progbits,_ZN2ck27kernel_gemm_xdl_cshuffle_v3INS_28GridwiseGemm_xdl_cshuffle_v3INS_13tensor_layout4gemm8RowMajorENS3_11ColumnMajorES4_NS_9f8_fnuz_tENS_7pk_i4_tEfDF16_DF16_NS_16tensor_operation12element_wise11PassThroughESA_SA_LNS8_6device18GemmSpecializationE0ELi256ELi128ELi128ELi128ELi16ELi16ELi16ELi16ELi4ELi2ENS_8SequenceIJLi8ELi32ELi1EEEENSD_IJLi1ELi0ELi2EEEESF_Li2ELi16ELi16ELb0ELi0ENSD_IJLi4ELi64ELi1EEEESF_SF_Li2ELi16ELi16ELb0ELi0ELi1ELi1ENSD_IJLi1ELi32ELi1ELi8EEEELi4ELNS_26BlockGemmPipelineSchedulerE1ELNS_24BlockGemmPipelineVersionE1ES6_S6_Lb0ELb1ELb0ELi0ELb0EEELb1ELNS_25InMemoryDataOperationEnumE1ELi2ELNS_10TailNumberE10EEEvNT_8ArgumentE,comdat
	.protected	_ZN2ck27kernel_gemm_xdl_cshuffle_v3INS_28GridwiseGemm_xdl_cshuffle_v3INS_13tensor_layout4gemm8RowMajorENS3_11ColumnMajorES4_NS_9f8_fnuz_tENS_7pk_i4_tEfDF16_DF16_NS_16tensor_operation12element_wise11PassThroughESA_SA_LNS8_6device18GemmSpecializationE0ELi256ELi128ELi128ELi128ELi16ELi16ELi16ELi16ELi4ELi2ENS_8SequenceIJLi8ELi32ELi1EEEENSD_IJLi1ELi0ELi2EEEESF_Li2ELi16ELi16ELb0ELi0ENSD_IJLi4ELi64ELi1EEEESF_SF_Li2ELi16ELi16ELb0ELi0ELi1ELi1ENSD_IJLi1ELi32ELi1ELi8EEEELi4ELNS_26BlockGemmPipelineSchedulerE1ELNS_24BlockGemmPipelineVersionE1ES6_S6_Lb0ELb1ELb0ELi0ELb0EEELb1ELNS_25InMemoryDataOperationEnumE1ELi2ELNS_10TailNumberE10EEEvNT_8ArgumentE ; -- Begin function _ZN2ck27kernel_gemm_xdl_cshuffle_v3INS_28GridwiseGemm_xdl_cshuffle_v3INS_13tensor_layout4gemm8RowMajorENS3_11ColumnMajorES4_NS_9f8_fnuz_tENS_7pk_i4_tEfDF16_DF16_NS_16tensor_operation12element_wise11PassThroughESA_SA_LNS8_6device18GemmSpecializationE0ELi256ELi128ELi128ELi128ELi16ELi16ELi16ELi16ELi4ELi2ENS_8SequenceIJLi8ELi32ELi1EEEENSD_IJLi1ELi0ELi2EEEESF_Li2ELi16ELi16ELb0ELi0ENSD_IJLi4ELi64ELi1EEEESF_SF_Li2ELi16ELi16ELb0ELi0ELi1ELi1ENSD_IJLi1ELi32ELi1ELi8EEEELi4ELNS_26BlockGemmPipelineSchedulerE1ELNS_24BlockGemmPipelineVersionE1ES6_S6_Lb0ELb1ELb0ELi0ELb0EEELb1ELNS_25InMemoryDataOperationEnumE1ELi2ELNS_10TailNumberE10EEEvNT_8ArgumentE
	.globl	_ZN2ck27kernel_gemm_xdl_cshuffle_v3INS_28GridwiseGemm_xdl_cshuffle_v3INS_13tensor_layout4gemm8RowMajorENS3_11ColumnMajorES4_NS_9f8_fnuz_tENS_7pk_i4_tEfDF16_DF16_NS_16tensor_operation12element_wise11PassThroughESA_SA_LNS8_6device18GemmSpecializationE0ELi256ELi128ELi128ELi128ELi16ELi16ELi16ELi16ELi4ELi2ENS_8SequenceIJLi8ELi32ELi1EEEENSD_IJLi1ELi0ELi2EEEESF_Li2ELi16ELi16ELb0ELi0ENSD_IJLi4ELi64ELi1EEEESF_SF_Li2ELi16ELi16ELb0ELi0ELi1ELi1ENSD_IJLi1ELi32ELi1ELi8EEEELi4ELNS_26BlockGemmPipelineSchedulerE1ELNS_24BlockGemmPipelineVersionE1ES6_S6_Lb0ELb1ELb0ELi0ELb0EEELb1ELNS_25InMemoryDataOperationEnumE1ELi2ELNS_10TailNumberE10EEEvNT_8ArgumentE
	.p2align	8
	.type	_ZN2ck27kernel_gemm_xdl_cshuffle_v3INS_28GridwiseGemm_xdl_cshuffle_v3INS_13tensor_layout4gemm8RowMajorENS3_11ColumnMajorES4_NS_9f8_fnuz_tENS_7pk_i4_tEfDF16_DF16_NS_16tensor_operation12element_wise11PassThroughESA_SA_LNS8_6device18GemmSpecializationE0ELi256ELi128ELi128ELi128ELi16ELi16ELi16ELi16ELi4ELi2ENS_8SequenceIJLi8ELi32ELi1EEEENSD_IJLi1ELi0ELi2EEEESF_Li2ELi16ELi16ELb0ELi0ENSD_IJLi4ELi64ELi1EEEESF_SF_Li2ELi16ELi16ELb0ELi0ELi1ELi1ENSD_IJLi1ELi32ELi1ELi8EEEELi4ELNS_26BlockGemmPipelineSchedulerE1ELNS_24BlockGemmPipelineVersionE1ES6_S6_Lb0ELb1ELb0ELi0ELb0EEELb1ELNS_25InMemoryDataOperationEnumE1ELi2ELNS_10TailNumberE10EEEvNT_8ArgumentE,@function
_ZN2ck27kernel_gemm_xdl_cshuffle_v3INS_28GridwiseGemm_xdl_cshuffle_v3INS_13tensor_layout4gemm8RowMajorENS3_11ColumnMajorES4_NS_9f8_fnuz_tENS_7pk_i4_tEfDF16_DF16_NS_16tensor_operation12element_wise11PassThroughESA_SA_LNS8_6device18GemmSpecializationE0ELi256ELi128ELi128ELi128ELi16ELi16ELi16ELi16ELi4ELi2ENS_8SequenceIJLi8ELi32ELi1EEEENSD_IJLi1ELi0ELi2EEEESF_Li2ELi16ELi16ELb0ELi0ENSD_IJLi4ELi64ELi1EEEESF_SF_Li2ELi16ELi16ELb0ELi0ELi1ELi1ENSD_IJLi1ELi32ELi1ELi8EEEELi4ELNS_26BlockGemmPipelineSchedulerE1ELNS_24BlockGemmPipelineVersionE1ES6_S6_Lb0ELb1ELb0ELi0ELb0EEELb1ELNS_25InMemoryDataOperationEnumE1ELi2ELNS_10TailNumberE10EEEvNT_8ArgumentE: ; @_ZN2ck27kernel_gemm_xdl_cshuffle_v3INS_28GridwiseGemm_xdl_cshuffle_v3INS_13tensor_layout4gemm8RowMajorENS3_11ColumnMajorES4_NS_9f8_fnuz_tENS_7pk_i4_tEfDF16_DF16_NS_16tensor_operation12element_wise11PassThroughESA_SA_LNS8_6device18GemmSpecializationE0ELi256ELi128ELi128ELi128ELi16ELi16ELi16ELi16ELi4ELi2ENS_8SequenceIJLi8ELi32ELi1EEEENSD_IJLi1ELi0ELi2EEEESF_Li2ELi16ELi16ELb0ELi0ENSD_IJLi4ELi64ELi1EEEESF_SF_Li2ELi16ELi16ELb0ELi0ELi1ELi1ENSD_IJLi1ELi32ELi1ELi8EEEELi4ELNS_26BlockGemmPipelineSchedulerE1ELNS_24BlockGemmPipelineVersionE1ES6_S6_Lb0ELb1ELb0ELi0ELb0EEELb1ELNS_25InMemoryDataOperationEnumE1ELi2ELNS_10TailNumberE10EEEvNT_8ArgumentE
; %bb.0:
	s_endpgm
	.section	.rodata,"a",@progbits
	.p2align	6, 0x0
	.amdhsa_kernel _ZN2ck27kernel_gemm_xdl_cshuffle_v3INS_28GridwiseGemm_xdl_cshuffle_v3INS_13tensor_layout4gemm8RowMajorENS3_11ColumnMajorES4_NS_9f8_fnuz_tENS_7pk_i4_tEfDF16_DF16_NS_16tensor_operation12element_wise11PassThroughESA_SA_LNS8_6device18GemmSpecializationE0ELi256ELi128ELi128ELi128ELi16ELi16ELi16ELi16ELi4ELi2ENS_8SequenceIJLi8ELi32ELi1EEEENSD_IJLi1ELi0ELi2EEEESF_Li2ELi16ELi16ELb0ELi0ENSD_IJLi4ELi64ELi1EEEESF_SF_Li2ELi16ELi16ELb0ELi0ELi1ELi1ENSD_IJLi1ELi32ELi1ELi8EEEELi4ELNS_26BlockGemmPipelineSchedulerE1ELNS_24BlockGemmPipelineVersionE1ES6_S6_Lb0ELb1ELb0ELi0ELb0EEELb1ELNS_25InMemoryDataOperationEnumE1ELi2ELNS_10TailNumberE10EEEvNT_8ArgumentE
		.amdhsa_group_segment_fixed_size 0
		.amdhsa_private_segment_fixed_size 0
		.amdhsa_kernarg_size 112
		.amdhsa_user_sgpr_count 6
		.amdhsa_user_sgpr_private_segment_buffer 1
		.amdhsa_user_sgpr_dispatch_ptr 0
		.amdhsa_user_sgpr_queue_ptr 0
		.amdhsa_user_sgpr_kernarg_segment_ptr 1
		.amdhsa_user_sgpr_dispatch_id 0
		.amdhsa_user_sgpr_flat_scratch_init 0
		.amdhsa_user_sgpr_kernarg_preload_length 0
		.amdhsa_user_sgpr_kernarg_preload_offset 0
		.amdhsa_user_sgpr_private_segment_size 0
		.amdhsa_uses_dynamic_stack 0
		.amdhsa_system_sgpr_private_segment_wavefront_offset 0
		.amdhsa_system_sgpr_workgroup_id_x 1
		.amdhsa_system_sgpr_workgroup_id_y 0
		.amdhsa_system_sgpr_workgroup_id_z 0
		.amdhsa_system_sgpr_workgroup_info 0
		.amdhsa_system_vgpr_workitem_id 0
		.amdhsa_next_free_vgpr 1
		.amdhsa_next_free_sgpr 0
		.amdhsa_accum_offset 4
		.amdhsa_reserve_vcc 0
		.amdhsa_reserve_flat_scratch 0
		.amdhsa_float_round_mode_32 0
		.amdhsa_float_round_mode_16_64 0
		.amdhsa_float_denorm_mode_32 3
		.amdhsa_float_denorm_mode_16_64 3
		.amdhsa_dx10_clamp 1
		.amdhsa_ieee_mode 1
		.amdhsa_fp16_overflow 0
		.amdhsa_tg_split 0
		.amdhsa_exception_fp_ieee_invalid_op 0
		.amdhsa_exception_fp_denorm_src 0
		.amdhsa_exception_fp_ieee_div_zero 0
		.amdhsa_exception_fp_ieee_overflow 0
		.amdhsa_exception_fp_ieee_underflow 0
		.amdhsa_exception_fp_ieee_inexact 0
		.amdhsa_exception_int_div_zero 0
	.end_amdhsa_kernel
	.section	.text._ZN2ck27kernel_gemm_xdl_cshuffle_v3INS_28GridwiseGemm_xdl_cshuffle_v3INS_13tensor_layout4gemm8RowMajorENS3_11ColumnMajorES4_NS_9f8_fnuz_tENS_7pk_i4_tEfDF16_DF16_NS_16tensor_operation12element_wise11PassThroughESA_SA_LNS8_6device18GemmSpecializationE0ELi256ELi128ELi128ELi128ELi16ELi16ELi16ELi16ELi4ELi2ENS_8SequenceIJLi8ELi32ELi1EEEENSD_IJLi1ELi0ELi2EEEESF_Li2ELi16ELi16ELb0ELi0ENSD_IJLi4ELi64ELi1EEEESF_SF_Li2ELi16ELi16ELb0ELi0ELi1ELi1ENSD_IJLi1ELi32ELi1ELi8EEEELi4ELNS_26BlockGemmPipelineSchedulerE1ELNS_24BlockGemmPipelineVersionE1ES6_S6_Lb0ELb1ELb0ELi0ELb0EEELb1ELNS_25InMemoryDataOperationEnumE1ELi2ELNS_10TailNumberE10EEEvNT_8ArgumentE,"axG",@progbits,_ZN2ck27kernel_gemm_xdl_cshuffle_v3INS_28GridwiseGemm_xdl_cshuffle_v3INS_13tensor_layout4gemm8RowMajorENS3_11ColumnMajorES4_NS_9f8_fnuz_tENS_7pk_i4_tEfDF16_DF16_NS_16tensor_operation12element_wise11PassThroughESA_SA_LNS8_6device18GemmSpecializationE0ELi256ELi128ELi128ELi128ELi16ELi16ELi16ELi16ELi4ELi2ENS_8SequenceIJLi8ELi32ELi1EEEENSD_IJLi1ELi0ELi2EEEESF_Li2ELi16ELi16ELb0ELi0ENSD_IJLi4ELi64ELi1EEEESF_SF_Li2ELi16ELi16ELb0ELi0ELi1ELi1ENSD_IJLi1ELi32ELi1ELi8EEEELi4ELNS_26BlockGemmPipelineSchedulerE1ELNS_24BlockGemmPipelineVersionE1ES6_S6_Lb0ELb1ELb0ELi0ELb0EEELb1ELNS_25InMemoryDataOperationEnumE1ELi2ELNS_10TailNumberE10EEEvNT_8ArgumentE,comdat
.Lfunc_end20:
	.size	_ZN2ck27kernel_gemm_xdl_cshuffle_v3INS_28GridwiseGemm_xdl_cshuffle_v3INS_13tensor_layout4gemm8RowMajorENS3_11ColumnMajorES4_NS_9f8_fnuz_tENS_7pk_i4_tEfDF16_DF16_NS_16tensor_operation12element_wise11PassThroughESA_SA_LNS8_6device18GemmSpecializationE0ELi256ELi128ELi128ELi128ELi16ELi16ELi16ELi16ELi4ELi2ENS_8SequenceIJLi8ELi32ELi1EEEENSD_IJLi1ELi0ELi2EEEESF_Li2ELi16ELi16ELb0ELi0ENSD_IJLi4ELi64ELi1EEEESF_SF_Li2ELi16ELi16ELb0ELi0ELi1ELi1ENSD_IJLi1ELi32ELi1ELi8EEEELi4ELNS_26BlockGemmPipelineSchedulerE1ELNS_24BlockGemmPipelineVersionE1ES6_S6_Lb0ELb1ELb0ELi0ELb0EEELb1ELNS_25InMemoryDataOperationEnumE1ELi2ELNS_10TailNumberE10EEEvNT_8ArgumentE, .Lfunc_end20-_ZN2ck27kernel_gemm_xdl_cshuffle_v3INS_28GridwiseGemm_xdl_cshuffle_v3INS_13tensor_layout4gemm8RowMajorENS3_11ColumnMajorES4_NS_9f8_fnuz_tENS_7pk_i4_tEfDF16_DF16_NS_16tensor_operation12element_wise11PassThroughESA_SA_LNS8_6device18GemmSpecializationE0ELi256ELi128ELi128ELi128ELi16ELi16ELi16ELi16ELi4ELi2ENS_8SequenceIJLi8ELi32ELi1EEEENSD_IJLi1ELi0ELi2EEEESF_Li2ELi16ELi16ELb0ELi0ENSD_IJLi4ELi64ELi1EEEESF_SF_Li2ELi16ELi16ELb0ELi0ELi1ELi1ENSD_IJLi1ELi32ELi1ELi8EEEELi4ELNS_26BlockGemmPipelineSchedulerE1ELNS_24BlockGemmPipelineVersionE1ES6_S6_Lb0ELb1ELb0ELi0ELb0EEELb1ELNS_25InMemoryDataOperationEnumE1ELi2ELNS_10TailNumberE10EEEvNT_8ArgumentE
                                        ; -- End function
	.section	.AMDGPU.csdata,"",@progbits
; Kernel info:
; codeLenInByte = 4
; NumSgprs: 4
; NumVgprs: 0
; NumAgprs: 0
; TotalNumVgprs: 0
; ScratchSize: 0
; MemoryBound: 0
; FloatMode: 240
; IeeeMode: 1
; LDSByteSize: 0 bytes/workgroup (compile time only)
; SGPRBlocks: 0
; VGPRBlocks: 0
; NumSGPRsForWavesPerEU: 4
; NumVGPRsForWavesPerEU: 1
; AccumOffset: 4
; Occupancy: 8
; WaveLimiterHint : 0
; COMPUTE_PGM_RSRC2:SCRATCH_EN: 0
; COMPUTE_PGM_RSRC2:USER_SGPR: 6
; COMPUTE_PGM_RSRC2:TRAP_HANDLER: 0
; COMPUTE_PGM_RSRC2:TGID_X_EN: 1
; COMPUTE_PGM_RSRC2:TGID_Y_EN: 0
; COMPUTE_PGM_RSRC2:TGID_Z_EN: 0
; COMPUTE_PGM_RSRC2:TIDIG_COMP_CNT: 0
; COMPUTE_PGM_RSRC3_GFX90A:ACCUM_OFFSET: 0
; COMPUTE_PGM_RSRC3_GFX90A:TG_SPLIT: 0
	.section	.text._ZN2ck27kernel_gemm_xdl_cshuffle_v3INS_28GridwiseGemm_xdl_cshuffle_v3INS_13tensor_layout4gemm8RowMajorENS3_11ColumnMajorES4_NS_9f8_fnuz_tENS_7pk_i4_tEfDF16_DF16_NS_16tensor_operation12element_wise11PassThroughESA_SA_LNS8_6device18GemmSpecializationE0ELi256ELi128ELi128ELi128ELi16ELi16ELi16ELi16ELi4ELi2ENS_8SequenceIJLi8ELi32ELi1EEEENSD_IJLi1ELi0ELi2EEEESF_Li2ELi16ELi16ELb0ELi0ENSD_IJLi4ELi64ELi1EEEESF_SF_Li2ELi16ELi16ELb0ELi0ELi1ELi1ENSD_IJLi1ELi32ELi1ELi8EEEELi4ELNS_26BlockGemmPipelineSchedulerE1ELNS_24BlockGemmPipelineVersionE1ES6_S6_Lb0ELb1ELb0ELi0ELb0EEELb1ELNS_25InMemoryDataOperationEnumE0ELi2ELNS_10TailNumberE2EEEvNT_8ArgumentE,"axG",@progbits,_ZN2ck27kernel_gemm_xdl_cshuffle_v3INS_28GridwiseGemm_xdl_cshuffle_v3INS_13tensor_layout4gemm8RowMajorENS3_11ColumnMajorES4_NS_9f8_fnuz_tENS_7pk_i4_tEfDF16_DF16_NS_16tensor_operation12element_wise11PassThroughESA_SA_LNS8_6device18GemmSpecializationE0ELi256ELi128ELi128ELi128ELi16ELi16ELi16ELi16ELi4ELi2ENS_8SequenceIJLi8ELi32ELi1EEEENSD_IJLi1ELi0ELi2EEEESF_Li2ELi16ELi16ELb0ELi0ENSD_IJLi4ELi64ELi1EEEESF_SF_Li2ELi16ELi16ELb0ELi0ELi1ELi1ENSD_IJLi1ELi32ELi1ELi8EEEELi4ELNS_26BlockGemmPipelineSchedulerE1ELNS_24BlockGemmPipelineVersionE1ES6_S6_Lb0ELb1ELb0ELi0ELb0EEELb1ELNS_25InMemoryDataOperationEnumE0ELi2ELNS_10TailNumberE2EEEvNT_8ArgumentE,comdat
	.protected	_ZN2ck27kernel_gemm_xdl_cshuffle_v3INS_28GridwiseGemm_xdl_cshuffle_v3INS_13tensor_layout4gemm8RowMajorENS3_11ColumnMajorES4_NS_9f8_fnuz_tENS_7pk_i4_tEfDF16_DF16_NS_16tensor_operation12element_wise11PassThroughESA_SA_LNS8_6device18GemmSpecializationE0ELi256ELi128ELi128ELi128ELi16ELi16ELi16ELi16ELi4ELi2ENS_8SequenceIJLi8ELi32ELi1EEEENSD_IJLi1ELi0ELi2EEEESF_Li2ELi16ELi16ELb0ELi0ENSD_IJLi4ELi64ELi1EEEESF_SF_Li2ELi16ELi16ELb0ELi0ELi1ELi1ENSD_IJLi1ELi32ELi1ELi8EEEELi4ELNS_26BlockGemmPipelineSchedulerE1ELNS_24BlockGemmPipelineVersionE1ES6_S6_Lb0ELb1ELb0ELi0ELb0EEELb1ELNS_25InMemoryDataOperationEnumE0ELi2ELNS_10TailNumberE2EEEvNT_8ArgumentE ; -- Begin function _ZN2ck27kernel_gemm_xdl_cshuffle_v3INS_28GridwiseGemm_xdl_cshuffle_v3INS_13tensor_layout4gemm8RowMajorENS3_11ColumnMajorES4_NS_9f8_fnuz_tENS_7pk_i4_tEfDF16_DF16_NS_16tensor_operation12element_wise11PassThroughESA_SA_LNS8_6device18GemmSpecializationE0ELi256ELi128ELi128ELi128ELi16ELi16ELi16ELi16ELi4ELi2ENS_8SequenceIJLi8ELi32ELi1EEEENSD_IJLi1ELi0ELi2EEEESF_Li2ELi16ELi16ELb0ELi0ENSD_IJLi4ELi64ELi1EEEESF_SF_Li2ELi16ELi16ELb0ELi0ELi1ELi1ENSD_IJLi1ELi32ELi1ELi8EEEELi4ELNS_26BlockGemmPipelineSchedulerE1ELNS_24BlockGemmPipelineVersionE1ES6_S6_Lb0ELb1ELb0ELi0ELb0EEELb1ELNS_25InMemoryDataOperationEnumE0ELi2ELNS_10TailNumberE2EEEvNT_8ArgumentE
	.globl	_ZN2ck27kernel_gemm_xdl_cshuffle_v3INS_28GridwiseGemm_xdl_cshuffle_v3INS_13tensor_layout4gemm8RowMajorENS3_11ColumnMajorES4_NS_9f8_fnuz_tENS_7pk_i4_tEfDF16_DF16_NS_16tensor_operation12element_wise11PassThroughESA_SA_LNS8_6device18GemmSpecializationE0ELi256ELi128ELi128ELi128ELi16ELi16ELi16ELi16ELi4ELi2ENS_8SequenceIJLi8ELi32ELi1EEEENSD_IJLi1ELi0ELi2EEEESF_Li2ELi16ELi16ELb0ELi0ENSD_IJLi4ELi64ELi1EEEESF_SF_Li2ELi16ELi16ELb0ELi0ELi1ELi1ENSD_IJLi1ELi32ELi1ELi8EEEELi4ELNS_26BlockGemmPipelineSchedulerE1ELNS_24BlockGemmPipelineVersionE1ES6_S6_Lb0ELb1ELb0ELi0ELb0EEELb1ELNS_25InMemoryDataOperationEnumE0ELi2ELNS_10TailNumberE2EEEvNT_8ArgumentE
	.p2align	8
	.type	_ZN2ck27kernel_gemm_xdl_cshuffle_v3INS_28GridwiseGemm_xdl_cshuffle_v3INS_13tensor_layout4gemm8RowMajorENS3_11ColumnMajorES4_NS_9f8_fnuz_tENS_7pk_i4_tEfDF16_DF16_NS_16tensor_operation12element_wise11PassThroughESA_SA_LNS8_6device18GemmSpecializationE0ELi256ELi128ELi128ELi128ELi16ELi16ELi16ELi16ELi4ELi2ENS_8SequenceIJLi8ELi32ELi1EEEENSD_IJLi1ELi0ELi2EEEESF_Li2ELi16ELi16ELb0ELi0ENSD_IJLi4ELi64ELi1EEEESF_SF_Li2ELi16ELi16ELb0ELi0ELi1ELi1ENSD_IJLi1ELi32ELi1ELi8EEEELi4ELNS_26BlockGemmPipelineSchedulerE1ELNS_24BlockGemmPipelineVersionE1ES6_S6_Lb0ELb1ELb0ELi0ELb0EEELb1ELNS_25InMemoryDataOperationEnumE0ELi2ELNS_10TailNumberE2EEEvNT_8ArgumentE,@function
_ZN2ck27kernel_gemm_xdl_cshuffle_v3INS_28GridwiseGemm_xdl_cshuffle_v3INS_13tensor_layout4gemm8RowMajorENS3_11ColumnMajorES4_NS_9f8_fnuz_tENS_7pk_i4_tEfDF16_DF16_NS_16tensor_operation12element_wise11PassThroughESA_SA_LNS8_6device18GemmSpecializationE0ELi256ELi128ELi128ELi128ELi16ELi16ELi16ELi16ELi4ELi2ENS_8SequenceIJLi8ELi32ELi1EEEENSD_IJLi1ELi0ELi2EEEESF_Li2ELi16ELi16ELb0ELi0ENSD_IJLi4ELi64ELi1EEEESF_SF_Li2ELi16ELi16ELb0ELi0ELi1ELi1ENSD_IJLi1ELi32ELi1ELi8EEEELi4ELNS_26BlockGemmPipelineSchedulerE1ELNS_24BlockGemmPipelineVersionE1ES6_S6_Lb0ELb1ELb0ELi0ELb0EEELb1ELNS_25InMemoryDataOperationEnumE0ELi2ELNS_10TailNumberE2EEEvNT_8ArgumentE: ; @_ZN2ck27kernel_gemm_xdl_cshuffle_v3INS_28GridwiseGemm_xdl_cshuffle_v3INS_13tensor_layout4gemm8RowMajorENS3_11ColumnMajorES4_NS_9f8_fnuz_tENS_7pk_i4_tEfDF16_DF16_NS_16tensor_operation12element_wise11PassThroughESA_SA_LNS8_6device18GemmSpecializationE0ELi256ELi128ELi128ELi128ELi16ELi16ELi16ELi16ELi4ELi2ENS_8SequenceIJLi8ELi32ELi1EEEENSD_IJLi1ELi0ELi2EEEESF_Li2ELi16ELi16ELb0ELi0ENSD_IJLi4ELi64ELi1EEEESF_SF_Li2ELi16ELi16ELb0ELi0ELi1ELi1ENSD_IJLi1ELi32ELi1ELi8EEEELi4ELNS_26BlockGemmPipelineSchedulerE1ELNS_24BlockGemmPipelineVersionE1ES6_S6_Lb0ELb1ELb0ELi0ELb0EEELb1ELNS_25InMemoryDataOperationEnumE0ELi2ELNS_10TailNumberE2EEEvNT_8ArgumentE
; %bb.0:
	s_endpgm
	.section	.rodata,"a",@progbits
	.p2align	6, 0x0
	.amdhsa_kernel _ZN2ck27kernel_gemm_xdl_cshuffle_v3INS_28GridwiseGemm_xdl_cshuffle_v3INS_13tensor_layout4gemm8RowMajorENS3_11ColumnMajorES4_NS_9f8_fnuz_tENS_7pk_i4_tEfDF16_DF16_NS_16tensor_operation12element_wise11PassThroughESA_SA_LNS8_6device18GemmSpecializationE0ELi256ELi128ELi128ELi128ELi16ELi16ELi16ELi16ELi4ELi2ENS_8SequenceIJLi8ELi32ELi1EEEENSD_IJLi1ELi0ELi2EEEESF_Li2ELi16ELi16ELb0ELi0ENSD_IJLi4ELi64ELi1EEEESF_SF_Li2ELi16ELi16ELb0ELi0ELi1ELi1ENSD_IJLi1ELi32ELi1ELi8EEEELi4ELNS_26BlockGemmPipelineSchedulerE1ELNS_24BlockGemmPipelineVersionE1ES6_S6_Lb0ELb1ELb0ELi0ELb0EEELb1ELNS_25InMemoryDataOperationEnumE0ELi2ELNS_10TailNumberE2EEEvNT_8ArgumentE
		.amdhsa_group_segment_fixed_size 0
		.amdhsa_private_segment_fixed_size 0
		.amdhsa_kernarg_size 112
		.amdhsa_user_sgpr_count 6
		.amdhsa_user_sgpr_private_segment_buffer 1
		.amdhsa_user_sgpr_dispatch_ptr 0
		.amdhsa_user_sgpr_queue_ptr 0
		.amdhsa_user_sgpr_kernarg_segment_ptr 1
		.amdhsa_user_sgpr_dispatch_id 0
		.amdhsa_user_sgpr_flat_scratch_init 0
		.amdhsa_user_sgpr_kernarg_preload_length 0
		.amdhsa_user_sgpr_kernarg_preload_offset 0
		.amdhsa_user_sgpr_private_segment_size 0
		.amdhsa_uses_dynamic_stack 0
		.amdhsa_system_sgpr_private_segment_wavefront_offset 0
		.amdhsa_system_sgpr_workgroup_id_x 1
		.amdhsa_system_sgpr_workgroup_id_y 0
		.amdhsa_system_sgpr_workgroup_id_z 0
		.amdhsa_system_sgpr_workgroup_info 0
		.amdhsa_system_vgpr_workitem_id 0
		.amdhsa_next_free_vgpr 1
		.amdhsa_next_free_sgpr 0
		.amdhsa_accum_offset 4
		.amdhsa_reserve_vcc 0
		.amdhsa_reserve_flat_scratch 0
		.amdhsa_float_round_mode_32 0
		.amdhsa_float_round_mode_16_64 0
		.amdhsa_float_denorm_mode_32 3
		.amdhsa_float_denorm_mode_16_64 3
		.amdhsa_dx10_clamp 1
		.amdhsa_ieee_mode 1
		.amdhsa_fp16_overflow 0
		.amdhsa_tg_split 0
		.amdhsa_exception_fp_ieee_invalid_op 0
		.amdhsa_exception_fp_denorm_src 0
		.amdhsa_exception_fp_ieee_div_zero 0
		.amdhsa_exception_fp_ieee_overflow 0
		.amdhsa_exception_fp_ieee_underflow 0
		.amdhsa_exception_fp_ieee_inexact 0
		.amdhsa_exception_int_div_zero 0
	.end_amdhsa_kernel
	.section	.text._ZN2ck27kernel_gemm_xdl_cshuffle_v3INS_28GridwiseGemm_xdl_cshuffle_v3INS_13tensor_layout4gemm8RowMajorENS3_11ColumnMajorES4_NS_9f8_fnuz_tENS_7pk_i4_tEfDF16_DF16_NS_16tensor_operation12element_wise11PassThroughESA_SA_LNS8_6device18GemmSpecializationE0ELi256ELi128ELi128ELi128ELi16ELi16ELi16ELi16ELi4ELi2ENS_8SequenceIJLi8ELi32ELi1EEEENSD_IJLi1ELi0ELi2EEEESF_Li2ELi16ELi16ELb0ELi0ENSD_IJLi4ELi64ELi1EEEESF_SF_Li2ELi16ELi16ELb0ELi0ELi1ELi1ENSD_IJLi1ELi32ELi1ELi8EEEELi4ELNS_26BlockGemmPipelineSchedulerE1ELNS_24BlockGemmPipelineVersionE1ES6_S6_Lb0ELb1ELb0ELi0ELb0EEELb1ELNS_25InMemoryDataOperationEnumE0ELi2ELNS_10TailNumberE2EEEvNT_8ArgumentE,"axG",@progbits,_ZN2ck27kernel_gemm_xdl_cshuffle_v3INS_28GridwiseGemm_xdl_cshuffle_v3INS_13tensor_layout4gemm8RowMajorENS3_11ColumnMajorES4_NS_9f8_fnuz_tENS_7pk_i4_tEfDF16_DF16_NS_16tensor_operation12element_wise11PassThroughESA_SA_LNS8_6device18GemmSpecializationE0ELi256ELi128ELi128ELi128ELi16ELi16ELi16ELi16ELi4ELi2ENS_8SequenceIJLi8ELi32ELi1EEEENSD_IJLi1ELi0ELi2EEEESF_Li2ELi16ELi16ELb0ELi0ENSD_IJLi4ELi64ELi1EEEESF_SF_Li2ELi16ELi16ELb0ELi0ELi1ELi1ENSD_IJLi1ELi32ELi1ELi8EEEELi4ELNS_26BlockGemmPipelineSchedulerE1ELNS_24BlockGemmPipelineVersionE1ES6_S6_Lb0ELb1ELb0ELi0ELb0EEELb1ELNS_25InMemoryDataOperationEnumE0ELi2ELNS_10TailNumberE2EEEvNT_8ArgumentE,comdat
.Lfunc_end21:
	.size	_ZN2ck27kernel_gemm_xdl_cshuffle_v3INS_28GridwiseGemm_xdl_cshuffle_v3INS_13tensor_layout4gemm8RowMajorENS3_11ColumnMajorES4_NS_9f8_fnuz_tENS_7pk_i4_tEfDF16_DF16_NS_16tensor_operation12element_wise11PassThroughESA_SA_LNS8_6device18GemmSpecializationE0ELi256ELi128ELi128ELi128ELi16ELi16ELi16ELi16ELi4ELi2ENS_8SequenceIJLi8ELi32ELi1EEEENSD_IJLi1ELi0ELi2EEEESF_Li2ELi16ELi16ELb0ELi0ENSD_IJLi4ELi64ELi1EEEESF_SF_Li2ELi16ELi16ELb0ELi0ELi1ELi1ENSD_IJLi1ELi32ELi1ELi8EEEELi4ELNS_26BlockGemmPipelineSchedulerE1ELNS_24BlockGemmPipelineVersionE1ES6_S6_Lb0ELb1ELb0ELi0ELb0EEELb1ELNS_25InMemoryDataOperationEnumE0ELi2ELNS_10TailNumberE2EEEvNT_8ArgumentE, .Lfunc_end21-_ZN2ck27kernel_gemm_xdl_cshuffle_v3INS_28GridwiseGemm_xdl_cshuffle_v3INS_13tensor_layout4gemm8RowMajorENS3_11ColumnMajorES4_NS_9f8_fnuz_tENS_7pk_i4_tEfDF16_DF16_NS_16tensor_operation12element_wise11PassThroughESA_SA_LNS8_6device18GemmSpecializationE0ELi256ELi128ELi128ELi128ELi16ELi16ELi16ELi16ELi4ELi2ENS_8SequenceIJLi8ELi32ELi1EEEENSD_IJLi1ELi0ELi2EEEESF_Li2ELi16ELi16ELb0ELi0ENSD_IJLi4ELi64ELi1EEEESF_SF_Li2ELi16ELi16ELb0ELi0ELi1ELi1ENSD_IJLi1ELi32ELi1ELi8EEEELi4ELNS_26BlockGemmPipelineSchedulerE1ELNS_24BlockGemmPipelineVersionE1ES6_S6_Lb0ELb1ELb0ELi0ELb0EEELb1ELNS_25InMemoryDataOperationEnumE0ELi2ELNS_10TailNumberE2EEEvNT_8ArgumentE
                                        ; -- End function
	.section	.AMDGPU.csdata,"",@progbits
; Kernel info:
; codeLenInByte = 4
; NumSgprs: 4
; NumVgprs: 0
; NumAgprs: 0
; TotalNumVgprs: 0
; ScratchSize: 0
; MemoryBound: 0
; FloatMode: 240
; IeeeMode: 1
; LDSByteSize: 0 bytes/workgroup (compile time only)
; SGPRBlocks: 0
; VGPRBlocks: 0
; NumSGPRsForWavesPerEU: 4
; NumVGPRsForWavesPerEU: 1
; AccumOffset: 4
; Occupancy: 8
; WaveLimiterHint : 0
; COMPUTE_PGM_RSRC2:SCRATCH_EN: 0
; COMPUTE_PGM_RSRC2:USER_SGPR: 6
; COMPUTE_PGM_RSRC2:TRAP_HANDLER: 0
; COMPUTE_PGM_RSRC2:TGID_X_EN: 1
; COMPUTE_PGM_RSRC2:TGID_Y_EN: 0
; COMPUTE_PGM_RSRC2:TGID_Z_EN: 0
; COMPUTE_PGM_RSRC2:TIDIG_COMP_CNT: 0
; COMPUTE_PGM_RSRC3_GFX90A:ACCUM_OFFSET: 0
; COMPUTE_PGM_RSRC3_GFX90A:TG_SPLIT: 0
	.section	.text._ZN2ck27kernel_gemm_xdl_cshuffle_v3INS_28GridwiseGemm_xdl_cshuffle_v3INS_13tensor_layout4gemm8RowMajorENS3_11ColumnMajorES4_NS_9f8_fnuz_tENS_7pk_i4_tEfDF16_DF16_NS_16tensor_operation12element_wise11PassThroughESA_SA_LNS8_6device18GemmSpecializationE0ELi256ELi128ELi128ELi128ELi16ELi16ELi16ELi16ELi4ELi2ENS_8SequenceIJLi8ELi32ELi1EEEENSD_IJLi1ELi0ELi2EEEESF_Li2ELi16ELi16ELb0ELi0ENSD_IJLi4ELi64ELi1EEEESF_SF_Li2ELi16ELi16ELb0ELi0ELi1ELi1ENSD_IJLi1ELi32ELi1ELi8EEEELi4ELNS_26BlockGemmPipelineSchedulerE1ELNS_24BlockGemmPipelineVersionE1ES6_S6_Lb0ELb1ELb0ELi0ELb0EEELb1ELNS_25InMemoryDataOperationEnumE0ELi2ELNS_10TailNumberE10EEEvNT_8ArgumentE,"axG",@progbits,_ZN2ck27kernel_gemm_xdl_cshuffle_v3INS_28GridwiseGemm_xdl_cshuffle_v3INS_13tensor_layout4gemm8RowMajorENS3_11ColumnMajorES4_NS_9f8_fnuz_tENS_7pk_i4_tEfDF16_DF16_NS_16tensor_operation12element_wise11PassThroughESA_SA_LNS8_6device18GemmSpecializationE0ELi256ELi128ELi128ELi128ELi16ELi16ELi16ELi16ELi4ELi2ENS_8SequenceIJLi8ELi32ELi1EEEENSD_IJLi1ELi0ELi2EEEESF_Li2ELi16ELi16ELb0ELi0ENSD_IJLi4ELi64ELi1EEEESF_SF_Li2ELi16ELi16ELb0ELi0ELi1ELi1ENSD_IJLi1ELi32ELi1ELi8EEEELi4ELNS_26BlockGemmPipelineSchedulerE1ELNS_24BlockGemmPipelineVersionE1ES6_S6_Lb0ELb1ELb0ELi0ELb0EEELb1ELNS_25InMemoryDataOperationEnumE0ELi2ELNS_10TailNumberE10EEEvNT_8ArgumentE,comdat
	.protected	_ZN2ck27kernel_gemm_xdl_cshuffle_v3INS_28GridwiseGemm_xdl_cshuffle_v3INS_13tensor_layout4gemm8RowMajorENS3_11ColumnMajorES4_NS_9f8_fnuz_tENS_7pk_i4_tEfDF16_DF16_NS_16tensor_operation12element_wise11PassThroughESA_SA_LNS8_6device18GemmSpecializationE0ELi256ELi128ELi128ELi128ELi16ELi16ELi16ELi16ELi4ELi2ENS_8SequenceIJLi8ELi32ELi1EEEENSD_IJLi1ELi0ELi2EEEESF_Li2ELi16ELi16ELb0ELi0ENSD_IJLi4ELi64ELi1EEEESF_SF_Li2ELi16ELi16ELb0ELi0ELi1ELi1ENSD_IJLi1ELi32ELi1ELi8EEEELi4ELNS_26BlockGemmPipelineSchedulerE1ELNS_24BlockGemmPipelineVersionE1ES6_S6_Lb0ELb1ELb0ELi0ELb0EEELb1ELNS_25InMemoryDataOperationEnumE0ELi2ELNS_10TailNumberE10EEEvNT_8ArgumentE ; -- Begin function _ZN2ck27kernel_gemm_xdl_cshuffle_v3INS_28GridwiseGemm_xdl_cshuffle_v3INS_13tensor_layout4gemm8RowMajorENS3_11ColumnMajorES4_NS_9f8_fnuz_tENS_7pk_i4_tEfDF16_DF16_NS_16tensor_operation12element_wise11PassThroughESA_SA_LNS8_6device18GemmSpecializationE0ELi256ELi128ELi128ELi128ELi16ELi16ELi16ELi16ELi4ELi2ENS_8SequenceIJLi8ELi32ELi1EEEENSD_IJLi1ELi0ELi2EEEESF_Li2ELi16ELi16ELb0ELi0ENSD_IJLi4ELi64ELi1EEEESF_SF_Li2ELi16ELi16ELb0ELi0ELi1ELi1ENSD_IJLi1ELi32ELi1ELi8EEEELi4ELNS_26BlockGemmPipelineSchedulerE1ELNS_24BlockGemmPipelineVersionE1ES6_S6_Lb0ELb1ELb0ELi0ELb0EEELb1ELNS_25InMemoryDataOperationEnumE0ELi2ELNS_10TailNumberE10EEEvNT_8ArgumentE
	.globl	_ZN2ck27kernel_gemm_xdl_cshuffle_v3INS_28GridwiseGemm_xdl_cshuffle_v3INS_13tensor_layout4gemm8RowMajorENS3_11ColumnMajorES4_NS_9f8_fnuz_tENS_7pk_i4_tEfDF16_DF16_NS_16tensor_operation12element_wise11PassThroughESA_SA_LNS8_6device18GemmSpecializationE0ELi256ELi128ELi128ELi128ELi16ELi16ELi16ELi16ELi4ELi2ENS_8SequenceIJLi8ELi32ELi1EEEENSD_IJLi1ELi0ELi2EEEESF_Li2ELi16ELi16ELb0ELi0ENSD_IJLi4ELi64ELi1EEEESF_SF_Li2ELi16ELi16ELb0ELi0ELi1ELi1ENSD_IJLi1ELi32ELi1ELi8EEEELi4ELNS_26BlockGemmPipelineSchedulerE1ELNS_24BlockGemmPipelineVersionE1ES6_S6_Lb0ELb1ELb0ELi0ELb0EEELb1ELNS_25InMemoryDataOperationEnumE0ELi2ELNS_10TailNumberE10EEEvNT_8ArgumentE
	.p2align	8
	.type	_ZN2ck27kernel_gemm_xdl_cshuffle_v3INS_28GridwiseGemm_xdl_cshuffle_v3INS_13tensor_layout4gemm8RowMajorENS3_11ColumnMajorES4_NS_9f8_fnuz_tENS_7pk_i4_tEfDF16_DF16_NS_16tensor_operation12element_wise11PassThroughESA_SA_LNS8_6device18GemmSpecializationE0ELi256ELi128ELi128ELi128ELi16ELi16ELi16ELi16ELi4ELi2ENS_8SequenceIJLi8ELi32ELi1EEEENSD_IJLi1ELi0ELi2EEEESF_Li2ELi16ELi16ELb0ELi0ENSD_IJLi4ELi64ELi1EEEESF_SF_Li2ELi16ELi16ELb0ELi0ELi1ELi1ENSD_IJLi1ELi32ELi1ELi8EEEELi4ELNS_26BlockGemmPipelineSchedulerE1ELNS_24BlockGemmPipelineVersionE1ES6_S6_Lb0ELb1ELb0ELi0ELb0EEELb1ELNS_25InMemoryDataOperationEnumE0ELi2ELNS_10TailNumberE10EEEvNT_8ArgumentE,@function
_ZN2ck27kernel_gemm_xdl_cshuffle_v3INS_28GridwiseGemm_xdl_cshuffle_v3INS_13tensor_layout4gemm8RowMajorENS3_11ColumnMajorES4_NS_9f8_fnuz_tENS_7pk_i4_tEfDF16_DF16_NS_16tensor_operation12element_wise11PassThroughESA_SA_LNS8_6device18GemmSpecializationE0ELi256ELi128ELi128ELi128ELi16ELi16ELi16ELi16ELi4ELi2ENS_8SequenceIJLi8ELi32ELi1EEEENSD_IJLi1ELi0ELi2EEEESF_Li2ELi16ELi16ELb0ELi0ENSD_IJLi4ELi64ELi1EEEESF_SF_Li2ELi16ELi16ELb0ELi0ELi1ELi1ENSD_IJLi1ELi32ELi1ELi8EEEELi4ELNS_26BlockGemmPipelineSchedulerE1ELNS_24BlockGemmPipelineVersionE1ES6_S6_Lb0ELb1ELb0ELi0ELb0EEELb1ELNS_25InMemoryDataOperationEnumE0ELi2ELNS_10TailNumberE10EEEvNT_8ArgumentE: ; @_ZN2ck27kernel_gemm_xdl_cshuffle_v3INS_28GridwiseGemm_xdl_cshuffle_v3INS_13tensor_layout4gemm8RowMajorENS3_11ColumnMajorES4_NS_9f8_fnuz_tENS_7pk_i4_tEfDF16_DF16_NS_16tensor_operation12element_wise11PassThroughESA_SA_LNS8_6device18GemmSpecializationE0ELi256ELi128ELi128ELi128ELi16ELi16ELi16ELi16ELi4ELi2ENS_8SequenceIJLi8ELi32ELi1EEEENSD_IJLi1ELi0ELi2EEEESF_Li2ELi16ELi16ELb0ELi0ENSD_IJLi4ELi64ELi1EEEESF_SF_Li2ELi16ELi16ELb0ELi0ELi1ELi1ENSD_IJLi1ELi32ELi1ELi8EEEELi4ELNS_26BlockGemmPipelineSchedulerE1ELNS_24BlockGemmPipelineVersionE1ES6_S6_Lb0ELb1ELb0ELi0ELb0EEELb1ELNS_25InMemoryDataOperationEnumE0ELi2ELNS_10TailNumberE10EEEvNT_8ArgumentE
; %bb.0:
	s_endpgm
	.section	.rodata,"a",@progbits
	.p2align	6, 0x0
	.amdhsa_kernel _ZN2ck27kernel_gemm_xdl_cshuffle_v3INS_28GridwiseGemm_xdl_cshuffle_v3INS_13tensor_layout4gemm8RowMajorENS3_11ColumnMajorES4_NS_9f8_fnuz_tENS_7pk_i4_tEfDF16_DF16_NS_16tensor_operation12element_wise11PassThroughESA_SA_LNS8_6device18GemmSpecializationE0ELi256ELi128ELi128ELi128ELi16ELi16ELi16ELi16ELi4ELi2ENS_8SequenceIJLi8ELi32ELi1EEEENSD_IJLi1ELi0ELi2EEEESF_Li2ELi16ELi16ELb0ELi0ENSD_IJLi4ELi64ELi1EEEESF_SF_Li2ELi16ELi16ELb0ELi0ELi1ELi1ENSD_IJLi1ELi32ELi1ELi8EEEELi4ELNS_26BlockGemmPipelineSchedulerE1ELNS_24BlockGemmPipelineVersionE1ES6_S6_Lb0ELb1ELb0ELi0ELb0EEELb1ELNS_25InMemoryDataOperationEnumE0ELi2ELNS_10TailNumberE10EEEvNT_8ArgumentE
		.amdhsa_group_segment_fixed_size 0
		.amdhsa_private_segment_fixed_size 0
		.amdhsa_kernarg_size 112
		.amdhsa_user_sgpr_count 6
		.amdhsa_user_sgpr_private_segment_buffer 1
		.amdhsa_user_sgpr_dispatch_ptr 0
		.amdhsa_user_sgpr_queue_ptr 0
		.amdhsa_user_sgpr_kernarg_segment_ptr 1
		.amdhsa_user_sgpr_dispatch_id 0
		.amdhsa_user_sgpr_flat_scratch_init 0
		.amdhsa_user_sgpr_kernarg_preload_length 0
		.amdhsa_user_sgpr_kernarg_preload_offset 0
		.amdhsa_user_sgpr_private_segment_size 0
		.amdhsa_uses_dynamic_stack 0
		.amdhsa_system_sgpr_private_segment_wavefront_offset 0
		.amdhsa_system_sgpr_workgroup_id_x 1
		.amdhsa_system_sgpr_workgroup_id_y 0
		.amdhsa_system_sgpr_workgroup_id_z 0
		.amdhsa_system_sgpr_workgroup_info 0
		.amdhsa_system_vgpr_workitem_id 0
		.amdhsa_next_free_vgpr 1
		.amdhsa_next_free_sgpr 0
		.amdhsa_accum_offset 4
		.amdhsa_reserve_vcc 0
		.amdhsa_reserve_flat_scratch 0
		.amdhsa_float_round_mode_32 0
		.amdhsa_float_round_mode_16_64 0
		.amdhsa_float_denorm_mode_32 3
		.amdhsa_float_denorm_mode_16_64 3
		.amdhsa_dx10_clamp 1
		.amdhsa_ieee_mode 1
		.amdhsa_fp16_overflow 0
		.amdhsa_tg_split 0
		.amdhsa_exception_fp_ieee_invalid_op 0
		.amdhsa_exception_fp_denorm_src 0
		.amdhsa_exception_fp_ieee_div_zero 0
		.amdhsa_exception_fp_ieee_overflow 0
		.amdhsa_exception_fp_ieee_underflow 0
		.amdhsa_exception_fp_ieee_inexact 0
		.amdhsa_exception_int_div_zero 0
	.end_amdhsa_kernel
	.section	.text._ZN2ck27kernel_gemm_xdl_cshuffle_v3INS_28GridwiseGemm_xdl_cshuffle_v3INS_13tensor_layout4gemm8RowMajorENS3_11ColumnMajorES4_NS_9f8_fnuz_tENS_7pk_i4_tEfDF16_DF16_NS_16tensor_operation12element_wise11PassThroughESA_SA_LNS8_6device18GemmSpecializationE0ELi256ELi128ELi128ELi128ELi16ELi16ELi16ELi16ELi4ELi2ENS_8SequenceIJLi8ELi32ELi1EEEENSD_IJLi1ELi0ELi2EEEESF_Li2ELi16ELi16ELb0ELi0ENSD_IJLi4ELi64ELi1EEEESF_SF_Li2ELi16ELi16ELb0ELi0ELi1ELi1ENSD_IJLi1ELi32ELi1ELi8EEEELi4ELNS_26BlockGemmPipelineSchedulerE1ELNS_24BlockGemmPipelineVersionE1ES6_S6_Lb0ELb1ELb0ELi0ELb0EEELb1ELNS_25InMemoryDataOperationEnumE0ELi2ELNS_10TailNumberE10EEEvNT_8ArgumentE,"axG",@progbits,_ZN2ck27kernel_gemm_xdl_cshuffle_v3INS_28GridwiseGemm_xdl_cshuffle_v3INS_13tensor_layout4gemm8RowMajorENS3_11ColumnMajorES4_NS_9f8_fnuz_tENS_7pk_i4_tEfDF16_DF16_NS_16tensor_operation12element_wise11PassThroughESA_SA_LNS8_6device18GemmSpecializationE0ELi256ELi128ELi128ELi128ELi16ELi16ELi16ELi16ELi4ELi2ENS_8SequenceIJLi8ELi32ELi1EEEENSD_IJLi1ELi0ELi2EEEESF_Li2ELi16ELi16ELb0ELi0ENSD_IJLi4ELi64ELi1EEEESF_SF_Li2ELi16ELi16ELb0ELi0ELi1ELi1ENSD_IJLi1ELi32ELi1ELi8EEEELi4ELNS_26BlockGemmPipelineSchedulerE1ELNS_24BlockGemmPipelineVersionE1ES6_S6_Lb0ELb1ELb0ELi0ELb0EEELb1ELNS_25InMemoryDataOperationEnumE0ELi2ELNS_10TailNumberE10EEEvNT_8ArgumentE,comdat
.Lfunc_end22:
	.size	_ZN2ck27kernel_gemm_xdl_cshuffle_v3INS_28GridwiseGemm_xdl_cshuffle_v3INS_13tensor_layout4gemm8RowMajorENS3_11ColumnMajorES4_NS_9f8_fnuz_tENS_7pk_i4_tEfDF16_DF16_NS_16tensor_operation12element_wise11PassThroughESA_SA_LNS8_6device18GemmSpecializationE0ELi256ELi128ELi128ELi128ELi16ELi16ELi16ELi16ELi4ELi2ENS_8SequenceIJLi8ELi32ELi1EEEENSD_IJLi1ELi0ELi2EEEESF_Li2ELi16ELi16ELb0ELi0ENSD_IJLi4ELi64ELi1EEEESF_SF_Li2ELi16ELi16ELb0ELi0ELi1ELi1ENSD_IJLi1ELi32ELi1ELi8EEEELi4ELNS_26BlockGemmPipelineSchedulerE1ELNS_24BlockGemmPipelineVersionE1ES6_S6_Lb0ELb1ELb0ELi0ELb0EEELb1ELNS_25InMemoryDataOperationEnumE0ELi2ELNS_10TailNumberE10EEEvNT_8ArgumentE, .Lfunc_end22-_ZN2ck27kernel_gemm_xdl_cshuffle_v3INS_28GridwiseGemm_xdl_cshuffle_v3INS_13tensor_layout4gemm8RowMajorENS3_11ColumnMajorES4_NS_9f8_fnuz_tENS_7pk_i4_tEfDF16_DF16_NS_16tensor_operation12element_wise11PassThroughESA_SA_LNS8_6device18GemmSpecializationE0ELi256ELi128ELi128ELi128ELi16ELi16ELi16ELi16ELi4ELi2ENS_8SequenceIJLi8ELi32ELi1EEEENSD_IJLi1ELi0ELi2EEEESF_Li2ELi16ELi16ELb0ELi0ENSD_IJLi4ELi64ELi1EEEESF_SF_Li2ELi16ELi16ELb0ELi0ELi1ELi1ENSD_IJLi1ELi32ELi1ELi8EEEELi4ELNS_26BlockGemmPipelineSchedulerE1ELNS_24BlockGemmPipelineVersionE1ES6_S6_Lb0ELb1ELb0ELi0ELb0EEELb1ELNS_25InMemoryDataOperationEnumE0ELi2ELNS_10TailNumberE10EEEvNT_8ArgumentE
                                        ; -- End function
	.section	.AMDGPU.csdata,"",@progbits
; Kernel info:
; codeLenInByte = 4
; NumSgprs: 4
; NumVgprs: 0
; NumAgprs: 0
; TotalNumVgprs: 0
; ScratchSize: 0
; MemoryBound: 0
; FloatMode: 240
; IeeeMode: 1
; LDSByteSize: 0 bytes/workgroup (compile time only)
; SGPRBlocks: 0
; VGPRBlocks: 0
; NumSGPRsForWavesPerEU: 4
; NumVGPRsForWavesPerEU: 1
; AccumOffset: 4
; Occupancy: 8
; WaveLimiterHint : 0
; COMPUTE_PGM_RSRC2:SCRATCH_EN: 0
; COMPUTE_PGM_RSRC2:USER_SGPR: 6
; COMPUTE_PGM_RSRC2:TRAP_HANDLER: 0
; COMPUTE_PGM_RSRC2:TGID_X_EN: 1
; COMPUTE_PGM_RSRC2:TGID_Y_EN: 0
; COMPUTE_PGM_RSRC2:TGID_Z_EN: 0
; COMPUTE_PGM_RSRC2:TIDIG_COMP_CNT: 0
; COMPUTE_PGM_RSRC3_GFX90A:ACCUM_OFFSET: 0
; COMPUTE_PGM_RSRC3_GFX90A:TG_SPLIT: 0
	.text
	.p2alignl 6, 3212836864
	.fill 256, 4, 3212836864
	.type	__hip_cuid_119fa5b8be2e5dc0,@object ; @__hip_cuid_119fa5b8be2e5dc0
	.section	.bss,"aw",@nobits
	.globl	__hip_cuid_119fa5b8be2e5dc0
__hip_cuid_119fa5b8be2e5dc0:
	.byte	0                               ; 0x0
	.size	__hip_cuid_119fa5b8be2e5dc0, 1

	.ident	"AMD clang version 19.0.0git (https://github.com/RadeonOpenCompute/llvm-project roc-6.4.0 25133 c7fe45cf4b819c5991fe208aaa96edf142730f1d)"
	.section	".note.GNU-stack","",@progbits
	.addrsig
	.addrsig_sym __hip_cuid_119fa5b8be2e5dc0
	.amdgpu_metadata
---
amdhsa.kernels:
  - .agpr_count:     0
    .args:           []
    .group_segment_fixed_size: 0
    .kernarg_segment_align: 4
    .kernarg_segment_size: 0
    .language:       OpenCL C
    .language_version:
      - 2
      - 0
    .max_flat_workgroup_size: 1024
    .name:           _ZN2ckL12flush_icacheEv
    .private_segment_fixed_size: 0
    .sgpr_count:     4
    .sgpr_spill_count: 0
    .symbol:         _ZN2ckL12flush_icacheEv.kd
    .uniform_work_group_size: 1
    .uses_dynamic_stack: false
    .vgpr_count:     0
    .vgpr_spill_count: 0
    .wavefront_size: 64
  - .agpr_count:     4
    .args:
      - .offset:         0
        .size:           112
        .value_kind:     by_value
    .group_segment_fixed_size: 24576
    .kernarg_segment_align: 8
    .kernarg_segment_size: 112
    .language:       OpenCL C
    .language_version:
      - 2
      - 0
    .max_flat_workgroup_size: 256
    .name:           _ZN2ck27kernel_gemm_xdl_cshuffle_v3INS_28GridwiseGemm_xdl_cshuffle_v3INS_13tensor_layout4gemm8RowMajorENS3_11ColumnMajorES4_NS_9f8_fnuz_tENS_7pk_i4_tEfDF16_DF16_NS_16tensor_operation12element_wise11PassThroughESA_SA_LNS8_6device18GemmSpecializationE0ELi256ELi128ELi128ELi128ELi16ELi16ELi16ELi16ELi4ELi4ENS_8SequenceIJLi8ELi32ELi1EEEENSD_IJLi1ELi0ELi2EEEESF_Li2ELi16ELi16ELb0ELi0ENSD_IJLi4ELi64ELi1EEEESF_SF_Li2ELi16ELi16ELb0ELi0ELi1ELi1ENSD_IJLi1ELi32ELi1ELi8EEEELi4ELNS_26BlockGemmPipelineSchedulerE1ELNS_24BlockGemmPipelineVersionE1ES6_S6_Lb0ELb1ELb0ELi0ELb0EEELb1ELNS_25InMemoryDataOperationEnumE1ELi2ELNS_10TailNumberE2EEEvNT_8ArgumentE
    .private_segment_fixed_size: 576
    .sgpr_count:     55
    .sgpr_spill_count: 0
    .symbol:         _ZN2ck27kernel_gemm_xdl_cshuffle_v3INS_28GridwiseGemm_xdl_cshuffle_v3INS_13tensor_layout4gemm8RowMajorENS3_11ColumnMajorES4_NS_9f8_fnuz_tENS_7pk_i4_tEfDF16_DF16_NS_16tensor_operation12element_wise11PassThroughESA_SA_LNS8_6device18GemmSpecializationE0ELi256ELi128ELi128ELi128ELi16ELi16ELi16ELi16ELi4ELi4ENS_8SequenceIJLi8ELi32ELi1EEEENSD_IJLi1ELi0ELi2EEEESF_Li2ELi16ELi16ELb0ELi0ENSD_IJLi4ELi64ELi1EEEESF_SF_Li2ELi16ELi16ELb0ELi0ELi1ELi1ENSD_IJLi1ELi32ELi1ELi8EEEELi4ELNS_26BlockGemmPipelineSchedulerE1ELNS_24BlockGemmPipelineVersionE1ES6_S6_Lb0ELb1ELb0ELi0ELb0EEELb1ELNS_25InMemoryDataOperationEnumE1ELi2ELNS_10TailNumberE2EEEvNT_8ArgumentE.kd
    .uniform_work_group_size: 1
    .uses_dynamic_stack: false
    .vgpr_count:     120
    .vgpr_spill_count: 0
    .wavefront_size: 64
  - .agpr_count:     4
    .args:
      - .offset:         0
        .size:           112
        .value_kind:     by_value
    .group_segment_fixed_size: 24576
    .kernarg_segment_align: 8
    .kernarg_segment_size: 112
    .language:       OpenCL C
    .language_version:
      - 2
      - 0
    .max_flat_workgroup_size: 256
    .name:           _ZN2ck27kernel_gemm_xdl_cshuffle_v3INS_28GridwiseGemm_xdl_cshuffle_v3INS_13tensor_layout4gemm8RowMajorENS3_11ColumnMajorES4_NS_9f8_fnuz_tENS_7pk_i4_tEfDF16_DF16_NS_16tensor_operation12element_wise11PassThroughESA_SA_LNS8_6device18GemmSpecializationE0ELi256ELi128ELi128ELi128ELi16ELi16ELi16ELi16ELi4ELi4ENS_8SequenceIJLi8ELi32ELi1EEEENSD_IJLi1ELi0ELi2EEEESF_Li2ELi16ELi16ELb0ELi0ENSD_IJLi4ELi64ELi1EEEESF_SF_Li2ELi16ELi16ELb0ELi0ELi1ELi1ENSD_IJLi1ELi32ELi1ELi8EEEELi4ELNS_26BlockGemmPipelineSchedulerE1ELNS_24BlockGemmPipelineVersionE1ES6_S6_Lb0ELb1ELb0ELi0ELb0EEELb1ELNS_25InMemoryDataOperationEnumE1ELi2ELNS_10TailNumberE10EEEvNT_8ArgumentE
    .private_segment_fixed_size: 576
    .sgpr_count:     55
    .sgpr_spill_count: 0
    .symbol:         _ZN2ck27kernel_gemm_xdl_cshuffle_v3INS_28GridwiseGemm_xdl_cshuffle_v3INS_13tensor_layout4gemm8RowMajorENS3_11ColumnMajorES4_NS_9f8_fnuz_tENS_7pk_i4_tEfDF16_DF16_NS_16tensor_operation12element_wise11PassThroughESA_SA_LNS8_6device18GemmSpecializationE0ELi256ELi128ELi128ELi128ELi16ELi16ELi16ELi16ELi4ELi4ENS_8SequenceIJLi8ELi32ELi1EEEENSD_IJLi1ELi0ELi2EEEESF_Li2ELi16ELi16ELb0ELi0ENSD_IJLi4ELi64ELi1EEEESF_SF_Li2ELi16ELi16ELb0ELi0ELi1ELi1ENSD_IJLi1ELi32ELi1ELi8EEEELi4ELNS_26BlockGemmPipelineSchedulerE1ELNS_24BlockGemmPipelineVersionE1ES6_S6_Lb0ELb1ELb0ELi0ELb0EEELb1ELNS_25InMemoryDataOperationEnumE1ELi2ELNS_10TailNumberE10EEEvNT_8ArgumentE.kd
    .uniform_work_group_size: 1
    .uses_dynamic_stack: false
    .vgpr_count:     124
    .vgpr_spill_count: 0
    .wavefront_size: 64
  - .agpr_count:     4
    .args:
      - .offset:         0
        .size:           112
        .value_kind:     by_value
    .group_segment_fixed_size: 24576
    .kernarg_segment_align: 8
    .kernarg_segment_size: 112
    .language:       OpenCL C
    .language_version:
      - 2
      - 0
    .max_flat_workgroup_size: 256
    .name:           _ZN2ck27kernel_gemm_xdl_cshuffle_v3INS_28GridwiseGemm_xdl_cshuffle_v3INS_13tensor_layout4gemm8RowMajorENS3_11ColumnMajorES4_NS_9f8_fnuz_tENS_7pk_i4_tEfDF16_DF16_NS_16tensor_operation12element_wise11PassThroughESA_SA_LNS8_6device18GemmSpecializationE0ELi256ELi128ELi128ELi128ELi16ELi16ELi16ELi16ELi4ELi4ENS_8SequenceIJLi8ELi32ELi1EEEENSD_IJLi1ELi0ELi2EEEESF_Li2ELi16ELi16ELb0ELi0ENSD_IJLi4ELi64ELi1EEEESF_SF_Li2ELi16ELi16ELb0ELi0ELi1ELi1ENSD_IJLi1ELi32ELi1ELi8EEEELi4ELNS_26BlockGemmPipelineSchedulerE1ELNS_24BlockGemmPipelineVersionE1ES6_S6_Lb0ELb1ELb0ELi0ELb0EEELb1ELNS_25InMemoryDataOperationEnumE0ELi2ELNS_10TailNumberE2EEEvNT_8ArgumentE
    .private_segment_fixed_size: 576
    .sgpr_count:     55
    .sgpr_spill_count: 0
    .symbol:         _ZN2ck27kernel_gemm_xdl_cshuffle_v3INS_28GridwiseGemm_xdl_cshuffle_v3INS_13tensor_layout4gemm8RowMajorENS3_11ColumnMajorES4_NS_9f8_fnuz_tENS_7pk_i4_tEfDF16_DF16_NS_16tensor_operation12element_wise11PassThroughESA_SA_LNS8_6device18GemmSpecializationE0ELi256ELi128ELi128ELi128ELi16ELi16ELi16ELi16ELi4ELi4ENS_8SequenceIJLi8ELi32ELi1EEEENSD_IJLi1ELi0ELi2EEEESF_Li2ELi16ELi16ELb0ELi0ENSD_IJLi4ELi64ELi1EEEESF_SF_Li2ELi16ELi16ELb0ELi0ELi1ELi1ENSD_IJLi1ELi32ELi1ELi8EEEELi4ELNS_26BlockGemmPipelineSchedulerE1ELNS_24BlockGemmPipelineVersionE1ES6_S6_Lb0ELb1ELb0ELi0ELb0EEELb1ELNS_25InMemoryDataOperationEnumE0ELi2ELNS_10TailNumberE2EEEvNT_8ArgumentE.kd
    .uniform_work_group_size: 1
    .uses_dynamic_stack: false
    .vgpr_count:     120
    .vgpr_spill_count: 0
    .wavefront_size: 64
  - .agpr_count:     4
    .args:
      - .offset:         0
        .size:           112
        .value_kind:     by_value
    .group_segment_fixed_size: 24576
    .kernarg_segment_align: 8
    .kernarg_segment_size: 112
    .language:       OpenCL C
    .language_version:
      - 2
      - 0
    .max_flat_workgroup_size: 256
    .name:           _ZN2ck27kernel_gemm_xdl_cshuffle_v3INS_28GridwiseGemm_xdl_cshuffle_v3INS_13tensor_layout4gemm8RowMajorENS3_11ColumnMajorES4_NS_9f8_fnuz_tENS_7pk_i4_tEfDF16_DF16_NS_16tensor_operation12element_wise11PassThroughESA_SA_LNS8_6device18GemmSpecializationE0ELi256ELi128ELi128ELi128ELi16ELi16ELi16ELi16ELi4ELi4ENS_8SequenceIJLi8ELi32ELi1EEEENSD_IJLi1ELi0ELi2EEEESF_Li2ELi16ELi16ELb0ELi0ENSD_IJLi4ELi64ELi1EEEESF_SF_Li2ELi16ELi16ELb0ELi0ELi1ELi1ENSD_IJLi1ELi32ELi1ELi8EEEELi4ELNS_26BlockGemmPipelineSchedulerE1ELNS_24BlockGemmPipelineVersionE1ES6_S6_Lb0ELb1ELb0ELi0ELb0EEELb1ELNS_25InMemoryDataOperationEnumE0ELi2ELNS_10TailNumberE10EEEvNT_8ArgumentE
    .private_segment_fixed_size: 576
    .sgpr_count:     55
    .sgpr_spill_count: 0
    .symbol:         _ZN2ck27kernel_gemm_xdl_cshuffle_v3INS_28GridwiseGemm_xdl_cshuffle_v3INS_13tensor_layout4gemm8RowMajorENS3_11ColumnMajorES4_NS_9f8_fnuz_tENS_7pk_i4_tEfDF16_DF16_NS_16tensor_operation12element_wise11PassThroughESA_SA_LNS8_6device18GemmSpecializationE0ELi256ELi128ELi128ELi128ELi16ELi16ELi16ELi16ELi4ELi4ENS_8SequenceIJLi8ELi32ELi1EEEENSD_IJLi1ELi0ELi2EEEESF_Li2ELi16ELi16ELb0ELi0ENSD_IJLi4ELi64ELi1EEEESF_SF_Li2ELi16ELi16ELb0ELi0ELi1ELi1ENSD_IJLi1ELi32ELi1ELi8EEEELi4ELNS_26BlockGemmPipelineSchedulerE1ELNS_24BlockGemmPipelineVersionE1ES6_S6_Lb0ELb1ELb0ELi0ELb0EEELb1ELNS_25InMemoryDataOperationEnumE0ELi2ELNS_10TailNumberE10EEEvNT_8ArgumentE.kd
    .uniform_work_group_size: 1
    .uses_dynamic_stack: false
    .vgpr_count:     124
    .vgpr_spill_count: 0
    .wavefront_size: 64
  - .agpr_count:     0
    .args:
      - .offset:         0
        .size:           112
        .value_kind:     by_value
    .group_segment_fixed_size: 0
    .kernarg_segment_align: 8
    .kernarg_segment_size: 112
    .language:       OpenCL C
    .language_version:
      - 2
      - 0
    .max_flat_workgroup_size: 256
    .name:           _ZN2ck27kernel_gemm_xdl_cshuffle_v3INS_28GridwiseGemm_xdl_cshuffle_v3INS_13tensor_layout4gemm8RowMajorENS3_11ColumnMajorES4_NS_9f8_fnuz_tENS_7pk_i4_tEfDF16_DF16_NS_16tensor_operation12element_wise11PassThroughESA_SA_LNS8_6device18GemmSpecializationE0ELi256ELi128ELi128ELi128ELi16ELi16ELi16ELi16ELi4ELi2ENS_8SequenceIJLi8ELi32ELi1EEEENSD_IJLi1ELi0ELi2EEEESF_Li2ELi16ELi16ELb0ELi0ENSD_IJLi4ELi64ELi1EEEESF_SF_Li2ELi16ELi16ELb0ELi0ELi1ELi1ENSD_IJLi1ELi32ELi1ELi8EEEELi4ELNS_26BlockGemmPipelineSchedulerE1ELNS_24BlockGemmPipelineVersionE1ES6_S6_Lb0ELb1ELb0ELi0ELb0EEELb1ELNS_25InMemoryDataOperationEnumE1ELi2ELNS_10TailNumberE2EEEvNT_8ArgumentE
    .private_segment_fixed_size: 0
    .sgpr_count:     4
    .sgpr_spill_count: 0
    .symbol:         _ZN2ck27kernel_gemm_xdl_cshuffle_v3INS_28GridwiseGemm_xdl_cshuffle_v3INS_13tensor_layout4gemm8RowMajorENS3_11ColumnMajorES4_NS_9f8_fnuz_tENS_7pk_i4_tEfDF16_DF16_NS_16tensor_operation12element_wise11PassThroughESA_SA_LNS8_6device18GemmSpecializationE0ELi256ELi128ELi128ELi128ELi16ELi16ELi16ELi16ELi4ELi2ENS_8SequenceIJLi8ELi32ELi1EEEENSD_IJLi1ELi0ELi2EEEESF_Li2ELi16ELi16ELb0ELi0ENSD_IJLi4ELi64ELi1EEEESF_SF_Li2ELi16ELi16ELb0ELi0ELi1ELi1ENSD_IJLi1ELi32ELi1ELi8EEEELi4ELNS_26BlockGemmPipelineSchedulerE1ELNS_24BlockGemmPipelineVersionE1ES6_S6_Lb0ELb1ELb0ELi0ELb0EEELb1ELNS_25InMemoryDataOperationEnumE1ELi2ELNS_10TailNumberE2EEEvNT_8ArgumentE.kd
    .uniform_work_group_size: 1
    .uses_dynamic_stack: false
    .vgpr_count:     0
    .vgpr_spill_count: 0
    .wavefront_size: 64
  - .agpr_count:     0
    .args:
      - .offset:         0
        .size:           112
        .value_kind:     by_value
    .group_segment_fixed_size: 0
    .kernarg_segment_align: 8
    .kernarg_segment_size: 112
    .language:       OpenCL C
    .language_version:
      - 2
      - 0
    .max_flat_workgroup_size: 256
    .name:           _ZN2ck27kernel_gemm_xdl_cshuffle_v3INS_28GridwiseGemm_xdl_cshuffle_v3INS_13tensor_layout4gemm8RowMajorENS3_11ColumnMajorES4_NS_9f8_fnuz_tENS_7pk_i4_tEfDF16_DF16_NS_16tensor_operation12element_wise11PassThroughESA_SA_LNS8_6device18GemmSpecializationE0ELi256ELi128ELi128ELi128ELi16ELi16ELi16ELi16ELi4ELi2ENS_8SequenceIJLi8ELi32ELi1EEEENSD_IJLi1ELi0ELi2EEEESF_Li2ELi16ELi16ELb0ELi0ENSD_IJLi4ELi64ELi1EEEESF_SF_Li2ELi16ELi16ELb0ELi0ELi1ELi1ENSD_IJLi1ELi32ELi1ELi8EEEELi4ELNS_26BlockGemmPipelineSchedulerE1ELNS_24BlockGemmPipelineVersionE1ES6_S6_Lb0ELb1ELb0ELi0ELb0EEELb1ELNS_25InMemoryDataOperationEnumE1ELi2ELNS_10TailNumberE10EEEvNT_8ArgumentE
    .private_segment_fixed_size: 0
    .sgpr_count:     4
    .sgpr_spill_count: 0
    .symbol:         _ZN2ck27kernel_gemm_xdl_cshuffle_v3INS_28GridwiseGemm_xdl_cshuffle_v3INS_13tensor_layout4gemm8RowMajorENS3_11ColumnMajorES4_NS_9f8_fnuz_tENS_7pk_i4_tEfDF16_DF16_NS_16tensor_operation12element_wise11PassThroughESA_SA_LNS8_6device18GemmSpecializationE0ELi256ELi128ELi128ELi128ELi16ELi16ELi16ELi16ELi4ELi2ENS_8SequenceIJLi8ELi32ELi1EEEENSD_IJLi1ELi0ELi2EEEESF_Li2ELi16ELi16ELb0ELi0ENSD_IJLi4ELi64ELi1EEEESF_SF_Li2ELi16ELi16ELb0ELi0ELi1ELi1ENSD_IJLi1ELi32ELi1ELi8EEEELi4ELNS_26BlockGemmPipelineSchedulerE1ELNS_24BlockGemmPipelineVersionE1ES6_S6_Lb0ELb1ELb0ELi0ELb0EEELb1ELNS_25InMemoryDataOperationEnumE1ELi2ELNS_10TailNumberE10EEEvNT_8ArgumentE.kd
    .uniform_work_group_size: 1
    .uses_dynamic_stack: false
    .vgpr_count:     0
    .vgpr_spill_count: 0
    .wavefront_size: 64
  - .agpr_count:     0
    .args:
      - .offset:         0
        .size:           112
        .value_kind:     by_value
    .group_segment_fixed_size: 0
    .kernarg_segment_align: 8
    .kernarg_segment_size: 112
    .language:       OpenCL C
    .language_version:
      - 2
      - 0
    .max_flat_workgroup_size: 256
    .name:           _ZN2ck27kernel_gemm_xdl_cshuffle_v3INS_28GridwiseGemm_xdl_cshuffle_v3INS_13tensor_layout4gemm8RowMajorENS3_11ColumnMajorES4_NS_9f8_fnuz_tENS_7pk_i4_tEfDF16_DF16_NS_16tensor_operation12element_wise11PassThroughESA_SA_LNS8_6device18GemmSpecializationE0ELi256ELi128ELi128ELi128ELi16ELi16ELi16ELi16ELi4ELi2ENS_8SequenceIJLi8ELi32ELi1EEEENSD_IJLi1ELi0ELi2EEEESF_Li2ELi16ELi16ELb0ELi0ENSD_IJLi4ELi64ELi1EEEESF_SF_Li2ELi16ELi16ELb0ELi0ELi1ELi1ENSD_IJLi1ELi32ELi1ELi8EEEELi4ELNS_26BlockGemmPipelineSchedulerE1ELNS_24BlockGemmPipelineVersionE1ES6_S6_Lb0ELb1ELb0ELi0ELb0EEELb1ELNS_25InMemoryDataOperationEnumE0ELi2ELNS_10TailNumberE2EEEvNT_8ArgumentE
    .private_segment_fixed_size: 0
    .sgpr_count:     4
    .sgpr_spill_count: 0
    .symbol:         _ZN2ck27kernel_gemm_xdl_cshuffle_v3INS_28GridwiseGemm_xdl_cshuffle_v3INS_13tensor_layout4gemm8RowMajorENS3_11ColumnMajorES4_NS_9f8_fnuz_tENS_7pk_i4_tEfDF16_DF16_NS_16tensor_operation12element_wise11PassThroughESA_SA_LNS8_6device18GemmSpecializationE0ELi256ELi128ELi128ELi128ELi16ELi16ELi16ELi16ELi4ELi2ENS_8SequenceIJLi8ELi32ELi1EEEENSD_IJLi1ELi0ELi2EEEESF_Li2ELi16ELi16ELb0ELi0ENSD_IJLi4ELi64ELi1EEEESF_SF_Li2ELi16ELi16ELb0ELi0ELi1ELi1ENSD_IJLi1ELi32ELi1ELi8EEEELi4ELNS_26BlockGemmPipelineSchedulerE1ELNS_24BlockGemmPipelineVersionE1ES6_S6_Lb0ELb1ELb0ELi0ELb0EEELb1ELNS_25InMemoryDataOperationEnumE0ELi2ELNS_10TailNumberE2EEEvNT_8ArgumentE.kd
    .uniform_work_group_size: 1
    .uses_dynamic_stack: false
    .vgpr_count:     0
    .vgpr_spill_count: 0
    .wavefront_size: 64
  - .agpr_count:     0
    .args:
      - .offset:         0
        .size:           112
        .value_kind:     by_value
    .group_segment_fixed_size: 0
    .kernarg_segment_align: 8
    .kernarg_segment_size: 112
    .language:       OpenCL C
    .language_version:
      - 2
      - 0
    .max_flat_workgroup_size: 256
    .name:           _ZN2ck27kernel_gemm_xdl_cshuffle_v3INS_28GridwiseGemm_xdl_cshuffle_v3INS_13tensor_layout4gemm8RowMajorENS3_11ColumnMajorES4_NS_9f8_fnuz_tENS_7pk_i4_tEfDF16_DF16_NS_16tensor_operation12element_wise11PassThroughESA_SA_LNS8_6device18GemmSpecializationE0ELi256ELi128ELi128ELi128ELi16ELi16ELi16ELi16ELi4ELi2ENS_8SequenceIJLi8ELi32ELi1EEEENSD_IJLi1ELi0ELi2EEEESF_Li2ELi16ELi16ELb0ELi0ENSD_IJLi4ELi64ELi1EEEESF_SF_Li2ELi16ELi16ELb0ELi0ELi1ELi1ENSD_IJLi1ELi32ELi1ELi8EEEELi4ELNS_26BlockGemmPipelineSchedulerE1ELNS_24BlockGemmPipelineVersionE1ES6_S6_Lb0ELb1ELb0ELi0ELb0EEELb1ELNS_25InMemoryDataOperationEnumE0ELi2ELNS_10TailNumberE10EEEvNT_8ArgumentE
    .private_segment_fixed_size: 0
    .sgpr_count:     4
    .sgpr_spill_count: 0
    .symbol:         _ZN2ck27kernel_gemm_xdl_cshuffle_v3INS_28GridwiseGemm_xdl_cshuffle_v3INS_13tensor_layout4gemm8RowMajorENS3_11ColumnMajorES4_NS_9f8_fnuz_tENS_7pk_i4_tEfDF16_DF16_NS_16tensor_operation12element_wise11PassThroughESA_SA_LNS8_6device18GemmSpecializationE0ELi256ELi128ELi128ELi128ELi16ELi16ELi16ELi16ELi4ELi2ENS_8SequenceIJLi8ELi32ELi1EEEENSD_IJLi1ELi0ELi2EEEESF_Li2ELi16ELi16ELb0ELi0ENSD_IJLi4ELi64ELi1EEEESF_SF_Li2ELi16ELi16ELb0ELi0ELi1ELi1ENSD_IJLi1ELi32ELi1ELi8EEEELi4ELNS_26BlockGemmPipelineSchedulerE1ELNS_24BlockGemmPipelineVersionE1ES6_S6_Lb0ELb1ELb0ELi0ELb0EEELb1ELNS_25InMemoryDataOperationEnumE0ELi2ELNS_10TailNumberE10EEEvNT_8ArgumentE.kd
    .uniform_work_group_size: 1
    .uses_dynamic_stack: false
    .vgpr_count:     0
    .vgpr_spill_count: 0
    .wavefront_size: 64
amdhsa.target:   amdgcn-amd-amdhsa--gfx90a
amdhsa.version:
  - 1
  - 2
...

	.end_amdgpu_metadata
